;; amdgpu-corpus repo=pytorch/pytorch kind=compiled arch=gfx1201 opt=O3
	.amdgcn_target "amdgcn-amd-amdhsa--gfx1201"
	.amdhsa_code_object_version 6
	.section	.text._ZN7rocprim17ROCPRIM_400000_NS6detail31init_lookback_scan_state_kernelINS1_19lookback_scan_stateIdLb0ELb1EEENS1_16block_id_wrapperIjLb0EEEEEvT_jT0_jPNS7_10value_typeE,"axG",@progbits,_ZN7rocprim17ROCPRIM_400000_NS6detail31init_lookback_scan_state_kernelINS1_19lookback_scan_stateIdLb0ELb1EEENS1_16block_id_wrapperIjLb0EEEEEvT_jT0_jPNS7_10value_typeE,comdat
	.protected	_ZN7rocprim17ROCPRIM_400000_NS6detail31init_lookback_scan_state_kernelINS1_19lookback_scan_stateIdLb0ELb1EEENS1_16block_id_wrapperIjLb0EEEEEvT_jT0_jPNS7_10value_typeE ; -- Begin function _ZN7rocprim17ROCPRIM_400000_NS6detail31init_lookback_scan_state_kernelINS1_19lookback_scan_stateIdLb0ELb1EEENS1_16block_id_wrapperIjLb0EEEEEvT_jT0_jPNS7_10value_typeE
	.globl	_ZN7rocprim17ROCPRIM_400000_NS6detail31init_lookback_scan_state_kernelINS1_19lookback_scan_stateIdLb0ELb1EEENS1_16block_id_wrapperIjLb0EEEEEvT_jT0_jPNS7_10value_typeE
	.p2align	8
	.type	_ZN7rocprim17ROCPRIM_400000_NS6detail31init_lookback_scan_state_kernelINS1_19lookback_scan_stateIdLb0ELb1EEENS1_16block_id_wrapperIjLb0EEEEEvT_jT0_jPNS7_10value_typeE,@function
_ZN7rocprim17ROCPRIM_400000_NS6detail31init_lookback_scan_state_kernelINS1_19lookback_scan_stateIdLb0ELb1EEENS1_16block_id_wrapperIjLb0EEEEEvT_jT0_jPNS7_10value_typeE: ; @_ZN7rocprim17ROCPRIM_400000_NS6detail31init_lookback_scan_state_kernelINS1_19lookback_scan_stateIdLb0ELb1EEENS1_16block_id_wrapperIjLb0EEEEEvT_jT0_jPNS7_10value_typeE
; %bb.0:
	s_clause 0x2
	s_load_b32 s7, s[0:1], 0x2c
	s_load_b64 s[2:3], s[0:1], 0x18
	s_load_b96 s[4:6], s[0:1], 0x0
	s_wait_kmcnt 0x0
	s_and_b32 s7, s7, 0xffff
	s_cmp_eq_u64 s[2:3], 0
	v_mad_co_u64_u32 v[0:1], null, ttmp9, s7, v[0:1]
	s_cbranch_scc1 .LBB0_8
; %bb.1:
	s_load_b32 s0, s[0:1], 0x10
	s_wait_kmcnt 0x0
	s_cmp_lt_u32 s0, s6
	s_cselect_b32 s1, s0, 0
	s_wait_alu 0xfffe
	v_cmp_eq_u32_e32 vcc_lo, s1, v0
	s_mov_b32 s1, 0
	s_and_saveexec_b32 s7, vcc_lo
	s_cbranch_execz .LBB0_7
; %bb.2:
	s_add_co_i32 s0, s0, 32
	s_mov_b32 s8, exec_lo
	s_wait_alu 0xfffe
	s_lshl_b64 s[0:1], s[0:1], 4
	v_mov_b32_e32 v5, 0
	s_wait_alu 0xfffe
	s_add_nc_u64 s[0:1], s[4:5], s[0:1]
	s_wait_alu 0xfffe
	v_dual_mov_b32 v2, s1 :: v_dual_mov_b32 v1, s0
	;;#ASMSTART
	global_load_b128 v[1:4], v[1:2] off scope:SCOPE_DEV	
s_wait_loadcnt 0x0
	;;#ASMEND
	v_and_b32_e32 v4, 0xff, v3
	s_delay_alu instid0(VALU_DEP_1)
	v_cmpx_eq_u64_e32 0, v[4:5]
	s_cbranch_execz .LBB0_6
; %bb.3:
	v_dual_mov_b32 v7, s1 :: v_dual_mov_b32 v6, s0
	s_mov_b32 s0, 0
.LBB0_4:                                ; =>This Inner Loop Header: Depth=1
	;;#ASMSTART
	global_load_b128 v[1:4], v[6:7] off scope:SCOPE_DEV	
s_wait_loadcnt 0x0
	;;#ASMEND
	v_and_b32_e32 v4, 0xff, v3
	s_delay_alu instid0(VALU_DEP_1)
	v_cmp_ne_u64_e32 vcc_lo, 0, v[4:5]
	s_wait_alu 0xfffe
	s_or_b32 s0, vcc_lo, s0
	s_wait_alu 0xfffe
	s_and_not1_b32 exec_lo, exec_lo, s0
	s_cbranch_execnz .LBB0_4
; %bb.5:
	s_or_b32 exec_lo, exec_lo, s0
.LBB0_6:
	s_delay_alu instid0(SALU_CYCLE_1)
	s_or_b32 exec_lo, exec_lo, s8
	v_mov_b32_e32 v3, 0
	global_store_b64 v3, v[1:2], s[2:3]
.LBB0_7:
	s_wait_alu 0xfffe
	s_or_b32 exec_lo, exec_lo, s7
.LBB0_8:
	s_delay_alu instid0(SALU_CYCLE_1)
	s_mov_b32 s0, exec_lo
	v_cmpx_gt_u32_e64 s6, v0
	s_cbranch_execz .LBB0_10
; %bb.9:
	v_dual_mov_b32 v2, 0 :: v_dual_add_nc_u32 v1, 32, v0
	s_delay_alu instid0(VALU_DEP_1) | instskip(SKIP_2) | instid1(VALU_DEP_3)
	v_lshlrev_b64_e32 v[4:5], 4, v[1:2]
	v_mov_b32_e32 v1, v2
	v_mov_b32_e32 v3, v2
	v_add_co_u32 v6, vcc_lo, s4, v4
	s_delay_alu instid0(VALU_DEP_1)
	v_add_co_ci_u32_e64 v7, null, s5, v5, vcc_lo
	v_mov_b32_e32 v4, v2
	global_store_b128 v[6:7], v[1:4], off
.LBB0_10:
	s_wait_alu 0xfffe
	s_or_b32 exec_lo, exec_lo, s0
	s_delay_alu instid0(SALU_CYCLE_1)
	s_mov_b32 s0, exec_lo
	v_cmpx_gt_u32_e32 32, v0
	s_cbranch_execz .LBB0_12
; %bb.11:
	v_dual_mov_b32 v1, 0 :: v_dual_mov_b32 v2, 0xff
	s_delay_alu instid0(VALU_DEP_1) | instskip(SKIP_1) | instid1(VALU_DEP_2)
	v_lshlrev_b64_e32 v[3:4], 4, v[0:1]
	v_mov_b32_e32 v0, v1
	v_add_co_u32 v5, vcc_lo, s4, v3
	s_wait_alu 0xfffd
	s_delay_alu instid0(VALU_DEP_3)
	v_add_co_ci_u32_e64 v6, null, s5, v4, vcc_lo
	v_mov_b32_e32 v3, v1
	global_store_b128 v[5:6], v[0:3], off
.LBB0_12:
	s_endpgm
	.section	.rodata,"a",@progbits
	.p2align	6, 0x0
	.amdhsa_kernel _ZN7rocprim17ROCPRIM_400000_NS6detail31init_lookback_scan_state_kernelINS1_19lookback_scan_stateIdLb0ELb1EEENS1_16block_id_wrapperIjLb0EEEEEvT_jT0_jPNS7_10value_typeE
		.amdhsa_group_segment_fixed_size 0
		.amdhsa_private_segment_fixed_size 0
		.amdhsa_kernarg_size 288
		.amdhsa_user_sgpr_count 2
		.amdhsa_user_sgpr_dispatch_ptr 0
		.amdhsa_user_sgpr_queue_ptr 0
		.amdhsa_user_sgpr_kernarg_segment_ptr 1
		.amdhsa_user_sgpr_dispatch_id 0
		.amdhsa_user_sgpr_private_segment_size 0
		.amdhsa_wavefront_size32 1
		.amdhsa_uses_dynamic_stack 0
		.amdhsa_enable_private_segment 0
		.amdhsa_system_sgpr_workgroup_id_x 1
		.amdhsa_system_sgpr_workgroup_id_y 0
		.amdhsa_system_sgpr_workgroup_id_z 0
		.amdhsa_system_sgpr_workgroup_info 0
		.amdhsa_system_vgpr_workitem_id 0
		.amdhsa_next_free_vgpr 8
		.amdhsa_next_free_sgpr 9
		.amdhsa_reserve_vcc 1
		.amdhsa_float_round_mode_32 0
		.amdhsa_float_round_mode_16_64 0
		.amdhsa_float_denorm_mode_32 3
		.amdhsa_float_denorm_mode_16_64 3
		.amdhsa_fp16_overflow 0
		.amdhsa_workgroup_processor_mode 1
		.amdhsa_memory_ordered 1
		.amdhsa_forward_progress 1
		.amdhsa_inst_pref_size 4
		.amdhsa_round_robin_scheduling 0
		.amdhsa_exception_fp_ieee_invalid_op 0
		.amdhsa_exception_fp_denorm_src 0
		.amdhsa_exception_fp_ieee_div_zero 0
		.amdhsa_exception_fp_ieee_overflow 0
		.amdhsa_exception_fp_ieee_underflow 0
		.amdhsa_exception_fp_ieee_inexact 0
		.amdhsa_exception_int_div_zero 0
	.end_amdhsa_kernel
	.section	.text._ZN7rocprim17ROCPRIM_400000_NS6detail31init_lookback_scan_state_kernelINS1_19lookback_scan_stateIdLb0ELb1EEENS1_16block_id_wrapperIjLb0EEEEEvT_jT0_jPNS7_10value_typeE,"axG",@progbits,_ZN7rocprim17ROCPRIM_400000_NS6detail31init_lookback_scan_state_kernelINS1_19lookback_scan_stateIdLb0ELb1EEENS1_16block_id_wrapperIjLb0EEEEEvT_jT0_jPNS7_10value_typeE,comdat
.Lfunc_end0:
	.size	_ZN7rocprim17ROCPRIM_400000_NS6detail31init_lookback_scan_state_kernelINS1_19lookback_scan_stateIdLb0ELb1EEENS1_16block_id_wrapperIjLb0EEEEEvT_jT0_jPNS7_10value_typeE, .Lfunc_end0-_ZN7rocprim17ROCPRIM_400000_NS6detail31init_lookback_scan_state_kernelINS1_19lookback_scan_stateIdLb0ELb1EEENS1_16block_id_wrapperIjLb0EEEEEvT_jT0_jPNS7_10value_typeE
                                        ; -- End function
	.set _ZN7rocprim17ROCPRIM_400000_NS6detail31init_lookback_scan_state_kernelINS1_19lookback_scan_stateIdLb0ELb1EEENS1_16block_id_wrapperIjLb0EEEEEvT_jT0_jPNS7_10value_typeE.num_vgpr, 8
	.set _ZN7rocprim17ROCPRIM_400000_NS6detail31init_lookback_scan_state_kernelINS1_19lookback_scan_stateIdLb0ELb1EEENS1_16block_id_wrapperIjLb0EEEEEvT_jT0_jPNS7_10value_typeE.num_agpr, 0
	.set _ZN7rocprim17ROCPRIM_400000_NS6detail31init_lookback_scan_state_kernelINS1_19lookback_scan_stateIdLb0ELb1EEENS1_16block_id_wrapperIjLb0EEEEEvT_jT0_jPNS7_10value_typeE.numbered_sgpr, 9
	.set _ZN7rocprim17ROCPRIM_400000_NS6detail31init_lookback_scan_state_kernelINS1_19lookback_scan_stateIdLb0ELb1EEENS1_16block_id_wrapperIjLb0EEEEEvT_jT0_jPNS7_10value_typeE.num_named_barrier, 0
	.set _ZN7rocprim17ROCPRIM_400000_NS6detail31init_lookback_scan_state_kernelINS1_19lookback_scan_stateIdLb0ELb1EEENS1_16block_id_wrapperIjLb0EEEEEvT_jT0_jPNS7_10value_typeE.private_seg_size, 0
	.set _ZN7rocprim17ROCPRIM_400000_NS6detail31init_lookback_scan_state_kernelINS1_19lookback_scan_stateIdLb0ELb1EEENS1_16block_id_wrapperIjLb0EEEEEvT_jT0_jPNS7_10value_typeE.uses_vcc, 1
	.set _ZN7rocprim17ROCPRIM_400000_NS6detail31init_lookback_scan_state_kernelINS1_19lookback_scan_stateIdLb0ELb1EEENS1_16block_id_wrapperIjLb0EEEEEvT_jT0_jPNS7_10value_typeE.uses_flat_scratch, 0
	.set _ZN7rocprim17ROCPRIM_400000_NS6detail31init_lookback_scan_state_kernelINS1_19lookback_scan_stateIdLb0ELb1EEENS1_16block_id_wrapperIjLb0EEEEEvT_jT0_jPNS7_10value_typeE.has_dyn_sized_stack, 0
	.set _ZN7rocprim17ROCPRIM_400000_NS6detail31init_lookback_scan_state_kernelINS1_19lookback_scan_stateIdLb0ELb1EEENS1_16block_id_wrapperIjLb0EEEEEvT_jT0_jPNS7_10value_typeE.has_recursion, 0
	.set _ZN7rocprim17ROCPRIM_400000_NS6detail31init_lookback_scan_state_kernelINS1_19lookback_scan_stateIdLb0ELb1EEENS1_16block_id_wrapperIjLb0EEEEEvT_jT0_jPNS7_10value_typeE.has_indirect_call, 0
	.section	.AMDGPU.csdata,"",@progbits
; Kernel info:
; codeLenInByte = 412
; TotalNumSgprs: 11
; NumVgprs: 8
; ScratchSize: 0
; MemoryBound: 0
; FloatMode: 240
; IeeeMode: 1
; LDSByteSize: 0 bytes/workgroup (compile time only)
; SGPRBlocks: 0
; VGPRBlocks: 0
; NumSGPRsForWavesPerEU: 11
; NumVGPRsForWavesPerEU: 8
; Occupancy: 16
; WaveLimiterHint : 0
; COMPUTE_PGM_RSRC2:SCRATCH_EN: 0
; COMPUTE_PGM_RSRC2:USER_SGPR: 2
; COMPUTE_PGM_RSRC2:TRAP_HANDLER: 0
; COMPUTE_PGM_RSRC2:TGID_X_EN: 1
; COMPUTE_PGM_RSRC2:TGID_Y_EN: 0
; COMPUTE_PGM_RSRC2:TGID_Z_EN: 0
; COMPUTE_PGM_RSRC2:TIDIG_COMP_CNT: 0
	.section	.text._ZN7rocprim17ROCPRIM_400000_NS6detail17trampoline_kernelINS0_14default_configENS1_20scan_config_selectorIdEEZZNS1_9scan_implILNS1_25lookback_scan_determinismE0ELb0ELb0ES3_PKdPddZZZN2at6native31launch_logcumsumexp_cuda_kernelERKNSB_10TensorBaseESF_lENKUlvE_clEvENKUlvE_clEvEUlddE_dEEDaPvRmT3_T4_T5_mT6_P12ihipStream_tbENKUlT_T0_E_clISt17integral_constantIbLb0EESW_EEDaSR_SS_EUlSR_E_NS1_11comp_targetILNS1_3genE0ELNS1_11target_archE4294967295ELNS1_3gpuE0ELNS1_3repE0EEENS1_30default_config_static_selectorELNS0_4arch9wavefront6targetE0EEEvT1_,"axG",@progbits,_ZN7rocprim17ROCPRIM_400000_NS6detail17trampoline_kernelINS0_14default_configENS1_20scan_config_selectorIdEEZZNS1_9scan_implILNS1_25lookback_scan_determinismE0ELb0ELb0ES3_PKdPddZZZN2at6native31launch_logcumsumexp_cuda_kernelERKNSB_10TensorBaseESF_lENKUlvE_clEvENKUlvE_clEvEUlddE_dEEDaPvRmT3_T4_T5_mT6_P12ihipStream_tbENKUlT_T0_E_clISt17integral_constantIbLb0EESW_EEDaSR_SS_EUlSR_E_NS1_11comp_targetILNS1_3genE0ELNS1_11target_archE4294967295ELNS1_3gpuE0ELNS1_3repE0EEENS1_30default_config_static_selectorELNS0_4arch9wavefront6targetE0EEEvT1_,comdat
	.globl	_ZN7rocprim17ROCPRIM_400000_NS6detail17trampoline_kernelINS0_14default_configENS1_20scan_config_selectorIdEEZZNS1_9scan_implILNS1_25lookback_scan_determinismE0ELb0ELb0ES3_PKdPddZZZN2at6native31launch_logcumsumexp_cuda_kernelERKNSB_10TensorBaseESF_lENKUlvE_clEvENKUlvE_clEvEUlddE_dEEDaPvRmT3_T4_T5_mT6_P12ihipStream_tbENKUlT_T0_E_clISt17integral_constantIbLb0EESW_EEDaSR_SS_EUlSR_E_NS1_11comp_targetILNS1_3genE0ELNS1_11target_archE4294967295ELNS1_3gpuE0ELNS1_3repE0EEENS1_30default_config_static_selectorELNS0_4arch9wavefront6targetE0EEEvT1_ ; -- Begin function _ZN7rocprim17ROCPRIM_400000_NS6detail17trampoline_kernelINS0_14default_configENS1_20scan_config_selectorIdEEZZNS1_9scan_implILNS1_25lookback_scan_determinismE0ELb0ELb0ES3_PKdPddZZZN2at6native31launch_logcumsumexp_cuda_kernelERKNSB_10TensorBaseESF_lENKUlvE_clEvENKUlvE_clEvEUlddE_dEEDaPvRmT3_T4_T5_mT6_P12ihipStream_tbENKUlT_T0_E_clISt17integral_constantIbLb0EESW_EEDaSR_SS_EUlSR_E_NS1_11comp_targetILNS1_3genE0ELNS1_11target_archE4294967295ELNS1_3gpuE0ELNS1_3repE0EEENS1_30default_config_static_selectorELNS0_4arch9wavefront6targetE0EEEvT1_
	.p2align	8
	.type	_ZN7rocprim17ROCPRIM_400000_NS6detail17trampoline_kernelINS0_14default_configENS1_20scan_config_selectorIdEEZZNS1_9scan_implILNS1_25lookback_scan_determinismE0ELb0ELb0ES3_PKdPddZZZN2at6native31launch_logcumsumexp_cuda_kernelERKNSB_10TensorBaseESF_lENKUlvE_clEvENKUlvE_clEvEUlddE_dEEDaPvRmT3_T4_T5_mT6_P12ihipStream_tbENKUlT_T0_E_clISt17integral_constantIbLb0EESW_EEDaSR_SS_EUlSR_E_NS1_11comp_targetILNS1_3genE0ELNS1_11target_archE4294967295ELNS1_3gpuE0ELNS1_3repE0EEENS1_30default_config_static_selectorELNS0_4arch9wavefront6targetE0EEEvT1_,@function
_ZN7rocprim17ROCPRIM_400000_NS6detail17trampoline_kernelINS0_14default_configENS1_20scan_config_selectorIdEEZZNS1_9scan_implILNS1_25lookback_scan_determinismE0ELb0ELb0ES3_PKdPddZZZN2at6native31launch_logcumsumexp_cuda_kernelERKNSB_10TensorBaseESF_lENKUlvE_clEvENKUlvE_clEvEUlddE_dEEDaPvRmT3_T4_T5_mT6_P12ihipStream_tbENKUlT_T0_E_clISt17integral_constantIbLb0EESW_EEDaSR_SS_EUlSR_E_NS1_11comp_targetILNS1_3genE0ELNS1_11target_archE4294967295ELNS1_3gpuE0ELNS1_3repE0EEENS1_30default_config_static_selectorELNS0_4arch9wavefront6targetE0EEEvT1_: ; @_ZN7rocprim17ROCPRIM_400000_NS6detail17trampoline_kernelINS0_14default_configENS1_20scan_config_selectorIdEEZZNS1_9scan_implILNS1_25lookback_scan_determinismE0ELb0ELb0ES3_PKdPddZZZN2at6native31launch_logcumsumexp_cuda_kernelERKNSB_10TensorBaseESF_lENKUlvE_clEvENKUlvE_clEvEUlddE_dEEDaPvRmT3_T4_T5_mT6_P12ihipStream_tbENKUlT_T0_E_clISt17integral_constantIbLb0EESW_EEDaSR_SS_EUlSR_E_NS1_11comp_targetILNS1_3genE0ELNS1_11target_archE4294967295ELNS1_3gpuE0ELNS1_3repE0EEENS1_30default_config_static_selectorELNS0_4arch9wavefront6targetE0EEEvT1_
; %bb.0:
	.section	.rodata,"a",@progbits
	.p2align	6, 0x0
	.amdhsa_kernel _ZN7rocprim17ROCPRIM_400000_NS6detail17trampoline_kernelINS0_14default_configENS1_20scan_config_selectorIdEEZZNS1_9scan_implILNS1_25lookback_scan_determinismE0ELb0ELb0ES3_PKdPddZZZN2at6native31launch_logcumsumexp_cuda_kernelERKNSB_10TensorBaseESF_lENKUlvE_clEvENKUlvE_clEvEUlddE_dEEDaPvRmT3_T4_T5_mT6_P12ihipStream_tbENKUlT_T0_E_clISt17integral_constantIbLb0EESW_EEDaSR_SS_EUlSR_E_NS1_11comp_targetILNS1_3genE0ELNS1_11target_archE4294967295ELNS1_3gpuE0ELNS1_3repE0EEENS1_30default_config_static_selectorELNS0_4arch9wavefront6targetE0EEEvT1_
		.amdhsa_group_segment_fixed_size 0
		.amdhsa_private_segment_fixed_size 0
		.amdhsa_kernarg_size 104
		.amdhsa_user_sgpr_count 2
		.amdhsa_user_sgpr_dispatch_ptr 0
		.amdhsa_user_sgpr_queue_ptr 0
		.amdhsa_user_sgpr_kernarg_segment_ptr 1
		.amdhsa_user_sgpr_dispatch_id 0
		.amdhsa_user_sgpr_private_segment_size 0
		.amdhsa_wavefront_size32 1
		.amdhsa_uses_dynamic_stack 0
		.amdhsa_enable_private_segment 0
		.amdhsa_system_sgpr_workgroup_id_x 1
		.amdhsa_system_sgpr_workgroup_id_y 0
		.amdhsa_system_sgpr_workgroup_id_z 0
		.amdhsa_system_sgpr_workgroup_info 0
		.amdhsa_system_vgpr_workitem_id 0
		.amdhsa_next_free_vgpr 1
		.amdhsa_next_free_sgpr 1
		.amdhsa_reserve_vcc 0
		.amdhsa_float_round_mode_32 0
		.amdhsa_float_round_mode_16_64 0
		.amdhsa_float_denorm_mode_32 3
		.amdhsa_float_denorm_mode_16_64 3
		.amdhsa_fp16_overflow 0
		.amdhsa_workgroup_processor_mode 1
		.amdhsa_memory_ordered 1
		.amdhsa_forward_progress 1
		.amdhsa_inst_pref_size 0
		.amdhsa_round_robin_scheduling 0
		.amdhsa_exception_fp_ieee_invalid_op 0
		.amdhsa_exception_fp_denorm_src 0
		.amdhsa_exception_fp_ieee_div_zero 0
		.amdhsa_exception_fp_ieee_overflow 0
		.amdhsa_exception_fp_ieee_underflow 0
		.amdhsa_exception_fp_ieee_inexact 0
		.amdhsa_exception_int_div_zero 0
	.end_amdhsa_kernel
	.section	.text._ZN7rocprim17ROCPRIM_400000_NS6detail17trampoline_kernelINS0_14default_configENS1_20scan_config_selectorIdEEZZNS1_9scan_implILNS1_25lookback_scan_determinismE0ELb0ELb0ES3_PKdPddZZZN2at6native31launch_logcumsumexp_cuda_kernelERKNSB_10TensorBaseESF_lENKUlvE_clEvENKUlvE_clEvEUlddE_dEEDaPvRmT3_T4_T5_mT6_P12ihipStream_tbENKUlT_T0_E_clISt17integral_constantIbLb0EESW_EEDaSR_SS_EUlSR_E_NS1_11comp_targetILNS1_3genE0ELNS1_11target_archE4294967295ELNS1_3gpuE0ELNS1_3repE0EEENS1_30default_config_static_selectorELNS0_4arch9wavefront6targetE0EEEvT1_,"axG",@progbits,_ZN7rocprim17ROCPRIM_400000_NS6detail17trampoline_kernelINS0_14default_configENS1_20scan_config_selectorIdEEZZNS1_9scan_implILNS1_25lookback_scan_determinismE0ELb0ELb0ES3_PKdPddZZZN2at6native31launch_logcumsumexp_cuda_kernelERKNSB_10TensorBaseESF_lENKUlvE_clEvENKUlvE_clEvEUlddE_dEEDaPvRmT3_T4_T5_mT6_P12ihipStream_tbENKUlT_T0_E_clISt17integral_constantIbLb0EESW_EEDaSR_SS_EUlSR_E_NS1_11comp_targetILNS1_3genE0ELNS1_11target_archE4294967295ELNS1_3gpuE0ELNS1_3repE0EEENS1_30default_config_static_selectorELNS0_4arch9wavefront6targetE0EEEvT1_,comdat
.Lfunc_end1:
	.size	_ZN7rocprim17ROCPRIM_400000_NS6detail17trampoline_kernelINS0_14default_configENS1_20scan_config_selectorIdEEZZNS1_9scan_implILNS1_25lookback_scan_determinismE0ELb0ELb0ES3_PKdPddZZZN2at6native31launch_logcumsumexp_cuda_kernelERKNSB_10TensorBaseESF_lENKUlvE_clEvENKUlvE_clEvEUlddE_dEEDaPvRmT3_T4_T5_mT6_P12ihipStream_tbENKUlT_T0_E_clISt17integral_constantIbLb0EESW_EEDaSR_SS_EUlSR_E_NS1_11comp_targetILNS1_3genE0ELNS1_11target_archE4294967295ELNS1_3gpuE0ELNS1_3repE0EEENS1_30default_config_static_selectorELNS0_4arch9wavefront6targetE0EEEvT1_, .Lfunc_end1-_ZN7rocprim17ROCPRIM_400000_NS6detail17trampoline_kernelINS0_14default_configENS1_20scan_config_selectorIdEEZZNS1_9scan_implILNS1_25lookback_scan_determinismE0ELb0ELb0ES3_PKdPddZZZN2at6native31launch_logcumsumexp_cuda_kernelERKNSB_10TensorBaseESF_lENKUlvE_clEvENKUlvE_clEvEUlddE_dEEDaPvRmT3_T4_T5_mT6_P12ihipStream_tbENKUlT_T0_E_clISt17integral_constantIbLb0EESW_EEDaSR_SS_EUlSR_E_NS1_11comp_targetILNS1_3genE0ELNS1_11target_archE4294967295ELNS1_3gpuE0ELNS1_3repE0EEENS1_30default_config_static_selectorELNS0_4arch9wavefront6targetE0EEEvT1_
                                        ; -- End function
	.set _ZN7rocprim17ROCPRIM_400000_NS6detail17trampoline_kernelINS0_14default_configENS1_20scan_config_selectorIdEEZZNS1_9scan_implILNS1_25lookback_scan_determinismE0ELb0ELb0ES3_PKdPddZZZN2at6native31launch_logcumsumexp_cuda_kernelERKNSB_10TensorBaseESF_lENKUlvE_clEvENKUlvE_clEvEUlddE_dEEDaPvRmT3_T4_T5_mT6_P12ihipStream_tbENKUlT_T0_E_clISt17integral_constantIbLb0EESW_EEDaSR_SS_EUlSR_E_NS1_11comp_targetILNS1_3genE0ELNS1_11target_archE4294967295ELNS1_3gpuE0ELNS1_3repE0EEENS1_30default_config_static_selectorELNS0_4arch9wavefront6targetE0EEEvT1_.num_vgpr, 0
	.set _ZN7rocprim17ROCPRIM_400000_NS6detail17trampoline_kernelINS0_14default_configENS1_20scan_config_selectorIdEEZZNS1_9scan_implILNS1_25lookback_scan_determinismE0ELb0ELb0ES3_PKdPddZZZN2at6native31launch_logcumsumexp_cuda_kernelERKNSB_10TensorBaseESF_lENKUlvE_clEvENKUlvE_clEvEUlddE_dEEDaPvRmT3_T4_T5_mT6_P12ihipStream_tbENKUlT_T0_E_clISt17integral_constantIbLb0EESW_EEDaSR_SS_EUlSR_E_NS1_11comp_targetILNS1_3genE0ELNS1_11target_archE4294967295ELNS1_3gpuE0ELNS1_3repE0EEENS1_30default_config_static_selectorELNS0_4arch9wavefront6targetE0EEEvT1_.num_agpr, 0
	.set _ZN7rocprim17ROCPRIM_400000_NS6detail17trampoline_kernelINS0_14default_configENS1_20scan_config_selectorIdEEZZNS1_9scan_implILNS1_25lookback_scan_determinismE0ELb0ELb0ES3_PKdPddZZZN2at6native31launch_logcumsumexp_cuda_kernelERKNSB_10TensorBaseESF_lENKUlvE_clEvENKUlvE_clEvEUlddE_dEEDaPvRmT3_T4_T5_mT6_P12ihipStream_tbENKUlT_T0_E_clISt17integral_constantIbLb0EESW_EEDaSR_SS_EUlSR_E_NS1_11comp_targetILNS1_3genE0ELNS1_11target_archE4294967295ELNS1_3gpuE0ELNS1_3repE0EEENS1_30default_config_static_selectorELNS0_4arch9wavefront6targetE0EEEvT1_.numbered_sgpr, 0
	.set _ZN7rocprim17ROCPRIM_400000_NS6detail17trampoline_kernelINS0_14default_configENS1_20scan_config_selectorIdEEZZNS1_9scan_implILNS1_25lookback_scan_determinismE0ELb0ELb0ES3_PKdPddZZZN2at6native31launch_logcumsumexp_cuda_kernelERKNSB_10TensorBaseESF_lENKUlvE_clEvENKUlvE_clEvEUlddE_dEEDaPvRmT3_T4_T5_mT6_P12ihipStream_tbENKUlT_T0_E_clISt17integral_constantIbLb0EESW_EEDaSR_SS_EUlSR_E_NS1_11comp_targetILNS1_3genE0ELNS1_11target_archE4294967295ELNS1_3gpuE0ELNS1_3repE0EEENS1_30default_config_static_selectorELNS0_4arch9wavefront6targetE0EEEvT1_.num_named_barrier, 0
	.set _ZN7rocprim17ROCPRIM_400000_NS6detail17trampoline_kernelINS0_14default_configENS1_20scan_config_selectorIdEEZZNS1_9scan_implILNS1_25lookback_scan_determinismE0ELb0ELb0ES3_PKdPddZZZN2at6native31launch_logcumsumexp_cuda_kernelERKNSB_10TensorBaseESF_lENKUlvE_clEvENKUlvE_clEvEUlddE_dEEDaPvRmT3_T4_T5_mT6_P12ihipStream_tbENKUlT_T0_E_clISt17integral_constantIbLb0EESW_EEDaSR_SS_EUlSR_E_NS1_11comp_targetILNS1_3genE0ELNS1_11target_archE4294967295ELNS1_3gpuE0ELNS1_3repE0EEENS1_30default_config_static_selectorELNS0_4arch9wavefront6targetE0EEEvT1_.private_seg_size, 0
	.set _ZN7rocprim17ROCPRIM_400000_NS6detail17trampoline_kernelINS0_14default_configENS1_20scan_config_selectorIdEEZZNS1_9scan_implILNS1_25lookback_scan_determinismE0ELb0ELb0ES3_PKdPddZZZN2at6native31launch_logcumsumexp_cuda_kernelERKNSB_10TensorBaseESF_lENKUlvE_clEvENKUlvE_clEvEUlddE_dEEDaPvRmT3_T4_T5_mT6_P12ihipStream_tbENKUlT_T0_E_clISt17integral_constantIbLb0EESW_EEDaSR_SS_EUlSR_E_NS1_11comp_targetILNS1_3genE0ELNS1_11target_archE4294967295ELNS1_3gpuE0ELNS1_3repE0EEENS1_30default_config_static_selectorELNS0_4arch9wavefront6targetE0EEEvT1_.uses_vcc, 0
	.set _ZN7rocprim17ROCPRIM_400000_NS6detail17trampoline_kernelINS0_14default_configENS1_20scan_config_selectorIdEEZZNS1_9scan_implILNS1_25lookback_scan_determinismE0ELb0ELb0ES3_PKdPddZZZN2at6native31launch_logcumsumexp_cuda_kernelERKNSB_10TensorBaseESF_lENKUlvE_clEvENKUlvE_clEvEUlddE_dEEDaPvRmT3_T4_T5_mT6_P12ihipStream_tbENKUlT_T0_E_clISt17integral_constantIbLb0EESW_EEDaSR_SS_EUlSR_E_NS1_11comp_targetILNS1_3genE0ELNS1_11target_archE4294967295ELNS1_3gpuE0ELNS1_3repE0EEENS1_30default_config_static_selectorELNS0_4arch9wavefront6targetE0EEEvT1_.uses_flat_scratch, 0
	.set _ZN7rocprim17ROCPRIM_400000_NS6detail17trampoline_kernelINS0_14default_configENS1_20scan_config_selectorIdEEZZNS1_9scan_implILNS1_25lookback_scan_determinismE0ELb0ELb0ES3_PKdPddZZZN2at6native31launch_logcumsumexp_cuda_kernelERKNSB_10TensorBaseESF_lENKUlvE_clEvENKUlvE_clEvEUlddE_dEEDaPvRmT3_T4_T5_mT6_P12ihipStream_tbENKUlT_T0_E_clISt17integral_constantIbLb0EESW_EEDaSR_SS_EUlSR_E_NS1_11comp_targetILNS1_3genE0ELNS1_11target_archE4294967295ELNS1_3gpuE0ELNS1_3repE0EEENS1_30default_config_static_selectorELNS0_4arch9wavefront6targetE0EEEvT1_.has_dyn_sized_stack, 0
	.set _ZN7rocprim17ROCPRIM_400000_NS6detail17trampoline_kernelINS0_14default_configENS1_20scan_config_selectorIdEEZZNS1_9scan_implILNS1_25lookback_scan_determinismE0ELb0ELb0ES3_PKdPddZZZN2at6native31launch_logcumsumexp_cuda_kernelERKNSB_10TensorBaseESF_lENKUlvE_clEvENKUlvE_clEvEUlddE_dEEDaPvRmT3_T4_T5_mT6_P12ihipStream_tbENKUlT_T0_E_clISt17integral_constantIbLb0EESW_EEDaSR_SS_EUlSR_E_NS1_11comp_targetILNS1_3genE0ELNS1_11target_archE4294967295ELNS1_3gpuE0ELNS1_3repE0EEENS1_30default_config_static_selectorELNS0_4arch9wavefront6targetE0EEEvT1_.has_recursion, 0
	.set _ZN7rocprim17ROCPRIM_400000_NS6detail17trampoline_kernelINS0_14default_configENS1_20scan_config_selectorIdEEZZNS1_9scan_implILNS1_25lookback_scan_determinismE0ELb0ELb0ES3_PKdPddZZZN2at6native31launch_logcumsumexp_cuda_kernelERKNSB_10TensorBaseESF_lENKUlvE_clEvENKUlvE_clEvEUlddE_dEEDaPvRmT3_T4_T5_mT6_P12ihipStream_tbENKUlT_T0_E_clISt17integral_constantIbLb0EESW_EEDaSR_SS_EUlSR_E_NS1_11comp_targetILNS1_3genE0ELNS1_11target_archE4294967295ELNS1_3gpuE0ELNS1_3repE0EEENS1_30default_config_static_selectorELNS0_4arch9wavefront6targetE0EEEvT1_.has_indirect_call, 0
	.section	.AMDGPU.csdata,"",@progbits
; Kernel info:
; codeLenInByte = 0
; TotalNumSgprs: 0
; NumVgprs: 0
; ScratchSize: 0
; MemoryBound: 0
; FloatMode: 240
; IeeeMode: 1
; LDSByteSize: 0 bytes/workgroup (compile time only)
; SGPRBlocks: 0
; VGPRBlocks: 0
; NumSGPRsForWavesPerEU: 1
; NumVGPRsForWavesPerEU: 1
; Occupancy: 16
; WaveLimiterHint : 0
; COMPUTE_PGM_RSRC2:SCRATCH_EN: 0
; COMPUTE_PGM_RSRC2:USER_SGPR: 2
; COMPUTE_PGM_RSRC2:TRAP_HANDLER: 0
; COMPUTE_PGM_RSRC2:TGID_X_EN: 1
; COMPUTE_PGM_RSRC2:TGID_Y_EN: 0
; COMPUTE_PGM_RSRC2:TGID_Z_EN: 0
; COMPUTE_PGM_RSRC2:TIDIG_COMP_CNT: 0
	.section	.text._ZN7rocprim17ROCPRIM_400000_NS6detail17trampoline_kernelINS0_14default_configENS1_20scan_config_selectorIdEEZZNS1_9scan_implILNS1_25lookback_scan_determinismE0ELb0ELb0ES3_PKdPddZZZN2at6native31launch_logcumsumexp_cuda_kernelERKNSB_10TensorBaseESF_lENKUlvE_clEvENKUlvE_clEvEUlddE_dEEDaPvRmT3_T4_T5_mT6_P12ihipStream_tbENKUlT_T0_E_clISt17integral_constantIbLb0EESW_EEDaSR_SS_EUlSR_E_NS1_11comp_targetILNS1_3genE5ELNS1_11target_archE942ELNS1_3gpuE9ELNS1_3repE0EEENS1_30default_config_static_selectorELNS0_4arch9wavefront6targetE0EEEvT1_,"axG",@progbits,_ZN7rocprim17ROCPRIM_400000_NS6detail17trampoline_kernelINS0_14default_configENS1_20scan_config_selectorIdEEZZNS1_9scan_implILNS1_25lookback_scan_determinismE0ELb0ELb0ES3_PKdPddZZZN2at6native31launch_logcumsumexp_cuda_kernelERKNSB_10TensorBaseESF_lENKUlvE_clEvENKUlvE_clEvEUlddE_dEEDaPvRmT3_T4_T5_mT6_P12ihipStream_tbENKUlT_T0_E_clISt17integral_constantIbLb0EESW_EEDaSR_SS_EUlSR_E_NS1_11comp_targetILNS1_3genE5ELNS1_11target_archE942ELNS1_3gpuE9ELNS1_3repE0EEENS1_30default_config_static_selectorELNS0_4arch9wavefront6targetE0EEEvT1_,comdat
	.globl	_ZN7rocprim17ROCPRIM_400000_NS6detail17trampoline_kernelINS0_14default_configENS1_20scan_config_selectorIdEEZZNS1_9scan_implILNS1_25lookback_scan_determinismE0ELb0ELb0ES3_PKdPddZZZN2at6native31launch_logcumsumexp_cuda_kernelERKNSB_10TensorBaseESF_lENKUlvE_clEvENKUlvE_clEvEUlddE_dEEDaPvRmT3_T4_T5_mT6_P12ihipStream_tbENKUlT_T0_E_clISt17integral_constantIbLb0EESW_EEDaSR_SS_EUlSR_E_NS1_11comp_targetILNS1_3genE5ELNS1_11target_archE942ELNS1_3gpuE9ELNS1_3repE0EEENS1_30default_config_static_selectorELNS0_4arch9wavefront6targetE0EEEvT1_ ; -- Begin function _ZN7rocprim17ROCPRIM_400000_NS6detail17trampoline_kernelINS0_14default_configENS1_20scan_config_selectorIdEEZZNS1_9scan_implILNS1_25lookback_scan_determinismE0ELb0ELb0ES3_PKdPddZZZN2at6native31launch_logcumsumexp_cuda_kernelERKNSB_10TensorBaseESF_lENKUlvE_clEvENKUlvE_clEvEUlddE_dEEDaPvRmT3_T4_T5_mT6_P12ihipStream_tbENKUlT_T0_E_clISt17integral_constantIbLb0EESW_EEDaSR_SS_EUlSR_E_NS1_11comp_targetILNS1_3genE5ELNS1_11target_archE942ELNS1_3gpuE9ELNS1_3repE0EEENS1_30default_config_static_selectorELNS0_4arch9wavefront6targetE0EEEvT1_
	.p2align	8
	.type	_ZN7rocprim17ROCPRIM_400000_NS6detail17trampoline_kernelINS0_14default_configENS1_20scan_config_selectorIdEEZZNS1_9scan_implILNS1_25lookback_scan_determinismE0ELb0ELb0ES3_PKdPddZZZN2at6native31launch_logcumsumexp_cuda_kernelERKNSB_10TensorBaseESF_lENKUlvE_clEvENKUlvE_clEvEUlddE_dEEDaPvRmT3_T4_T5_mT6_P12ihipStream_tbENKUlT_T0_E_clISt17integral_constantIbLb0EESW_EEDaSR_SS_EUlSR_E_NS1_11comp_targetILNS1_3genE5ELNS1_11target_archE942ELNS1_3gpuE9ELNS1_3repE0EEENS1_30default_config_static_selectorELNS0_4arch9wavefront6targetE0EEEvT1_,@function
_ZN7rocprim17ROCPRIM_400000_NS6detail17trampoline_kernelINS0_14default_configENS1_20scan_config_selectorIdEEZZNS1_9scan_implILNS1_25lookback_scan_determinismE0ELb0ELb0ES3_PKdPddZZZN2at6native31launch_logcumsumexp_cuda_kernelERKNSB_10TensorBaseESF_lENKUlvE_clEvENKUlvE_clEvEUlddE_dEEDaPvRmT3_T4_T5_mT6_P12ihipStream_tbENKUlT_T0_E_clISt17integral_constantIbLb0EESW_EEDaSR_SS_EUlSR_E_NS1_11comp_targetILNS1_3genE5ELNS1_11target_archE942ELNS1_3gpuE9ELNS1_3repE0EEENS1_30default_config_static_selectorELNS0_4arch9wavefront6targetE0EEEvT1_: ; @_ZN7rocprim17ROCPRIM_400000_NS6detail17trampoline_kernelINS0_14default_configENS1_20scan_config_selectorIdEEZZNS1_9scan_implILNS1_25lookback_scan_determinismE0ELb0ELb0ES3_PKdPddZZZN2at6native31launch_logcumsumexp_cuda_kernelERKNSB_10TensorBaseESF_lENKUlvE_clEvENKUlvE_clEvEUlddE_dEEDaPvRmT3_T4_T5_mT6_P12ihipStream_tbENKUlT_T0_E_clISt17integral_constantIbLb0EESW_EEDaSR_SS_EUlSR_E_NS1_11comp_targetILNS1_3genE5ELNS1_11target_archE942ELNS1_3gpuE9ELNS1_3repE0EEENS1_30default_config_static_selectorELNS0_4arch9wavefront6targetE0EEEvT1_
; %bb.0:
	.section	.rodata,"a",@progbits
	.p2align	6, 0x0
	.amdhsa_kernel _ZN7rocprim17ROCPRIM_400000_NS6detail17trampoline_kernelINS0_14default_configENS1_20scan_config_selectorIdEEZZNS1_9scan_implILNS1_25lookback_scan_determinismE0ELb0ELb0ES3_PKdPddZZZN2at6native31launch_logcumsumexp_cuda_kernelERKNSB_10TensorBaseESF_lENKUlvE_clEvENKUlvE_clEvEUlddE_dEEDaPvRmT3_T4_T5_mT6_P12ihipStream_tbENKUlT_T0_E_clISt17integral_constantIbLb0EESW_EEDaSR_SS_EUlSR_E_NS1_11comp_targetILNS1_3genE5ELNS1_11target_archE942ELNS1_3gpuE9ELNS1_3repE0EEENS1_30default_config_static_selectorELNS0_4arch9wavefront6targetE0EEEvT1_
		.amdhsa_group_segment_fixed_size 0
		.amdhsa_private_segment_fixed_size 0
		.amdhsa_kernarg_size 104
		.amdhsa_user_sgpr_count 2
		.amdhsa_user_sgpr_dispatch_ptr 0
		.amdhsa_user_sgpr_queue_ptr 0
		.amdhsa_user_sgpr_kernarg_segment_ptr 1
		.amdhsa_user_sgpr_dispatch_id 0
		.amdhsa_user_sgpr_private_segment_size 0
		.amdhsa_wavefront_size32 1
		.amdhsa_uses_dynamic_stack 0
		.amdhsa_enable_private_segment 0
		.amdhsa_system_sgpr_workgroup_id_x 1
		.amdhsa_system_sgpr_workgroup_id_y 0
		.amdhsa_system_sgpr_workgroup_id_z 0
		.amdhsa_system_sgpr_workgroup_info 0
		.amdhsa_system_vgpr_workitem_id 0
		.amdhsa_next_free_vgpr 1
		.amdhsa_next_free_sgpr 1
		.amdhsa_reserve_vcc 0
		.amdhsa_float_round_mode_32 0
		.amdhsa_float_round_mode_16_64 0
		.amdhsa_float_denorm_mode_32 3
		.amdhsa_float_denorm_mode_16_64 3
		.amdhsa_fp16_overflow 0
		.amdhsa_workgroup_processor_mode 1
		.amdhsa_memory_ordered 1
		.amdhsa_forward_progress 1
		.amdhsa_inst_pref_size 0
		.amdhsa_round_robin_scheduling 0
		.amdhsa_exception_fp_ieee_invalid_op 0
		.amdhsa_exception_fp_denorm_src 0
		.amdhsa_exception_fp_ieee_div_zero 0
		.amdhsa_exception_fp_ieee_overflow 0
		.amdhsa_exception_fp_ieee_underflow 0
		.amdhsa_exception_fp_ieee_inexact 0
		.amdhsa_exception_int_div_zero 0
	.end_amdhsa_kernel
	.section	.text._ZN7rocprim17ROCPRIM_400000_NS6detail17trampoline_kernelINS0_14default_configENS1_20scan_config_selectorIdEEZZNS1_9scan_implILNS1_25lookback_scan_determinismE0ELb0ELb0ES3_PKdPddZZZN2at6native31launch_logcumsumexp_cuda_kernelERKNSB_10TensorBaseESF_lENKUlvE_clEvENKUlvE_clEvEUlddE_dEEDaPvRmT3_T4_T5_mT6_P12ihipStream_tbENKUlT_T0_E_clISt17integral_constantIbLb0EESW_EEDaSR_SS_EUlSR_E_NS1_11comp_targetILNS1_3genE5ELNS1_11target_archE942ELNS1_3gpuE9ELNS1_3repE0EEENS1_30default_config_static_selectorELNS0_4arch9wavefront6targetE0EEEvT1_,"axG",@progbits,_ZN7rocprim17ROCPRIM_400000_NS6detail17trampoline_kernelINS0_14default_configENS1_20scan_config_selectorIdEEZZNS1_9scan_implILNS1_25lookback_scan_determinismE0ELb0ELb0ES3_PKdPddZZZN2at6native31launch_logcumsumexp_cuda_kernelERKNSB_10TensorBaseESF_lENKUlvE_clEvENKUlvE_clEvEUlddE_dEEDaPvRmT3_T4_T5_mT6_P12ihipStream_tbENKUlT_T0_E_clISt17integral_constantIbLb0EESW_EEDaSR_SS_EUlSR_E_NS1_11comp_targetILNS1_3genE5ELNS1_11target_archE942ELNS1_3gpuE9ELNS1_3repE0EEENS1_30default_config_static_selectorELNS0_4arch9wavefront6targetE0EEEvT1_,comdat
.Lfunc_end2:
	.size	_ZN7rocprim17ROCPRIM_400000_NS6detail17trampoline_kernelINS0_14default_configENS1_20scan_config_selectorIdEEZZNS1_9scan_implILNS1_25lookback_scan_determinismE0ELb0ELb0ES3_PKdPddZZZN2at6native31launch_logcumsumexp_cuda_kernelERKNSB_10TensorBaseESF_lENKUlvE_clEvENKUlvE_clEvEUlddE_dEEDaPvRmT3_T4_T5_mT6_P12ihipStream_tbENKUlT_T0_E_clISt17integral_constantIbLb0EESW_EEDaSR_SS_EUlSR_E_NS1_11comp_targetILNS1_3genE5ELNS1_11target_archE942ELNS1_3gpuE9ELNS1_3repE0EEENS1_30default_config_static_selectorELNS0_4arch9wavefront6targetE0EEEvT1_, .Lfunc_end2-_ZN7rocprim17ROCPRIM_400000_NS6detail17trampoline_kernelINS0_14default_configENS1_20scan_config_selectorIdEEZZNS1_9scan_implILNS1_25lookback_scan_determinismE0ELb0ELb0ES3_PKdPddZZZN2at6native31launch_logcumsumexp_cuda_kernelERKNSB_10TensorBaseESF_lENKUlvE_clEvENKUlvE_clEvEUlddE_dEEDaPvRmT3_T4_T5_mT6_P12ihipStream_tbENKUlT_T0_E_clISt17integral_constantIbLb0EESW_EEDaSR_SS_EUlSR_E_NS1_11comp_targetILNS1_3genE5ELNS1_11target_archE942ELNS1_3gpuE9ELNS1_3repE0EEENS1_30default_config_static_selectorELNS0_4arch9wavefront6targetE0EEEvT1_
                                        ; -- End function
	.set _ZN7rocprim17ROCPRIM_400000_NS6detail17trampoline_kernelINS0_14default_configENS1_20scan_config_selectorIdEEZZNS1_9scan_implILNS1_25lookback_scan_determinismE0ELb0ELb0ES3_PKdPddZZZN2at6native31launch_logcumsumexp_cuda_kernelERKNSB_10TensorBaseESF_lENKUlvE_clEvENKUlvE_clEvEUlddE_dEEDaPvRmT3_T4_T5_mT6_P12ihipStream_tbENKUlT_T0_E_clISt17integral_constantIbLb0EESW_EEDaSR_SS_EUlSR_E_NS1_11comp_targetILNS1_3genE5ELNS1_11target_archE942ELNS1_3gpuE9ELNS1_3repE0EEENS1_30default_config_static_selectorELNS0_4arch9wavefront6targetE0EEEvT1_.num_vgpr, 0
	.set _ZN7rocprim17ROCPRIM_400000_NS6detail17trampoline_kernelINS0_14default_configENS1_20scan_config_selectorIdEEZZNS1_9scan_implILNS1_25lookback_scan_determinismE0ELb0ELb0ES3_PKdPddZZZN2at6native31launch_logcumsumexp_cuda_kernelERKNSB_10TensorBaseESF_lENKUlvE_clEvENKUlvE_clEvEUlddE_dEEDaPvRmT3_T4_T5_mT6_P12ihipStream_tbENKUlT_T0_E_clISt17integral_constantIbLb0EESW_EEDaSR_SS_EUlSR_E_NS1_11comp_targetILNS1_3genE5ELNS1_11target_archE942ELNS1_3gpuE9ELNS1_3repE0EEENS1_30default_config_static_selectorELNS0_4arch9wavefront6targetE0EEEvT1_.num_agpr, 0
	.set _ZN7rocprim17ROCPRIM_400000_NS6detail17trampoline_kernelINS0_14default_configENS1_20scan_config_selectorIdEEZZNS1_9scan_implILNS1_25lookback_scan_determinismE0ELb0ELb0ES3_PKdPddZZZN2at6native31launch_logcumsumexp_cuda_kernelERKNSB_10TensorBaseESF_lENKUlvE_clEvENKUlvE_clEvEUlddE_dEEDaPvRmT3_T4_T5_mT6_P12ihipStream_tbENKUlT_T0_E_clISt17integral_constantIbLb0EESW_EEDaSR_SS_EUlSR_E_NS1_11comp_targetILNS1_3genE5ELNS1_11target_archE942ELNS1_3gpuE9ELNS1_3repE0EEENS1_30default_config_static_selectorELNS0_4arch9wavefront6targetE0EEEvT1_.numbered_sgpr, 0
	.set _ZN7rocprim17ROCPRIM_400000_NS6detail17trampoline_kernelINS0_14default_configENS1_20scan_config_selectorIdEEZZNS1_9scan_implILNS1_25lookback_scan_determinismE0ELb0ELb0ES3_PKdPddZZZN2at6native31launch_logcumsumexp_cuda_kernelERKNSB_10TensorBaseESF_lENKUlvE_clEvENKUlvE_clEvEUlddE_dEEDaPvRmT3_T4_T5_mT6_P12ihipStream_tbENKUlT_T0_E_clISt17integral_constantIbLb0EESW_EEDaSR_SS_EUlSR_E_NS1_11comp_targetILNS1_3genE5ELNS1_11target_archE942ELNS1_3gpuE9ELNS1_3repE0EEENS1_30default_config_static_selectorELNS0_4arch9wavefront6targetE0EEEvT1_.num_named_barrier, 0
	.set _ZN7rocprim17ROCPRIM_400000_NS6detail17trampoline_kernelINS0_14default_configENS1_20scan_config_selectorIdEEZZNS1_9scan_implILNS1_25lookback_scan_determinismE0ELb0ELb0ES3_PKdPddZZZN2at6native31launch_logcumsumexp_cuda_kernelERKNSB_10TensorBaseESF_lENKUlvE_clEvENKUlvE_clEvEUlddE_dEEDaPvRmT3_T4_T5_mT6_P12ihipStream_tbENKUlT_T0_E_clISt17integral_constantIbLb0EESW_EEDaSR_SS_EUlSR_E_NS1_11comp_targetILNS1_3genE5ELNS1_11target_archE942ELNS1_3gpuE9ELNS1_3repE0EEENS1_30default_config_static_selectorELNS0_4arch9wavefront6targetE0EEEvT1_.private_seg_size, 0
	.set _ZN7rocprim17ROCPRIM_400000_NS6detail17trampoline_kernelINS0_14default_configENS1_20scan_config_selectorIdEEZZNS1_9scan_implILNS1_25lookback_scan_determinismE0ELb0ELb0ES3_PKdPddZZZN2at6native31launch_logcumsumexp_cuda_kernelERKNSB_10TensorBaseESF_lENKUlvE_clEvENKUlvE_clEvEUlddE_dEEDaPvRmT3_T4_T5_mT6_P12ihipStream_tbENKUlT_T0_E_clISt17integral_constantIbLb0EESW_EEDaSR_SS_EUlSR_E_NS1_11comp_targetILNS1_3genE5ELNS1_11target_archE942ELNS1_3gpuE9ELNS1_3repE0EEENS1_30default_config_static_selectorELNS0_4arch9wavefront6targetE0EEEvT1_.uses_vcc, 0
	.set _ZN7rocprim17ROCPRIM_400000_NS6detail17trampoline_kernelINS0_14default_configENS1_20scan_config_selectorIdEEZZNS1_9scan_implILNS1_25lookback_scan_determinismE0ELb0ELb0ES3_PKdPddZZZN2at6native31launch_logcumsumexp_cuda_kernelERKNSB_10TensorBaseESF_lENKUlvE_clEvENKUlvE_clEvEUlddE_dEEDaPvRmT3_T4_T5_mT6_P12ihipStream_tbENKUlT_T0_E_clISt17integral_constantIbLb0EESW_EEDaSR_SS_EUlSR_E_NS1_11comp_targetILNS1_3genE5ELNS1_11target_archE942ELNS1_3gpuE9ELNS1_3repE0EEENS1_30default_config_static_selectorELNS0_4arch9wavefront6targetE0EEEvT1_.uses_flat_scratch, 0
	.set _ZN7rocprim17ROCPRIM_400000_NS6detail17trampoline_kernelINS0_14default_configENS1_20scan_config_selectorIdEEZZNS1_9scan_implILNS1_25lookback_scan_determinismE0ELb0ELb0ES3_PKdPddZZZN2at6native31launch_logcumsumexp_cuda_kernelERKNSB_10TensorBaseESF_lENKUlvE_clEvENKUlvE_clEvEUlddE_dEEDaPvRmT3_T4_T5_mT6_P12ihipStream_tbENKUlT_T0_E_clISt17integral_constantIbLb0EESW_EEDaSR_SS_EUlSR_E_NS1_11comp_targetILNS1_3genE5ELNS1_11target_archE942ELNS1_3gpuE9ELNS1_3repE0EEENS1_30default_config_static_selectorELNS0_4arch9wavefront6targetE0EEEvT1_.has_dyn_sized_stack, 0
	.set _ZN7rocprim17ROCPRIM_400000_NS6detail17trampoline_kernelINS0_14default_configENS1_20scan_config_selectorIdEEZZNS1_9scan_implILNS1_25lookback_scan_determinismE0ELb0ELb0ES3_PKdPddZZZN2at6native31launch_logcumsumexp_cuda_kernelERKNSB_10TensorBaseESF_lENKUlvE_clEvENKUlvE_clEvEUlddE_dEEDaPvRmT3_T4_T5_mT6_P12ihipStream_tbENKUlT_T0_E_clISt17integral_constantIbLb0EESW_EEDaSR_SS_EUlSR_E_NS1_11comp_targetILNS1_3genE5ELNS1_11target_archE942ELNS1_3gpuE9ELNS1_3repE0EEENS1_30default_config_static_selectorELNS0_4arch9wavefront6targetE0EEEvT1_.has_recursion, 0
	.set _ZN7rocprim17ROCPRIM_400000_NS6detail17trampoline_kernelINS0_14default_configENS1_20scan_config_selectorIdEEZZNS1_9scan_implILNS1_25lookback_scan_determinismE0ELb0ELb0ES3_PKdPddZZZN2at6native31launch_logcumsumexp_cuda_kernelERKNSB_10TensorBaseESF_lENKUlvE_clEvENKUlvE_clEvEUlddE_dEEDaPvRmT3_T4_T5_mT6_P12ihipStream_tbENKUlT_T0_E_clISt17integral_constantIbLb0EESW_EEDaSR_SS_EUlSR_E_NS1_11comp_targetILNS1_3genE5ELNS1_11target_archE942ELNS1_3gpuE9ELNS1_3repE0EEENS1_30default_config_static_selectorELNS0_4arch9wavefront6targetE0EEEvT1_.has_indirect_call, 0
	.section	.AMDGPU.csdata,"",@progbits
; Kernel info:
; codeLenInByte = 0
; TotalNumSgprs: 0
; NumVgprs: 0
; ScratchSize: 0
; MemoryBound: 0
; FloatMode: 240
; IeeeMode: 1
; LDSByteSize: 0 bytes/workgroup (compile time only)
; SGPRBlocks: 0
; VGPRBlocks: 0
; NumSGPRsForWavesPerEU: 1
; NumVGPRsForWavesPerEU: 1
; Occupancy: 16
; WaveLimiterHint : 0
; COMPUTE_PGM_RSRC2:SCRATCH_EN: 0
; COMPUTE_PGM_RSRC2:USER_SGPR: 2
; COMPUTE_PGM_RSRC2:TRAP_HANDLER: 0
; COMPUTE_PGM_RSRC2:TGID_X_EN: 1
; COMPUTE_PGM_RSRC2:TGID_Y_EN: 0
; COMPUTE_PGM_RSRC2:TGID_Z_EN: 0
; COMPUTE_PGM_RSRC2:TIDIG_COMP_CNT: 0
	.section	.text._ZN7rocprim17ROCPRIM_400000_NS6detail17trampoline_kernelINS0_14default_configENS1_20scan_config_selectorIdEEZZNS1_9scan_implILNS1_25lookback_scan_determinismE0ELb0ELb0ES3_PKdPddZZZN2at6native31launch_logcumsumexp_cuda_kernelERKNSB_10TensorBaseESF_lENKUlvE_clEvENKUlvE_clEvEUlddE_dEEDaPvRmT3_T4_T5_mT6_P12ihipStream_tbENKUlT_T0_E_clISt17integral_constantIbLb0EESW_EEDaSR_SS_EUlSR_E_NS1_11comp_targetILNS1_3genE4ELNS1_11target_archE910ELNS1_3gpuE8ELNS1_3repE0EEENS1_30default_config_static_selectorELNS0_4arch9wavefront6targetE0EEEvT1_,"axG",@progbits,_ZN7rocprim17ROCPRIM_400000_NS6detail17trampoline_kernelINS0_14default_configENS1_20scan_config_selectorIdEEZZNS1_9scan_implILNS1_25lookback_scan_determinismE0ELb0ELb0ES3_PKdPddZZZN2at6native31launch_logcumsumexp_cuda_kernelERKNSB_10TensorBaseESF_lENKUlvE_clEvENKUlvE_clEvEUlddE_dEEDaPvRmT3_T4_T5_mT6_P12ihipStream_tbENKUlT_T0_E_clISt17integral_constantIbLb0EESW_EEDaSR_SS_EUlSR_E_NS1_11comp_targetILNS1_3genE4ELNS1_11target_archE910ELNS1_3gpuE8ELNS1_3repE0EEENS1_30default_config_static_selectorELNS0_4arch9wavefront6targetE0EEEvT1_,comdat
	.globl	_ZN7rocprim17ROCPRIM_400000_NS6detail17trampoline_kernelINS0_14default_configENS1_20scan_config_selectorIdEEZZNS1_9scan_implILNS1_25lookback_scan_determinismE0ELb0ELb0ES3_PKdPddZZZN2at6native31launch_logcumsumexp_cuda_kernelERKNSB_10TensorBaseESF_lENKUlvE_clEvENKUlvE_clEvEUlddE_dEEDaPvRmT3_T4_T5_mT6_P12ihipStream_tbENKUlT_T0_E_clISt17integral_constantIbLb0EESW_EEDaSR_SS_EUlSR_E_NS1_11comp_targetILNS1_3genE4ELNS1_11target_archE910ELNS1_3gpuE8ELNS1_3repE0EEENS1_30default_config_static_selectorELNS0_4arch9wavefront6targetE0EEEvT1_ ; -- Begin function _ZN7rocprim17ROCPRIM_400000_NS6detail17trampoline_kernelINS0_14default_configENS1_20scan_config_selectorIdEEZZNS1_9scan_implILNS1_25lookback_scan_determinismE0ELb0ELb0ES3_PKdPddZZZN2at6native31launch_logcumsumexp_cuda_kernelERKNSB_10TensorBaseESF_lENKUlvE_clEvENKUlvE_clEvEUlddE_dEEDaPvRmT3_T4_T5_mT6_P12ihipStream_tbENKUlT_T0_E_clISt17integral_constantIbLb0EESW_EEDaSR_SS_EUlSR_E_NS1_11comp_targetILNS1_3genE4ELNS1_11target_archE910ELNS1_3gpuE8ELNS1_3repE0EEENS1_30default_config_static_selectorELNS0_4arch9wavefront6targetE0EEEvT1_
	.p2align	8
	.type	_ZN7rocprim17ROCPRIM_400000_NS6detail17trampoline_kernelINS0_14default_configENS1_20scan_config_selectorIdEEZZNS1_9scan_implILNS1_25lookback_scan_determinismE0ELb0ELb0ES3_PKdPddZZZN2at6native31launch_logcumsumexp_cuda_kernelERKNSB_10TensorBaseESF_lENKUlvE_clEvENKUlvE_clEvEUlddE_dEEDaPvRmT3_T4_T5_mT6_P12ihipStream_tbENKUlT_T0_E_clISt17integral_constantIbLb0EESW_EEDaSR_SS_EUlSR_E_NS1_11comp_targetILNS1_3genE4ELNS1_11target_archE910ELNS1_3gpuE8ELNS1_3repE0EEENS1_30default_config_static_selectorELNS0_4arch9wavefront6targetE0EEEvT1_,@function
_ZN7rocprim17ROCPRIM_400000_NS6detail17trampoline_kernelINS0_14default_configENS1_20scan_config_selectorIdEEZZNS1_9scan_implILNS1_25lookback_scan_determinismE0ELb0ELb0ES3_PKdPddZZZN2at6native31launch_logcumsumexp_cuda_kernelERKNSB_10TensorBaseESF_lENKUlvE_clEvENKUlvE_clEvEUlddE_dEEDaPvRmT3_T4_T5_mT6_P12ihipStream_tbENKUlT_T0_E_clISt17integral_constantIbLb0EESW_EEDaSR_SS_EUlSR_E_NS1_11comp_targetILNS1_3genE4ELNS1_11target_archE910ELNS1_3gpuE8ELNS1_3repE0EEENS1_30default_config_static_selectorELNS0_4arch9wavefront6targetE0EEEvT1_: ; @_ZN7rocprim17ROCPRIM_400000_NS6detail17trampoline_kernelINS0_14default_configENS1_20scan_config_selectorIdEEZZNS1_9scan_implILNS1_25lookback_scan_determinismE0ELb0ELb0ES3_PKdPddZZZN2at6native31launch_logcumsumexp_cuda_kernelERKNSB_10TensorBaseESF_lENKUlvE_clEvENKUlvE_clEvEUlddE_dEEDaPvRmT3_T4_T5_mT6_P12ihipStream_tbENKUlT_T0_E_clISt17integral_constantIbLb0EESW_EEDaSR_SS_EUlSR_E_NS1_11comp_targetILNS1_3genE4ELNS1_11target_archE910ELNS1_3gpuE8ELNS1_3repE0EEENS1_30default_config_static_selectorELNS0_4arch9wavefront6targetE0EEEvT1_
; %bb.0:
	.section	.rodata,"a",@progbits
	.p2align	6, 0x0
	.amdhsa_kernel _ZN7rocprim17ROCPRIM_400000_NS6detail17trampoline_kernelINS0_14default_configENS1_20scan_config_selectorIdEEZZNS1_9scan_implILNS1_25lookback_scan_determinismE0ELb0ELb0ES3_PKdPddZZZN2at6native31launch_logcumsumexp_cuda_kernelERKNSB_10TensorBaseESF_lENKUlvE_clEvENKUlvE_clEvEUlddE_dEEDaPvRmT3_T4_T5_mT6_P12ihipStream_tbENKUlT_T0_E_clISt17integral_constantIbLb0EESW_EEDaSR_SS_EUlSR_E_NS1_11comp_targetILNS1_3genE4ELNS1_11target_archE910ELNS1_3gpuE8ELNS1_3repE0EEENS1_30default_config_static_selectorELNS0_4arch9wavefront6targetE0EEEvT1_
		.amdhsa_group_segment_fixed_size 0
		.amdhsa_private_segment_fixed_size 0
		.amdhsa_kernarg_size 104
		.amdhsa_user_sgpr_count 2
		.amdhsa_user_sgpr_dispatch_ptr 0
		.amdhsa_user_sgpr_queue_ptr 0
		.amdhsa_user_sgpr_kernarg_segment_ptr 1
		.amdhsa_user_sgpr_dispatch_id 0
		.amdhsa_user_sgpr_private_segment_size 0
		.amdhsa_wavefront_size32 1
		.amdhsa_uses_dynamic_stack 0
		.amdhsa_enable_private_segment 0
		.amdhsa_system_sgpr_workgroup_id_x 1
		.amdhsa_system_sgpr_workgroup_id_y 0
		.amdhsa_system_sgpr_workgroup_id_z 0
		.amdhsa_system_sgpr_workgroup_info 0
		.amdhsa_system_vgpr_workitem_id 0
		.amdhsa_next_free_vgpr 1
		.amdhsa_next_free_sgpr 1
		.amdhsa_reserve_vcc 0
		.amdhsa_float_round_mode_32 0
		.amdhsa_float_round_mode_16_64 0
		.amdhsa_float_denorm_mode_32 3
		.amdhsa_float_denorm_mode_16_64 3
		.amdhsa_fp16_overflow 0
		.amdhsa_workgroup_processor_mode 1
		.amdhsa_memory_ordered 1
		.amdhsa_forward_progress 1
		.amdhsa_inst_pref_size 0
		.amdhsa_round_robin_scheduling 0
		.amdhsa_exception_fp_ieee_invalid_op 0
		.amdhsa_exception_fp_denorm_src 0
		.amdhsa_exception_fp_ieee_div_zero 0
		.amdhsa_exception_fp_ieee_overflow 0
		.amdhsa_exception_fp_ieee_underflow 0
		.amdhsa_exception_fp_ieee_inexact 0
		.amdhsa_exception_int_div_zero 0
	.end_amdhsa_kernel
	.section	.text._ZN7rocprim17ROCPRIM_400000_NS6detail17trampoline_kernelINS0_14default_configENS1_20scan_config_selectorIdEEZZNS1_9scan_implILNS1_25lookback_scan_determinismE0ELb0ELb0ES3_PKdPddZZZN2at6native31launch_logcumsumexp_cuda_kernelERKNSB_10TensorBaseESF_lENKUlvE_clEvENKUlvE_clEvEUlddE_dEEDaPvRmT3_T4_T5_mT6_P12ihipStream_tbENKUlT_T0_E_clISt17integral_constantIbLb0EESW_EEDaSR_SS_EUlSR_E_NS1_11comp_targetILNS1_3genE4ELNS1_11target_archE910ELNS1_3gpuE8ELNS1_3repE0EEENS1_30default_config_static_selectorELNS0_4arch9wavefront6targetE0EEEvT1_,"axG",@progbits,_ZN7rocprim17ROCPRIM_400000_NS6detail17trampoline_kernelINS0_14default_configENS1_20scan_config_selectorIdEEZZNS1_9scan_implILNS1_25lookback_scan_determinismE0ELb0ELb0ES3_PKdPddZZZN2at6native31launch_logcumsumexp_cuda_kernelERKNSB_10TensorBaseESF_lENKUlvE_clEvENKUlvE_clEvEUlddE_dEEDaPvRmT3_T4_T5_mT6_P12ihipStream_tbENKUlT_T0_E_clISt17integral_constantIbLb0EESW_EEDaSR_SS_EUlSR_E_NS1_11comp_targetILNS1_3genE4ELNS1_11target_archE910ELNS1_3gpuE8ELNS1_3repE0EEENS1_30default_config_static_selectorELNS0_4arch9wavefront6targetE0EEEvT1_,comdat
.Lfunc_end3:
	.size	_ZN7rocprim17ROCPRIM_400000_NS6detail17trampoline_kernelINS0_14default_configENS1_20scan_config_selectorIdEEZZNS1_9scan_implILNS1_25lookback_scan_determinismE0ELb0ELb0ES3_PKdPddZZZN2at6native31launch_logcumsumexp_cuda_kernelERKNSB_10TensorBaseESF_lENKUlvE_clEvENKUlvE_clEvEUlddE_dEEDaPvRmT3_T4_T5_mT6_P12ihipStream_tbENKUlT_T0_E_clISt17integral_constantIbLb0EESW_EEDaSR_SS_EUlSR_E_NS1_11comp_targetILNS1_3genE4ELNS1_11target_archE910ELNS1_3gpuE8ELNS1_3repE0EEENS1_30default_config_static_selectorELNS0_4arch9wavefront6targetE0EEEvT1_, .Lfunc_end3-_ZN7rocprim17ROCPRIM_400000_NS6detail17trampoline_kernelINS0_14default_configENS1_20scan_config_selectorIdEEZZNS1_9scan_implILNS1_25lookback_scan_determinismE0ELb0ELb0ES3_PKdPddZZZN2at6native31launch_logcumsumexp_cuda_kernelERKNSB_10TensorBaseESF_lENKUlvE_clEvENKUlvE_clEvEUlddE_dEEDaPvRmT3_T4_T5_mT6_P12ihipStream_tbENKUlT_T0_E_clISt17integral_constantIbLb0EESW_EEDaSR_SS_EUlSR_E_NS1_11comp_targetILNS1_3genE4ELNS1_11target_archE910ELNS1_3gpuE8ELNS1_3repE0EEENS1_30default_config_static_selectorELNS0_4arch9wavefront6targetE0EEEvT1_
                                        ; -- End function
	.set _ZN7rocprim17ROCPRIM_400000_NS6detail17trampoline_kernelINS0_14default_configENS1_20scan_config_selectorIdEEZZNS1_9scan_implILNS1_25lookback_scan_determinismE0ELb0ELb0ES3_PKdPddZZZN2at6native31launch_logcumsumexp_cuda_kernelERKNSB_10TensorBaseESF_lENKUlvE_clEvENKUlvE_clEvEUlddE_dEEDaPvRmT3_T4_T5_mT6_P12ihipStream_tbENKUlT_T0_E_clISt17integral_constantIbLb0EESW_EEDaSR_SS_EUlSR_E_NS1_11comp_targetILNS1_3genE4ELNS1_11target_archE910ELNS1_3gpuE8ELNS1_3repE0EEENS1_30default_config_static_selectorELNS0_4arch9wavefront6targetE0EEEvT1_.num_vgpr, 0
	.set _ZN7rocprim17ROCPRIM_400000_NS6detail17trampoline_kernelINS0_14default_configENS1_20scan_config_selectorIdEEZZNS1_9scan_implILNS1_25lookback_scan_determinismE0ELb0ELb0ES3_PKdPddZZZN2at6native31launch_logcumsumexp_cuda_kernelERKNSB_10TensorBaseESF_lENKUlvE_clEvENKUlvE_clEvEUlddE_dEEDaPvRmT3_T4_T5_mT6_P12ihipStream_tbENKUlT_T0_E_clISt17integral_constantIbLb0EESW_EEDaSR_SS_EUlSR_E_NS1_11comp_targetILNS1_3genE4ELNS1_11target_archE910ELNS1_3gpuE8ELNS1_3repE0EEENS1_30default_config_static_selectorELNS0_4arch9wavefront6targetE0EEEvT1_.num_agpr, 0
	.set _ZN7rocprim17ROCPRIM_400000_NS6detail17trampoline_kernelINS0_14default_configENS1_20scan_config_selectorIdEEZZNS1_9scan_implILNS1_25lookback_scan_determinismE0ELb0ELb0ES3_PKdPddZZZN2at6native31launch_logcumsumexp_cuda_kernelERKNSB_10TensorBaseESF_lENKUlvE_clEvENKUlvE_clEvEUlddE_dEEDaPvRmT3_T4_T5_mT6_P12ihipStream_tbENKUlT_T0_E_clISt17integral_constantIbLb0EESW_EEDaSR_SS_EUlSR_E_NS1_11comp_targetILNS1_3genE4ELNS1_11target_archE910ELNS1_3gpuE8ELNS1_3repE0EEENS1_30default_config_static_selectorELNS0_4arch9wavefront6targetE0EEEvT1_.numbered_sgpr, 0
	.set _ZN7rocprim17ROCPRIM_400000_NS6detail17trampoline_kernelINS0_14default_configENS1_20scan_config_selectorIdEEZZNS1_9scan_implILNS1_25lookback_scan_determinismE0ELb0ELb0ES3_PKdPddZZZN2at6native31launch_logcumsumexp_cuda_kernelERKNSB_10TensorBaseESF_lENKUlvE_clEvENKUlvE_clEvEUlddE_dEEDaPvRmT3_T4_T5_mT6_P12ihipStream_tbENKUlT_T0_E_clISt17integral_constantIbLb0EESW_EEDaSR_SS_EUlSR_E_NS1_11comp_targetILNS1_3genE4ELNS1_11target_archE910ELNS1_3gpuE8ELNS1_3repE0EEENS1_30default_config_static_selectorELNS0_4arch9wavefront6targetE0EEEvT1_.num_named_barrier, 0
	.set _ZN7rocprim17ROCPRIM_400000_NS6detail17trampoline_kernelINS0_14default_configENS1_20scan_config_selectorIdEEZZNS1_9scan_implILNS1_25lookback_scan_determinismE0ELb0ELb0ES3_PKdPddZZZN2at6native31launch_logcumsumexp_cuda_kernelERKNSB_10TensorBaseESF_lENKUlvE_clEvENKUlvE_clEvEUlddE_dEEDaPvRmT3_T4_T5_mT6_P12ihipStream_tbENKUlT_T0_E_clISt17integral_constantIbLb0EESW_EEDaSR_SS_EUlSR_E_NS1_11comp_targetILNS1_3genE4ELNS1_11target_archE910ELNS1_3gpuE8ELNS1_3repE0EEENS1_30default_config_static_selectorELNS0_4arch9wavefront6targetE0EEEvT1_.private_seg_size, 0
	.set _ZN7rocprim17ROCPRIM_400000_NS6detail17trampoline_kernelINS0_14default_configENS1_20scan_config_selectorIdEEZZNS1_9scan_implILNS1_25lookback_scan_determinismE0ELb0ELb0ES3_PKdPddZZZN2at6native31launch_logcumsumexp_cuda_kernelERKNSB_10TensorBaseESF_lENKUlvE_clEvENKUlvE_clEvEUlddE_dEEDaPvRmT3_T4_T5_mT6_P12ihipStream_tbENKUlT_T0_E_clISt17integral_constantIbLb0EESW_EEDaSR_SS_EUlSR_E_NS1_11comp_targetILNS1_3genE4ELNS1_11target_archE910ELNS1_3gpuE8ELNS1_3repE0EEENS1_30default_config_static_selectorELNS0_4arch9wavefront6targetE0EEEvT1_.uses_vcc, 0
	.set _ZN7rocprim17ROCPRIM_400000_NS6detail17trampoline_kernelINS0_14default_configENS1_20scan_config_selectorIdEEZZNS1_9scan_implILNS1_25lookback_scan_determinismE0ELb0ELb0ES3_PKdPddZZZN2at6native31launch_logcumsumexp_cuda_kernelERKNSB_10TensorBaseESF_lENKUlvE_clEvENKUlvE_clEvEUlddE_dEEDaPvRmT3_T4_T5_mT6_P12ihipStream_tbENKUlT_T0_E_clISt17integral_constantIbLb0EESW_EEDaSR_SS_EUlSR_E_NS1_11comp_targetILNS1_3genE4ELNS1_11target_archE910ELNS1_3gpuE8ELNS1_3repE0EEENS1_30default_config_static_selectorELNS0_4arch9wavefront6targetE0EEEvT1_.uses_flat_scratch, 0
	.set _ZN7rocprim17ROCPRIM_400000_NS6detail17trampoline_kernelINS0_14default_configENS1_20scan_config_selectorIdEEZZNS1_9scan_implILNS1_25lookback_scan_determinismE0ELb0ELb0ES3_PKdPddZZZN2at6native31launch_logcumsumexp_cuda_kernelERKNSB_10TensorBaseESF_lENKUlvE_clEvENKUlvE_clEvEUlddE_dEEDaPvRmT3_T4_T5_mT6_P12ihipStream_tbENKUlT_T0_E_clISt17integral_constantIbLb0EESW_EEDaSR_SS_EUlSR_E_NS1_11comp_targetILNS1_3genE4ELNS1_11target_archE910ELNS1_3gpuE8ELNS1_3repE0EEENS1_30default_config_static_selectorELNS0_4arch9wavefront6targetE0EEEvT1_.has_dyn_sized_stack, 0
	.set _ZN7rocprim17ROCPRIM_400000_NS6detail17trampoline_kernelINS0_14default_configENS1_20scan_config_selectorIdEEZZNS1_9scan_implILNS1_25lookback_scan_determinismE0ELb0ELb0ES3_PKdPddZZZN2at6native31launch_logcumsumexp_cuda_kernelERKNSB_10TensorBaseESF_lENKUlvE_clEvENKUlvE_clEvEUlddE_dEEDaPvRmT3_T4_T5_mT6_P12ihipStream_tbENKUlT_T0_E_clISt17integral_constantIbLb0EESW_EEDaSR_SS_EUlSR_E_NS1_11comp_targetILNS1_3genE4ELNS1_11target_archE910ELNS1_3gpuE8ELNS1_3repE0EEENS1_30default_config_static_selectorELNS0_4arch9wavefront6targetE0EEEvT1_.has_recursion, 0
	.set _ZN7rocprim17ROCPRIM_400000_NS6detail17trampoline_kernelINS0_14default_configENS1_20scan_config_selectorIdEEZZNS1_9scan_implILNS1_25lookback_scan_determinismE0ELb0ELb0ES3_PKdPddZZZN2at6native31launch_logcumsumexp_cuda_kernelERKNSB_10TensorBaseESF_lENKUlvE_clEvENKUlvE_clEvEUlddE_dEEDaPvRmT3_T4_T5_mT6_P12ihipStream_tbENKUlT_T0_E_clISt17integral_constantIbLb0EESW_EEDaSR_SS_EUlSR_E_NS1_11comp_targetILNS1_3genE4ELNS1_11target_archE910ELNS1_3gpuE8ELNS1_3repE0EEENS1_30default_config_static_selectorELNS0_4arch9wavefront6targetE0EEEvT1_.has_indirect_call, 0
	.section	.AMDGPU.csdata,"",@progbits
; Kernel info:
; codeLenInByte = 0
; TotalNumSgprs: 0
; NumVgprs: 0
; ScratchSize: 0
; MemoryBound: 0
; FloatMode: 240
; IeeeMode: 1
; LDSByteSize: 0 bytes/workgroup (compile time only)
; SGPRBlocks: 0
; VGPRBlocks: 0
; NumSGPRsForWavesPerEU: 1
; NumVGPRsForWavesPerEU: 1
; Occupancy: 16
; WaveLimiterHint : 0
; COMPUTE_PGM_RSRC2:SCRATCH_EN: 0
; COMPUTE_PGM_RSRC2:USER_SGPR: 2
; COMPUTE_PGM_RSRC2:TRAP_HANDLER: 0
; COMPUTE_PGM_RSRC2:TGID_X_EN: 1
; COMPUTE_PGM_RSRC2:TGID_Y_EN: 0
; COMPUTE_PGM_RSRC2:TGID_Z_EN: 0
; COMPUTE_PGM_RSRC2:TIDIG_COMP_CNT: 0
	.section	.text._ZN7rocprim17ROCPRIM_400000_NS6detail17trampoline_kernelINS0_14default_configENS1_20scan_config_selectorIdEEZZNS1_9scan_implILNS1_25lookback_scan_determinismE0ELb0ELb0ES3_PKdPddZZZN2at6native31launch_logcumsumexp_cuda_kernelERKNSB_10TensorBaseESF_lENKUlvE_clEvENKUlvE_clEvEUlddE_dEEDaPvRmT3_T4_T5_mT6_P12ihipStream_tbENKUlT_T0_E_clISt17integral_constantIbLb0EESW_EEDaSR_SS_EUlSR_E_NS1_11comp_targetILNS1_3genE3ELNS1_11target_archE908ELNS1_3gpuE7ELNS1_3repE0EEENS1_30default_config_static_selectorELNS0_4arch9wavefront6targetE0EEEvT1_,"axG",@progbits,_ZN7rocprim17ROCPRIM_400000_NS6detail17trampoline_kernelINS0_14default_configENS1_20scan_config_selectorIdEEZZNS1_9scan_implILNS1_25lookback_scan_determinismE0ELb0ELb0ES3_PKdPddZZZN2at6native31launch_logcumsumexp_cuda_kernelERKNSB_10TensorBaseESF_lENKUlvE_clEvENKUlvE_clEvEUlddE_dEEDaPvRmT3_T4_T5_mT6_P12ihipStream_tbENKUlT_T0_E_clISt17integral_constantIbLb0EESW_EEDaSR_SS_EUlSR_E_NS1_11comp_targetILNS1_3genE3ELNS1_11target_archE908ELNS1_3gpuE7ELNS1_3repE0EEENS1_30default_config_static_selectorELNS0_4arch9wavefront6targetE0EEEvT1_,comdat
	.globl	_ZN7rocprim17ROCPRIM_400000_NS6detail17trampoline_kernelINS0_14default_configENS1_20scan_config_selectorIdEEZZNS1_9scan_implILNS1_25lookback_scan_determinismE0ELb0ELb0ES3_PKdPddZZZN2at6native31launch_logcumsumexp_cuda_kernelERKNSB_10TensorBaseESF_lENKUlvE_clEvENKUlvE_clEvEUlddE_dEEDaPvRmT3_T4_T5_mT6_P12ihipStream_tbENKUlT_T0_E_clISt17integral_constantIbLb0EESW_EEDaSR_SS_EUlSR_E_NS1_11comp_targetILNS1_3genE3ELNS1_11target_archE908ELNS1_3gpuE7ELNS1_3repE0EEENS1_30default_config_static_selectorELNS0_4arch9wavefront6targetE0EEEvT1_ ; -- Begin function _ZN7rocprim17ROCPRIM_400000_NS6detail17trampoline_kernelINS0_14default_configENS1_20scan_config_selectorIdEEZZNS1_9scan_implILNS1_25lookback_scan_determinismE0ELb0ELb0ES3_PKdPddZZZN2at6native31launch_logcumsumexp_cuda_kernelERKNSB_10TensorBaseESF_lENKUlvE_clEvENKUlvE_clEvEUlddE_dEEDaPvRmT3_T4_T5_mT6_P12ihipStream_tbENKUlT_T0_E_clISt17integral_constantIbLb0EESW_EEDaSR_SS_EUlSR_E_NS1_11comp_targetILNS1_3genE3ELNS1_11target_archE908ELNS1_3gpuE7ELNS1_3repE0EEENS1_30default_config_static_selectorELNS0_4arch9wavefront6targetE0EEEvT1_
	.p2align	8
	.type	_ZN7rocprim17ROCPRIM_400000_NS6detail17trampoline_kernelINS0_14default_configENS1_20scan_config_selectorIdEEZZNS1_9scan_implILNS1_25lookback_scan_determinismE0ELb0ELb0ES3_PKdPddZZZN2at6native31launch_logcumsumexp_cuda_kernelERKNSB_10TensorBaseESF_lENKUlvE_clEvENKUlvE_clEvEUlddE_dEEDaPvRmT3_T4_T5_mT6_P12ihipStream_tbENKUlT_T0_E_clISt17integral_constantIbLb0EESW_EEDaSR_SS_EUlSR_E_NS1_11comp_targetILNS1_3genE3ELNS1_11target_archE908ELNS1_3gpuE7ELNS1_3repE0EEENS1_30default_config_static_selectorELNS0_4arch9wavefront6targetE0EEEvT1_,@function
_ZN7rocprim17ROCPRIM_400000_NS6detail17trampoline_kernelINS0_14default_configENS1_20scan_config_selectorIdEEZZNS1_9scan_implILNS1_25lookback_scan_determinismE0ELb0ELb0ES3_PKdPddZZZN2at6native31launch_logcumsumexp_cuda_kernelERKNSB_10TensorBaseESF_lENKUlvE_clEvENKUlvE_clEvEUlddE_dEEDaPvRmT3_T4_T5_mT6_P12ihipStream_tbENKUlT_T0_E_clISt17integral_constantIbLb0EESW_EEDaSR_SS_EUlSR_E_NS1_11comp_targetILNS1_3genE3ELNS1_11target_archE908ELNS1_3gpuE7ELNS1_3repE0EEENS1_30default_config_static_selectorELNS0_4arch9wavefront6targetE0EEEvT1_: ; @_ZN7rocprim17ROCPRIM_400000_NS6detail17trampoline_kernelINS0_14default_configENS1_20scan_config_selectorIdEEZZNS1_9scan_implILNS1_25lookback_scan_determinismE0ELb0ELb0ES3_PKdPddZZZN2at6native31launch_logcumsumexp_cuda_kernelERKNSB_10TensorBaseESF_lENKUlvE_clEvENKUlvE_clEvEUlddE_dEEDaPvRmT3_T4_T5_mT6_P12ihipStream_tbENKUlT_T0_E_clISt17integral_constantIbLb0EESW_EEDaSR_SS_EUlSR_E_NS1_11comp_targetILNS1_3genE3ELNS1_11target_archE908ELNS1_3gpuE7ELNS1_3repE0EEENS1_30default_config_static_selectorELNS0_4arch9wavefront6targetE0EEEvT1_
; %bb.0:
	.section	.rodata,"a",@progbits
	.p2align	6, 0x0
	.amdhsa_kernel _ZN7rocprim17ROCPRIM_400000_NS6detail17trampoline_kernelINS0_14default_configENS1_20scan_config_selectorIdEEZZNS1_9scan_implILNS1_25lookback_scan_determinismE0ELb0ELb0ES3_PKdPddZZZN2at6native31launch_logcumsumexp_cuda_kernelERKNSB_10TensorBaseESF_lENKUlvE_clEvENKUlvE_clEvEUlddE_dEEDaPvRmT3_T4_T5_mT6_P12ihipStream_tbENKUlT_T0_E_clISt17integral_constantIbLb0EESW_EEDaSR_SS_EUlSR_E_NS1_11comp_targetILNS1_3genE3ELNS1_11target_archE908ELNS1_3gpuE7ELNS1_3repE0EEENS1_30default_config_static_selectorELNS0_4arch9wavefront6targetE0EEEvT1_
		.amdhsa_group_segment_fixed_size 0
		.amdhsa_private_segment_fixed_size 0
		.amdhsa_kernarg_size 104
		.amdhsa_user_sgpr_count 2
		.amdhsa_user_sgpr_dispatch_ptr 0
		.amdhsa_user_sgpr_queue_ptr 0
		.amdhsa_user_sgpr_kernarg_segment_ptr 1
		.amdhsa_user_sgpr_dispatch_id 0
		.amdhsa_user_sgpr_private_segment_size 0
		.amdhsa_wavefront_size32 1
		.amdhsa_uses_dynamic_stack 0
		.amdhsa_enable_private_segment 0
		.amdhsa_system_sgpr_workgroup_id_x 1
		.amdhsa_system_sgpr_workgroup_id_y 0
		.amdhsa_system_sgpr_workgroup_id_z 0
		.amdhsa_system_sgpr_workgroup_info 0
		.amdhsa_system_vgpr_workitem_id 0
		.amdhsa_next_free_vgpr 1
		.amdhsa_next_free_sgpr 1
		.amdhsa_reserve_vcc 0
		.amdhsa_float_round_mode_32 0
		.amdhsa_float_round_mode_16_64 0
		.amdhsa_float_denorm_mode_32 3
		.amdhsa_float_denorm_mode_16_64 3
		.amdhsa_fp16_overflow 0
		.amdhsa_workgroup_processor_mode 1
		.amdhsa_memory_ordered 1
		.amdhsa_forward_progress 1
		.amdhsa_inst_pref_size 0
		.amdhsa_round_robin_scheduling 0
		.amdhsa_exception_fp_ieee_invalid_op 0
		.amdhsa_exception_fp_denorm_src 0
		.amdhsa_exception_fp_ieee_div_zero 0
		.amdhsa_exception_fp_ieee_overflow 0
		.amdhsa_exception_fp_ieee_underflow 0
		.amdhsa_exception_fp_ieee_inexact 0
		.amdhsa_exception_int_div_zero 0
	.end_amdhsa_kernel
	.section	.text._ZN7rocprim17ROCPRIM_400000_NS6detail17trampoline_kernelINS0_14default_configENS1_20scan_config_selectorIdEEZZNS1_9scan_implILNS1_25lookback_scan_determinismE0ELb0ELb0ES3_PKdPddZZZN2at6native31launch_logcumsumexp_cuda_kernelERKNSB_10TensorBaseESF_lENKUlvE_clEvENKUlvE_clEvEUlddE_dEEDaPvRmT3_T4_T5_mT6_P12ihipStream_tbENKUlT_T0_E_clISt17integral_constantIbLb0EESW_EEDaSR_SS_EUlSR_E_NS1_11comp_targetILNS1_3genE3ELNS1_11target_archE908ELNS1_3gpuE7ELNS1_3repE0EEENS1_30default_config_static_selectorELNS0_4arch9wavefront6targetE0EEEvT1_,"axG",@progbits,_ZN7rocprim17ROCPRIM_400000_NS6detail17trampoline_kernelINS0_14default_configENS1_20scan_config_selectorIdEEZZNS1_9scan_implILNS1_25lookback_scan_determinismE0ELb0ELb0ES3_PKdPddZZZN2at6native31launch_logcumsumexp_cuda_kernelERKNSB_10TensorBaseESF_lENKUlvE_clEvENKUlvE_clEvEUlddE_dEEDaPvRmT3_T4_T5_mT6_P12ihipStream_tbENKUlT_T0_E_clISt17integral_constantIbLb0EESW_EEDaSR_SS_EUlSR_E_NS1_11comp_targetILNS1_3genE3ELNS1_11target_archE908ELNS1_3gpuE7ELNS1_3repE0EEENS1_30default_config_static_selectorELNS0_4arch9wavefront6targetE0EEEvT1_,comdat
.Lfunc_end4:
	.size	_ZN7rocprim17ROCPRIM_400000_NS6detail17trampoline_kernelINS0_14default_configENS1_20scan_config_selectorIdEEZZNS1_9scan_implILNS1_25lookback_scan_determinismE0ELb0ELb0ES3_PKdPddZZZN2at6native31launch_logcumsumexp_cuda_kernelERKNSB_10TensorBaseESF_lENKUlvE_clEvENKUlvE_clEvEUlddE_dEEDaPvRmT3_T4_T5_mT6_P12ihipStream_tbENKUlT_T0_E_clISt17integral_constantIbLb0EESW_EEDaSR_SS_EUlSR_E_NS1_11comp_targetILNS1_3genE3ELNS1_11target_archE908ELNS1_3gpuE7ELNS1_3repE0EEENS1_30default_config_static_selectorELNS0_4arch9wavefront6targetE0EEEvT1_, .Lfunc_end4-_ZN7rocprim17ROCPRIM_400000_NS6detail17trampoline_kernelINS0_14default_configENS1_20scan_config_selectorIdEEZZNS1_9scan_implILNS1_25lookback_scan_determinismE0ELb0ELb0ES3_PKdPddZZZN2at6native31launch_logcumsumexp_cuda_kernelERKNSB_10TensorBaseESF_lENKUlvE_clEvENKUlvE_clEvEUlddE_dEEDaPvRmT3_T4_T5_mT6_P12ihipStream_tbENKUlT_T0_E_clISt17integral_constantIbLb0EESW_EEDaSR_SS_EUlSR_E_NS1_11comp_targetILNS1_3genE3ELNS1_11target_archE908ELNS1_3gpuE7ELNS1_3repE0EEENS1_30default_config_static_selectorELNS0_4arch9wavefront6targetE0EEEvT1_
                                        ; -- End function
	.set _ZN7rocprim17ROCPRIM_400000_NS6detail17trampoline_kernelINS0_14default_configENS1_20scan_config_selectorIdEEZZNS1_9scan_implILNS1_25lookback_scan_determinismE0ELb0ELb0ES3_PKdPddZZZN2at6native31launch_logcumsumexp_cuda_kernelERKNSB_10TensorBaseESF_lENKUlvE_clEvENKUlvE_clEvEUlddE_dEEDaPvRmT3_T4_T5_mT6_P12ihipStream_tbENKUlT_T0_E_clISt17integral_constantIbLb0EESW_EEDaSR_SS_EUlSR_E_NS1_11comp_targetILNS1_3genE3ELNS1_11target_archE908ELNS1_3gpuE7ELNS1_3repE0EEENS1_30default_config_static_selectorELNS0_4arch9wavefront6targetE0EEEvT1_.num_vgpr, 0
	.set _ZN7rocprim17ROCPRIM_400000_NS6detail17trampoline_kernelINS0_14default_configENS1_20scan_config_selectorIdEEZZNS1_9scan_implILNS1_25lookback_scan_determinismE0ELb0ELb0ES3_PKdPddZZZN2at6native31launch_logcumsumexp_cuda_kernelERKNSB_10TensorBaseESF_lENKUlvE_clEvENKUlvE_clEvEUlddE_dEEDaPvRmT3_T4_T5_mT6_P12ihipStream_tbENKUlT_T0_E_clISt17integral_constantIbLb0EESW_EEDaSR_SS_EUlSR_E_NS1_11comp_targetILNS1_3genE3ELNS1_11target_archE908ELNS1_3gpuE7ELNS1_3repE0EEENS1_30default_config_static_selectorELNS0_4arch9wavefront6targetE0EEEvT1_.num_agpr, 0
	.set _ZN7rocprim17ROCPRIM_400000_NS6detail17trampoline_kernelINS0_14default_configENS1_20scan_config_selectorIdEEZZNS1_9scan_implILNS1_25lookback_scan_determinismE0ELb0ELb0ES3_PKdPddZZZN2at6native31launch_logcumsumexp_cuda_kernelERKNSB_10TensorBaseESF_lENKUlvE_clEvENKUlvE_clEvEUlddE_dEEDaPvRmT3_T4_T5_mT6_P12ihipStream_tbENKUlT_T0_E_clISt17integral_constantIbLb0EESW_EEDaSR_SS_EUlSR_E_NS1_11comp_targetILNS1_3genE3ELNS1_11target_archE908ELNS1_3gpuE7ELNS1_3repE0EEENS1_30default_config_static_selectorELNS0_4arch9wavefront6targetE0EEEvT1_.numbered_sgpr, 0
	.set _ZN7rocprim17ROCPRIM_400000_NS6detail17trampoline_kernelINS0_14default_configENS1_20scan_config_selectorIdEEZZNS1_9scan_implILNS1_25lookback_scan_determinismE0ELb0ELb0ES3_PKdPddZZZN2at6native31launch_logcumsumexp_cuda_kernelERKNSB_10TensorBaseESF_lENKUlvE_clEvENKUlvE_clEvEUlddE_dEEDaPvRmT3_T4_T5_mT6_P12ihipStream_tbENKUlT_T0_E_clISt17integral_constantIbLb0EESW_EEDaSR_SS_EUlSR_E_NS1_11comp_targetILNS1_3genE3ELNS1_11target_archE908ELNS1_3gpuE7ELNS1_3repE0EEENS1_30default_config_static_selectorELNS0_4arch9wavefront6targetE0EEEvT1_.num_named_barrier, 0
	.set _ZN7rocprim17ROCPRIM_400000_NS6detail17trampoline_kernelINS0_14default_configENS1_20scan_config_selectorIdEEZZNS1_9scan_implILNS1_25lookback_scan_determinismE0ELb0ELb0ES3_PKdPddZZZN2at6native31launch_logcumsumexp_cuda_kernelERKNSB_10TensorBaseESF_lENKUlvE_clEvENKUlvE_clEvEUlddE_dEEDaPvRmT3_T4_T5_mT6_P12ihipStream_tbENKUlT_T0_E_clISt17integral_constantIbLb0EESW_EEDaSR_SS_EUlSR_E_NS1_11comp_targetILNS1_3genE3ELNS1_11target_archE908ELNS1_3gpuE7ELNS1_3repE0EEENS1_30default_config_static_selectorELNS0_4arch9wavefront6targetE0EEEvT1_.private_seg_size, 0
	.set _ZN7rocprim17ROCPRIM_400000_NS6detail17trampoline_kernelINS0_14default_configENS1_20scan_config_selectorIdEEZZNS1_9scan_implILNS1_25lookback_scan_determinismE0ELb0ELb0ES3_PKdPddZZZN2at6native31launch_logcumsumexp_cuda_kernelERKNSB_10TensorBaseESF_lENKUlvE_clEvENKUlvE_clEvEUlddE_dEEDaPvRmT3_T4_T5_mT6_P12ihipStream_tbENKUlT_T0_E_clISt17integral_constantIbLb0EESW_EEDaSR_SS_EUlSR_E_NS1_11comp_targetILNS1_3genE3ELNS1_11target_archE908ELNS1_3gpuE7ELNS1_3repE0EEENS1_30default_config_static_selectorELNS0_4arch9wavefront6targetE0EEEvT1_.uses_vcc, 0
	.set _ZN7rocprim17ROCPRIM_400000_NS6detail17trampoline_kernelINS0_14default_configENS1_20scan_config_selectorIdEEZZNS1_9scan_implILNS1_25lookback_scan_determinismE0ELb0ELb0ES3_PKdPddZZZN2at6native31launch_logcumsumexp_cuda_kernelERKNSB_10TensorBaseESF_lENKUlvE_clEvENKUlvE_clEvEUlddE_dEEDaPvRmT3_T4_T5_mT6_P12ihipStream_tbENKUlT_T0_E_clISt17integral_constantIbLb0EESW_EEDaSR_SS_EUlSR_E_NS1_11comp_targetILNS1_3genE3ELNS1_11target_archE908ELNS1_3gpuE7ELNS1_3repE0EEENS1_30default_config_static_selectorELNS0_4arch9wavefront6targetE0EEEvT1_.uses_flat_scratch, 0
	.set _ZN7rocprim17ROCPRIM_400000_NS6detail17trampoline_kernelINS0_14default_configENS1_20scan_config_selectorIdEEZZNS1_9scan_implILNS1_25lookback_scan_determinismE0ELb0ELb0ES3_PKdPddZZZN2at6native31launch_logcumsumexp_cuda_kernelERKNSB_10TensorBaseESF_lENKUlvE_clEvENKUlvE_clEvEUlddE_dEEDaPvRmT3_T4_T5_mT6_P12ihipStream_tbENKUlT_T0_E_clISt17integral_constantIbLb0EESW_EEDaSR_SS_EUlSR_E_NS1_11comp_targetILNS1_3genE3ELNS1_11target_archE908ELNS1_3gpuE7ELNS1_3repE0EEENS1_30default_config_static_selectorELNS0_4arch9wavefront6targetE0EEEvT1_.has_dyn_sized_stack, 0
	.set _ZN7rocprim17ROCPRIM_400000_NS6detail17trampoline_kernelINS0_14default_configENS1_20scan_config_selectorIdEEZZNS1_9scan_implILNS1_25lookback_scan_determinismE0ELb0ELb0ES3_PKdPddZZZN2at6native31launch_logcumsumexp_cuda_kernelERKNSB_10TensorBaseESF_lENKUlvE_clEvENKUlvE_clEvEUlddE_dEEDaPvRmT3_T4_T5_mT6_P12ihipStream_tbENKUlT_T0_E_clISt17integral_constantIbLb0EESW_EEDaSR_SS_EUlSR_E_NS1_11comp_targetILNS1_3genE3ELNS1_11target_archE908ELNS1_3gpuE7ELNS1_3repE0EEENS1_30default_config_static_selectorELNS0_4arch9wavefront6targetE0EEEvT1_.has_recursion, 0
	.set _ZN7rocprim17ROCPRIM_400000_NS6detail17trampoline_kernelINS0_14default_configENS1_20scan_config_selectorIdEEZZNS1_9scan_implILNS1_25lookback_scan_determinismE0ELb0ELb0ES3_PKdPddZZZN2at6native31launch_logcumsumexp_cuda_kernelERKNSB_10TensorBaseESF_lENKUlvE_clEvENKUlvE_clEvEUlddE_dEEDaPvRmT3_T4_T5_mT6_P12ihipStream_tbENKUlT_T0_E_clISt17integral_constantIbLb0EESW_EEDaSR_SS_EUlSR_E_NS1_11comp_targetILNS1_3genE3ELNS1_11target_archE908ELNS1_3gpuE7ELNS1_3repE0EEENS1_30default_config_static_selectorELNS0_4arch9wavefront6targetE0EEEvT1_.has_indirect_call, 0
	.section	.AMDGPU.csdata,"",@progbits
; Kernel info:
; codeLenInByte = 0
; TotalNumSgprs: 0
; NumVgprs: 0
; ScratchSize: 0
; MemoryBound: 0
; FloatMode: 240
; IeeeMode: 1
; LDSByteSize: 0 bytes/workgroup (compile time only)
; SGPRBlocks: 0
; VGPRBlocks: 0
; NumSGPRsForWavesPerEU: 1
; NumVGPRsForWavesPerEU: 1
; Occupancy: 16
; WaveLimiterHint : 0
; COMPUTE_PGM_RSRC2:SCRATCH_EN: 0
; COMPUTE_PGM_RSRC2:USER_SGPR: 2
; COMPUTE_PGM_RSRC2:TRAP_HANDLER: 0
; COMPUTE_PGM_RSRC2:TGID_X_EN: 1
; COMPUTE_PGM_RSRC2:TGID_Y_EN: 0
; COMPUTE_PGM_RSRC2:TGID_Z_EN: 0
; COMPUTE_PGM_RSRC2:TIDIG_COMP_CNT: 0
	.section	.text._ZN7rocprim17ROCPRIM_400000_NS6detail17trampoline_kernelINS0_14default_configENS1_20scan_config_selectorIdEEZZNS1_9scan_implILNS1_25lookback_scan_determinismE0ELb0ELb0ES3_PKdPddZZZN2at6native31launch_logcumsumexp_cuda_kernelERKNSB_10TensorBaseESF_lENKUlvE_clEvENKUlvE_clEvEUlddE_dEEDaPvRmT3_T4_T5_mT6_P12ihipStream_tbENKUlT_T0_E_clISt17integral_constantIbLb0EESW_EEDaSR_SS_EUlSR_E_NS1_11comp_targetILNS1_3genE2ELNS1_11target_archE906ELNS1_3gpuE6ELNS1_3repE0EEENS1_30default_config_static_selectorELNS0_4arch9wavefront6targetE0EEEvT1_,"axG",@progbits,_ZN7rocprim17ROCPRIM_400000_NS6detail17trampoline_kernelINS0_14default_configENS1_20scan_config_selectorIdEEZZNS1_9scan_implILNS1_25lookback_scan_determinismE0ELb0ELb0ES3_PKdPddZZZN2at6native31launch_logcumsumexp_cuda_kernelERKNSB_10TensorBaseESF_lENKUlvE_clEvENKUlvE_clEvEUlddE_dEEDaPvRmT3_T4_T5_mT6_P12ihipStream_tbENKUlT_T0_E_clISt17integral_constantIbLb0EESW_EEDaSR_SS_EUlSR_E_NS1_11comp_targetILNS1_3genE2ELNS1_11target_archE906ELNS1_3gpuE6ELNS1_3repE0EEENS1_30default_config_static_selectorELNS0_4arch9wavefront6targetE0EEEvT1_,comdat
	.globl	_ZN7rocprim17ROCPRIM_400000_NS6detail17trampoline_kernelINS0_14default_configENS1_20scan_config_selectorIdEEZZNS1_9scan_implILNS1_25lookback_scan_determinismE0ELb0ELb0ES3_PKdPddZZZN2at6native31launch_logcumsumexp_cuda_kernelERKNSB_10TensorBaseESF_lENKUlvE_clEvENKUlvE_clEvEUlddE_dEEDaPvRmT3_T4_T5_mT6_P12ihipStream_tbENKUlT_T0_E_clISt17integral_constantIbLb0EESW_EEDaSR_SS_EUlSR_E_NS1_11comp_targetILNS1_3genE2ELNS1_11target_archE906ELNS1_3gpuE6ELNS1_3repE0EEENS1_30default_config_static_selectorELNS0_4arch9wavefront6targetE0EEEvT1_ ; -- Begin function _ZN7rocprim17ROCPRIM_400000_NS6detail17trampoline_kernelINS0_14default_configENS1_20scan_config_selectorIdEEZZNS1_9scan_implILNS1_25lookback_scan_determinismE0ELb0ELb0ES3_PKdPddZZZN2at6native31launch_logcumsumexp_cuda_kernelERKNSB_10TensorBaseESF_lENKUlvE_clEvENKUlvE_clEvEUlddE_dEEDaPvRmT3_T4_T5_mT6_P12ihipStream_tbENKUlT_T0_E_clISt17integral_constantIbLb0EESW_EEDaSR_SS_EUlSR_E_NS1_11comp_targetILNS1_3genE2ELNS1_11target_archE906ELNS1_3gpuE6ELNS1_3repE0EEENS1_30default_config_static_selectorELNS0_4arch9wavefront6targetE0EEEvT1_
	.p2align	8
	.type	_ZN7rocprim17ROCPRIM_400000_NS6detail17trampoline_kernelINS0_14default_configENS1_20scan_config_selectorIdEEZZNS1_9scan_implILNS1_25lookback_scan_determinismE0ELb0ELb0ES3_PKdPddZZZN2at6native31launch_logcumsumexp_cuda_kernelERKNSB_10TensorBaseESF_lENKUlvE_clEvENKUlvE_clEvEUlddE_dEEDaPvRmT3_T4_T5_mT6_P12ihipStream_tbENKUlT_T0_E_clISt17integral_constantIbLb0EESW_EEDaSR_SS_EUlSR_E_NS1_11comp_targetILNS1_3genE2ELNS1_11target_archE906ELNS1_3gpuE6ELNS1_3repE0EEENS1_30default_config_static_selectorELNS0_4arch9wavefront6targetE0EEEvT1_,@function
_ZN7rocprim17ROCPRIM_400000_NS6detail17trampoline_kernelINS0_14default_configENS1_20scan_config_selectorIdEEZZNS1_9scan_implILNS1_25lookback_scan_determinismE0ELb0ELb0ES3_PKdPddZZZN2at6native31launch_logcumsumexp_cuda_kernelERKNSB_10TensorBaseESF_lENKUlvE_clEvENKUlvE_clEvEUlddE_dEEDaPvRmT3_T4_T5_mT6_P12ihipStream_tbENKUlT_T0_E_clISt17integral_constantIbLb0EESW_EEDaSR_SS_EUlSR_E_NS1_11comp_targetILNS1_3genE2ELNS1_11target_archE906ELNS1_3gpuE6ELNS1_3repE0EEENS1_30default_config_static_selectorELNS0_4arch9wavefront6targetE0EEEvT1_: ; @_ZN7rocprim17ROCPRIM_400000_NS6detail17trampoline_kernelINS0_14default_configENS1_20scan_config_selectorIdEEZZNS1_9scan_implILNS1_25lookback_scan_determinismE0ELb0ELb0ES3_PKdPddZZZN2at6native31launch_logcumsumexp_cuda_kernelERKNSB_10TensorBaseESF_lENKUlvE_clEvENKUlvE_clEvEUlddE_dEEDaPvRmT3_T4_T5_mT6_P12ihipStream_tbENKUlT_T0_E_clISt17integral_constantIbLb0EESW_EEDaSR_SS_EUlSR_E_NS1_11comp_targetILNS1_3genE2ELNS1_11target_archE906ELNS1_3gpuE6ELNS1_3repE0EEENS1_30default_config_static_selectorELNS0_4arch9wavefront6targetE0EEEvT1_
; %bb.0:
	.section	.rodata,"a",@progbits
	.p2align	6, 0x0
	.amdhsa_kernel _ZN7rocprim17ROCPRIM_400000_NS6detail17trampoline_kernelINS0_14default_configENS1_20scan_config_selectorIdEEZZNS1_9scan_implILNS1_25lookback_scan_determinismE0ELb0ELb0ES3_PKdPddZZZN2at6native31launch_logcumsumexp_cuda_kernelERKNSB_10TensorBaseESF_lENKUlvE_clEvENKUlvE_clEvEUlddE_dEEDaPvRmT3_T4_T5_mT6_P12ihipStream_tbENKUlT_T0_E_clISt17integral_constantIbLb0EESW_EEDaSR_SS_EUlSR_E_NS1_11comp_targetILNS1_3genE2ELNS1_11target_archE906ELNS1_3gpuE6ELNS1_3repE0EEENS1_30default_config_static_selectorELNS0_4arch9wavefront6targetE0EEEvT1_
		.amdhsa_group_segment_fixed_size 0
		.amdhsa_private_segment_fixed_size 0
		.amdhsa_kernarg_size 104
		.amdhsa_user_sgpr_count 2
		.amdhsa_user_sgpr_dispatch_ptr 0
		.amdhsa_user_sgpr_queue_ptr 0
		.amdhsa_user_sgpr_kernarg_segment_ptr 1
		.amdhsa_user_sgpr_dispatch_id 0
		.amdhsa_user_sgpr_private_segment_size 0
		.amdhsa_wavefront_size32 1
		.amdhsa_uses_dynamic_stack 0
		.amdhsa_enable_private_segment 0
		.amdhsa_system_sgpr_workgroup_id_x 1
		.amdhsa_system_sgpr_workgroup_id_y 0
		.amdhsa_system_sgpr_workgroup_id_z 0
		.amdhsa_system_sgpr_workgroup_info 0
		.amdhsa_system_vgpr_workitem_id 0
		.amdhsa_next_free_vgpr 1
		.amdhsa_next_free_sgpr 1
		.amdhsa_reserve_vcc 0
		.amdhsa_float_round_mode_32 0
		.amdhsa_float_round_mode_16_64 0
		.amdhsa_float_denorm_mode_32 3
		.amdhsa_float_denorm_mode_16_64 3
		.amdhsa_fp16_overflow 0
		.amdhsa_workgroup_processor_mode 1
		.amdhsa_memory_ordered 1
		.amdhsa_forward_progress 1
		.amdhsa_inst_pref_size 0
		.amdhsa_round_robin_scheduling 0
		.amdhsa_exception_fp_ieee_invalid_op 0
		.amdhsa_exception_fp_denorm_src 0
		.amdhsa_exception_fp_ieee_div_zero 0
		.amdhsa_exception_fp_ieee_overflow 0
		.amdhsa_exception_fp_ieee_underflow 0
		.amdhsa_exception_fp_ieee_inexact 0
		.amdhsa_exception_int_div_zero 0
	.end_amdhsa_kernel
	.section	.text._ZN7rocprim17ROCPRIM_400000_NS6detail17trampoline_kernelINS0_14default_configENS1_20scan_config_selectorIdEEZZNS1_9scan_implILNS1_25lookback_scan_determinismE0ELb0ELb0ES3_PKdPddZZZN2at6native31launch_logcumsumexp_cuda_kernelERKNSB_10TensorBaseESF_lENKUlvE_clEvENKUlvE_clEvEUlddE_dEEDaPvRmT3_T4_T5_mT6_P12ihipStream_tbENKUlT_T0_E_clISt17integral_constantIbLb0EESW_EEDaSR_SS_EUlSR_E_NS1_11comp_targetILNS1_3genE2ELNS1_11target_archE906ELNS1_3gpuE6ELNS1_3repE0EEENS1_30default_config_static_selectorELNS0_4arch9wavefront6targetE0EEEvT1_,"axG",@progbits,_ZN7rocprim17ROCPRIM_400000_NS6detail17trampoline_kernelINS0_14default_configENS1_20scan_config_selectorIdEEZZNS1_9scan_implILNS1_25lookback_scan_determinismE0ELb0ELb0ES3_PKdPddZZZN2at6native31launch_logcumsumexp_cuda_kernelERKNSB_10TensorBaseESF_lENKUlvE_clEvENKUlvE_clEvEUlddE_dEEDaPvRmT3_T4_T5_mT6_P12ihipStream_tbENKUlT_T0_E_clISt17integral_constantIbLb0EESW_EEDaSR_SS_EUlSR_E_NS1_11comp_targetILNS1_3genE2ELNS1_11target_archE906ELNS1_3gpuE6ELNS1_3repE0EEENS1_30default_config_static_selectorELNS0_4arch9wavefront6targetE0EEEvT1_,comdat
.Lfunc_end5:
	.size	_ZN7rocprim17ROCPRIM_400000_NS6detail17trampoline_kernelINS0_14default_configENS1_20scan_config_selectorIdEEZZNS1_9scan_implILNS1_25lookback_scan_determinismE0ELb0ELb0ES3_PKdPddZZZN2at6native31launch_logcumsumexp_cuda_kernelERKNSB_10TensorBaseESF_lENKUlvE_clEvENKUlvE_clEvEUlddE_dEEDaPvRmT3_T4_T5_mT6_P12ihipStream_tbENKUlT_T0_E_clISt17integral_constantIbLb0EESW_EEDaSR_SS_EUlSR_E_NS1_11comp_targetILNS1_3genE2ELNS1_11target_archE906ELNS1_3gpuE6ELNS1_3repE0EEENS1_30default_config_static_selectorELNS0_4arch9wavefront6targetE0EEEvT1_, .Lfunc_end5-_ZN7rocprim17ROCPRIM_400000_NS6detail17trampoline_kernelINS0_14default_configENS1_20scan_config_selectorIdEEZZNS1_9scan_implILNS1_25lookback_scan_determinismE0ELb0ELb0ES3_PKdPddZZZN2at6native31launch_logcumsumexp_cuda_kernelERKNSB_10TensorBaseESF_lENKUlvE_clEvENKUlvE_clEvEUlddE_dEEDaPvRmT3_T4_T5_mT6_P12ihipStream_tbENKUlT_T0_E_clISt17integral_constantIbLb0EESW_EEDaSR_SS_EUlSR_E_NS1_11comp_targetILNS1_3genE2ELNS1_11target_archE906ELNS1_3gpuE6ELNS1_3repE0EEENS1_30default_config_static_selectorELNS0_4arch9wavefront6targetE0EEEvT1_
                                        ; -- End function
	.set _ZN7rocprim17ROCPRIM_400000_NS6detail17trampoline_kernelINS0_14default_configENS1_20scan_config_selectorIdEEZZNS1_9scan_implILNS1_25lookback_scan_determinismE0ELb0ELb0ES3_PKdPddZZZN2at6native31launch_logcumsumexp_cuda_kernelERKNSB_10TensorBaseESF_lENKUlvE_clEvENKUlvE_clEvEUlddE_dEEDaPvRmT3_T4_T5_mT6_P12ihipStream_tbENKUlT_T0_E_clISt17integral_constantIbLb0EESW_EEDaSR_SS_EUlSR_E_NS1_11comp_targetILNS1_3genE2ELNS1_11target_archE906ELNS1_3gpuE6ELNS1_3repE0EEENS1_30default_config_static_selectorELNS0_4arch9wavefront6targetE0EEEvT1_.num_vgpr, 0
	.set _ZN7rocprim17ROCPRIM_400000_NS6detail17trampoline_kernelINS0_14default_configENS1_20scan_config_selectorIdEEZZNS1_9scan_implILNS1_25lookback_scan_determinismE0ELb0ELb0ES3_PKdPddZZZN2at6native31launch_logcumsumexp_cuda_kernelERKNSB_10TensorBaseESF_lENKUlvE_clEvENKUlvE_clEvEUlddE_dEEDaPvRmT3_T4_T5_mT6_P12ihipStream_tbENKUlT_T0_E_clISt17integral_constantIbLb0EESW_EEDaSR_SS_EUlSR_E_NS1_11comp_targetILNS1_3genE2ELNS1_11target_archE906ELNS1_3gpuE6ELNS1_3repE0EEENS1_30default_config_static_selectorELNS0_4arch9wavefront6targetE0EEEvT1_.num_agpr, 0
	.set _ZN7rocprim17ROCPRIM_400000_NS6detail17trampoline_kernelINS0_14default_configENS1_20scan_config_selectorIdEEZZNS1_9scan_implILNS1_25lookback_scan_determinismE0ELb0ELb0ES3_PKdPddZZZN2at6native31launch_logcumsumexp_cuda_kernelERKNSB_10TensorBaseESF_lENKUlvE_clEvENKUlvE_clEvEUlddE_dEEDaPvRmT3_T4_T5_mT6_P12ihipStream_tbENKUlT_T0_E_clISt17integral_constantIbLb0EESW_EEDaSR_SS_EUlSR_E_NS1_11comp_targetILNS1_3genE2ELNS1_11target_archE906ELNS1_3gpuE6ELNS1_3repE0EEENS1_30default_config_static_selectorELNS0_4arch9wavefront6targetE0EEEvT1_.numbered_sgpr, 0
	.set _ZN7rocprim17ROCPRIM_400000_NS6detail17trampoline_kernelINS0_14default_configENS1_20scan_config_selectorIdEEZZNS1_9scan_implILNS1_25lookback_scan_determinismE0ELb0ELb0ES3_PKdPddZZZN2at6native31launch_logcumsumexp_cuda_kernelERKNSB_10TensorBaseESF_lENKUlvE_clEvENKUlvE_clEvEUlddE_dEEDaPvRmT3_T4_T5_mT6_P12ihipStream_tbENKUlT_T0_E_clISt17integral_constantIbLb0EESW_EEDaSR_SS_EUlSR_E_NS1_11comp_targetILNS1_3genE2ELNS1_11target_archE906ELNS1_3gpuE6ELNS1_3repE0EEENS1_30default_config_static_selectorELNS0_4arch9wavefront6targetE0EEEvT1_.num_named_barrier, 0
	.set _ZN7rocprim17ROCPRIM_400000_NS6detail17trampoline_kernelINS0_14default_configENS1_20scan_config_selectorIdEEZZNS1_9scan_implILNS1_25lookback_scan_determinismE0ELb0ELb0ES3_PKdPddZZZN2at6native31launch_logcumsumexp_cuda_kernelERKNSB_10TensorBaseESF_lENKUlvE_clEvENKUlvE_clEvEUlddE_dEEDaPvRmT3_T4_T5_mT6_P12ihipStream_tbENKUlT_T0_E_clISt17integral_constantIbLb0EESW_EEDaSR_SS_EUlSR_E_NS1_11comp_targetILNS1_3genE2ELNS1_11target_archE906ELNS1_3gpuE6ELNS1_3repE0EEENS1_30default_config_static_selectorELNS0_4arch9wavefront6targetE0EEEvT1_.private_seg_size, 0
	.set _ZN7rocprim17ROCPRIM_400000_NS6detail17trampoline_kernelINS0_14default_configENS1_20scan_config_selectorIdEEZZNS1_9scan_implILNS1_25lookback_scan_determinismE0ELb0ELb0ES3_PKdPddZZZN2at6native31launch_logcumsumexp_cuda_kernelERKNSB_10TensorBaseESF_lENKUlvE_clEvENKUlvE_clEvEUlddE_dEEDaPvRmT3_T4_T5_mT6_P12ihipStream_tbENKUlT_T0_E_clISt17integral_constantIbLb0EESW_EEDaSR_SS_EUlSR_E_NS1_11comp_targetILNS1_3genE2ELNS1_11target_archE906ELNS1_3gpuE6ELNS1_3repE0EEENS1_30default_config_static_selectorELNS0_4arch9wavefront6targetE0EEEvT1_.uses_vcc, 0
	.set _ZN7rocprim17ROCPRIM_400000_NS6detail17trampoline_kernelINS0_14default_configENS1_20scan_config_selectorIdEEZZNS1_9scan_implILNS1_25lookback_scan_determinismE0ELb0ELb0ES3_PKdPddZZZN2at6native31launch_logcumsumexp_cuda_kernelERKNSB_10TensorBaseESF_lENKUlvE_clEvENKUlvE_clEvEUlddE_dEEDaPvRmT3_T4_T5_mT6_P12ihipStream_tbENKUlT_T0_E_clISt17integral_constantIbLb0EESW_EEDaSR_SS_EUlSR_E_NS1_11comp_targetILNS1_3genE2ELNS1_11target_archE906ELNS1_3gpuE6ELNS1_3repE0EEENS1_30default_config_static_selectorELNS0_4arch9wavefront6targetE0EEEvT1_.uses_flat_scratch, 0
	.set _ZN7rocprim17ROCPRIM_400000_NS6detail17trampoline_kernelINS0_14default_configENS1_20scan_config_selectorIdEEZZNS1_9scan_implILNS1_25lookback_scan_determinismE0ELb0ELb0ES3_PKdPddZZZN2at6native31launch_logcumsumexp_cuda_kernelERKNSB_10TensorBaseESF_lENKUlvE_clEvENKUlvE_clEvEUlddE_dEEDaPvRmT3_T4_T5_mT6_P12ihipStream_tbENKUlT_T0_E_clISt17integral_constantIbLb0EESW_EEDaSR_SS_EUlSR_E_NS1_11comp_targetILNS1_3genE2ELNS1_11target_archE906ELNS1_3gpuE6ELNS1_3repE0EEENS1_30default_config_static_selectorELNS0_4arch9wavefront6targetE0EEEvT1_.has_dyn_sized_stack, 0
	.set _ZN7rocprim17ROCPRIM_400000_NS6detail17trampoline_kernelINS0_14default_configENS1_20scan_config_selectorIdEEZZNS1_9scan_implILNS1_25lookback_scan_determinismE0ELb0ELb0ES3_PKdPddZZZN2at6native31launch_logcumsumexp_cuda_kernelERKNSB_10TensorBaseESF_lENKUlvE_clEvENKUlvE_clEvEUlddE_dEEDaPvRmT3_T4_T5_mT6_P12ihipStream_tbENKUlT_T0_E_clISt17integral_constantIbLb0EESW_EEDaSR_SS_EUlSR_E_NS1_11comp_targetILNS1_3genE2ELNS1_11target_archE906ELNS1_3gpuE6ELNS1_3repE0EEENS1_30default_config_static_selectorELNS0_4arch9wavefront6targetE0EEEvT1_.has_recursion, 0
	.set _ZN7rocprim17ROCPRIM_400000_NS6detail17trampoline_kernelINS0_14default_configENS1_20scan_config_selectorIdEEZZNS1_9scan_implILNS1_25lookback_scan_determinismE0ELb0ELb0ES3_PKdPddZZZN2at6native31launch_logcumsumexp_cuda_kernelERKNSB_10TensorBaseESF_lENKUlvE_clEvENKUlvE_clEvEUlddE_dEEDaPvRmT3_T4_T5_mT6_P12ihipStream_tbENKUlT_T0_E_clISt17integral_constantIbLb0EESW_EEDaSR_SS_EUlSR_E_NS1_11comp_targetILNS1_3genE2ELNS1_11target_archE906ELNS1_3gpuE6ELNS1_3repE0EEENS1_30default_config_static_selectorELNS0_4arch9wavefront6targetE0EEEvT1_.has_indirect_call, 0
	.section	.AMDGPU.csdata,"",@progbits
; Kernel info:
; codeLenInByte = 0
; TotalNumSgprs: 0
; NumVgprs: 0
; ScratchSize: 0
; MemoryBound: 0
; FloatMode: 240
; IeeeMode: 1
; LDSByteSize: 0 bytes/workgroup (compile time only)
; SGPRBlocks: 0
; VGPRBlocks: 0
; NumSGPRsForWavesPerEU: 1
; NumVGPRsForWavesPerEU: 1
; Occupancy: 16
; WaveLimiterHint : 0
; COMPUTE_PGM_RSRC2:SCRATCH_EN: 0
; COMPUTE_PGM_RSRC2:USER_SGPR: 2
; COMPUTE_PGM_RSRC2:TRAP_HANDLER: 0
; COMPUTE_PGM_RSRC2:TGID_X_EN: 1
; COMPUTE_PGM_RSRC2:TGID_Y_EN: 0
; COMPUTE_PGM_RSRC2:TGID_Z_EN: 0
; COMPUTE_PGM_RSRC2:TIDIG_COMP_CNT: 0
	.section	.text._ZN7rocprim17ROCPRIM_400000_NS6detail17trampoline_kernelINS0_14default_configENS1_20scan_config_selectorIdEEZZNS1_9scan_implILNS1_25lookback_scan_determinismE0ELb0ELb0ES3_PKdPddZZZN2at6native31launch_logcumsumexp_cuda_kernelERKNSB_10TensorBaseESF_lENKUlvE_clEvENKUlvE_clEvEUlddE_dEEDaPvRmT3_T4_T5_mT6_P12ihipStream_tbENKUlT_T0_E_clISt17integral_constantIbLb0EESW_EEDaSR_SS_EUlSR_E_NS1_11comp_targetILNS1_3genE10ELNS1_11target_archE1201ELNS1_3gpuE5ELNS1_3repE0EEENS1_30default_config_static_selectorELNS0_4arch9wavefront6targetE0EEEvT1_,"axG",@progbits,_ZN7rocprim17ROCPRIM_400000_NS6detail17trampoline_kernelINS0_14default_configENS1_20scan_config_selectorIdEEZZNS1_9scan_implILNS1_25lookback_scan_determinismE0ELb0ELb0ES3_PKdPddZZZN2at6native31launch_logcumsumexp_cuda_kernelERKNSB_10TensorBaseESF_lENKUlvE_clEvENKUlvE_clEvEUlddE_dEEDaPvRmT3_T4_T5_mT6_P12ihipStream_tbENKUlT_T0_E_clISt17integral_constantIbLb0EESW_EEDaSR_SS_EUlSR_E_NS1_11comp_targetILNS1_3genE10ELNS1_11target_archE1201ELNS1_3gpuE5ELNS1_3repE0EEENS1_30default_config_static_selectorELNS0_4arch9wavefront6targetE0EEEvT1_,comdat
	.globl	_ZN7rocprim17ROCPRIM_400000_NS6detail17trampoline_kernelINS0_14default_configENS1_20scan_config_selectorIdEEZZNS1_9scan_implILNS1_25lookback_scan_determinismE0ELb0ELb0ES3_PKdPddZZZN2at6native31launch_logcumsumexp_cuda_kernelERKNSB_10TensorBaseESF_lENKUlvE_clEvENKUlvE_clEvEUlddE_dEEDaPvRmT3_T4_T5_mT6_P12ihipStream_tbENKUlT_T0_E_clISt17integral_constantIbLb0EESW_EEDaSR_SS_EUlSR_E_NS1_11comp_targetILNS1_3genE10ELNS1_11target_archE1201ELNS1_3gpuE5ELNS1_3repE0EEENS1_30default_config_static_selectorELNS0_4arch9wavefront6targetE0EEEvT1_ ; -- Begin function _ZN7rocprim17ROCPRIM_400000_NS6detail17trampoline_kernelINS0_14default_configENS1_20scan_config_selectorIdEEZZNS1_9scan_implILNS1_25lookback_scan_determinismE0ELb0ELb0ES3_PKdPddZZZN2at6native31launch_logcumsumexp_cuda_kernelERKNSB_10TensorBaseESF_lENKUlvE_clEvENKUlvE_clEvEUlddE_dEEDaPvRmT3_T4_T5_mT6_P12ihipStream_tbENKUlT_T0_E_clISt17integral_constantIbLb0EESW_EEDaSR_SS_EUlSR_E_NS1_11comp_targetILNS1_3genE10ELNS1_11target_archE1201ELNS1_3gpuE5ELNS1_3repE0EEENS1_30default_config_static_selectorELNS0_4arch9wavefront6targetE0EEEvT1_
	.p2align	8
	.type	_ZN7rocprim17ROCPRIM_400000_NS6detail17trampoline_kernelINS0_14default_configENS1_20scan_config_selectorIdEEZZNS1_9scan_implILNS1_25lookback_scan_determinismE0ELb0ELb0ES3_PKdPddZZZN2at6native31launch_logcumsumexp_cuda_kernelERKNSB_10TensorBaseESF_lENKUlvE_clEvENKUlvE_clEvEUlddE_dEEDaPvRmT3_T4_T5_mT6_P12ihipStream_tbENKUlT_T0_E_clISt17integral_constantIbLb0EESW_EEDaSR_SS_EUlSR_E_NS1_11comp_targetILNS1_3genE10ELNS1_11target_archE1201ELNS1_3gpuE5ELNS1_3repE0EEENS1_30default_config_static_selectorELNS0_4arch9wavefront6targetE0EEEvT1_,@function
_ZN7rocprim17ROCPRIM_400000_NS6detail17trampoline_kernelINS0_14default_configENS1_20scan_config_selectorIdEEZZNS1_9scan_implILNS1_25lookback_scan_determinismE0ELb0ELb0ES3_PKdPddZZZN2at6native31launch_logcumsumexp_cuda_kernelERKNSB_10TensorBaseESF_lENKUlvE_clEvENKUlvE_clEvEUlddE_dEEDaPvRmT3_T4_T5_mT6_P12ihipStream_tbENKUlT_T0_E_clISt17integral_constantIbLb0EESW_EEDaSR_SS_EUlSR_E_NS1_11comp_targetILNS1_3genE10ELNS1_11target_archE1201ELNS1_3gpuE5ELNS1_3repE0EEENS1_30default_config_static_selectorELNS0_4arch9wavefront6targetE0EEEvT1_: ; @_ZN7rocprim17ROCPRIM_400000_NS6detail17trampoline_kernelINS0_14default_configENS1_20scan_config_selectorIdEEZZNS1_9scan_implILNS1_25lookback_scan_determinismE0ELb0ELb0ES3_PKdPddZZZN2at6native31launch_logcumsumexp_cuda_kernelERKNSB_10TensorBaseESF_lENKUlvE_clEvENKUlvE_clEvEUlddE_dEEDaPvRmT3_T4_T5_mT6_P12ihipStream_tbENKUlT_T0_E_clISt17integral_constantIbLb0EESW_EEDaSR_SS_EUlSR_E_NS1_11comp_targetILNS1_3genE10ELNS1_11target_archE1201ELNS1_3gpuE5ELNS1_3repE0EEENS1_30default_config_static_selectorELNS0_4arch9wavefront6targetE0EEEvT1_
; %bb.0:
	s_clause 0x1
	s_load_b32 s2, s[0:1], 0x38
	s_load_b256 s[24:31], s[0:1], 0x0
	s_mov_b32 s3, 0
	s_lshl_b32 s4, ttmp9, 12
	s_mov_b32 s5, s3
	v_lshlrev_b32_e32 v98, 3, v0
	v_lshrrev_b32_e32 v99, 2, v0
	v_or_b32_e32 v97, 0x100, v0
	v_or_b32_e32 v96, 0x200, v0
	;; [unrolled: 1-line block ×13, first 2 shown]
	s_wait_kmcnt 0x0
	s_add_co_i32 s7, s2, -1
	s_lshl_b64 s[34:35], s[26:27], 3
	s_lshl_b32 s2, s7, 12
	s_cmp_lg_u32 ttmp9, s7
	v_or_b32_e32 v84, 0xe00, v0
	v_or_b32_e32 v83, 0xf00, v0
	s_add_nc_u64 s[8:9], s[24:25], s[34:35]
	s_cselect_b32 s33, -1, 0
	s_lshl_b64 s[68:69], s[4:5], 3
	s_mov_b32 s6, -1
	s_and_b32 vcc_lo, exec_lo, s33
	s_add_nc_u64 s[4:5], s[8:9], s[68:69]
	s_cbranch_vccz .LBB6_2
; %bb.1:
	s_clause 0xf
	global_load_b64 v[1:2], v98, s[4:5]
	global_load_b64 v[3:4], v98, s[4:5] offset:2048
	global_load_b64 v[5:6], v98, s[4:5] offset:4096
	;; [unrolled: 1-line block ×15, first 2 shown]
	v_lshrrev_b32_e32 v34, 2, v97
	v_lshrrev_b32_e32 v35, 2, v96
	;; [unrolled: 1-line block ×4, first 2 shown]
	v_and_b32_e32 v33, 56, v99
	v_lshrrev_b32_e32 v38, 2, v93
	v_lshrrev_b32_e32 v39, 2, v92
	v_lshrrev_b32_e32 v40, 2, v91
	v_lshrrev_b32_e32 v41, 2, v90
	v_lshrrev_b32_e32 v42, 2, v89
	v_lshrrev_b32_e32 v43, 2, v88
	v_lshrrev_b32_e32 v44, 2, v87
	v_lshrrev_b32_e32 v45, 2, v86
	v_lshrrev_b32_e32 v46, 2, v85
	v_lshrrev_b32_e32 v47, 2, v84
	v_lshrrev_b32_e32 v48, 2, v83
	v_and_b32_e32 v34, 0x78, v34
	v_and_b32_e32 v35, 0xb8, v35
	v_and_b32_e32 v36, 0xf8, v36
	v_and_b32_e32 v37, 0x138, v37
	v_add_nc_u32_e32 v33, v33, v98
	v_and_b32_e32 v38, 0x178, v38
	v_and_b32_e32 v39, 0x1b8, v39
	;; [unrolled: 1-line block ×11, first 2 shown]
	v_add_nc_u32_e32 v34, v34, v98
	v_add_nc_u32_e32 v35, v35, v98
	;; [unrolled: 1-line block ×4, first 2 shown]
	s_mov_b32 s6, s3
	v_add_nc_u32_e32 v38, v38, v98
	v_add_nc_u32_e32 v39, v39, v98
	;; [unrolled: 1-line block ×11, first 2 shown]
	s_wait_loadcnt 0xf
	ds_store_b64 v33, v[1:2]
	s_wait_loadcnt 0xe
	ds_store_b64 v34, v[3:4] offset:2048
	s_wait_loadcnt 0xd
	ds_store_b64 v35, v[5:6] offset:4096
	;; [unrolled: 2-line block ×15, first 2 shown]
	s_wait_dscnt 0x0
	s_barrier_signal -1
	s_barrier_wait -1
.LBB6_2:
	s_load_b64 s[70:71], s[0:1], 0x30
	s_sub_nc_u64 s[30:31], s[30:31], s[2:3]
	s_and_not1_b32 vcc_lo, exec_lo, s6
	v_cmp_gt_u32_e64 s2, s30, v0
	s_cbranch_vccnz .LBB6_21
; %bb.3:
	s_load_b64 s[36:37], s[4:5], 0x0
	s_wait_kmcnt 0x0
	s_mov_b32 s38, s36
	s_mov_b32 s39, s37
	;; [unrolled: 1-line block ×30, first 2 shown]
	v_dual_mov_b32 v1, s36 :: v_dual_mov_b32 v2, s37
	v_dual_mov_b32 v3, s38 :: v_dual_mov_b32 v4, s39
	;; [unrolled: 1-line block ×17, first 2 shown]
	s_and_saveexec_b32 s3, s2
	s_cbranch_execz .LBB6_4
; %bb.411:
	s_getpc_b64 s[88:89]
.Lpost_getpc1:
	s_wait_alu 0xfffe
	s_add_co_u32 s88, s88, (.LBB6_324-.Lpost_getpc1)&4294967295
	s_add_co_ci_u32 s89, s89, (.LBB6_324-.Lpost_getpc1)>>32
	s_wait_alu 0xfffe
	s_setpc_b64 s[88:89]
.LBB6_4:
	s_or_b32 exec_lo, exec_lo, s3
	s_delay_alu instid0(SALU_CYCLE_1)
	s_mov_b32 s2, exec_lo
	v_cmpx_gt_u32_e64 s30, v97
	s_cbranch_execz .LBB6_5
; %bb.413:
	s_getpc_b64 s[88:89]
.Lpost_getpc2:
	s_wait_alu 0xfffe
	s_add_co_u32 s88, s88, (.LBB6_325-.Lpost_getpc2)&4294967295
	s_add_co_ci_u32 s89, s89, (.LBB6_325-.Lpost_getpc2)>>32
	s_wait_alu 0xfffe
	s_setpc_b64 s[88:89]
.LBB6_5:
	s_or_b32 exec_lo, exec_lo, s2
	s_delay_alu instid0(SALU_CYCLE_1)
	s_mov_b32 s2, exec_lo
	v_cmpx_gt_u32_e64 s30, v96
	s_cbranch_execz .LBB6_6
; %bb.415:
	s_getpc_b64 s[88:89]
.Lpost_getpc3:
	s_wait_alu 0xfffe
	s_add_co_u32 s88, s88, (.LBB6_326-.Lpost_getpc3)&4294967295
	s_add_co_ci_u32 s89, s89, (.LBB6_326-.Lpost_getpc3)>>32
	s_wait_alu 0xfffe
	s_setpc_b64 s[88:89]
.LBB6_6:
	s_or_b32 exec_lo, exec_lo, s2
	s_delay_alu instid0(SALU_CYCLE_1)
	s_mov_b32 s2, exec_lo
	v_cmpx_gt_u32_e64 s30, v95
	s_cbranch_execz .LBB6_7
; %bb.417:
	s_getpc_b64 s[88:89]
.Lpost_getpc4:
	s_wait_alu 0xfffe
	s_add_co_u32 s88, s88, (.LBB6_327-.Lpost_getpc4)&4294967295
	s_add_co_ci_u32 s89, s89, (.LBB6_327-.Lpost_getpc4)>>32
	s_wait_alu 0xfffe
	s_setpc_b64 s[88:89]
.LBB6_7:
	s_or_b32 exec_lo, exec_lo, s2
	s_delay_alu instid0(SALU_CYCLE_1)
	s_mov_b32 s2, exec_lo
	v_cmpx_gt_u32_e64 s30, v94
	s_cbranch_execz .LBB6_8
; %bb.419:
	s_getpc_b64 s[88:89]
.Lpost_getpc5:
	s_wait_alu 0xfffe
	s_add_co_u32 s88, s88, (.LBB6_328-.Lpost_getpc5)&4294967295
	s_add_co_ci_u32 s89, s89, (.LBB6_328-.Lpost_getpc5)>>32
	s_wait_alu 0xfffe
	s_setpc_b64 s[88:89]
.LBB6_8:
	s_or_b32 exec_lo, exec_lo, s2
	s_delay_alu instid0(SALU_CYCLE_1)
	s_mov_b32 s2, exec_lo
	v_cmpx_gt_u32_e64 s30, v93
	s_cbranch_execz .LBB6_9
; %bb.421:
	s_getpc_b64 s[88:89]
.Lpost_getpc6:
	s_wait_alu 0xfffe
	s_add_co_u32 s88, s88, (.LBB6_329-.Lpost_getpc6)&4294967295
	s_add_co_ci_u32 s89, s89, (.LBB6_329-.Lpost_getpc6)>>32
	s_wait_alu 0xfffe
	s_setpc_b64 s[88:89]
.LBB6_9:
	s_or_b32 exec_lo, exec_lo, s2
	s_delay_alu instid0(SALU_CYCLE_1)
	s_mov_b32 s2, exec_lo
	v_cmpx_gt_u32_e64 s30, v92
	s_cbranch_execz .LBB6_10
; %bb.423:
	s_getpc_b64 s[88:89]
.Lpost_getpc7:
	s_wait_alu 0xfffe
	s_add_co_u32 s88, s88, (.LBB6_330-.Lpost_getpc7)&4294967295
	s_add_co_ci_u32 s89, s89, (.LBB6_330-.Lpost_getpc7)>>32
	s_wait_alu 0xfffe
	s_setpc_b64 s[88:89]
.LBB6_10:
	s_or_b32 exec_lo, exec_lo, s2
	s_delay_alu instid0(SALU_CYCLE_1)
	s_mov_b32 s2, exec_lo
	v_cmpx_gt_u32_e64 s30, v91
	s_cbranch_execz .LBB6_11
; %bb.425:
	s_getpc_b64 s[88:89]
.Lpost_getpc8:
	s_wait_alu 0xfffe
	s_add_co_u32 s88, s88, (.LBB6_331-.Lpost_getpc8)&4294967295
	s_add_co_ci_u32 s89, s89, (.LBB6_331-.Lpost_getpc8)>>32
	s_wait_alu 0xfffe
	s_setpc_b64 s[88:89]
.LBB6_11:
	s_or_b32 exec_lo, exec_lo, s2
	s_delay_alu instid0(SALU_CYCLE_1)
	s_mov_b32 s2, exec_lo
	v_cmpx_gt_u32_e64 s30, v90
	s_cbranch_execz .LBB6_12
; %bb.427:
	s_getpc_b64 s[88:89]
.Lpost_getpc9:
	s_wait_alu 0xfffe
	s_add_co_u32 s88, s88, (.LBB6_332-.Lpost_getpc9)&4294967295
	s_add_co_ci_u32 s89, s89, (.LBB6_332-.Lpost_getpc9)>>32
	s_wait_alu 0xfffe
	s_setpc_b64 s[88:89]
.LBB6_12:
	s_or_b32 exec_lo, exec_lo, s2
	s_delay_alu instid0(SALU_CYCLE_1)
	s_mov_b32 s2, exec_lo
	v_cmpx_gt_u32_e64 s30, v89
	s_cbranch_execz .LBB6_13
; %bb.429:
	s_getpc_b64 s[88:89]
.Lpost_getpc10:
	s_wait_alu 0xfffe
	s_add_co_u32 s88, s88, (.LBB6_333-.Lpost_getpc10)&4294967295
	s_add_co_ci_u32 s89, s89, (.LBB6_333-.Lpost_getpc10)>>32
	s_wait_alu 0xfffe
	s_setpc_b64 s[88:89]
.LBB6_13:
	s_or_b32 exec_lo, exec_lo, s2
	s_delay_alu instid0(SALU_CYCLE_1)
	s_mov_b32 s2, exec_lo
	v_cmpx_gt_u32_e64 s30, v88
	s_cbranch_execz .LBB6_14
; %bb.431:
	s_getpc_b64 s[88:89]
.Lpost_getpc11:
	s_wait_alu 0xfffe
	s_add_co_u32 s88, s88, (.LBB6_334-.Lpost_getpc11)&4294967295
	s_add_co_ci_u32 s89, s89, (.LBB6_334-.Lpost_getpc11)>>32
	s_wait_alu 0xfffe
	s_setpc_b64 s[88:89]
.LBB6_14:
	s_or_b32 exec_lo, exec_lo, s2
	s_delay_alu instid0(SALU_CYCLE_1)
	s_mov_b32 s2, exec_lo
	v_cmpx_gt_u32_e64 s30, v87
	s_cbranch_execz .LBB6_15
; %bb.433:
	s_getpc_b64 s[88:89]
.Lpost_getpc12:
	s_wait_alu 0xfffe
	s_add_co_u32 s88, s88, (.LBB6_335-.Lpost_getpc12)&4294967295
	s_add_co_ci_u32 s89, s89, (.LBB6_335-.Lpost_getpc12)>>32
	s_wait_alu 0xfffe
	s_setpc_b64 s[88:89]
.LBB6_15:
	s_or_b32 exec_lo, exec_lo, s2
	s_delay_alu instid0(SALU_CYCLE_1)
	s_mov_b32 s2, exec_lo
	v_cmpx_gt_u32_e64 s30, v86
	s_cbranch_execz .LBB6_16
; %bb.435:
	s_getpc_b64 s[88:89]
.Lpost_getpc13:
	s_wait_alu 0xfffe
	s_add_co_u32 s88, s88, (.LBB6_336-.Lpost_getpc13)&4294967295
	s_add_co_ci_u32 s89, s89, (.LBB6_336-.Lpost_getpc13)>>32
	s_wait_alu 0xfffe
	s_setpc_b64 s[88:89]
.LBB6_16:
	s_or_b32 exec_lo, exec_lo, s2
	s_delay_alu instid0(SALU_CYCLE_1)
	s_mov_b32 s2, exec_lo
	v_cmpx_gt_u32_e64 s30, v85
	s_cbranch_execz .LBB6_17
; %bb.437:
	s_getpc_b64 s[88:89]
.Lpost_getpc14:
	s_wait_alu 0xfffe
	s_add_co_u32 s88, s88, (.LBB6_337-.Lpost_getpc14)&4294967295
	s_add_co_ci_u32 s89, s89, (.LBB6_337-.Lpost_getpc14)>>32
	s_wait_alu 0xfffe
	s_setpc_b64 s[88:89]
.LBB6_17:
	s_or_b32 exec_lo, exec_lo, s2
	s_delay_alu instid0(SALU_CYCLE_1)
	s_mov_b32 s2, exec_lo
	v_cmpx_gt_u32_e64 s30, v84
	s_cbranch_execz .LBB6_18
; %bb.439:
	s_getpc_b64 s[88:89]
.Lpost_getpc15:
	s_wait_alu 0xfffe
	s_add_co_u32 s88, s88, (.LBB6_338-.Lpost_getpc15)&4294967295
	s_add_co_ci_u32 s89, s89, (.LBB6_338-.Lpost_getpc15)>>32
	s_wait_alu 0xfffe
	s_setpc_b64 s[88:89]
.LBB6_18:
	s_or_b32 exec_lo, exec_lo, s2
	s_delay_alu instid0(SALU_CYCLE_1)
	s_mov_b32 s2, exec_lo
	v_cmpx_gt_u32_e64 s30, v83
	s_cbranch_execz .LBB6_20
.LBB6_19:
	global_load_b64 v[31:32], v98, s[4:5] offset:30720
.LBB6_20:
	s_or_b32 exec_lo, exec_lo, s2
	v_lshrrev_b32_e32 v1, 2, v97
	v_lshrrev_b32_e32 v2, 2, v96
	;; [unrolled: 1-line block ×3, first 2 shown]
	v_and_b32_e32 v36, 56, v99
	v_lshrrev_b32_e32 v37, 2, v94
	v_and_b32_e32 v1, 0x78, v1
	v_and_b32_e32 v2, 0xf8, v2
	;; [unrolled: 1-line block ×3, first 2 shown]
	v_lshrrev_b32_e32 v38, 2, v93
	v_add_nc_u32_e32 v36, v36, v98
	v_add_nc_u32_e32 v1, v1, v98
	v_lshrrev_b32_e32 v39, 2, v92
	v_add_nc_u32_e32 v2, v2, v98
	v_lshrrev_b32_e32 v40, 2, v91
	v_add_nc_u32_e32 v35, v35, v98
	v_and_b32_e32 v37, 0x1f8, v37
	v_and_b32_e32 v38, 0x1f8, v38
	s_wait_loadcnt 0x0
	ds_store_b64 v36, v[33:34]
	ds_store_b64 v1, v[3:4] offset:2048
	ds_store_b64 v2, v[5:6] offset:4096
	;; [unrolled: 1-line block ×3, first 2 shown]
	v_lshrrev_b32_e32 v5, 2, v90
	v_and_b32_e32 v3, 0x1f8, v39
	v_lshrrev_b32_e32 v6, 2, v89
	v_lshrrev_b32_e32 v7, 2, v88
	v_and_b32_e32 v4, 0x1f8, v40
	v_add_nc_u32_e32 v1, v37, v98
	v_add_nc_u32_e32 v2, v38, v98
	v_and_b32_e32 v5, 0x3f8, v5
	v_add_nc_u32_e32 v3, v3, v98
	v_and_b32_e32 v6, 0x3f8, v6
	v_and_b32_e32 v7, 0x3f8, v7
	v_add_nc_u32_e32 v4, v4, v98
	ds_store_b64 v1, v[9:10] offset:8192
	ds_store_b64 v2, v[11:12] offset:10240
	;; [unrolled: 1-line block ×4, first 2 shown]
	v_lshrrev_b32_e32 v4, 2, v87
	v_add_nc_u32_e32 v1, v5, v98
	v_lshrrev_b32_e32 v5, 2, v86
	v_add_nc_u32_e32 v2, v6, v98
	v_add_nc_u32_e32 v3, v7, v98
	v_lshrrev_b32_e32 v6, 2, v85
	v_lshrrev_b32_e32 v7, 2, v84
	;; [unrolled: 1-line block ×3, first 2 shown]
	v_and_b32_e32 v4, 0x3f8, v4
	v_and_b32_e32 v5, 0x3f8, v5
	;; [unrolled: 1-line block ×5, first 2 shown]
	v_add_nc_u32_e32 v4, v4, v98
	v_add_nc_u32_e32 v5, v5, v98
	;; [unrolled: 1-line block ×5, first 2 shown]
	ds_store_b64 v1, v[17:18] offset:16384
	ds_store_b64 v2, v[19:20] offset:18432
	;; [unrolled: 1-line block ×8, first 2 shown]
	s_wait_dscnt 0x0
	s_barrier_signal -1
	s_barrier_wait -1
.LBB6_21:
	v_lshlrev_b32_e32 v1, 2, v0
	v_lshlrev_b32_e32 v2, 7, v0
	global_inv scope:SCOPE_SE
	s_load_b256 s[20:27], s[0:1], 0x40
	s_cmp_lg_u32 ttmp9, 0
	v_and_b32_e32 v1, 0x3f8, v1
	s_delay_alu instid0(VALU_DEP_1)
	v_add_nc_u32_e32 v100, v1, v2
	ds_load_2addr_b64 v[1:4], v100 offset1:1
	ds_load_2addr_b64 v[61:64], v100 offset0:2 offset1:3
	ds_load_2addr_b64 v[57:60], v100 offset0:4 offset1:5
	;; [unrolled: 1-line block ×7, first 2 shown]
	s_wait_loadcnt_dscnt 0x0
	s_barrier_signal -1
	s_barrier_wait -1
	global_inv scope:SCOPE_SE
	v_cmp_u_f64_e64 s0, v[3:4], v[3:4]
	v_max_num_f64_e32 v[65:66], v[3:4], v[3:4]
	s_cbranch_scc0 .LBB6_148
; %bb.22:
	v_max_num_f64_e32 v[69:70], v[1:2], v[1:2]
	v_cmp_u_f64_e64 s15, v[1:2], v[1:2]
	s_delay_alu instid0(VALU_DEP_2) | instskip(SKIP_1) | instid1(VALU_DEP_2)
	v_min_num_f64_e32 v[5:6], v[69:70], v[65:66]
	v_max_num_f64_e32 v[7:8], v[69:70], v[65:66]
	v_cndmask_b32_e64 v5, v5, v1, s15
	s_delay_alu instid0(VALU_DEP_3) | instskip(NEXT) | instid1(VALU_DEP_3)
	v_cndmask_b32_e64 v6, v6, v2, s15
	v_cndmask_b32_e64 v8, v8, v2, s15
	s_delay_alu instid0(VALU_DEP_4) | instskip(NEXT) | instid1(VALU_DEP_4)
	v_cndmask_b32_e64 v7, v7, v1, s15
	v_cndmask_b32_e64 v9, v5, v3, s0
	s_delay_alu instid0(VALU_DEP_4) | instskip(NEXT) | instid1(VALU_DEP_4)
	v_cndmask_b32_e64 v10, v6, v4, s0
	v_cndmask_b32_e64 v8, v8, v4, s0
	s_delay_alu instid0(VALU_DEP_4) | instskip(SKIP_1) | instid1(VALU_DEP_4)
	v_cndmask_b32_e64 v7, v7, v3, s0
	v_dual_mov_b32 v6, v2 :: v_dual_mov_b32 v5, v1
	v_cmp_class_f64_e64 s1, v[9:10], 0x1f8
	s_delay_alu instid0(VALU_DEP_3)
	v_cmp_neq_f64_e32 vcc_lo, v[9:10], v[7:8]
	s_or_b32 s1, vcc_lo, s1
	s_wait_alu 0xfffe
	s_and_saveexec_b32 s8, s1
	s_cbranch_execz .LBB6_24
; %bb.23:
	v_add_f64_e64 v[5:6], v[9:10], -v[7:8]
	s_mov_b32 s2, 0x652b82fe
	s_mov_b32 s3, 0x3ff71547
	;; [unrolled: 1-line block ×10, first 2 shown]
	s_delay_alu instid0(VALU_DEP_1) | instskip(SKIP_4) | instid1(VALU_DEP_3)
	v_mul_f64_e32 v[9:10], s[2:3], v[5:6]
	s_mov_b32 s3, 0xbfe62e42
	s_mov_b32 s2, 0xfefa39ef
	v_cmp_nlt_f64_e32 vcc_lo, 0x40900000, v[5:6]
	v_cmp_ngt_f64_e64 s1, 0xc090cc00, v[5:6]
	v_rndne_f64_e32 v[9:10], v[9:10]
	s_wait_alu 0xfffe
	s_delay_alu instid0(VALU_DEP_1) | instskip(SKIP_2) | instid1(VALU_DEP_2)
	v_fma_f64 v[11:12], v[9:10], s[2:3], v[5:6]
	v_cvt_i32_f64_e32 v15, v[9:10]
	s_mov_b32 s3, 0x3fe62e42
	v_fma_f64 v[11:12], v[9:10], s[4:5], v[11:12]
	s_mov_b32 s5, 0x3c7abc9e
	s_delay_alu instid0(VALU_DEP_1)
	v_fma_f64 v[13:14], v[11:12], s[10:11], s[6:7]
	s_mov_b32 s6, 0x623fde64
	s_mov_b32 s7, 0x3ec71dee
	;; [unrolled: 1-line block ×4, first 2 shown]
	s_wait_alu 0xfffe
	s_delay_alu instid0(VALU_DEP_1) | instskip(SKIP_3) | instid1(VALU_DEP_1)
	v_fma_f64 v[13:14], v[11:12], v[13:14], s[6:7]
	s_mov_b32 s6, 0x7c89e6b0
	s_mov_b32 s7, 0x3efa0199
	s_wait_alu 0xfffe
	v_fma_f64 v[13:14], v[11:12], v[13:14], s[6:7]
	s_mov_b32 s6, 0x14761f6e
	s_mov_b32 s7, 0x3f2a01a0
	s_wait_alu 0xfffe
	s_delay_alu instid0(VALU_DEP_1) | instskip(SKIP_3) | instid1(VALU_DEP_1)
	v_fma_f64 v[13:14], v[11:12], v[13:14], s[6:7]
	s_mov_b32 s6, 0x1852b7b0
	s_mov_b32 s7, 0x3f56c16c
	s_wait_alu 0xfffe
	v_fma_f64 v[13:14], v[11:12], v[13:14], s[6:7]
	s_mov_b32 s6, 0x11122322
	s_mov_b32 s7, 0x3f811111
	;; [unrolled: 9-line block ×4, first 2 shown]
	s_delay_alu instid0(VALU_DEP_1) | instskip(NEXT) | instid1(VALU_DEP_1)
	v_fma_f64 v[13:14], v[11:12], v[13:14], 1.0
	v_fma_f64 v[9:10], v[11:12], v[13:14], 1.0
	s_delay_alu instid0(VALU_DEP_1) | instskip(NEXT) | instid1(VALU_DEP_1)
	v_ldexp_f64 v[9:10], v[9:10], v15
	v_cndmask_b32_e32 v10, 0x7ff00000, v10, vcc_lo
	s_and_b32 vcc_lo, s1, vcc_lo
	s_wait_alu 0xfffe
	s_delay_alu instid0(VALU_DEP_2) | instskip(NEXT) | instid1(VALU_DEP_2)
	v_cndmask_b32_e32 v5, 0, v9, vcc_lo
	v_cndmask_b32_e64 v6, 0, v10, s1
	s_delay_alu instid0(VALU_DEP_1) | instskip(SKIP_1) | instid1(VALU_DEP_2)
	v_add_f64_e32 v[9:10], 1.0, v[5:6]
	v_cmp_neq_f64_e64 s1, 0x7ff00000, v[5:6]
	v_frexp_mant_f64_e32 v[11:12], v[9:10]
	v_frexp_exp_i32_f64_e32 v15, v[9:10]
	v_add_f64_e32 v[13:14], -1.0, v[9:10]
	s_delay_alu instid0(VALU_DEP_3) | instskip(SKIP_1) | instid1(VALU_DEP_2)
	v_cmp_gt_f64_e32 vcc_lo, s[6:7], v[11:12]
	s_mov_b32 s6, 0x55555780
	v_add_f64_e64 v[11:12], v[13:14], -v[9:10]
	v_add_f64_e64 v[13:14], v[5:6], -v[13:14]
	s_wait_alu 0xfffd
	v_subrev_co_ci_u32_e64 v31, null, 0, v15, vcc_lo
	s_delay_alu instid0(VALU_DEP_3) | instskip(SKIP_1) | instid1(VALU_DEP_3)
	v_add_f64_e32 v[11:12], 1.0, v[11:12]
	v_cmp_nge_f64_e32 vcc_lo, -1.0, v[5:6]
	v_sub_nc_u32_e32 v17, 0, v31
	s_delay_alu instid0(VALU_DEP_1) | instskip(NEXT) | instid1(VALU_DEP_4)
	v_ldexp_f64 v[9:10], v[9:10], v17
	v_add_f64_e32 v[11:12], v[13:14], v[11:12]
	s_and_b32 vcc_lo, vcc_lo, s1
	s_delay_alu instid0(VALU_DEP_2) | instskip(SKIP_1) | instid1(VALU_DEP_3)
	v_add_f64_e32 v[15:16], 1.0, v[9:10]
	v_add_f64_e32 v[21:22], -1.0, v[9:10]
	v_ldexp_f64 v[11:12], v[11:12], v17
	s_delay_alu instid0(VALU_DEP_3) | instskip(NEXT) | instid1(VALU_DEP_3)
	v_add_f64_e32 v[13:14], -1.0, v[15:16]
	v_add_f64_e32 v[23:24], 1.0, v[21:22]
	s_delay_alu instid0(VALU_DEP_2) | instskip(NEXT) | instid1(VALU_DEP_2)
	v_add_f64_e64 v[13:14], v[9:10], -v[13:14]
	v_add_f64_e64 v[9:10], v[9:10], -v[23:24]
	s_delay_alu instid0(VALU_DEP_2) | instskip(NEXT) | instid1(VALU_DEP_2)
	v_add_f64_e32 v[13:14], v[11:12], v[13:14]
	v_add_f64_e32 v[9:10], v[11:12], v[9:10]
	s_delay_alu instid0(VALU_DEP_2) | instskip(NEXT) | instid1(VALU_DEP_2)
	v_add_f64_e32 v[17:18], v[15:16], v[13:14]
	v_add_f64_e32 v[23:24], v[21:22], v[9:10]
	s_delay_alu instid0(VALU_DEP_2) | instskip(SKIP_1) | instid1(VALU_DEP_2)
	v_rcp_f64_e32 v[19:20], v[17:18]
	v_add_f64_e64 v[15:16], v[17:18], -v[15:16]
	v_add_f64_e64 v[21:22], v[23:24], -v[21:22]
	s_delay_alu instid0(VALU_DEP_2) | instskip(NEXT) | instid1(TRANS32_DEP_1)
	v_add_f64_e64 v[13:14], v[13:14], -v[15:16]
	v_fma_f64 v[25:26], -v[17:18], v[19:20], 1.0
	s_delay_alu instid0(VALU_DEP_3) | instskip(NEXT) | instid1(VALU_DEP_2)
	v_add_f64_e64 v[9:10], v[9:10], -v[21:22]
	v_fma_f64 v[19:20], v[25:26], v[19:20], v[19:20]
	s_delay_alu instid0(VALU_DEP_1) | instskip(NEXT) | instid1(VALU_DEP_1)
	v_fma_f64 v[11:12], -v[17:18], v[19:20], 1.0
	v_fma_f64 v[11:12], v[11:12], v[19:20], v[19:20]
	s_delay_alu instid0(VALU_DEP_1) | instskip(NEXT) | instid1(VALU_DEP_1)
	v_mul_f64_e32 v[19:20], v[23:24], v[11:12]
	v_mul_f64_e32 v[25:26], v[17:18], v[19:20]
	s_delay_alu instid0(VALU_DEP_1) | instskip(NEXT) | instid1(VALU_DEP_1)
	v_fma_f64 v[15:16], v[19:20], v[17:18], -v[25:26]
	v_fma_f64 v[15:16], v[19:20], v[13:14], v[15:16]
	s_delay_alu instid0(VALU_DEP_1) | instskip(NEXT) | instid1(VALU_DEP_1)
	v_add_f64_e32 v[27:28], v[25:26], v[15:16]
	v_add_f64_e64 v[29:30], v[23:24], -v[27:28]
	v_add_f64_e64 v[21:22], v[27:28], -v[25:26]
	s_delay_alu instid0(VALU_DEP_2) | instskip(NEXT) | instid1(VALU_DEP_2)
	v_add_f64_e64 v[23:24], v[23:24], -v[29:30]
	v_add_f64_e64 v[15:16], v[21:22], -v[15:16]
	s_delay_alu instid0(VALU_DEP_2) | instskip(NEXT) | instid1(VALU_DEP_1)
	v_add_f64_e64 v[23:24], v[23:24], -v[27:28]
	v_add_f64_e32 v[9:10], v[9:10], v[23:24]
	s_delay_alu instid0(VALU_DEP_1) | instskip(NEXT) | instid1(VALU_DEP_1)
	v_add_f64_e32 v[9:10], v[15:16], v[9:10]
	v_add_f64_e32 v[15:16], v[29:30], v[9:10]
	s_delay_alu instid0(VALU_DEP_1) | instskip(SKIP_1) | instid1(VALU_DEP_2)
	v_mul_f64_e32 v[21:22], v[11:12], v[15:16]
	v_add_f64_e64 v[27:28], v[29:30], -v[15:16]
	v_mul_f64_e32 v[23:24], v[17:18], v[21:22]
	s_delay_alu instid0(VALU_DEP_2) | instskip(NEXT) | instid1(VALU_DEP_2)
	v_add_f64_e32 v[9:10], v[9:10], v[27:28]
	v_fma_f64 v[17:18], v[21:22], v[17:18], -v[23:24]
	s_delay_alu instid0(VALU_DEP_1) | instskip(NEXT) | instid1(VALU_DEP_1)
	v_fma_f64 v[13:14], v[21:22], v[13:14], v[17:18]
	v_add_f64_e32 v[17:18], v[23:24], v[13:14]
	s_delay_alu instid0(VALU_DEP_1) | instskip(SKIP_1) | instid1(VALU_DEP_2)
	v_add_f64_e64 v[25:26], v[15:16], -v[17:18]
	v_add_f64_e64 v[23:24], v[17:18], -v[23:24]
	v_add_f64_e64 v[15:16], v[15:16], -v[25:26]
	s_delay_alu instid0(VALU_DEP_2) | instskip(NEXT) | instid1(VALU_DEP_2)
	v_add_f64_e64 v[13:14], v[23:24], -v[13:14]
	v_add_f64_e64 v[15:16], v[15:16], -v[17:18]
	s_delay_alu instid0(VALU_DEP_1) | instskip(SKIP_1) | instid1(VALU_DEP_2)
	v_add_f64_e32 v[9:10], v[9:10], v[15:16]
	v_add_f64_e32 v[15:16], v[19:20], v[21:22]
	;; [unrolled: 1-line block ×3, first 2 shown]
	s_delay_alu instid0(VALU_DEP_2) | instskip(NEXT) | instid1(VALU_DEP_2)
	v_add_f64_e64 v[13:14], v[15:16], -v[19:20]
	v_add_f64_e32 v[9:10], v[25:26], v[9:10]
	s_delay_alu instid0(VALU_DEP_2) | instskip(NEXT) | instid1(VALU_DEP_2)
	v_add_f64_e64 v[13:14], v[21:22], -v[13:14]
	v_mul_f64_e32 v[9:10], v[11:12], v[9:10]
	s_delay_alu instid0(VALU_DEP_1) | instskip(NEXT) | instid1(VALU_DEP_1)
	v_add_f64_e32 v[9:10], v[13:14], v[9:10]
	v_add_f64_e32 v[11:12], v[15:16], v[9:10]
	s_delay_alu instid0(VALU_DEP_1) | instskip(NEXT) | instid1(VALU_DEP_1)
	v_mul_f64_e32 v[13:14], v[11:12], v[11:12]
	v_fma_f64 v[17:18], v[13:14], s[12:13], s[10:11]
	s_mov_b32 s10, 0xd7f4df2e
	s_mov_b32 s11, 0x3fc7474d
	v_mul_f64_e32 v[19:20], v[11:12], v[13:14]
	s_wait_alu 0xfffe
	s_delay_alu instid0(VALU_DEP_2) | instskip(SKIP_3) | instid1(VALU_DEP_1)
	v_fma_f64 v[17:18], v[13:14], v[17:18], s[10:11]
	s_mov_b32 s10, 0x16291751
	s_mov_b32 s11, 0x3fcc71c0
	s_wait_alu 0xfffe
	v_fma_f64 v[17:18], v[13:14], v[17:18], s[10:11]
	s_mov_b32 s10, 0x9b27acf1
	s_mov_b32 s11, 0x3fd24924
	s_wait_alu 0xfffe
	s_delay_alu instid0(VALU_DEP_1) | instskip(SKIP_3) | instid1(VALU_DEP_1)
	v_fma_f64 v[17:18], v[13:14], v[17:18], s[10:11]
	s_mov_b32 s10, 0x998ef7b6
	s_mov_b32 s11, 0x3fd99999
	s_wait_alu 0xfffe
	v_fma_f64 v[17:18], v[13:14], v[17:18], s[10:11]
	s_delay_alu instid0(VALU_DEP_1) | instskip(SKIP_2) | instid1(VALU_DEP_3)
	v_fma_f64 v[13:14], v[13:14], v[17:18], s[6:7]
	v_ldexp_f64 v[17:18], v[11:12], 1
	v_add_f64_e64 v[11:12], v[11:12], -v[15:16]
	v_mul_f64_e32 v[13:14], v[19:20], v[13:14]
	v_cvt_f64_i32_e32 v[19:20], v31
	s_delay_alu instid0(VALU_DEP_3) | instskip(NEXT) | instid1(VALU_DEP_3)
	v_add_f64_e64 v[9:10], v[9:10], -v[11:12]
	v_add_f64_e32 v[15:16], v[17:18], v[13:14]
	s_delay_alu instid0(VALU_DEP_3) | instskip(NEXT) | instid1(VALU_DEP_3)
	v_mul_f64_e32 v[21:22], s[2:3], v[19:20]
	v_ldexp_f64 v[9:10], v[9:10], 1
	s_delay_alu instid0(VALU_DEP_3) | instskip(NEXT) | instid1(VALU_DEP_3)
	v_add_f64_e64 v[11:12], v[15:16], -v[17:18]
	v_fma_f64 v[17:18], v[19:20], s[2:3], -v[21:22]
	v_cmp_ngt_f64_e64 s2, -1.0, v[5:6]
	s_delay_alu instid0(VALU_DEP_3) | instskip(NEXT) | instid1(VALU_DEP_3)
	v_add_f64_e64 v[11:12], v[13:14], -v[11:12]
	v_fma_f64 v[13:14], v[19:20], s[4:5], v[17:18]
	s_delay_alu instid0(VALU_DEP_2) | instskip(NEXT) | instid1(VALU_DEP_2)
	v_add_f64_e32 v[9:10], v[9:10], v[11:12]
	v_add_f64_e32 v[11:12], v[21:22], v[13:14]
	s_delay_alu instid0(VALU_DEP_2) | instskip(NEXT) | instid1(VALU_DEP_2)
	v_add_f64_e32 v[17:18], v[15:16], v[9:10]
	v_add_f64_e64 v[21:22], v[11:12], -v[21:22]
	s_delay_alu instid0(VALU_DEP_2) | instskip(SKIP_1) | instid1(VALU_DEP_3)
	v_add_f64_e32 v[19:20], v[11:12], v[17:18]
	v_add_f64_e64 v[15:16], v[17:18], -v[15:16]
	v_add_f64_e64 v[13:14], v[13:14], -v[21:22]
	s_delay_alu instid0(VALU_DEP_3) | instskip(NEXT) | instid1(VALU_DEP_3)
	v_add_f64_e64 v[23:24], v[19:20], -v[11:12]
	v_add_f64_e64 v[9:10], v[9:10], -v[15:16]
	s_delay_alu instid0(VALU_DEP_2) | instskip(SKIP_1) | instid1(VALU_DEP_3)
	v_add_f64_e64 v[25:26], v[19:20], -v[23:24]
	v_add_f64_e64 v[15:16], v[17:18], -v[23:24]
	v_add_f64_e32 v[17:18], v[13:14], v[9:10]
	s_delay_alu instid0(VALU_DEP_3) | instskip(NEXT) | instid1(VALU_DEP_1)
	v_add_f64_e64 v[11:12], v[11:12], -v[25:26]
	v_add_f64_e32 v[11:12], v[15:16], v[11:12]
	s_delay_alu instid0(VALU_DEP_3) | instskip(NEXT) | instid1(VALU_DEP_2)
	v_add_f64_e64 v[15:16], v[17:18], -v[13:14]
	v_add_f64_e32 v[11:12], v[17:18], v[11:12]
	s_delay_alu instid0(VALU_DEP_2) | instskip(SKIP_1) | instid1(VALU_DEP_3)
	v_add_f64_e64 v[17:18], v[17:18], -v[15:16]
	v_add_f64_e64 v[9:10], v[9:10], -v[15:16]
	v_add_f64_e32 v[21:22], v[19:20], v[11:12]
	s_delay_alu instid0(VALU_DEP_3) | instskip(NEXT) | instid1(VALU_DEP_2)
	v_add_f64_e64 v[13:14], v[13:14], -v[17:18]
	v_add_f64_e64 v[15:16], v[21:22], -v[19:20]
	s_delay_alu instid0(VALU_DEP_2) | instskip(NEXT) | instid1(VALU_DEP_2)
	v_add_f64_e32 v[9:10], v[9:10], v[13:14]
	v_add_f64_e64 v[11:12], v[11:12], -v[15:16]
	s_delay_alu instid0(VALU_DEP_1) | instskip(NEXT) | instid1(VALU_DEP_1)
	v_add_f64_e32 v[9:10], v[9:10], v[11:12]
	v_add_f64_e32 v[9:10], v[21:22], v[9:10]
	s_delay_alu instid0(VALU_DEP_1) | instskip(SKIP_1) | instid1(VALU_DEP_3)
	v_cndmask_b32_e32 v9, 0, v9, vcc_lo
	v_cmp_neq_f64_e32 vcc_lo, -1.0, v[5:6]
	v_cndmask_b32_e64 v10, 0x7ff00000, v10, s1
	s_wait_alu 0xf1ff
	s_delay_alu instid0(VALU_DEP_1) | instskip(SKIP_1) | instid1(VALU_DEP_1)
	v_cndmask_b32_e64 v10, 0x7ff80000, v10, s2
	s_wait_alu 0xfffd
	v_cndmask_b32_e32 v10, 0xfff00000, v10, vcc_lo
	s_delay_alu instid0(VALU_DEP_1)
	v_add_f64_e32 v[5:6], v[7:8], v[9:10]
.LBB6_24:
	s_or_b32 exec_lo, exec_lo, s8
	v_max_num_f64_e32 v[11:12], v[61:62], v[61:62]
	s_delay_alu instid0(VALU_DEP_2) | instskip(SKIP_2) | instid1(VALU_DEP_3)
	v_max_num_f64_e32 v[7:8], v[5:6], v[5:6]
	v_cmp_u_f64_e32 vcc_lo, v[5:6], v[5:6]
	v_cmp_u_f64_e64 s1, v[61:62], v[61:62]
	v_min_num_f64_e32 v[9:10], v[7:8], v[11:12]
	v_max_num_f64_e32 v[7:8], v[7:8], v[11:12]
	s_wait_alu 0xfffd
	s_delay_alu instid0(VALU_DEP_2) | instskip(NEXT) | instid1(VALU_DEP_2)
	v_dual_cndmask_b32 v9, v9, v5 :: v_dual_cndmask_b32 v10, v10, v6
	v_dual_cndmask_b32 v8, v8, v6 :: v_dual_cndmask_b32 v7, v7, v5
	s_wait_alu 0xf1ff
	s_delay_alu instid0(VALU_DEP_2) | instskip(NEXT) | instid1(VALU_DEP_3)
	v_cndmask_b32_e64 v9, v9, v61, s1
	v_cndmask_b32_e64 v10, v10, v62, s1
	s_delay_alu instid0(VALU_DEP_3) | instskip(SKIP_1) | instid1(VALU_DEP_3)
	v_cndmask_b32_e64 v8, v8, v62, s1
	v_cndmask_b32_e64 v7, v7, v61, s1
	v_cmp_class_f64_e64 s2, v[9:10], 0x1f8
	s_delay_alu instid0(VALU_DEP_2)
	v_cmp_neq_f64_e32 vcc_lo, v[9:10], v[7:8]
	s_or_b32 s2, vcc_lo, s2
	s_wait_alu 0xfffe
	s_and_saveexec_b32 s8, s2
	s_cbranch_execz .LBB6_26
; %bb.25:
	v_add_f64_e64 v[5:6], v[9:10], -v[7:8]
	s_mov_b32 s2, 0x652b82fe
	s_mov_b32 s3, 0x3ff71547
	;; [unrolled: 1-line block ×10, first 2 shown]
	s_wait_alu 0xfffe
	s_delay_alu instid0(VALU_DEP_1) | instskip(SKIP_3) | instid1(VALU_DEP_2)
	v_mul_f64_e32 v[9:10], s[2:3], v[5:6]
	s_mov_b32 s2, 0xfca7ab0c
	s_mov_b32 s3, 0x3e928af3
	v_cmp_nlt_f64_e32 vcc_lo, 0x40900000, v[5:6]
	v_rndne_f64_e32 v[9:10], v[9:10]
	s_delay_alu instid0(VALU_DEP_1) | instskip(SKIP_2) | instid1(VALU_DEP_2)
	v_fma_f64 v[13:14], v[9:10], s[4:5], v[5:6]
	v_cvt_i32_f64_e32 v17, v[9:10]
	s_mov_b32 s5, 0x3fe62e42
	v_fma_f64 v[13:14], v[9:10], s[6:7], v[13:14]
	s_mov_b32 s7, 0x3c7abc9e
	s_wait_alu 0xfffe
	s_delay_alu instid0(VALU_DEP_1)
	v_fma_f64 v[15:16], v[13:14], s[10:11], s[2:3]
	s_mov_b32 s2, 0x623fde64
	s_mov_b32 s3, 0x3ec71dee
	;; [unrolled: 1-line block ×4, first 2 shown]
	s_wait_alu 0xfffe
	s_delay_alu instid0(VALU_DEP_1) | instskip(SKIP_3) | instid1(VALU_DEP_1)
	v_fma_f64 v[15:16], v[13:14], v[15:16], s[2:3]
	s_mov_b32 s2, 0x7c89e6b0
	s_mov_b32 s3, 0x3efa0199
	s_wait_alu 0xfffe
	v_fma_f64 v[15:16], v[13:14], v[15:16], s[2:3]
	s_mov_b32 s2, 0x14761f6e
	s_mov_b32 s3, 0x3f2a01a0
	s_wait_alu 0xfffe
	s_delay_alu instid0(VALU_DEP_1) | instskip(SKIP_3) | instid1(VALU_DEP_1)
	v_fma_f64 v[15:16], v[13:14], v[15:16], s[2:3]
	s_mov_b32 s2, 0x1852b7b0
	s_mov_b32 s3, 0x3f56c16c
	s_wait_alu 0xfffe
	v_fma_f64 v[15:16], v[13:14], v[15:16], s[2:3]
	s_mov_b32 s2, 0x11122322
	s_mov_b32 s3, 0x3f811111
	;; [unrolled: 9-line block ×3, first 2 shown]
	s_wait_alu 0xfffe
	s_delay_alu instid0(VALU_DEP_1) | instskip(SKIP_3) | instid1(VALU_DEP_1)
	v_fma_f64 v[15:16], v[13:14], v[15:16], s[2:3]
	s_mov_b32 s2, 11
	s_mov_b32 s3, 0x3fe00000
	s_wait_alu 0xfffe
	v_fma_f64 v[15:16], v[13:14], v[15:16], s[2:3]
	v_cmp_ngt_f64_e64 s2, 0xc090cc00, v[5:6]
	s_mov_b32 s3, 0x3fe55555
	v_fma_f64 v[15:16], v[13:14], v[15:16], 1.0
	s_delay_alu instid0(VALU_DEP_1) | instskip(NEXT) | instid1(VALU_DEP_1)
	v_fma_f64 v[9:10], v[13:14], v[15:16], 1.0
	v_ldexp_f64 v[9:10], v[9:10], v17
	s_wait_alu 0xfffd
	s_delay_alu instid0(VALU_DEP_1) | instskip(SKIP_2) | instid1(VALU_DEP_2)
	v_cndmask_b32_e32 v10, 0x7ff00000, v10, vcc_lo
	s_and_b32 vcc_lo, s2, vcc_lo
	s_wait_alu 0xfffe
	v_cndmask_b32_e32 v5, 0, v9, vcc_lo
	s_delay_alu instid0(VALU_DEP_2) | instskip(SKIP_1) | instid1(VALU_DEP_1)
	v_cndmask_b32_e64 v6, 0, v10, s2
	s_mov_b32 s2, 0x55555555
	v_add_f64_e32 v[9:10], 1.0, v[5:6]
	s_delay_alu instid0(VALU_DEP_1) | instskip(SKIP_3) | instid1(VALU_DEP_3)
	v_frexp_mant_f64_e32 v[13:14], v[9:10]
	v_frexp_exp_i32_f64_e32 v17, v[9:10]
	v_add_f64_e32 v[15:16], -1.0, v[9:10]
	s_wait_alu 0xfffe
	v_cmp_gt_f64_e32 vcc_lo, s[2:3], v[13:14]
	s_mov_b32 s2, 0x55555780
	s_delay_alu instid0(VALU_DEP_2) | instskip(SKIP_3) | instid1(VALU_DEP_3)
	v_add_f64_e64 v[13:14], v[15:16], -v[9:10]
	v_add_f64_e64 v[15:16], v[5:6], -v[15:16]
	s_wait_alu 0xfffd
	v_subrev_co_ci_u32_e64 v33, null, 0, v17, vcc_lo
	v_add_f64_e32 v[13:14], 1.0, v[13:14]
	v_cmp_nge_f64_e32 vcc_lo, -1.0, v[5:6]
	s_delay_alu instid0(VALU_DEP_3) | instskip(NEXT) | instid1(VALU_DEP_1)
	v_sub_nc_u32_e32 v19, 0, v33
	v_ldexp_f64 v[9:10], v[9:10], v19
	s_delay_alu instid0(VALU_DEP_4) | instskip(NEXT) | instid1(VALU_DEP_2)
	v_add_f64_e32 v[13:14], v[15:16], v[13:14]
	v_add_f64_e32 v[17:18], 1.0, v[9:10]
	v_add_f64_e32 v[23:24], -1.0, v[9:10]
	s_delay_alu instid0(VALU_DEP_3) | instskip(NEXT) | instid1(VALU_DEP_3)
	v_ldexp_f64 v[13:14], v[13:14], v19
	v_add_f64_e32 v[15:16], -1.0, v[17:18]
	s_delay_alu instid0(VALU_DEP_3) | instskip(NEXT) | instid1(VALU_DEP_2)
	v_add_f64_e32 v[25:26], 1.0, v[23:24]
	v_add_f64_e64 v[15:16], v[9:10], -v[15:16]
	s_delay_alu instid0(VALU_DEP_2) | instskip(NEXT) | instid1(VALU_DEP_2)
	v_add_f64_e64 v[9:10], v[9:10], -v[25:26]
	v_add_f64_e32 v[15:16], v[13:14], v[15:16]
	s_delay_alu instid0(VALU_DEP_2) | instskip(NEXT) | instid1(VALU_DEP_2)
	v_add_f64_e32 v[9:10], v[13:14], v[9:10]
	v_add_f64_e32 v[19:20], v[17:18], v[15:16]
	s_delay_alu instid0(VALU_DEP_2) | instskip(NEXT) | instid1(VALU_DEP_2)
	v_add_f64_e32 v[25:26], v[23:24], v[9:10]
	v_rcp_f64_e32 v[21:22], v[19:20]
	v_add_f64_e64 v[17:18], v[19:20], -v[17:18]
	s_delay_alu instid0(VALU_DEP_2) | instskip(NEXT) | instid1(VALU_DEP_2)
	v_add_f64_e64 v[23:24], v[25:26], -v[23:24]
	v_add_f64_e64 v[15:16], v[15:16], -v[17:18]
	s_delay_alu instid0(TRANS32_DEP_1) | instskip(NEXT) | instid1(VALU_DEP_3)
	v_fma_f64 v[27:28], -v[19:20], v[21:22], 1.0
	v_add_f64_e64 v[9:10], v[9:10], -v[23:24]
	s_delay_alu instid0(VALU_DEP_2) | instskip(NEXT) | instid1(VALU_DEP_1)
	v_fma_f64 v[21:22], v[27:28], v[21:22], v[21:22]
	v_fma_f64 v[13:14], -v[19:20], v[21:22], 1.0
	s_delay_alu instid0(VALU_DEP_1) | instskip(NEXT) | instid1(VALU_DEP_1)
	v_fma_f64 v[13:14], v[13:14], v[21:22], v[21:22]
	v_mul_f64_e32 v[21:22], v[25:26], v[13:14]
	s_delay_alu instid0(VALU_DEP_1) | instskip(NEXT) | instid1(VALU_DEP_1)
	v_mul_f64_e32 v[27:28], v[19:20], v[21:22]
	v_fma_f64 v[17:18], v[21:22], v[19:20], -v[27:28]
	s_delay_alu instid0(VALU_DEP_1) | instskip(NEXT) | instid1(VALU_DEP_1)
	v_fma_f64 v[17:18], v[21:22], v[15:16], v[17:18]
	v_add_f64_e32 v[29:30], v[27:28], v[17:18]
	s_delay_alu instid0(VALU_DEP_1) | instskip(SKIP_1) | instid1(VALU_DEP_2)
	v_add_f64_e64 v[31:32], v[25:26], -v[29:30]
	v_add_f64_e64 v[23:24], v[29:30], -v[27:28]
	;; [unrolled: 1-line block ×3, first 2 shown]
	s_delay_alu instid0(VALU_DEP_2) | instskip(NEXT) | instid1(VALU_DEP_2)
	v_add_f64_e64 v[17:18], v[23:24], -v[17:18]
	v_add_f64_e64 v[25:26], v[25:26], -v[29:30]
	s_delay_alu instid0(VALU_DEP_1) | instskip(NEXT) | instid1(VALU_DEP_1)
	v_add_f64_e32 v[9:10], v[9:10], v[25:26]
	v_add_f64_e32 v[9:10], v[17:18], v[9:10]
	s_delay_alu instid0(VALU_DEP_1) | instskip(NEXT) | instid1(VALU_DEP_1)
	v_add_f64_e32 v[17:18], v[31:32], v[9:10]
	v_mul_f64_e32 v[23:24], v[13:14], v[17:18]
	v_add_f64_e64 v[29:30], v[31:32], -v[17:18]
	s_delay_alu instid0(VALU_DEP_2) | instskip(NEXT) | instid1(VALU_DEP_2)
	v_mul_f64_e32 v[25:26], v[19:20], v[23:24]
	v_add_f64_e32 v[9:10], v[9:10], v[29:30]
	s_delay_alu instid0(VALU_DEP_2) | instskip(NEXT) | instid1(VALU_DEP_1)
	v_fma_f64 v[19:20], v[23:24], v[19:20], -v[25:26]
	v_fma_f64 v[15:16], v[23:24], v[15:16], v[19:20]
	s_delay_alu instid0(VALU_DEP_1) | instskip(NEXT) | instid1(VALU_DEP_1)
	v_add_f64_e32 v[19:20], v[25:26], v[15:16]
	v_add_f64_e64 v[27:28], v[17:18], -v[19:20]
	v_add_f64_e64 v[25:26], v[19:20], -v[25:26]
	s_delay_alu instid0(VALU_DEP_2) | instskip(NEXT) | instid1(VALU_DEP_2)
	v_add_f64_e64 v[17:18], v[17:18], -v[27:28]
	v_add_f64_e64 v[15:16], v[25:26], -v[15:16]
	s_delay_alu instid0(VALU_DEP_2) | instskip(NEXT) | instid1(VALU_DEP_1)
	v_add_f64_e64 v[17:18], v[17:18], -v[19:20]
	v_add_f64_e32 v[9:10], v[9:10], v[17:18]
	v_add_f64_e32 v[17:18], v[21:22], v[23:24]
	s_delay_alu instid0(VALU_DEP_2) | instskip(NEXT) | instid1(VALU_DEP_2)
	v_add_f64_e32 v[9:10], v[15:16], v[9:10]
	v_add_f64_e64 v[15:16], v[17:18], -v[21:22]
	s_delay_alu instid0(VALU_DEP_2) | instskip(NEXT) | instid1(VALU_DEP_2)
	v_add_f64_e32 v[9:10], v[27:28], v[9:10]
	v_add_f64_e64 v[15:16], v[23:24], -v[15:16]
	s_delay_alu instid0(VALU_DEP_2) | instskip(NEXT) | instid1(VALU_DEP_1)
	v_mul_f64_e32 v[9:10], v[13:14], v[9:10]
	v_add_f64_e32 v[9:10], v[15:16], v[9:10]
	s_delay_alu instid0(VALU_DEP_1) | instskip(NEXT) | instid1(VALU_DEP_1)
	v_add_f64_e32 v[13:14], v[17:18], v[9:10]
	v_mul_f64_e32 v[15:16], v[13:14], v[13:14]
	s_delay_alu instid0(VALU_DEP_1) | instskip(SKIP_4) | instid1(VALU_DEP_2)
	v_fma_f64 v[19:20], v[15:16], s[12:13], s[10:11]
	s_mov_b32 s10, 0xd7f4df2e
	s_mov_b32 s11, 0x3fc7474d
	v_mul_f64_e32 v[21:22], v[13:14], v[15:16]
	s_wait_alu 0xfffe
	v_fma_f64 v[19:20], v[15:16], v[19:20], s[10:11]
	s_mov_b32 s10, 0x16291751
	s_mov_b32 s11, 0x3fcc71c0
	s_wait_alu 0xfffe
	s_delay_alu instid0(VALU_DEP_1) | instskip(SKIP_3) | instid1(VALU_DEP_1)
	v_fma_f64 v[19:20], v[15:16], v[19:20], s[10:11]
	s_mov_b32 s10, 0x9b27acf1
	s_mov_b32 s11, 0x3fd24924
	s_wait_alu 0xfffe
	v_fma_f64 v[19:20], v[15:16], v[19:20], s[10:11]
	s_mov_b32 s10, 0x998ef7b6
	s_mov_b32 s11, 0x3fd99999
	s_wait_alu 0xfffe
	s_delay_alu instid0(VALU_DEP_1) | instskip(NEXT) | instid1(VALU_DEP_1)
	v_fma_f64 v[19:20], v[15:16], v[19:20], s[10:11]
	v_fma_f64 v[15:16], v[15:16], v[19:20], s[2:3]
	v_ldexp_f64 v[19:20], v[13:14], 1
	v_add_f64_e64 v[13:14], v[13:14], -v[17:18]
	v_cmp_neq_f64_e64 s2, 0x7ff00000, v[5:6]
	v_cmp_ngt_f64_e64 s3, -1.0, v[5:6]
	v_mul_f64_e32 v[15:16], v[21:22], v[15:16]
	v_cvt_f64_i32_e32 v[21:22], v33
	v_add_f64_e64 v[9:10], v[9:10], -v[13:14]
	s_and_b32 vcc_lo, vcc_lo, s2
	s_delay_alu instid0(VALU_DEP_3) | instskip(NEXT) | instid1(VALU_DEP_3)
	v_add_f64_e32 v[17:18], v[19:20], v[15:16]
	v_mul_f64_e32 v[23:24], s[4:5], v[21:22]
	s_delay_alu instid0(VALU_DEP_3) | instskip(NEXT) | instid1(VALU_DEP_3)
	v_ldexp_f64 v[9:10], v[9:10], 1
	v_add_f64_e64 v[13:14], v[17:18], -v[19:20]
	s_delay_alu instid0(VALU_DEP_3) | instskip(NEXT) | instid1(VALU_DEP_2)
	v_fma_f64 v[19:20], v[21:22], s[4:5], -v[23:24]
	v_add_f64_e64 v[13:14], v[15:16], -v[13:14]
	s_delay_alu instid0(VALU_DEP_2) | instskip(NEXT) | instid1(VALU_DEP_2)
	v_fma_f64 v[15:16], v[21:22], s[6:7], v[19:20]
	v_add_f64_e32 v[9:10], v[9:10], v[13:14]
	s_delay_alu instid0(VALU_DEP_2) | instskip(NEXT) | instid1(VALU_DEP_2)
	v_add_f64_e32 v[13:14], v[23:24], v[15:16]
	v_add_f64_e32 v[19:20], v[17:18], v[9:10]
	s_delay_alu instid0(VALU_DEP_2) | instskip(NEXT) | instid1(VALU_DEP_2)
	v_add_f64_e64 v[23:24], v[13:14], -v[23:24]
	v_add_f64_e32 v[21:22], v[13:14], v[19:20]
	v_add_f64_e64 v[17:18], v[19:20], -v[17:18]
	s_delay_alu instid0(VALU_DEP_3) | instskip(NEXT) | instid1(VALU_DEP_3)
	v_add_f64_e64 v[15:16], v[15:16], -v[23:24]
	v_add_f64_e64 v[25:26], v[21:22], -v[13:14]
	s_delay_alu instid0(VALU_DEP_3) | instskip(NEXT) | instid1(VALU_DEP_2)
	v_add_f64_e64 v[9:10], v[9:10], -v[17:18]
	v_add_f64_e64 v[27:28], v[21:22], -v[25:26]
	;; [unrolled: 1-line block ×3, first 2 shown]
	s_delay_alu instid0(VALU_DEP_3) | instskip(NEXT) | instid1(VALU_DEP_3)
	v_add_f64_e32 v[19:20], v[15:16], v[9:10]
	v_add_f64_e64 v[13:14], v[13:14], -v[27:28]
	s_delay_alu instid0(VALU_DEP_1) | instskip(NEXT) | instid1(VALU_DEP_3)
	v_add_f64_e32 v[13:14], v[17:18], v[13:14]
	v_add_f64_e64 v[17:18], v[19:20], -v[15:16]
	s_delay_alu instid0(VALU_DEP_2) | instskip(NEXT) | instid1(VALU_DEP_2)
	v_add_f64_e32 v[13:14], v[19:20], v[13:14]
	v_add_f64_e64 v[19:20], v[19:20], -v[17:18]
	v_add_f64_e64 v[9:10], v[9:10], -v[17:18]
	s_delay_alu instid0(VALU_DEP_3) | instskip(NEXT) | instid1(VALU_DEP_3)
	v_add_f64_e32 v[23:24], v[21:22], v[13:14]
	v_add_f64_e64 v[15:16], v[15:16], -v[19:20]
	s_delay_alu instid0(VALU_DEP_2) | instskip(NEXT) | instid1(VALU_DEP_2)
	v_add_f64_e64 v[17:18], v[23:24], -v[21:22]
	v_add_f64_e32 v[9:10], v[9:10], v[15:16]
	s_delay_alu instid0(VALU_DEP_2) | instskip(NEXT) | instid1(VALU_DEP_1)
	v_add_f64_e64 v[13:14], v[13:14], -v[17:18]
	v_add_f64_e32 v[9:10], v[9:10], v[13:14]
	s_delay_alu instid0(VALU_DEP_1) | instskip(SKIP_1) | instid1(VALU_DEP_1)
	v_add_f64_e32 v[9:10], v[23:24], v[9:10]
	s_wait_alu 0xfffe
	v_cndmask_b32_e32 v9, 0, v9, vcc_lo
	v_cmp_neq_f64_e32 vcc_lo, -1.0, v[5:6]
	s_delay_alu instid0(VALU_DEP_3) | instskip(NEXT) | instid1(VALU_DEP_1)
	v_cndmask_b32_e64 v10, 0x7ff00000, v10, s2
	v_cndmask_b32_e64 v10, 0x7ff80000, v10, s3
	s_wait_alu 0xfffd
	s_delay_alu instid0(VALU_DEP_1) | instskip(NEXT) | instid1(VALU_DEP_1)
	v_cndmask_b32_e32 v10, 0xfff00000, v10, vcc_lo
	v_add_f64_e32 v[5:6], v[7:8], v[9:10]
.LBB6_26:
	s_or_b32 exec_lo, exec_lo, s8
	v_max_num_f64_e32 v[13:14], v[63:64], v[63:64]
	s_delay_alu instid0(VALU_DEP_2) | instskip(SKIP_2) | instid1(VALU_DEP_3)
	v_max_num_f64_e32 v[7:8], v[5:6], v[5:6]
	v_cmp_u_f64_e32 vcc_lo, v[5:6], v[5:6]
	v_cmp_u_f64_e64 s2, v[63:64], v[63:64]
	v_min_num_f64_e32 v[9:10], v[7:8], v[13:14]
	v_max_num_f64_e32 v[7:8], v[7:8], v[13:14]
	s_wait_alu 0xfffd
	s_delay_alu instid0(VALU_DEP_2) | instskip(NEXT) | instid1(VALU_DEP_2)
	v_dual_cndmask_b32 v9, v9, v5 :: v_dual_cndmask_b32 v10, v10, v6
	v_dual_cndmask_b32 v8, v8, v6 :: v_dual_cndmask_b32 v7, v7, v5
	s_wait_alu 0xf1ff
	s_delay_alu instid0(VALU_DEP_2) | instskip(NEXT) | instid1(VALU_DEP_3)
	v_cndmask_b32_e64 v9, v9, v63, s2
	v_cndmask_b32_e64 v10, v10, v64, s2
	s_delay_alu instid0(VALU_DEP_3) | instskip(SKIP_1) | instid1(VALU_DEP_3)
	v_cndmask_b32_e64 v8, v8, v64, s2
	v_cndmask_b32_e64 v7, v7, v63, s2
	v_cmp_class_f64_e64 s3, v[9:10], 0x1f8
	s_delay_alu instid0(VALU_DEP_2)
	v_cmp_neq_f64_e32 vcc_lo, v[9:10], v[7:8]
	s_or_b32 s3, vcc_lo, s3
	s_wait_alu 0xfffe
	s_and_saveexec_b32 s10, s3
	s_cbranch_execz .LBB6_28
; %bb.27:
	v_add_f64_e64 v[5:6], v[9:10], -v[7:8]
	s_mov_b32 s4, 0x652b82fe
	s_mov_b32 s5, 0x3ff71547
	;; [unrolled: 1-line block ×10, first 2 shown]
	s_wait_alu 0xfffe
	s_delay_alu instid0(VALU_DEP_1) | instskip(SKIP_4) | instid1(VALU_DEP_3)
	v_mul_f64_e32 v[9:10], s[4:5], v[5:6]
	s_mov_b32 s5, 0xbfe62e42
	s_mov_b32 s4, 0xfefa39ef
	v_cmp_nlt_f64_e32 vcc_lo, 0x40900000, v[5:6]
	v_cmp_ngt_f64_e64 s3, 0xc090cc00, v[5:6]
	v_rndne_f64_e32 v[9:10], v[9:10]
	s_wait_alu 0xfffe
	s_delay_alu instid0(VALU_DEP_1) | instskip(SKIP_2) | instid1(VALU_DEP_2)
	v_fma_f64 v[15:16], v[9:10], s[4:5], v[5:6]
	v_cvt_i32_f64_e32 v19, v[9:10]
	s_mov_b32 s5, 0x3fe62e42
	v_fma_f64 v[15:16], v[9:10], s[6:7], v[15:16]
	s_mov_b32 s7, 0x3c7abc9e
	s_delay_alu instid0(VALU_DEP_1)
	v_fma_f64 v[17:18], v[15:16], s[12:13], s[8:9]
	s_mov_b32 s8, 0x623fde64
	s_mov_b32 s9, 0x3ec71dee
	;; [unrolled: 1-line block ×4, first 2 shown]
	s_wait_alu 0xfffe
	s_delay_alu instid0(VALU_DEP_1) | instskip(SKIP_3) | instid1(VALU_DEP_1)
	v_fma_f64 v[17:18], v[15:16], v[17:18], s[8:9]
	s_mov_b32 s8, 0x7c89e6b0
	s_mov_b32 s9, 0x3efa0199
	s_wait_alu 0xfffe
	v_fma_f64 v[17:18], v[15:16], v[17:18], s[8:9]
	s_mov_b32 s8, 0x14761f6e
	s_mov_b32 s9, 0x3f2a01a0
	s_wait_alu 0xfffe
	s_delay_alu instid0(VALU_DEP_1) | instskip(SKIP_3) | instid1(VALU_DEP_1)
	v_fma_f64 v[17:18], v[15:16], v[17:18], s[8:9]
	s_mov_b32 s8, 0x1852b7b0
	s_mov_b32 s9, 0x3f56c16c
	s_wait_alu 0xfffe
	v_fma_f64 v[17:18], v[15:16], v[17:18], s[8:9]
	s_mov_b32 s8, 0x11122322
	s_mov_b32 s9, 0x3f811111
	;; [unrolled: 9-line block ×4, first 2 shown]
	s_delay_alu instid0(VALU_DEP_1) | instskip(NEXT) | instid1(VALU_DEP_1)
	v_fma_f64 v[17:18], v[15:16], v[17:18], 1.0
	v_fma_f64 v[9:10], v[15:16], v[17:18], 1.0
	s_delay_alu instid0(VALU_DEP_1) | instskip(SKIP_1) | instid1(VALU_DEP_1)
	v_ldexp_f64 v[9:10], v[9:10], v19
	s_wait_alu 0xfffd
	v_cndmask_b32_e32 v10, 0x7ff00000, v10, vcc_lo
	s_and_b32 vcc_lo, s3, vcc_lo
	s_wait_alu 0xfffe
	s_delay_alu instid0(VALU_DEP_2) | instskip(NEXT) | instid1(VALU_DEP_2)
	v_cndmask_b32_e32 v5, 0, v9, vcc_lo
	v_cndmask_b32_e64 v6, 0, v10, s3
	s_delay_alu instid0(VALU_DEP_1) | instskip(SKIP_1) | instid1(VALU_DEP_2)
	v_add_f64_e32 v[9:10], 1.0, v[5:6]
	v_cmp_neq_f64_e64 s3, 0x7ff00000, v[5:6]
	v_frexp_mant_f64_e32 v[15:16], v[9:10]
	v_frexp_exp_i32_f64_e32 v19, v[9:10]
	v_add_f64_e32 v[17:18], -1.0, v[9:10]
	s_delay_alu instid0(VALU_DEP_3) | instskip(SKIP_1) | instid1(VALU_DEP_2)
	v_cmp_gt_f64_e32 vcc_lo, s[8:9], v[15:16]
	s_mov_b32 s8, 0x55555780
	v_add_f64_e64 v[15:16], v[17:18], -v[9:10]
	v_add_f64_e64 v[17:18], v[5:6], -v[17:18]
	s_wait_alu 0xfffd
	v_subrev_co_ci_u32_e64 v35, null, 0, v19, vcc_lo
	s_delay_alu instid0(VALU_DEP_3) | instskip(SKIP_1) | instid1(VALU_DEP_3)
	v_add_f64_e32 v[15:16], 1.0, v[15:16]
	v_cmp_nge_f64_e32 vcc_lo, -1.0, v[5:6]
	v_sub_nc_u32_e32 v21, 0, v35
	s_delay_alu instid0(VALU_DEP_1) | instskip(NEXT) | instid1(VALU_DEP_4)
	v_ldexp_f64 v[9:10], v[9:10], v21
	v_add_f64_e32 v[15:16], v[17:18], v[15:16]
	s_and_b32 vcc_lo, vcc_lo, s3
	s_delay_alu instid0(VALU_DEP_2) | instskip(SKIP_1) | instid1(VALU_DEP_3)
	v_add_f64_e32 v[19:20], 1.0, v[9:10]
	v_add_f64_e32 v[25:26], -1.0, v[9:10]
	v_ldexp_f64 v[15:16], v[15:16], v21
	s_delay_alu instid0(VALU_DEP_3) | instskip(NEXT) | instid1(VALU_DEP_3)
	v_add_f64_e32 v[17:18], -1.0, v[19:20]
	v_add_f64_e32 v[27:28], 1.0, v[25:26]
	s_delay_alu instid0(VALU_DEP_2) | instskip(NEXT) | instid1(VALU_DEP_2)
	v_add_f64_e64 v[17:18], v[9:10], -v[17:18]
	v_add_f64_e64 v[9:10], v[9:10], -v[27:28]
	s_delay_alu instid0(VALU_DEP_2) | instskip(NEXT) | instid1(VALU_DEP_2)
	v_add_f64_e32 v[17:18], v[15:16], v[17:18]
	v_add_f64_e32 v[9:10], v[15:16], v[9:10]
	s_delay_alu instid0(VALU_DEP_2) | instskip(NEXT) | instid1(VALU_DEP_2)
	v_add_f64_e32 v[21:22], v[19:20], v[17:18]
	v_add_f64_e32 v[27:28], v[25:26], v[9:10]
	s_delay_alu instid0(VALU_DEP_2) | instskip(SKIP_1) | instid1(VALU_DEP_2)
	v_rcp_f64_e32 v[23:24], v[21:22]
	v_add_f64_e64 v[19:20], v[21:22], -v[19:20]
	v_add_f64_e64 v[25:26], v[27:28], -v[25:26]
	s_delay_alu instid0(VALU_DEP_2) | instskip(NEXT) | instid1(TRANS32_DEP_1)
	v_add_f64_e64 v[17:18], v[17:18], -v[19:20]
	v_fma_f64 v[29:30], -v[21:22], v[23:24], 1.0
	s_delay_alu instid0(VALU_DEP_3) | instskip(NEXT) | instid1(VALU_DEP_2)
	v_add_f64_e64 v[9:10], v[9:10], -v[25:26]
	v_fma_f64 v[23:24], v[29:30], v[23:24], v[23:24]
	s_delay_alu instid0(VALU_DEP_1) | instskip(NEXT) | instid1(VALU_DEP_1)
	v_fma_f64 v[15:16], -v[21:22], v[23:24], 1.0
	v_fma_f64 v[15:16], v[15:16], v[23:24], v[23:24]
	s_delay_alu instid0(VALU_DEP_1) | instskip(NEXT) | instid1(VALU_DEP_1)
	v_mul_f64_e32 v[23:24], v[27:28], v[15:16]
	v_mul_f64_e32 v[29:30], v[21:22], v[23:24]
	s_delay_alu instid0(VALU_DEP_1) | instskip(NEXT) | instid1(VALU_DEP_1)
	v_fma_f64 v[19:20], v[23:24], v[21:22], -v[29:30]
	v_fma_f64 v[19:20], v[23:24], v[17:18], v[19:20]
	s_delay_alu instid0(VALU_DEP_1) | instskip(NEXT) | instid1(VALU_DEP_1)
	v_add_f64_e32 v[31:32], v[29:30], v[19:20]
	v_add_f64_e64 v[33:34], v[27:28], -v[31:32]
	v_add_f64_e64 v[25:26], v[31:32], -v[29:30]
	s_delay_alu instid0(VALU_DEP_2) | instskip(NEXT) | instid1(VALU_DEP_2)
	v_add_f64_e64 v[27:28], v[27:28], -v[33:34]
	v_add_f64_e64 v[19:20], v[25:26], -v[19:20]
	s_delay_alu instid0(VALU_DEP_2) | instskip(NEXT) | instid1(VALU_DEP_1)
	v_add_f64_e64 v[27:28], v[27:28], -v[31:32]
	v_add_f64_e32 v[9:10], v[9:10], v[27:28]
	s_delay_alu instid0(VALU_DEP_1) | instskip(NEXT) | instid1(VALU_DEP_1)
	v_add_f64_e32 v[9:10], v[19:20], v[9:10]
	v_add_f64_e32 v[19:20], v[33:34], v[9:10]
	s_delay_alu instid0(VALU_DEP_1) | instskip(SKIP_1) | instid1(VALU_DEP_2)
	v_mul_f64_e32 v[25:26], v[15:16], v[19:20]
	v_add_f64_e64 v[31:32], v[33:34], -v[19:20]
	v_mul_f64_e32 v[27:28], v[21:22], v[25:26]
	s_delay_alu instid0(VALU_DEP_2) | instskip(NEXT) | instid1(VALU_DEP_2)
	v_add_f64_e32 v[9:10], v[9:10], v[31:32]
	v_fma_f64 v[21:22], v[25:26], v[21:22], -v[27:28]
	s_delay_alu instid0(VALU_DEP_1) | instskip(NEXT) | instid1(VALU_DEP_1)
	v_fma_f64 v[17:18], v[25:26], v[17:18], v[21:22]
	v_add_f64_e32 v[21:22], v[27:28], v[17:18]
	s_delay_alu instid0(VALU_DEP_1) | instskip(SKIP_1) | instid1(VALU_DEP_2)
	v_add_f64_e64 v[29:30], v[19:20], -v[21:22]
	v_add_f64_e64 v[27:28], v[21:22], -v[27:28]
	;; [unrolled: 1-line block ×3, first 2 shown]
	s_delay_alu instid0(VALU_DEP_2) | instskip(NEXT) | instid1(VALU_DEP_2)
	v_add_f64_e64 v[17:18], v[27:28], -v[17:18]
	v_add_f64_e64 v[19:20], v[19:20], -v[21:22]
	s_delay_alu instid0(VALU_DEP_1) | instskip(SKIP_1) | instid1(VALU_DEP_2)
	v_add_f64_e32 v[9:10], v[9:10], v[19:20]
	v_add_f64_e32 v[19:20], v[23:24], v[25:26]
	v_add_f64_e32 v[9:10], v[17:18], v[9:10]
	s_delay_alu instid0(VALU_DEP_2) | instskip(NEXT) | instid1(VALU_DEP_2)
	v_add_f64_e64 v[17:18], v[19:20], -v[23:24]
	v_add_f64_e32 v[9:10], v[29:30], v[9:10]
	s_delay_alu instid0(VALU_DEP_2) | instskip(NEXT) | instid1(VALU_DEP_2)
	v_add_f64_e64 v[17:18], v[25:26], -v[17:18]
	v_mul_f64_e32 v[9:10], v[15:16], v[9:10]
	s_delay_alu instid0(VALU_DEP_1) | instskip(NEXT) | instid1(VALU_DEP_1)
	v_add_f64_e32 v[9:10], v[17:18], v[9:10]
	v_add_f64_e32 v[15:16], v[19:20], v[9:10]
	s_delay_alu instid0(VALU_DEP_1) | instskip(NEXT) | instid1(VALU_DEP_1)
	v_mul_f64_e32 v[17:18], v[15:16], v[15:16]
	v_fma_f64 v[21:22], v[17:18], s[16:17], s[12:13]
	s_mov_b32 s12, 0xd7f4df2e
	s_mov_b32 s13, 0x3fc7474d
	v_mul_f64_e32 v[23:24], v[15:16], v[17:18]
	s_wait_alu 0xfffe
	s_delay_alu instid0(VALU_DEP_2) | instskip(SKIP_3) | instid1(VALU_DEP_1)
	v_fma_f64 v[21:22], v[17:18], v[21:22], s[12:13]
	s_mov_b32 s12, 0x16291751
	s_mov_b32 s13, 0x3fcc71c0
	s_wait_alu 0xfffe
	v_fma_f64 v[21:22], v[17:18], v[21:22], s[12:13]
	s_mov_b32 s12, 0x9b27acf1
	s_mov_b32 s13, 0x3fd24924
	s_wait_alu 0xfffe
	s_delay_alu instid0(VALU_DEP_1) | instskip(SKIP_3) | instid1(VALU_DEP_1)
	v_fma_f64 v[21:22], v[17:18], v[21:22], s[12:13]
	s_mov_b32 s12, 0x998ef7b6
	s_mov_b32 s13, 0x3fd99999
	s_wait_alu 0xfffe
	v_fma_f64 v[21:22], v[17:18], v[21:22], s[12:13]
	s_delay_alu instid0(VALU_DEP_1) | instskip(SKIP_2) | instid1(VALU_DEP_3)
	v_fma_f64 v[17:18], v[17:18], v[21:22], s[8:9]
	v_ldexp_f64 v[21:22], v[15:16], 1
	v_add_f64_e64 v[15:16], v[15:16], -v[19:20]
	v_mul_f64_e32 v[17:18], v[23:24], v[17:18]
	v_cvt_f64_i32_e32 v[23:24], v35
	s_delay_alu instid0(VALU_DEP_3) | instskip(NEXT) | instid1(VALU_DEP_3)
	v_add_f64_e64 v[9:10], v[9:10], -v[15:16]
	v_add_f64_e32 v[19:20], v[21:22], v[17:18]
	s_delay_alu instid0(VALU_DEP_3) | instskip(NEXT) | instid1(VALU_DEP_3)
	v_mul_f64_e32 v[25:26], s[4:5], v[23:24]
	v_ldexp_f64 v[9:10], v[9:10], 1
	s_delay_alu instid0(VALU_DEP_3) | instskip(NEXT) | instid1(VALU_DEP_3)
	v_add_f64_e64 v[15:16], v[19:20], -v[21:22]
	v_fma_f64 v[21:22], v[23:24], s[4:5], -v[25:26]
	v_cmp_ngt_f64_e64 s4, -1.0, v[5:6]
	s_delay_alu instid0(VALU_DEP_3) | instskip(NEXT) | instid1(VALU_DEP_3)
	v_add_f64_e64 v[15:16], v[17:18], -v[15:16]
	v_fma_f64 v[17:18], v[23:24], s[6:7], v[21:22]
	s_delay_alu instid0(VALU_DEP_2) | instskip(NEXT) | instid1(VALU_DEP_2)
	v_add_f64_e32 v[9:10], v[9:10], v[15:16]
	v_add_f64_e32 v[15:16], v[25:26], v[17:18]
	s_delay_alu instid0(VALU_DEP_2) | instskip(NEXT) | instid1(VALU_DEP_2)
	v_add_f64_e32 v[21:22], v[19:20], v[9:10]
	v_add_f64_e64 v[25:26], v[15:16], -v[25:26]
	s_delay_alu instid0(VALU_DEP_2) | instskip(SKIP_1) | instid1(VALU_DEP_3)
	v_add_f64_e32 v[23:24], v[15:16], v[21:22]
	v_add_f64_e64 v[19:20], v[21:22], -v[19:20]
	v_add_f64_e64 v[17:18], v[17:18], -v[25:26]
	s_delay_alu instid0(VALU_DEP_3) | instskip(NEXT) | instid1(VALU_DEP_3)
	v_add_f64_e64 v[27:28], v[23:24], -v[15:16]
	v_add_f64_e64 v[9:10], v[9:10], -v[19:20]
	s_delay_alu instid0(VALU_DEP_2) | instskip(SKIP_1) | instid1(VALU_DEP_3)
	v_add_f64_e64 v[29:30], v[23:24], -v[27:28]
	v_add_f64_e64 v[19:20], v[21:22], -v[27:28]
	v_add_f64_e32 v[21:22], v[17:18], v[9:10]
	s_delay_alu instid0(VALU_DEP_3) | instskip(NEXT) | instid1(VALU_DEP_1)
	v_add_f64_e64 v[15:16], v[15:16], -v[29:30]
	v_add_f64_e32 v[15:16], v[19:20], v[15:16]
	s_delay_alu instid0(VALU_DEP_3) | instskip(NEXT) | instid1(VALU_DEP_2)
	v_add_f64_e64 v[19:20], v[21:22], -v[17:18]
	v_add_f64_e32 v[15:16], v[21:22], v[15:16]
	s_delay_alu instid0(VALU_DEP_2) | instskip(SKIP_1) | instid1(VALU_DEP_3)
	v_add_f64_e64 v[21:22], v[21:22], -v[19:20]
	v_add_f64_e64 v[9:10], v[9:10], -v[19:20]
	v_add_f64_e32 v[25:26], v[23:24], v[15:16]
	s_delay_alu instid0(VALU_DEP_3) | instskip(NEXT) | instid1(VALU_DEP_2)
	v_add_f64_e64 v[17:18], v[17:18], -v[21:22]
	v_add_f64_e64 v[19:20], v[25:26], -v[23:24]
	s_delay_alu instid0(VALU_DEP_2) | instskip(NEXT) | instid1(VALU_DEP_2)
	v_add_f64_e32 v[9:10], v[9:10], v[17:18]
	v_add_f64_e64 v[15:16], v[15:16], -v[19:20]
	s_delay_alu instid0(VALU_DEP_1) | instskip(NEXT) | instid1(VALU_DEP_1)
	v_add_f64_e32 v[9:10], v[9:10], v[15:16]
	v_add_f64_e32 v[9:10], v[25:26], v[9:10]
	s_delay_alu instid0(VALU_DEP_1) | instskip(SKIP_1) | instid1(VALU_DEP_3)
	v_cndmask_b32_e32 v9, 0, v9, vcc_lo
	v_cmp_neq_f64_e32 vcc_lo, -1.0, v[5:6]
	v_cndmask_b32_e64 v10, 0x7ff00000, v10, s3
	s_wait_alu 0xf1ff
	s_delay_alu instid0(VALU_DEP_1) | instskip(SKIP_1) | instid1(VALU_DEP_1)
	v_cndmask_b32_e64 v10, 0x7ff80000, v10, s4
	s_wait_alu 0xfffd
	v_cndmask_b32_e32 v10, 0xfff00000, v10, vcc_lo
	s_delay_alu instid0(VALU_DEP_1)
	v_add_f64_e32 v[5:6], v[7:8], v[9:10]
.LBB6_28:
	s_wait_alu 0xfffe
	s_or_b32 exec_lo, exec_lo, s10
	v_max_num_f64_e32 v[15:16], v[57:58], v[57:58]
	s_delay_alu instid0(VALU_DEP_2) | instskip(SKIP_2) | instid1(VALU_DEP_3)
	v_max_num_f64_e32 v[7:8], v[5:6], v[5:6]
	v_cmp_u_f64_e32 vcc_lo, v[5:6], v[5:6]
	v_cmp_u_f64_e64 s3, v[57:58], v[57:58]
	v_min_num_f64_e32 v[9:10], v[7:8], v[15:16]
	v_max_num_f64_e32 v[7:8], v[7:8], v[15:16]
	s_wait_alu 0xfffd
	s_delay_alu instid0(VALU_DEP_2) | instskip(NEXT) | instid1(VALU_DEP_2)
	v_dual_cndmask_b32 v9, v9, v5 :: v_dual_cndmask_b32 v10, v10, v6
	v_dual_cndmask_b32 v8, v8, v6 :: v_dual_cndmask_b32 v7, v7, v5
	s_wait_alu 0xf1ff
	s_delay_alu instid0(VALU_DEP_2) | instskip(NEXT) | instid1(VALU_DEP_3)
	v_cndmask_b32_e64 v9, v9, v57, s3
	v_cndmask_b32_e64 v10, v10, v58, s3
	s_delay_alu instid0(VALU_DEP_3) | instskip(SKIP_1) | instid1(VALU_DEP_3)
	v_cndmask_b32_e64 v8, v8, v58, s3
	v_cndmask_b32_e64 v7, v7, v57, s3
	v_cmp_class_f64_e64 s4, v[9:10], 0x1f8
	s_delay_alu instid0(VALU_DEP_2)
	v_cmp_neq_f64_e32 vcc_lo, v[9:10], v[7:8]
	s_or_b32 s4, vcc_lo, s4
	s_wait_alu 0xfffe
	s_and_saveexec_b32 s10, s4
	s_cbranch_execz .LBB6_30
; %bb.29:
	v_add_f64_e64 v[5:6], v[9:10], -v[7:8]
	s_mov_b32 s4, 0x652b82fe
	s_mov_b32 s5, 0x3ff71547
	;; [unrolled: 1-line block ×10, first 2 shown]
	s_wait_alu 0xfffe
	s_delay_alu instid0(VALU_DEP_1) | instskip(SKIP_3) | instid1(VALU_DEP_2)
	v_mul_f64_e32 v[9:10], s[4:5], v[5:6]
	s_mov_b32 s4, 0xfca7ab0c
	s_mov_b32 s5, 0x3e928af3
	v_cmp_nlt_f64_e32 vcc_lo, 0x40900000, v[5:6]
	v_rndne_f64_e32 v[9:10], v[9:10]
	s_delay_alu instid0(VALU_DEP_1) | instskip(SKIP_2) | instid1(VALU_DEP_2)
	v_fma_f64 v[17:18], v[9:10], s[6:7], v[5:6]
	v_cvt_i32_f64_e32 v21, v[9:10]
	s_mov_b32 s7, 0x3fe62e42
	v_fma_f64 v[17:18], v[9:10], s[8:9], v[17:18]
	s_mov_b32 s9, 0x3c7abc9e
	s_wait_alu 0xfffe
	s_delay_alu instid0(VALU_DEP_1)
	v_fma_f64 v[19:20], v[17:18], s[12:13], s[4:5]
	s_mov_b32 s4, 0x623fde64
	s_mov_b32 s5, 0x3ec71dee
	;; [unrolled: 1-line block ×4, first 2 shown]
	s_wait_alu 0xfffe
	s_delay_alu instid0(VALU_DEP_1) | instskip(SKIP_3) | instid1(VALU_DEP_1)
	v_fma_f64 v[19:20], v[17:18], v[19:20], s[4:5]
	s_mov_b32 s4, 0x7c89e6b0
	s_mov_b32 s5, 0x3efa0199
	s_wait_alu 0xfffe
	v_fma_f64 v[19:20], v[17:18], v[19:20], s[4:5]
	s_mov_b32 s4, 0x14761f6e
	s_mov_b32 s5, 0x3f2a01a0
	s_wait_alu 0xfffe
	s_delay_alu instid0(VALU_DEP_1) | instskip(SKIP_3) | instid1(VALU_DEP_1)
	v_fma_f64 v[19:20], v[17:18], v[19:20], s[4:5]
	s_mov_b32 s4, 0x1852b7b0
	s_mov_b32 s5, 0x3f56c16c
	s_wait_alu 0xfffe
	v_fma_f64 v[19:20], v[17:18], v[19:20], s[4:5]
	s_mov_b32 s4, 0x11122322
	s_mov_b32 s5, 0x3f811111
	;; [unrolled: 9-line block ×3, first 2 shown]
	s_wait_alu 0xfffe
	s_delay_alu instid0(VALU_DEP_1) | instskip(SKIP_3) | instid1(VALU_DEP_1)
	v_fma_f64 v[19:20], v[17:18], v[19:20], s[4:5]
	s_mov_b32 s4, 11
	s_mov_b32 s5, 0x3fe00000
	s_wait_alu 0xfffe
	v_fma_f64 v[19:20], v[17:18], v[19:20], s[4:5]
	v_cmp_ngt_f64_e64 s4, 0xc090cc00, v[5:6]
	s_mov_b32 s5, 0x3fe55555
	v_fma_f64 v[19:20], v[17:18], v[19:20], 1.0
	s_delay_alu instid0(VALU_DEP_1) | instskip(NEXT) | instid1(VALU_DEP_1)
	v_fma_f64 v[9:10], v[17:18], v[19:20], 1.0
	v_ldexp_f64 v[9:10], v[9:10], v21
	s_wait_alu 0xfffd
	s_delay_alu instid0(VALU_DEP_1) | instskip(SKIP_2) | instid1(VALU_DEP_2)
	v_cndmask_b32_e32 v10, 0x7ff00000, v10, vcc_lo
	s_and_b32 vcc_lo, s4, vcc_lo
	s_wait_alu 0xfffe
	v_cndmask_b32_e32 v5, 0, v9, vcc_lo
	s_delay_alu instid0(VALU_DEP_2) | instskip(SKIP_1) | instid1(VALU_DEP_1)
	v_cndmask_b32_e64 v6, 0, v10, s4
	s_mov_b32 s4, 0x55555555
	v_add_f64_e32 v[9:10], 1.0, v[5:6]
	s_delay_alu instid0(VALU_DEP_1) | instskip(SKIP_3) | instid1(VALU_DEP_3)
	v_frexp_mant_f64_e32 v[17:18], v[9:10]
	v_frexp_exp_i32_f64_e32 v21, v[9:10]
	v_add_f64_e32 v[19:20], -1.0, v[9:10]
	s_wait_alu 0xfffe
	v_cmp_gt_f64_e32 vcc_lo, s[4:5], v[17:18]
	s_mov_b32 s4, 0x55555780
	s_delay_alu instid0(VALU_DEP_2) | instskip(SKIP_3) | instid1(VALU_DEP_3)
	v_add_f64_e64 v[17:18], v[19:20], -v[9:10]
	v_add_f64_e64 v[19:20], v[5:6], -v[19:20]
	s_wait_alu 0xfffd
	v_subrev_co_ci_u32_e64 v67, null, 0, v21, vcc_lo
	v_add_f64_e32 v[17:18], 1.0, v[17:18]
	v_cmp_nge_f64_e32 vcc_lo, -1.0, v[5:6]
	s_delay_alu instid0(VALU_DEP_3) | instskip(NEXT) | instid1(VALU_DEP_1)
	v_sub_nc_u32_e32 v23, 0, v67
	v_ldexp_f64 v[9:10], v[9:10], v23
	s_delay_alu instid0(VALU_DEP_4) | instskip(NEXT) | instid1(VALU_DEP_2)
	v_add_f64_e32 v[17:18], v[19:20], v[17:18]
	v_add_f64_e32 v[21:22], 1.0, v[9:10]
	v_add_f64_e32 v[27:28], -1.0, v[9:10]
	s_delay_alu instid0(VALU_DEP_3) | instskip(NEXT) | instid1(VALU_DEP_3)
	v_ldexp_f64 v[17:18], v[17:18], v23
	v_add_f64_e32 v[19:20], -1.0, v[21:22]
	s_delay_alu instid0(VALU_DEP_3) | instskip(NEXT) | instid1(VALU_DEP_2)
	v_add_f64_e32 v[29:30], 1.0, v[27:28]
	v_add_f64_e64 v[19:20], v[9:10], -v[19:20]
	s_delay_alu instid0(VALU_DEP_2) | instskip(NEXT) | instid1(VALU_DEP_2)
	v_add_f64_e64 v[9:10], v[9:10], -v[29:30]
	v_add_f64_e32 v[19:20], v[17:18], v[19:20]
	s_delay_alu instid0(VALU_DEP_2) | instskip(NEXT) | instid1(VALU_DEP_2)
	v_add_f64_e32 v[9:10], v[17:18], v[9:10]
	v_add_f64_e32 v[23:24], v[21:22], v[19:20]
	s_delay_alu instid0(VALU_DEP_2) | instskip(NEXT) | instid1(VALU_DEP_2)
	v_add_f64_e32 v[29:30], v[27:28], v[9:10]
	v_rcp_f64_e32 v[25:26], v[23:24]
	v_add_f64_e64 v[21:22], v[23:24], -v[21:22]
	s_delay_alu instid0(VALU_DEP_2) | instskip(NEXT) | instid1(VALU_DEP_2)
	v_add_f64_e64 v[27:28], v[29:30], -v[27:28]
	v_add_f64_e64 v[19:20], v[19:20], -v[21:22]
	s_delay_alu instid0(TRANS32_DEP_1) | instskip(NEXT) | instid1(VALU_DEP_3)
	v_fma_f64 v[31:32], -v[23:24], v[25:26], 1.0
	v_add_f64_e64 v[9:10], v[9:10], -v[27:28]
	s_delay_alu instid0(VALU_DEP_2) | instskip(NEXT) | instid1(VALU_DEP_1)
	v_fma_f64 v[25:26], v[31:32], v[25:26], v[25:26]
	v_fma_f64 v[17:18], -v[23:24], v[25:26], 1.0
	s_delay_alu instid0(VALU_DEP_1) | instskip(NEXT) | instid1(VALU_DEP_1)
	v_fma_f64 v[17:18], v[17:18], v[25:26], v[25:26]
	v_mul_f64_e32 v[25:26], v[29:30], v[17:18]
	s_delay_alu instid0(VALU_DEP_1) | instskip(NEXT) | instid1(VALU_DEP_1)
	v_mul_f64_e32 v[31:32], v[23:24], v[25:26]
	v_fma_f64 v[21:22], v[25:26], v[23:24], -v[31:32]
	s_delay_alu instid0(VALU_DEP_1) | instskip(NEXT) | instid1(VALU_DEP_1)
	v_fma_f64 v[21:22], v[25:26], v[19:20], v[21:22]
	v_add_f64_e32 v[33:34], v[31:32], v[21:22]
	s_delay_alu instid0(VALU_DEP_1) | instskip(SKIP_1) | instid1(VALU_DEP_2)
	v_add_f64_e64 v[35:36], v[29:30], -v[33:34]
	v_add_f64_e64 v[27:28], v[33:34], -v[31:32]
	;; [unrolled: 1-line block ×3, first 2 shown]
	s_delay_alu instid0(VALU_DEP_2) | instskip(NEXT) | instid1(VALU_DEP_2)
	v_add_f64_e64 v[21:22], v[27:28], -v[21:22]
	v_add_f64_e64 v[29:30], v[29:30], -v[33:34]
	s_delay_alu instid0(VALU_DEP_1) | instskip(NEXT) | instid1(VALU_DEP_1)
	v_add_f64_e32 v[9:10], v[9:10], v[29:30]
	v_add_f64_e32 v[9:10], v[21:22], v[9:10]
	s_delay_alu instid0(VALU_DEP_1) | instskip(NEXT) | instid1(VALU_DEP_1)
	v_add_f64_e32 v[21:22], v[35:36], v[9:10]
	v_mul_f64_e32 v[27:28], v[17:18], v[21:22]
	v_add_f64_e64 v[33:34], v[35:36], -v[21:22]
	s_delay_alu instid0(VALU_DEP_2) | instskip(NEXT) | instid1(VALU_DEP_2)
	v_mul_f64_e32 v[29:30], v[23:24], v[27:28]
	v_add_f64_e32 v[9:10], v[9:10], v[33:34]
	s_delay_alu instid0(VALU_DEP_2) | instskip(NEXT) | instid1(VALU_DEP_1)
	v_fma_f64 v[23:24], v[27:28], v[23:24], -v[29:30]
	v_fma_f64 v[19:20], v[27:28], v[19:20], v[23:24]
	s_delay_alu instid0(VALU_DEP_1) | instskip(NEXT) | instid1(VALU_DEP_1)
	v_add_f64_e32 v[23:24], v[29:30], v[19:20]
	v_add_f64_e64 v[31:32], v[21:22], -v[23:24]
	v_add_f64_e64 v[29:30], v[23:24], -v[29:30]
	s_delay_alu instid0(VALU_DEP_2) | instskip(NEXT) | instid1(VALU_DEP_2)
	v_add_f64_e64 v[21:22], v[21:22], -v[31:32]
	v_add_f64_e64 v[19:20], v[29:30], -v[19:20]
	s_delay_alu instid0(VALU_DEP_2) | instskip(NEXT) | instid1(VALU_DEP_1)
	v_add_f64_e64 v[21:22], v[21:22], -v[23:24]
	v_add_f64_e32 v[9:10], v[9:10], v[21:22]
	v_add_f64_e32 v[21:22], v[25:26], v[27:28]
	s_delay_alu instid0(VALU_DEP_2) | instskip(NEXT) | instid1(VALU_DEP_2)
	v_add_f64_e32 v[9:10], v[19:20], v[9:10]
	v_add_f64_e64 v[19:20], v[21:22], -v[25:26]
	s_delay_alu instid0(VALU_DEP_2) | instskip(NEXT) | instid1(VALU_DEP_2)
	v_add_f64_e32 v[9:10], v[31:32], v[9:10]
	v_add_f64_e64 v[19:20], v[27:28], -v[19:20]
	s_delay_alu instid0(VALU_DEP_2) | instskip(NEXT) | instid1(VALU_DEP_1)
	v_mul_f64_e32 v[9:10], v[17:18], v[9:10]
	v_add_f64_e32 v[9:10], v[19:20], v[9:10]
	s_delay_alu instid0(VALU_DEP_1) | instskip(NEXT) | instid1(VALU_DEP_1)
	v_add_f64_e32 v[17:18], v[21:22], v[9:10]
	v_mul_f64_e32 v[19:20], v[17:18], v[17:18]
	s_delay_alu instid0(VALU_DEP_1) | instskip(SKIP_4) | instid1(VALU_DEP_2)
	v_fma_f64 v[23:24], v[19:20], s[16:17], s[12:13]
	s_mov_b32 s12, 0xd7f4df2e
	s_mov_b32 s13, 0x3fc7474d
	v_mul_f64_e32 v[25:26], v[17:18], v[19:20]
	s_wait_alu 0xfffe
	v_fma_f64 v[23:24], v[19:20], v[23:24], s[12:13]
	s_mov_b32 s12, 0x16291751
	s_mov_b32 s13, 0x3fcc71c0
	s_wait_alu 0xfffe
	s_delay_alu instid0(VALU_DEP_1) | instskip(SKIP_3) | instid1(VALU_DEP_1)
	v_fma_f64 v[23:24], v[19:20], v[23:24], s[12:13]
	s_mov_b32 s12, 0x9b27acf1
	s_mov_b32 s13, 0x3fd24924
	s_wait_alu 0xfffe
	v_fma_f64 v[23:24], v[19:20], v[23:24], s[12:13]
	s_mov_b32 s12, 0x998ef7b6
	s_mov_b32 s13, 0x3fd99999
	s_wait_alu 0xfffe
	s_delay_alu instid0(VALU_DEP_1) | instskip(NEXT) | instid1(VALU_DEP_1)
	v_fma_f64 v[23:24], v[19:20], v[23:24], s[12:13]
	v_fma_f64 v[19:20], v[19:20], v[23:24], s[4:5]
	v_ldexp_f64 v[23:24], v[17:18], 1
	v_add_f64_e64 v[17:18], v[17:18], -v[21:22]
	v_cmp_neq_f64_e64 s4, 0x7ff00000, v[5:6]
	v_cmp_ngt_f64_e64 s5, -1.0, v[5:6]
	v_mul_f64_e32 v[19:20], v[25:26], v[19:20]
	v_cvt_f64_i32_e32 v[25:26], v67
	v_add_f64_e64 v[9:10], v[9:10], -v[17:18]
	s_and_b32 vcc_lo, vcc_lo, s4
	s_delay_alu instid0(VALU_DEP_3) | instskip(NEXT) | instid1(VALU_DEP_3)
	v_add_f64_e32 v[21:22], v[23:24], v[19:20]
	v_mul_f64_e32 v[27:28], s[6:7], v[25:26]
	s_delay_alu instid0(VALU_DEP_3) | instskip(NEXT) | instid1(VALU_DEP_3)
	v_ldexp_f64 v[9:10], v[9:10], 1
	v_add_f64_e64 v[17:18], v[21:22], -v[23:24]
	s_delay_alu instid0(VALU_DEP_3) | instskip(NEXT) | instid1(VALU_DEP_2)
	v_fma_f64 v[23:24], v[25:26], s[6:7], -v[27:28]
	v_add_f64_e64 v[17:18], v[19:20], -v[17:18]
	s_delay_alu instid0(VALU_DEP_2) | instskip(NEXT) | instid1(VALU_DEP_2)
	v_fma_f64 v[19:20], v[25:26], s[8:9], v[23:24]
	v_add_f64_e32 v[9:10], v[9:10], v[17:18]
	s_delay_alu instid0(VALU_DEP_2) | instskip(NEXT) | instid1(VALU_DEP_2)
	v_add_f64_e32 v[17:18], v[27:28], v[19:20]
	v_add_f64_e32 v[23:24], v[21:22], v[9:10]
	s_delay_alu instid0(VALU_DEP_2) | instskip(NEXT) | instid1(VALU_DEP_2)
	v_add_f64_e64 v[27:28], v[17:18], -v[27:28]
	v_add_f64_e32 v[25:26], v[17:18], v[23:24]
	v_add_f64_e64 v[21:22], v[23:24], -v[21:22]
	s_delay_alu instid0(VALU_DEP_3) | instskip(NEXT) | instid1(VALU_DEP_3)
	v_add_f64_e64 v[19:20], v[19:20], -v[27:28]
	v_add_f64_e64 v[29:30], v[25:26], -v[17:18]
	s_delay_alu instid0(VALU_DEP_3) | instskip(NEXT) | instid1(VALU_DEP_2)
	v_add_f64_e64 v[9:10], v[9:10], -v[21:22]
	v_add_f64_e64 v[31:32], v[25:26], -v[29:30]
	;; [unrolled: 1-line block ×3, first 2 shown]
	s_delay_alu instid0(VALU_DEP_3) | instskip(NEXT) | instid1(VALU_DEP_3)
	v_add_f64_e32 v[23:24], v[19:20], v[9:10]
	v_add_f64_e64 v[17:18], v[17:18], -v[31:32]
	s_delay_alu instid0(VALU_DEP_1) | instskip(NEXT) | instid1(VALU_DEP_3)
	v_add_f64_e32 v[17:18], v[21:22], v[17:18]
	v_add_f64_e64 v[21:22], v[23:24], -v[19:20]
	s_delay_alu instid0(VALU_DEP_2) | instskip(NEXT) | instid1(VALU_DEP_2)
	v_add_f64_e32 v[17:18], v[23:24], v[17:18]
	v_add_f64_e64 v[23:24], v[23:24], -v[21:22]
	v_add_f64_e64 v[9:10], v[9:10], -v[21:22]
	s_delay_alu instid0(VALU_DEP_3) | instskip(NEXT) | instid1(VALU_DEP_3)
	v_add_f64_e32 v[27:28], v[25:26], v[17:18]
	v_add_f64_e64 v[19:20], v[19:20], -v[23:24]
	s_delay_alu instid0(VALU_DEP_2) | instskip(NEXT) | instid1(VALU_DEP_2)
	v_add_f64_e64 v[21:22], v[27:28], -v[25:26]
	v_add_f64_e32 v[9:10], v[9:10], v[19:20]
	s_delay_alu instid0(VALU_DEP_2) | instskip(NEXT) | instid1(VALU_DEP_1)
	v_add_f64_e64 v[17:18], v[17:18], -v[21:22]
	v_add_f64_e32 v[9:10], v[9:10], v[17:18]
	s_delay_alu instid0(VALU_DEP_1) | instskip(SKIP_1) | instid1(VALU_DEP_1)
	v_add_f64_e32 v[9:10], v[27:28], v[9:10]
	s_wait_alu 0xfffe
	v_cndmask_b32_e32 v9, 0, v9, vcc_lo
	v_cmp_neq_f64_e32 vcc_lo, -1.0, v[5:6]
	s_delay_alu instid0(VALU_DEP_3) | instskip(NEXT) | instid1(VALU_DEP_1)
	v_cndmask_b32_e64 v10, 0x7ff00000, v10, s4
	v_cndmask_b32_e64 v10, 0x7ff80000, v10, s5
	s_wait_alu 0xfffd
	s_delay_alu instid0(VALU_DEP_1) | instskip(NEXT) | instid1(VALU_DEP_1)
	v_cndmask_b32_e32 v10, 0xfff00000, v10, vcc_lo
	v_add_f64_e32 v[5:6], v[7:8], v[9:10]
.LBB6_30:
	s_wait_alu 0xfffe
	s_or_b32 exec_lo, exec_lo, s10
	v_max_num_f64_e32 v[17:18], v[59:60], v[59:60]
	s_delay_alu instid0(VALU_DEP_2) | instskip(SKIP_2) | instid1(VALU_DEP_3)
	v_max_num_f64_e32 v[7:8], v[5:6], v[5:6]
	v_cmp_u_f64_e32 vcc_lo, v[5:6], v[5:6]
	v_cmp_u_f64_e64 s4, v[59:60], v[59:60]
	v_min_num_f64_e32 v[9:10], v[7:8], v[17:18]
	v_max_num_f64_e32 v[7:8], v[7:8], v[17:18]
	s_wait_alu 0xfffd
	s_delay_alu instid0(VALU_DEP_2) | instskip(NEXT) | instid1(VALU_DEP_2)
	v_dual_cndmask_b32 v9, v9, v5 :: v_dual_cndmask_b32 v10, v10, v6
	v_dual_cndmask_b32 v8, v8, v6 :: v_dual_cndmask_b32 v7, v7, v5
	s_wait_alu 0xf1ff
	s_delay_alu instid0(VALU_DEP_2) | instskip(NEXT) | instid1(VALU_DEP_3)
	v_cndmask_b32_e64 v9, v9, v59, s4
	v_cndmask_b32_e64 v10, v10, v60, s4
	s_delay_alu instid0(VALU_DEP_3) | instskip(SKIP_1) | instid1(VALU_DEP_3)
	v_cndmask_b32_e64 v8, v8, v60, s4
	v_cndmask_b32_e64 v7, v7, v59, s4
	v_cmp_class_f64_e64 s5, v[9:10], 0x1f8
	s_delay_alu instid0(VALU_DEP_2)
	v_cmp_neq_f64_e32 vcc_lo, v[9:10], v[7:8]
	s_or_b32 s5, vcc_lo, s5
	s_wait_alu 0xfffe
	s_and_saveexec_b32 s12, s5
	s_cbranch_execz .LBB6_32
; %bb.31:
	v_add_f64_e64 v[5:6], v[9:10], -v[7:8]
	s_mov_b32 s6, 0x652b82fe
	s_mov_b32 s7, 0x3ff71547
	;; [unrolled: 1-line block ×10, first 2 shown]
	s_wait_alu 0xfffe
	s_delay_alu instid0(VALU_DEP_1) | instskip(SKIP_4) | instid1(VALU_DEP_3)
	v_mul_f64_e32 v[9:10], s[6:7], v[5:6]
	s_mov_b32 s7, 0xbfe62e42
	s_mov_b32 s6, 0xfefa39ef
	v_cmp_nlt_f64_e32 vcc_lo, 0x40900000, v[5:6]
	v_cmp_ngt_f64_e64 s5, 0xc090cc00, v[5:6]
	v_rndne_f64_e32 v[9:10], v[9:10]
	s_wait_alu 0xfffe
	s_delay_alu instid0(VALU_DEP_1) | instskip(SKIP_2) | instid1(VALU_DEP_2)
	v_fma_f64 v[19:20], v[9:10], s[6:7], v[5:6]
	v_cvt_i32_f64_e32 v23, v[9:10]
	s_mov_b32 s7, 0x3fe62e42
	v_fma_f64 v[19:20], v[9:10], s[8:9], v[19:20]
	s_mov_b32 s9, 0x3c7abc9e
	s_delay_alu instid0(VALU_DEP_1)
	v_fma_f64 v[21:22], v[19:20], s[16:17], s[10:11]
	s_mov_b32 s10, 0x623fde64
	s_mov_b32 s11, 0x3ec71dee
	;; [unrolled: 1-line block ×4, first 2 shown]
	s_wait_alu 0xfffe
	s_delay_alu instid0(VALU_DEP_1) | instskip(SKIP_3) | instid1(VALU_DEP_1)
	v_fma_f64 v[21:22], v[19:20], v[21:22], s[10:11]
	s_mov_b32 s10, 0x7c89e6b0
	s_mov_b32 s11, 0x3efa0199
	s_wait_alu 0xfffe
	v_fma_f64 v[21:22], v[19:20], v[21:22], s[10:11]
	s_mov_b32 s10, 0x14761f6e
	s_mov_b32 s11, 0x3f2a01a0
	s_wait_alu 0xfffe
	s_delay_alu instid0(VALU_DEP_1) | instskip(SKIP_3) | instid1(VALU_DEP_1)
	v_fma_f64 v[21:22], v[19:20], v[21:22], s[10:11]
	s_mov_b32 s10, 0x1852b7b0
	s_mov_b32 s11, 0x3f56c16c
	s_wait_alu 0xfffe
	v_fma_f64 v[21:22], v[19:20], v[21:22], s[10:11]
	s_mov_b32 s10, 0x11122322
	s_mov_b32 s11, 0x3f811111
	;; [unrolled: 9-line block ×4, first 2 shown]
	s_delay_alu instid0(VALU_DEP_1) | instskip(NEXT) | instid1(VALU_DEP_1)
	v_fma_f64 v[21:22], v[19:20], v[21:22], 1.0
	v_fma_f64 v[9:10], v[19:20], v[21:22], 1.0
	s_delay_alu instid0(VALU_DEP_1) | instskip(SKIP_1) | instid1(VALU_DEP_1)
	v_ldexp_f64 v[9:10], v[9:10], v23
	s_wait_alu 0xfffd
	v_cndmask_b32_e32 v10, 0x7ff00000, v10, vcc_lo
	s_and_b32 vcc_lo, s5, vcc_lo
	s_wait_alu 0xfffe
	s_delay_alu instid0(VALU_DEP_2) | instskip(NEXT) | instid1(VALU_DEP_2)
	v_cndmask_b32_e32 v5, 0, v9, vcc_lo
	v_cndmask_b32_e64 v6, 0, v10, s5
	s_delay_alu instid0(VALU_DEP_1) | instskip(SKIP_1) | instid1(VALU_DEP_2)
	v_add_f64_e32 v[9:10], 1.0, v[5:6]
	v_cmp_neq_f64_e64 s5, 0x7ff00000, v[5:6]
	v_frexp_mant_f64_e32 v[19:20], v[9:10]
	v_frexp_exp_i32_f64_e32 v23, v[9:10]
	v_add_f64_e32 v[21:22], -1.0, v[9:10]
	s_delay_alu instid0(VALU_DEP_3) | instskip(SKIP_1) | instid1(VALU_DEP_2)
	v_cmp_gt_f64_e32 vcc_lo, s[10:11], v[19:20]
	s_mov_b32 s10, 0x55555780
	v_add_f64_e64 v[19:20], v[21:22], -v[9:10]
	v_add_f64_e64 v[21:22], v[5:6], -v[21:22]
	s_wait_alu 0xfffd
	v_subrev_co_ci_u32_e64 v71, null, 0, v23, vcc_lo
	s_delay_alu instid0(VALU_DEP_3) | instskip(SKIP_1) | instid1(VALU_DEP_3)
	v_add_f64_e32 v[19:20], 1.0, v[19:20]
	v_cmp_nge_f64_e32 vcc_lo, -1.0, v[5:6]
	v_sub_nc_u32_e32 v25, 0, v71
	s_delay_alu instid0(VALU_DEP_1) | instskip(NEXT) | instid1(VALU_DEP_4)
	v_ldexp_f64 v[9:10], v[9:10], v25
	v_add_f64_e32 v[19:20], v[21:22], v[19:20]
	s_and_b32 vcc_lo, vcc_lo, s5
	s_delay_alu instid0(VALU_DEP_2) | instskip(SKIP_1) | instid1(VALU_DEP_3)
	v_add_f64_e32 v[23:24], 1.0, v[9:10]
	v_add_f64_e32 v[29:30], -1.0, v[9:10]
	v_ldexp_f64 v[19:20], v[19:20], v25
	s_delay_alu instid0(VALU_DEP_3) | instskip(NEXT) | instid1(VALU_DEP_3)
	v_add_f64_e32 v[21:22], -1.0, v[23:24]
	v_add_f64_e32 v[31:32], 1.0, v[29:30]
	s_delay_alu instid0(VALU_DEP_2) | instskip(NEXT) | instid1(VALU_DEP_2)
	v_add_f64_e64 v[21:22], v[9:10], -v[21:22]
	v_add_f64_e64 v[9:10], v[9:10], -v[31:32]
	s_delay_alu instid0(VALU_DEP_2) | instskip(NEXT) | instid1(VALU_DEP_2)
	v_add_f64_e32 v[21:22], v[19:20], v[21:22]
	v_add_f64_e32 v[9:10], v[19:20], v[9:10]
	s_delay_alu instid0(VALU_DEP_2) | instskip(NEXT) | instid1(VALU_DEP_2)
	v_add_f64_e32 v[25:26], v[23:24], v[21:22]
	v_add_f64_e32 v[31:32], v[29:30], v[9:10]
	s_delay_alu instid0(VALU_DEP_2) | instskip(SKIP_1) | instid1(VALU_DEP_2)
	v_rcp_f64_e32 v[27:28], v[25:26]
	v_add_f64_e64 v[23:24], v[25:26], -v[23:24]
	v_add_f64_e64 v[29:30], v[31:32], -v[29:30]
	s_delay_alu instid0(VALU_DEP_2) | instskip(NEXT) | instid1(TRANS32_DEP_1)
	v_add_f64_e64 v[21:22], v[21:22], -v[23:24]
	v_fma_f64 v[33:34], -v[25:26], v[27:28], 1.0
	s_delay_alu instid0(VALU_DEP_3) | instskip(NEXT) | instid1(VALU_DEP_2)
	v_add_f64_e64 v[9:10], v[9:10], -v[29:30]
	v_fma_f64 v[27:28], v[33:34], v[27:28], v[27:28]
	s_delay_alu instid0(VALU_DEP_1) | instskip(NEXT) | instid1(VALU_DEP_1)
	v_fma_f64 v[19:20], -v[25:26], v[27:28], 1.0
	v_fma_f64 v[19:20], v[19:20], v[27:28], v[27:28]
	s_delay_alu instid0(VALU_DEP_1) | instskip(NEXT) | instid1(VALU_DEP_1)
	v_mul_f64_e32 v[27:28], v[31:32], v[19:20]
	v_mul_f64_e32 v[33:34], v[25:26], v[27:28]
	s_delay_alu instid0(VALU_DEP_1) | instskip(NEXT) | instid1(VALU_DEP_1)
	v_fma_f64 v[23:24], v[27:28], v[25:26], -v[33:34]
	v_fma_f64 v[23:24], v[27:28], v[21:22], v[23:24]
	s_delay_alu instid0(VALU_DEP_1) | instskip(NEXT) | instid1(VALU_DEP_1)
	v_add_f64_e32 v[35:36], v[33:34], v[23:24]
	v_add_f64_e64 v[67:68], v[31:32], -v[35:36]
	v_add_f64_e64 v[29:30], v[35:36], -v[33:34]
	s_delay_alu instid0(VALU_DEP_2) | instskip(NEXT) | instid1(VALU_DEP_2)
	v_add_f64_e64 v[31:32], v[31:32], -v[67:68]
	v_add_f64_e64 v[23:24], v[29:30], -v[23:24]
	s_delay_alu instid0(VALU_DEP_2) | instskip(NEXT) | instid1(VALU_DEP_1)
	v_add_f64_e64 v[31:32], v[31:32], -v[35:36]
	v_add_f64_e32 v[9:10], v[9:10], v[31:32]
	s_delay_alu instid0(VALU_DEP_1) | instskip(NEXT) | instid1(VALU_DEP_1)
	v_add_f64_e32 v[9:10], v[23:24], v[9:10]
	v_add_f64_e32 v[23:24], v[67:68], v[9:10]
	s_delay_alu instid0(VALU_DEP_1) | instskip(SKIP_1) | instid1(VALU_DEP_2)
	v_mul_f64_e32 v[29:30], v[19:20], v[23:24]
	v_add_f64_e64 v[35:36], v[67:68], -v[23:24]
	v_mul_f64_e32 v[31:32], v[25:26], v[29:30]
	s_delay_alu instid0(VALU_DEP_2) | instskip(NEXT) | instid1(VALU_DEP_2)
	v_add_f64_e32 v[9:10], v[9:10], v[35:36]
	v_fma_f64 v[25:26], v[29:30], v[25:26], -v[31:32]
	s_delay_alu instid0(VALU_DEP_1) | instskip(NEXT) | instid1(VALU_DEP_1)
	v_fma_f64 v[21:22], v[29:30], v[21:22], v[25:26]
	v_add_f64_e32 v[25:26], v[31:32], v[21:22]
	s_delay_alu instid0(VALU_DEP_1) | instskip(SKIP_1) | instid1(VALU_DEP_2)
	v_add_f64_e64 v[33:34], v[23:24], -v[25:26]
	v_add_f64_e64 v[31:32], v[25:26], -v[31:32]
	v_add_f64_e64 v[23:24], v[23:24], -v[33:34]
	s_delay_alu instid0(VALU_DEP_2) | instskip(NEXT) | instid1(VALU_DEP_2)
	v_add_f64_e64 v[21:22], v[31:32], -v[21:22]
	v_add_f64_e64 v[23:24], v[23:24], -v[25:26]
	s_delay_alu instid0(VALU_DEP_1) | instskip(SKIP_1) | instid1(VALU_DEP_2)
	v_add_f64_e32 v[9:10], v[9:10], v[23:24]
	v_add_f64_e32 v[23:24], v[27:28], v[29:30]
	;; [unrolled: 1-line block ×3, first 2 shown]
	s_delay_alu instid0(VALU_DEP_2) | instskip(NEXT) | instid1(VALU_DEP_2)
	v_add_f64_e64 v[21:22], v[23:24], -v[27:28]
	v_add_f64_e32 v[9:10], v[33:34], v[9:10]
	s_delay_alu instid0(VALU_DEP_2) | instskip(NEXT) | instid1(VALU_DEP_2)
	v_add_f64_e64 v[21:22], v[29:30], -v[21:22]
	v_mul_f64_e32 v[9:10], v[19:20], v[9:10]
	s_delay_alu instid0(VALU_DEP_1) | instskip(NEXT) | instid1(VALU_DEP_1)
	v_add_f64_e32 v[9:10], v[21:22], v[9:10]
	v_add_f64_e32 v[19:20], v[23:24], v[9:10]
	s_delay_alu instid0(VALU_DEP_1) | instskip(NEXT) | instid1(VALU_DEP_1)
	v_mul_f64_e32 v[21:22], v[19:20], v[19:20]
	v_fma_f64 v[25:26], v[21:22], s[18:19], s[16:17]
	s_mov_b32 s16, 0xd7f4df2e
	s_mov_b32 s17, 0x3fc7474d
	v_mul_f64_e32 v[27:28], v[19:20], v[21:22]
	s_wait_alu 0xfffe
	s_delay_alu instid0(VALU_DEP_2) | instskip(SKIP_3) | instid1(VALU_DEP_1)
	v_fma_f64 v[25:26], v[21:22], v[25:26], s[16:17]
	s_mov_b32 s16, 0x16291751
	s_mov_b32 s17, 0x3fcc71c0
	s_wait_alu 0xfffe
	v_fma_f64 v[25:26], v[21:22], v[25:26], s[16:17]
	s_mov_b32 s16, 0x9b27acf1
	s_mov_b32 s17, 0x3fd24924
	s_wait_alu 0xfffe
	s_delay_alu instid0(VALU_DEP_1) | instskip(SKIP_3) | instid1(VALU_DEP_1)
	v_fma_f64 v[25:26], v[21:22], v[25:26], s[16:17]
	s_mov_b32 s16, 0x998ef7b6
	s_mov_b32 s17, 0x3fd99999
	s_wait_alu 0xfffe
	v_fma_f64 v[25:26], v[21:22], v[25:26], s[16:17]
	s_delay_alu instid0(VALU_DEP_1) | instskip(SKIP_2) | instid1(VALU_DEP_3)
	v_fma_f64 v[21:22], v[21:22], v[25:26], s[10:11]
	v_ldexp_f64 v[25:26], v[19:20], 1
	v_add_f64_e64 v[19:20], v[19:20], -v[23:24]
	v_mul_f64_e32 v[21:22], v[27:28], v[21:22]
	v_cvt_f64_i32_e32 v[27:28], v71
	s_delay_alu instid0(VALU_DEP_3) | instskip(NEXT) | instid1(VALU_DEP_3)
	v_add_f64_e64 v[9:10], v[9:10], -v[19:20]
	v_add_f64_e32 v[23:24], v[25:26], v[21:22]
	s_delay_alu instid0(VALU_DEP_3) | instskip(NEXT) | instid1(VALU_DEP_3)
	v_mul_f64_e32 v[29:30], s[6:7], v[27:28]
	v_ldexp_f64 v[9:10], v[9:10], 1
	s_delay_alu instid0(VALU_DEP_3) | instskip(NEXT) | instid1(VALU_DEP_3)
	v_add_f64_e64 v[19:20], v[23:24], -v[25:26]
	v_fma_f64 v[25:26], v[27:28], s[6:7], -v[29:30]
	v_cmp_ngt_f64_e64 s6, -1.0, v[5:6]
	s_delay_alu instid0(VALU_DEP_3) | instskip(NEXT) | instid1(VALU_DEP_3)
	v_add_f64_e64 v[19:20], v[21:22], -v[19:20]
	v_fma_f64 v[21:22], v[27:28], s[8:9], v[25:26]
	s_delay_alu instid0(VALU_DEP_2) | instskip(NEXT) | instid1(VALU_DEP_2)
	v_add_f64_e32 v[9:10], v[9:10], v[19:20]
	v_add_f64_e32 v[19:20], v[29:30], v[21:22]
	s_delay_alu instid0(VALU_DEP_2) | instskip(NEXT) | instid1(VALU_DEP_2)
	v_add_f64_e32 v[25:26], v[23:24], v[9:10]
	v_add_f64_e64 v[29:30], v[19:20], -v[29:30]
	s_delay_alu instid0(VALU_DEP_2) | instskip(SKIP_1) | instid1(VALU_DEP_3)
	v_add_f64_e32 v[27:28], v[19:20], v[25:26]
	v_add_f64_e64 v[23:24], v[25:26], -v[23:24]
	v_add_f64_e64 v[21:22], v[21:22], -v[29:30]
	s_delay_alu instid0(VALU_DEP_3) | instskip(NEXT) | instid1(VALU_DEP_3)
	v_add_f64_e64 v[31:32], v[27:28], -v[19:20]
	v_add_f64_e64 v[9:10], v[9:10], -v[23:24]
	s_delay_alu instid0(VALU_DEP_2) | instskip(SKIP_1) | instid1(VALU_DEP_3)
	v_add_f64_e64 v[33:34], v[27:28], -v[31:32]
	v_add_f64_e64 v[23:24], v[25:26], -v[31:32]
	v_add_f64_e32 v[25:26], v[21:22], v[9:10]
	s_delay_alu instid0(VALU_DEP_3) | instskip(NEXT) | instid1(VALU_DEP_1)
	v_add_f64_e64 v[19:20], v[19:20], -v[33:34]
	v_add_f64_e32 v[19:20], v[23:24], v[19:20]
	s_delay_alu instid0(VALU_DEP_3) | instskip(NEXT) | instid1(VALU_DEP_2)
	v_add_f64_e64 v[23:24], v[25:26], -v[21:22]
	v_add_f64_e32 v[19:20], v[25:26], v[19:20]
	s_delay_alu instid0(VALU_DEP_2) | instskip(SKIP_1) | instid1(VALU_DEP_3)
	v_add_f64_e64 v[25:26], v[25:26], -v[23:24]
	v_add_f64_e64 v[9:10], v[9:10], -v[23:24]
	v_add_f64_e32 v[29:30], v[27:28], v[19:20]
	s_delay_alu instid0(VALU_DEP_3) | instskip(NEXT) | instid1(VALU_DEP_2)
	v_add_f64_e64 v[21:22], v[21:22], -v[25:26]
	v_add_f64_e64 v[23:24], v[29:30], -v[27:28]
	s_delay_alu instid0(VALU_DEP_2) | instskip(NEXT) | instid1(VALU_DEP_2)
	v_add_f64_e32 v[9:10], v[9:10], v[21:22]
	v_add_f64_e64 v[19:20], v[19:20], -v[23:24]
	s_delay_alu instid0(VALU_DEP_1) | instskip(NEXT) | instid1(VALU_DEP_1)
	v_add_f64_e32 v[9:10], v[9:10], v[19:20]
	v_add_f64_e32 v[9:10], v[29:30], v[9:10]
	s_delay_alu instid0(VALU_DEP_1) | instskip(SKIP_1) | instid1(VALU_DEP_3)
	v_cndmask_b32_e32 v9, 0, v9, vcc_lo
	v_cmp_neq_f64_e32 vcc_lo, -1.0, v[5:6]
	v_cndmask_b32_e64 v10, 0x7ff00000, v10, s5
	s_wait_alu 0xf1ff
	s_delay_alu instid0(VALU_DEP_1) | instskip(SKIP_1) | instid1(VALU_DEP_1)
	v_cndmask_b32_e64 v10, 0x7ff80000, v10, s6
	s_wait_alu 0xfffd
	v_cndmask_b32_e32 v10, 0xfff00000, v10, vcc_lo
	s_delay_alu instid0(VALU_DEP_1)
	v_add_f64_e32 v[5:6], v[7:8], v[9:10]
.LBB6_32:
	s_wait_alu 0xfffe
	s_or_b32 exec_lo, exec_lo, s12
	v_max_num_f64_e32 v[19:20], v[53:54], v[53:54]
	s_delay_alu instid0(VALU_DEP_2) | instskip(SKIP_2) | instid1(VALU_DEP_3)
	v_max_num_f64_e32 v[7:8], v[5:6], v[5:6]
	v_cmp_u_f64_e32 vcc_lo, v[5:6], v[5:6]
	v_cmp_u_f64_e64 s5, v[53:54], v[53:54]
	v_min_num_f64_e32 v[9:10], v[7:8], v[19:20]
	v_max_num_f64_e32 v[7:8], v[7:8], v[19:20]
	s_wait_alu 0xfffd
	s_delay_alu instid0(VALU_DEP_2) | instskip(NEXT) | instid1(VALU_DEP_2)
	v_dual_cndmask_b32 v9, v9, v5 :: v_dual_cndmask_b32 v10, v10, v6
	v_dual_cndmask_b32 v8, v8, v6 :: v_dual_cndmask_b32 v7, v7, v5
	s_wait_alu 0xf1ff
	s_delay_alu instid0(VALU_DEP_2) | instskip(NEXT) | instid1(VALU_DEP_3)
	v_cndmask_b32_e64 v9, v9, v53, s5
	v_cndmask_b32_e64 v10, v10, v54, s5
	s_delay_alu instid0(VALU_DEP_3) | instskip(SKIP_1) | instid1(VALU_DEP_3)
	v_cndmask_b32_e64 v8, v8, v54, s5
	v_cndmask_b32_e64 v7, v7, v53, s5
	v_cmp_class_f64_e64 s6, v[9:10], 0x1f8
	s_delay_alu instid0(VALU_DEP_2)
	v_cmp_neq_f64_e32 vcc_lo, v[9:10], v[7:8]
	s_or_b32 s6, vcc_lo, s6
	s_wait_alu 0xfffe
	s_and_saveexec_b32 s12, s6
	s_cbranch_execz .LBB6_34
; %bb.33:
	v_add_f64_e64 v[5:6], v[9:10], -v[7:8]
	s_mov_b32 s6, 0x652b82fe
	s_mov_b32 s7, 0x3ff71547
	;; [unrolled: 1-line block ×10, first 2 shown]
	s_wait_alu 0xfffe
	s_delay_alu instid0(VALU_DEP_1) | instskip(SKIP_3) | instid1(VALU_DEP_2)
	v_mul_f64_e32 v[9:10], s[6:7], v[5:6]
	s_mov_b32 s6, 0xfca7ab0c
	s_mov_b32 s7, 0x3e928af3
	v_cmp_nlt_f64_e32 vcc_lo, 0x40900000, v[5:6]
	v_rndne_f64_e32 v[9:10], v[9:10]
	s_delay_alu instid0(VALU_DEP_1) | instskip(SKIP_2) | instid1(VALU_DEP_2)
	v_fma_f64 v[21:22], v[9:10], s[8:9], v[5:6]
	v_cvt_i32_f64_e32 v25, v[9:10]
	s_mov_b32 s9, 0x3fe62e42
	v_fma_f64 v[21:22], v[9:10], s[10:11], v[21:22]
	s_mov_b32 s11, 0x3c7abc9e
	s_wait_alu 0xfffe
	s_delay_alu instid0(VALU_DEP_1)
	v_fma_f64 v[23:24], v[21:22], s[16:17], s[6:7]
	s_mov_b32 s6, 0x623fde64
	s_mov_b32 s7, 0x3ec71dee
	;; [unrolled: 1-line block ×4, first 2 shown]
	s_wait_alu 0xfffe
	s_delay_alu instid0(VALU_DEP_1) | instskip(SKIP_3) | instid1(VALU_DEP_1)
	v_fma_f64 v[23:24], v[21:22], v[23:24], s[6:7]
	s_mov_b32 s6, 0x7c89e6b0
	s_mov_b32 s7, 0x3efa0199
	s_wait_alu 0xfffe
	v_fma_f64 v[23:24], v[21:22], v[23:24], s[6:7]
	s_mov_b32 s6, 0x14761f6e
	s_mov_b32 s7, 0x3f2a01a0
	s_wait_alu 0xfffe
	s_delay_alu instid0(VALU_DEP_1) | instskip(SKIP_3) | instid1(VALU_DEP_1)
	v_fma_f64 v[23:24], v[21:22], v[23:24], s[6:7]
	s_mov_b32 s6, 0x1852b7b0
	s_mov_b32 s7, 0x3f56c16c
	s_wait_alu 0xfffe
	v_fma_f64 v[23:24], v[21:22], v[23:24], s[6:7]
	s_mov_b32 s6, 0x11122322
	s_mov_b32 s7, 0x3f811111
	;; [unrolled: 9-line block ×3, first 2 shown]
	s_wait_alu 0xfffe
	s_delay_alu instid0(VALU_DEP_1) | instskip(SKIP_3) | instid1(VALU_DEP_1)
	v_fma_f64 v[23:24], v[21:22], v[23:24], s[6:7]
	s_mov_b32 s6, 11
	s_mov_b32 s7, 0x3fe00000
	s_wait_alu 0xfffe
	v_fma_f64 v[23:24], v[21:22], v[23:24], s[6:7]
	v_cmp_ngt_f64_e64 s6, 0xc090cc00, v[5:6]
	s_mov_b32 s7, 0x3fe55555
	v_fma_f64 v[23:24], v[21:22], v[23:24], 1.0
	s_delay_alu instid0(VALU_DEP_1) | instskip(NEXT) | instid1(VALU_DEP_1)
	v_fma_f64 v[9:10], v[21:22], v[23:24], 1.0
	v_ldexp_f64 v[9:10], v[9:10], v25
	s_wait_alu 0xfffd
	s_delay_alu instid0(VALU_DEP_1) | instskip(SKIP_2) | instid1(VALU_DEP_2)
	v_cndmask_b32_e32 v10, 0x7ff00000, v10, vcc_lo
	s_and_b32 vcc_lo, s6, vcc_lo
	s_wait_alu 0xfffe
	v_cndmask_b32_e32 v5, 0, v9, vcc_lo
	s_delay_alu instid0(VALU_DEP_2) | instskip(SKIP_1) | instid1(VALU_DEP_1)
	v_cndmask_b32_e64 v6, 0, v10, s6
	s_mov_b32 s6, 0x55555555
	v_add_f64_e32 v[9:10], 1.0, v[5:6]
	s_delay_alu instid0(VALU_DEP_1) | instskip(SKIP_3) | instid1(VALU_DEP_3)
	v_frexp_mant_f64_e32 v[21:22], v[9:10]
	v_frexp_exp_i32_f64_e32 v25, v[9:10]
	v_add_f64_e32 v[23:24], -1.0, v[9:10]
	s_wait_alu 0xfffe
	v_cmp_gt_f64_e32 vcc_lo, s[6:7], v[21:22]
	s_mov_b32 s6, 0x55555780
	s_delay_alu instid0(VALU_DEP_2) | instskip(SKIP_3) | instid1(VALU_DEP_3)
	v_add_f64_e64 v[21:22], v[23:24], -v[9:10]
	v_add_f64_e64 v[23:24], v[5:6], -v[23:24]
	s_wait_alu 0xfffd
	v_subrev_co_ci_u32_e64 v73, null, 0, v25, vcc_lo
	v_add_f64_e32 v[21:22], 1.0, v[21:22]
	v_cmp_nge_f64_e32 vcc_lo, -1.0, v[5:6]
	s_delay_alu instid0(VALU_DEP_3) | instskip(NEXT) | instid1(VALU_DEP_1)
	v_sub_nc_u32_e32 v27, 0, v73
	v_ldexp_f64 v[9:10], v[9:10], v27
	s_delay_alu instid0(VALU_DEP_4) | instskip(NEXT) | instid1(VALU_DEP_2)
	v_add_f64_e32 v[21:22], v[23:24], v[21:22]
	v_add_f64_e32 v[25:26], 1.0, v[9:10]
	v_add_f64_e32 v[31:32], -1.0, v[9:10]
	s_delay_alu instid0(VALU_DEP_3) | instskip(NEXT) | instid1(VALU_DEP_3)
	v_ldexp_f64 v[21:22], v[21:22], v27
	v_add_f64_e32 v[23:24], -1.0, v[25:26]
	s_delay_alu instid0(VALU_DEP_3) | instskip(NEXT) | instid1(VALU_DEP_2)
	v_add_f64_e32 v[33:34], 1.0, v[31:32]
	v_add_f64_e64 v[23:24], v[9:10], -v[23:24]
	s_delay_alu instid0(VALU_DEP_2) | instskip(NEXT) | instid1(VALU_DEP_2)
	v_add_f64_e64 v[9:10], v[9:10], -v[33:34]
	v_add_f64_e32 v[23:24], v[21:22], v[23:24]
	s_delay_alu instid0(VALU_DEP_2) | instskip(NEXT) | instid1(VALU_DEP_2)
	v_add_f64_e32 v[9:10], v[21:22], v[9:10]
	v_add_f64_e32 v[27:28], v[25:26], v[23:24]
	s_delay_alu instid0(VALU_DEP_2) | instskip(NEXT) | instid1(VALU_DEP_2)
	v_add_f64_e32 v[33:34], v[31:32], v[9:10]
	v_rcp_f64_e32 v[29:30], v[27:28]
	v_add_f64_e64 v[25:26], v[27:28], -v[25:26]
	s_delay_alu instid0(VALU_DEP_2) | instskip(NEXT) | instid1(VALU_DEP_2)
	v_add_f64_e64 v[31:32], v[33:34], -v[31:32]
	v_add_f64_e64 v[23:24], v[23:24], -v[25:26]
	s_delay_alu instid0(TRANS32_DEP_1) | instskip(NEXT) | instid1(VALU_DEP_3)
	v_fma_f64 v[35:36], -v[27:28], v[29:30], 1.0
	v_add_f64_e64 v[9:10], v[9:10], -v[31:32]
	s_delay_alu instid0(VALU_DEP_2) | instskip(NEXT) | instid1(VALU_DEP_1)
	v_fma_f64 v[29:30], v[35:36], v[29:30], v[29:30]
	v_fma_f64 v[21:22], -v[27:28], v[29:30], 1.0
	s_delay_alu instid0(VALU_DEP_1) | instskip(NEXT) | instid1(VALU_DEP_1)
	v_fma_f64 v[21:22], v[21:22], v[29:30], v[29:30]
	v_mul_f64_e32 v[29:30], v[33:34], v[21:22]
	s_delay_alu instid0(VALU_DEP_1) | instskip(NEXT) | instid1(VALU_DEP_1)
	v_mul_f64_e32 v[35:36], v[27:28], v[29:30]
	v_fma_f64 v[25:26], v[29:30], v[27:28], -v[35:36]
	s_delay_alu instid0(VALU_DEP_1) | instskip(NEXT) | instid1(VALU_DEP_1)
	v_fma_f64 v[25:26], v[29:30], v[23:24], v[25:26]
	v_add_f64_e32 v[67:68], v[35:36], v[25:26]
	s_delay_alu instid0(VALU_DEP_1) | instskip(SKIP_1) | instid1(VALU_DEP_2)
	v_add_f64_e64 v[71:72], v[33:34], -v[67:68]
	v_add_f64_e64 v[31:32], v[67:68], -v[35:36]
	;; [unrolled: 1-line block ×3, first 2 shown]
	s_delay_alu instid0(VALU_DEP_2) | instskip(NEXT) | instid1(VALU_DEP_2)
	v_add_f64_e64 v[25:26], v[31:32], -v[25:26]
	v_add_f64_e64 v[33:34], v[33:34], -v[67:68]
	s_delay_alu instid0(VALU_DEP_1) | instskip(NEXT) | instid1(VALU_DEP_1)
	v_add_f64_e32 v[9:10], v[9:10], v[33:34]
	v_add_f64_e32 v[9:10], v[25:26], v[9:10]
	s_delay_alu instid0(VALU_DEP_1) | instskip(NEXT) | instid1(VALU_DEP_1)
	v_add_f64_e32 v[25:26], v[71:72], v[9:10]
	v_mul_f64_e32 v[31:32], v[21:22], v[25:26]
	v_add_f64_e64 v[67:68], v[71:72], -v[25:26]
	s_delay_alu instid0(VALU_DEP_2) | instskip(NEXT) | instid1(VALU_DEP_2)
	v_mul_f64_e32 v[33:34], v[27:28], v[31:32]
	v_add_f64_e32 v[9:10], v[9:10], v[67:68]
	s_delay_alu instid0(VALU_DEP_2) | instskip(NEXT) | instid1(VALU_DEP_1)
	v_fma_f64 v[27:28], v[31:32], v[27:28], -v[33:34]
	v_fma_f64 v[23:24], v[31:32], v[23:24], v[27:28]
	s_delay_alu instid0(VALU_DEP_1) | instskip(NEXT) | instid1(VALU_DEP_1)
	v_add_f64_e32 v[27:28], v[33:34], v[23:24]
	v_add_f64_e64 v[35:36], v[25:26], -v[27:28]
	v_add_f64_e64 v[33:34], v[27:28], -v[33:34]
	s_delay_alu instid0(VALU_DEP_2) | instskip(NEXT) | instid1(VALU_DEP_2)
	v_add_f64_e64 v[25:26], v[25:26], -v[35:36]
	v_add_f64_e64 v[23:24], v[33:34], -v[23:24]
	s_delay_alu instid0(VALU_DEP_2) | instskip(NEXT) | instid1(VALU_DEP_1)
	v_add_f64_e64 v[25:26], v[25:26], -v[27:28]
	v_add_f64_e32 v[9:10], v[9:10], v[25:26]
	v_add_f64_e32 v[25:26], v[29:30], v[31:32]
	s_delay_alu instid0(VALU_DEP_2) | instskip(NEXT) | instid1(VALU_DEP_2)
	v_add_f64_e32 v[9:10], v[23:24], v[9:10]
	v_add_f64_e64 v[23:24], v[25:26], -v[29:30]
	s_delay_alu instid0(VALU_DEP_2) | instskip(NEXT) | instid1(VALU_DEP_2)
	v_add_f64_e32 v[9:10], v[35:36], v[9:10]
	v_add_f64_e64 v[23:24], v[31:32], -v[23:24]
	s_delay_alu instid0(VALU_DEP_2) | instskip(NEXT) | instid1(VALU_DEP_1)
	v_mul_f64_e32 v[9:10], v[21:22], v[9:10]
	v_add_f64_e32 v[9:10], v[23:24], v[9:10]
	s_delay_alu instid0(VALU_DEP_1) | instskip(NEXT) | instid1(VALU_DEP_1)
	v_add_f64_e32 v[21:22], v[25:26], v[9:10]
	v_mul_f64_e32 v[23:24], v[21:22], v[21:22]
	s_delay_alu instid0(VALU_DEP_1) | instskip(SKIP_4) | instid1(VALU_DEP_2)
	v_fma_f64 v[27:28], v[23:24], s[18:19], s[16:17]
	s_mov_b32 s16, 0xd7f4df2e
	s_mov_b32 s17, 0x3fc7474d
	v_mul_f64_e32 v[29:30], v[21:22], v[23:24]
	s_wait_alu 0xfffe
	v_fma_f64 v[27:28], v[23:24], v[27:28], s[16:17]
	s_mov_b32 s16, 0x16291751
	s_mov_b32 s17, 0x3fcc71c0
	s_wait_alu 0xfffe
	s_delay_alu instid0(VALU_DEP_1) | instskip(SKIP_3) | instid1(VALU_DEP_1)
	v_fma_f64 v[27:28], v[23:24], v[27:28], s[16:17]
	s_mov_b32 s16, 0x9b27acf1
	s_mov_b32 s17, 0x3fd24924
	s_wait_alu 0xfffe
	v_fma_f64 v[27:28], v[23:24], v[27:28], s[16:17]
	s_mov_b32 s16, 0x998ef7b6
	s_mov_b32 s17, 0x3fd99999
	s_wait_alu 0xfffe
	s_delay_alu instid0(VALU_DEP_1) | instskip(NEXT) | instid1(VALU_DEP_1)
	v_fma_f64 v[27:28], v[23:24], v[27:28], s[16:17]
	v_fma_f64 v[23:24], v[23:24], v[27:28], s[6:7]
	v_ldexp_f64 v[27:28], v[21:22], 1
	v_add_f64_e64 v[21:22], v[21:22], -v[25:26]
	v_cmp_neq_f64_e64 s6, 0x7ff00000, v[5:6]
	v_cmp_ngt_f64_e64 s7, -1.0, v[5:6]
	v_mul_f64_e32 v[23:24], v[29:30], v[23:24]
	v_cvt_f64_i32_e32 v[29:30], v73
	v_add_f64_e64 v[9:10], v[9:10], -v[21:22]
	s_and_b32 vcc_lo, vcc_lo, s6
	s_delay_alu instid0(VALU_DEP_3) | instskip(NEXT) | instid1(VALU_DEP_3)
	v_add_f64_e32 v[25:26], v[27:28], v[23:24]
	v_mul_f64_e32 v[31:32], s[8:9], v[29:30]
	s_delay_alu instid0(VALU_DEP_3) | instskip(NEXT) | instid1(VALU_DEP_3)
	v_ldexp_f64 v[9:10], v[9:10], 1
	v_add_f64_e64 v[21:22], v[25:26], -v[27:28]
	s_delay_alu instid0(VALU_DEP_3) | instskip(NEXT) | instid1(VALU_DEP_2)
	v_fma_f64 v[27:28], v[29:30], s[8:9], -v[31:32]
	v_add_f64_e64 v[21:22], v[23:24], -v[21:22]
	s_delay_alu instid0(VALU_DEP_2) | instskip(NEXT) | instid1(VALU_DEP_2)
	v_fma_f64 v[23:24], v[29:30], s[10:11], v[27:28]
	v_add_f64_e32 v[9:10], v[9:10], v[21:22]
	s_delay_alu instid0(VALU_DEP_2) | instskip(NEXT) | instid1(VALU_DEP_2)
	v_add_f64_e32 v[21:22], v[31:32], v[23:24]
	v_add_f64_e32 v[27:28], v[25:26], v[9:10]
	s_delay_alu instid0(VALU_DEP_2) | instskip(NEXT) | instid1(VALU_DEP_2)
	v_add_f64_e64 v[31:32], v[21:22], -v[31:32]
	v_add_f64_e32 v[29:30], v[21:22], v[27:28]
	v_add_f64_e64 v[25:26], v[27:28], -v[25:26]
	s_delay_alu instid0(VALU_DEP_3) | instskip(NEXT) | instid1(VALU_DEP_3)
	v_add_f64_e64 v[23:24], v[23:24], -v[31:32]
	v_add_f64_e64 v[33:34], v[29:30], -v[21:22]
	s_delay_alu instid0(VALU_DEP_3) | instskip(NEXT) | instid1(VALU_DEP_2)
	v_add_f64_e64 v[9:10], v[9:10], -v[25:26]
	v_add_f64_e64 v[35:36], v[29:30], -v[33:34]
	;; [unrolled: 1-line block ×3, first 2 shown]
	s_delay_alu instid0(VALU_DEP_3) | instskip(NEXT) | instid1(VALU_DEP_3)
	v_add_f64_e32 v[27:28], v[23:24], v[9:10]
	v_add_f64_e64 v[21:22], v[21:22], -v[35:36]
	s_delay_alu instid0(VALU_DEP_1) | instskip(NEXT) | instid1(VALU_DEP_3)
	v_add_f64_e32 v[21:22], v[25:26], v[21:22]
	v_add_f64_e64 v[25:26], v[27:28], -v[23:24]
	s_delay_alu instid0(VALU_DEP_2) | instskip(NEXT) | instid1(VALU_DEP_2)
	v_add_f64_e32 v[21:22], v[27:28], v[21:22]
	v_add_f64_e64 v[27:28], v[27:28], -v[25:26]
	v_add_f64_e64 v[9:10], v[9:10], -v[25:26]
	s_delay_alu instid0(VALU_DEP_3) | instskip(NEXT) | instid1(VALU_DEP_3)
	v_add_f64_e32 v[31:32], v[29:30], v[21:22]
	v_add_f64_e64 v[23:24], v[23:24], -v[27:28]
	s_delay_alu instid0(VALU_DEP_2) | instskip(NEXT) | instid1(VALU_DEP_2)
	v_add_f64_e64 v[25:26], v[31:32], -v[29:30]
	v_add_f64_e32 v[9:10], v[9:10], v[23:24]
	s_delay_alu instid0(VALU_DEP_2) | instskip(NEXT) | instid1(VALU_DEP_1)
	v_add_f64_e64 v[21:22], v[21:22], -v[25:26]
	v_add_f64_e32 v[9:10], v[9:10], v[21:22]
	s_delay_alu instid0(VALU_DEP_1) | instskip(SKIP_1) | instid1(VALU_DEP_1)
	v_add_f64_e32 v[9:10], v[31:32], v[9:10]
	s_wait_alu 0xfffe
	v_cndmask_b32_e32 v9, 0, v9, vcc_lo
	v_cmp_neq_f64_e32 vcc_lo, -1.0, v[5:6]
	s_delay_alu instid0(VALU_DEP_3) | instskip(NEXT) | instid1(VALU_DEP_1)
	v_cndmask_b32_e64 v10, 0x7ff00000, v10, s6
	v_cndmask_b32_e64 v10, 0x7ff80000, v10, s7
	s_wait_alu 0xfffd
	s_delay_alu instid0(VALU_DEP_1) | instskip(NEXT) | instid1(VALU_DEP_1)
	v_cndmask_b32_e32 v10, 0xfff00000, v10, vcc_lo
	v_add_f64_e32 v[5:6], v[7:8], v[9:10]
.LBB6_34:
	s_wait_alu 0xfffe
	s_or_b32 exec_lo, exec_lo, s12
	v_max_num_f64_e32 v[21:22], v[55:56], v[55:56]
	s_delay_alu instid0(VALU_DEP_2) | instskip(SKIP_2) | instid1(VALU_DEP_3)
	v_max_num_f64_e32 v[7:8], v[5:6], v[5:6]
	v_cmp_u_f64_e32 vcc_lo, v[5:6], v[5:6]
	v_cmp_u_f64_e64 s6, v[55:56], v[55:56]
	v_min_num_f64_e32 v[9:10], v[7:8], v[21:22]
	v_max_num_f64_e32 v[7:8], v[7:8], v[21:22]
	s_wait_alu 0xfffd
	s_delay_alu instid0(VALU_DEP_2) | instskip(NEXT) | instid1(VALU_DEP_2)
	v_dual_cndmask_b32 v9, v9, v5 :: v_dual_cndmask_b32 v10, v10, v6
	v_dual_cndmask_b32 v8, v8, v6 :: v_dual_cndmask_b32 v7, v7, v5
	s_wait_alu 0xf1ff
	s_delay_alu instid0(VALU_DEP_2) | instskip(NEXT) | instid1(VALU_DEP_3)
	v_cndmask_b32_e64 v9, v9, v55, s6
	v_cndmask_b32_e64 v10, v10, v56, s6
	s_delay_alu instid0(VALU_DEP_3) | instskip(SKIP_1) | instid1(VALU_DEP_3)
	v_cndmask_b32_e64 v8, v8, v56, s6
	v_cndmask_b32_e64 v7, v7, v55, s6
	v_cmp_class_f64_e64 s7, v[9:10], 0x1f8
	s_delay_alu instid0(VALU_DEP_2)
	v_cmp_neq_f64_e32 vcc_lo, v[9:10], v[7:8]
	s_or_b32 s7, vcc_lo, s7
	s_wait_alu 0xfffe
	s_and_saveexec_b32 s14, s7
	s_cbranch_execz .LBB6_36
; %bb.35:
	v_add_f64_e64 v[5:6], v[9:10], -v[7:8]
	s_mov_b32 s8, 0x652b82fe
	s_mov_b32 s9, 0x3ff71547
	;; [unrolled: 1-line block ×10, first 2 shown]
	s_wait_alu 0xfffe
	s_delay_alu instid0(VALU_DEP_1) | instskip(SKIP_4) | instid1(VALU_DEP_3)
	v_mul_f64_e32 v[9:10], s[8:9], v[5:6]
	s_mov_b32 s9, 0xbfe62e42
	s_mov_b32 s8, 0xfefa39ef
	v_cmp_nlt_f64_e32 vcc_lo, 0x40900000, v[5:6]
	v_cmp_ngt_f64_e64 s7, 0xc090cc00, v[5:6]
	v_rndne_f64_e32 v[9:10], v[9:10]
	s_wait_alu 0xfffe
	s_delay_alu instid0(VALU_DEP_1) | instskip(SKIP_2) | instid1(VALU_DEP_2)
	v_fma_f64 v[23:24], v[9:10], s[8:9], v[5:6]
	v_cvt_i32_f64_e32 v27, v[9:10]
	s_mov_b32 s9, 0x3fe62e42
	v_fma_f64 v[23:24], v[9:10], s[10:11], v[23:24]
	s_mov_b32 s11, 0x3c7abc9e
	s_delay_alu instid0(VALU_DEP_1)
	v_fma_f64 v[25:26], v[23:24], s[16:17], s[12:13]
	s_mov_b32 s12, 0x623fde64
	s_mov_b32 s13, 0x3ec71dee
	;; [unrolled: 1-line block ×4, first 2 shown]
	s_wait_alu 0xfffe
	s_delay_alu instid0(VALU_DEP_1) | instskip(SKIP_3) | instid1(VALU_DEP_1)
	v_fma_f64 v[25:26], v[23:24], v[25:26], s[12:13]
	s_mov_b32 s12, 0x7c89e6b0
	s_mov_b32 s13, 0x3efa0199
	s_wait_alu 0xfffe
	v_fma_f64 v[25:26], v[23:24], v[25:26], s[12:13]
	s_mov_b32 s12, 0x14761f6e
	s_mov_b32 s13, 0x3f2a01a0
	s_wait_alu 0xfffe
	s_delay_alu instid0(VALU_DEP_1) | instskip(SKIP_3) | instid1(VALU_DEP_1)
	v_fma_f64 v[25:26], v[23:24], v[25:26], s[12:13]
	s_mov_b32 s12, 0x1852b7b0
	s_mov_b32 s13, 0x3f56c16c
	s_wait_alu 0xfffe
	v_fma_f64 v[25:26], v[23:24], v[25:26], s[12:13]
	s_mov_b32 s12, 0x11122322
	s_mov_b32 s13, 0x3f811111
	;; [unrolled: 9-line block ×4, first 2 shown]
	s_delay_alu instid0(VALU_DEP_1) | instskip(NEXT) | instid1(VALU_DEP_1)
	v_fma_f64 v[25:26], v[23:24], v[25:26], 1.0
	v_fma_f64 v[9:10], v[23:24], v[25:26], 1.0
	s_delay_alu instid0(VALU_DEP_1) | instskip(SKIP_1) | instid1(VALU_DEP_1)
	v_ldexp_f64 v[9:10], v[9:10], v27
	s_wait_alu 0xfffd
	v_cndmask_b32_e32 v10, 0x7ff00000, v10, vcc_lo
	s_and_b32 vcc_lo, s7, vcc_lo
	s_wait_alu 0xfffe
	s_delay_alu instid0(VALU_DEP_2) | instskip(NEXT) | instid1(VALU_DEP_2)
	v_cndmask_b32_e32 v5, 0, v9, vcc_lo
	v_cndmask_b32_e64 v6, 0, v10, s7
	s_delay_alu instid0(VALU_DEP_1) | instskip(SKIP_1) | instid1(VALU_DEP_2)
	v_add_f64_e32 v[9:10], 1.0, v[5:6]
	v_cmp_neq_f64_e64 s7, 0x7ff00000, v[5:6]
	v_frexp_mant_f64_e32 v[23:24], v[9:10]
	v_frexp_exp_i32_f64_e32 v27, v[9:10]
	v_add_f64_e32 v[25:26], -1.0, v[9:10]
	s_delay_alu instid0(VALU_DEP_3) | instskip(SKIP_1) | instid1(VALU_DEP_2)
	v_cmp_gt_f64_e32 vcc_lo, s[12:13], v[23:24]
	s_mov_b32 s12, 0x55555780
	v_add_f64_e64 v[23:24], v[25:26], -v[9:10]
	v_add_f64_e64 v[25:26], v[5:6], -v[25:26]
	s_wait_alu 0xfffd
	v_subrev_co_ci_u32_e64 v75, null, 0, v27, vcc_lo
	s_delay_alu instid0(VALU_DEP_3) | instskip(SKIP_1) | instid1(VALU_DEP_3)
	v_add_f64_e32 v[23:24], 1.0, v[23:24]
	v_cmp_nge_f64_e32 vcc_lo, -1.0, v[5:6]
	v_sub_nc_u32_e32 v29, 0, v75
	s_delay_alu instid0(VALU_DEP_1) | instskip(NEXT) | instid1(VALU_DEP_4)
	v_ldexp_f64 v[9:10], v[9:10], v29
	v_add_f64_e32 v[23:24], v[25:26], v[23:24]
	s_and_b32 vcc_lo, vcc_lo, s7
	s_delay_alu instid0(VALU_DEP_2) | instskip(SKIP_1) | instid1(VALU_DEP_3)
	v_add_f64_e32 v[27:28], 1.0, v[9:10]
	v_add_f64_e32 v[33:34], -1.0, v[9:10]
	v_ldexp_f64 v[23:24], v[23:24], v29
	s_delay_alu instid0(VALU_DEP_3) | instskip(NEXT) | instid1(VALU_DEP_3)
	v_add_f64_e32 v[25:26], -1.0, v[27:28]
	v_add_f64_e32 v[35:36], 1.0, v[33:34]
	s_delay_alu instid0(VALU_DEP_2) | instskip(NEXT) | instid1(VALU_DEP_2)
	v_add_f64_e64 v[25:26], v[9:10], -v[25:26]
	v_add_f64_e64 v[9:10], v[9:10], -v[35:36]
	s_delay_alu instid0(VALU_DEP_2) | instskip(NEXT) | instid1(VALU_DEP_2)
	v_add_f64_e32 v[25:26], v[23:24], v[25:26]
	v_add_f64_e32 v[9:10], v[23:24], v[9:10]
	s_delay_alu instid0(VALU_DEP_2) | instskip(NEXT) | instid1(VALU_DEP_2)
	v_add_f64_e32 v[29:30], v[27:28], v[25:26]
	v_add_f64_e32 v[35:36], v[33:34], v[9:10]
	s_delay_alu instid0(VALU_DEP_2) | instskip(SKIP_1) | instid1(VALU_DEP_2)
	v_rcp_f64_e32 v[31:32], v[29:30]
	v_add_f64_e64 v[27:28], v[29:30], -v[27:28]
	v_add_f64_e64 v[33:34], v[35:36], -v[33:34]
	s_delay_alu instid0(VALU_DEP_2) | instskip(NEXT) | instid1(TRANS32_DEP_1)
	v_add_f64_e64 v[25:26], v[25:26], -v[27:28]
	v_fma_f64 v[67:68], -v[29:30], v[31:32], 1.0
	s_delay_alu instid0(VALU_DEP_3) | instskip(NEXT) | instid1(VALU_DEP_2)
	v_add_f64_e64 v[9:10], v[9:10], -v[33:34]
	v_fma_f64 v[31:32], v[67:68], v[31:32], v[31:32]
	s_delay_alu instid0(VALU_DEP_1) | instskip(NEXT) | instid1(VALU_DEP_1)
	v_fma_f64 v[23:24], -v[29:30], v[31:32], 1.0
	v_fma_f64 v[23:24], v[23:24], v[31:32], v[31:32]
	s_delay_alu instid0(VALU_DEP_1) | instskip(NEXT) | instid1(VALU_DEP_1)
	v_mul_f64_e32 v[31:32], v[35:36], v[23:24]
	v_mul_f64_e32 v[67:68], v[29:30], v[31:32]
	s_delay_alu instid0(VALU_DEP_1) | instskip(NEXT) | instid1(VALU_DEP_1)
	v_fma_f64 v[27:28], v[31:32], v[29:30], -v[67:68]
	v_fma_f64 v[27:28], v[31:32], v[25:26], v[27:28]
	s_delay_alu instid0(VALU_DEP_1) | instskip(NEXT) | instid1(VALU_DEP_1)
	v_add_f64_e32 v[71:72], v[67:68], v[27:28]
	v_add_f64_e64 v[73:74], v[35:36], -v[71:72]
	v_add_f64_e64 v[33:34], v[71:72], -v[67:68]
	s_delay_alu instid0(VALU_DEP_2) | instskip(NEXT) | instid1(VALU_DEP_2)
	v_add_f64_e64 v[35:36], v[35:36], -v[73:74]
	v_add_f64_e64 v[27:28], v[33:34], -v[27:28]
	s_delay_alu instid0(VALU_DEP_2) | instskip(NEXT) | instid1(VALU_DEP_1)
	v_add_f64_e64 v[35:36], v[35:36], -v[71:72]
	v_add_f64_e32 v[9:10], v[9:10], v[35:36]
	s_delay_alu instid0(VALU_DEP_1) | instskip(NEXT) | instid1(VALU_DEP_1)
	v_add_f64_e32 v[9:10], v[27:28], v[9:10]
	v_add_f64_e32 v[27:28], v[73:74], v[9:10]
	s_delay_alu instid0(VALU_DEP_1) | instskip(SKIP_1) | instid1(VALU_DEP_2)
	v_mul_f64_e32 v[33:34], v[23:24], v[27:28]
	v_add_f64_e64 v[71:72], v[73:74], -v[27:28]
	v_mul_f64_e32 v[35:36], v[29:30], v[33:34]
	s_delay_alu instid0(VALU_DEP_2) | instskip(NEXT) | instid1(VALU_DEP_2)
	v_add_f64_e32 v[9:10], v[9:10], v[71:72]
	v_fma_f64 v[29:30], v[33:34], v[29:30], -v[35:36]
	s_delay_alu instid0(VALU_DEP_1) | instskip(NEXT) | instid1(VALU_DEP_1)
	v_fma_f64 v[25:26], v[33:34], v[25:26], v[29:30]
	v_add_f64_e32 v[29:30], v[35:36], v[25:26]
	s_delay_alu instid0(VALU_DEP_1) | instskip(SKIP_1) | instid1(VALU_DEP_2)
	v_add_f64_e64 v[67:68], v[27:28], -v[29:30]
	v_add_f64_e64 v[35:36], v[29:30], -v[35:36]
	v_add_f64_e64 v[27:28], v[27:28], -v[67:68]
	s_delay_alu instid0(VALU_DEP_2) | instskip(NEXT) | instid1(VALU_DEP_2)
	v_add_f64_e64 v[25:26], v[35:36], -v[25:26]
	v_add_f64_e64 v[27:28], v[27:28], -v[29:30]
	s_delay_alu instid0(VALU_DEP_1) | instskip(SKIP_1) | instid1(VALU_DEP_2)
	v_add_f64_e32 v[9:10], v[9:10], v[27:28]
	v_add_f64_e32 v[27:28], v[31:32], v[33:34]
	;; [unrolled: 1-line block ×3, first 2 shown]
	s_delay_alu instid0(VALU_DEP_2) | instskip(NEXT) | instid1(VALU_DEP_2)
	v_add_f64_e64 v[25:26], v[27:28], -v[31:32]
	v_add_f64_e32 v[9:10], v[67:68], v[9:10]
	s_delay_alu instid0(VALU_DEP_2) | instskip(NEXT) | instid1(VALU_DEP_2)
	v_add_f64_e64 v[25:26], v[33:34], -v[25:26]
	v_mul_f64_e32 v[9:10], v[23:24], v[9:10]
	s_delay_alu instid0(VALU_DEP_1) | instskip(NEXT) | instid1(VALU_DEP_1)
	v_add_f64_e32 v[9:10], v[25:26], v[9:10]
	v_add_f64_e32 v[23:24], v[27:28], v[9:10]
	s_delay_alu instid0(VALU_DEP_1) | instskip(NEXT) | instid1(VALU_DEP_1)
	v_mul_f64_e32 v[25:26], v[23:24], v[23:24]
	v_fma_f64 v[29:30], v[25:26], s[18:19], s[16:17]
	s_mov_b32 s16, 0xd7f4df2e
	s_mov_b32 s17, 0x3fc7474d
	v_mul_f64_e32 v[31:32], v[23:24], v[25:26]
	s_wait_alu 0xfffe
	s_delay_alu instid0(VALU_DEP_2) | instskip(SKIP_3) | instid1(VALU_DEP_1)
	v_fma_f64 v[29:30], v[25:26], v[29:30], s[16:17]
	s_mov_b32 s16, 0x16291751
	s_mov_b32 s17, 0x3fcc71c0
	s_wait_alu 0xfffe
	v_fma_f64 v[29:30], v[25:26], v[29:30], s[16:17]
	s_mov_b32 s16, 0x9b27acf1
	s_mov_b32 s17, 0x3fd24924
	s_wait_alu 0xfffe
	s_delay_alu instid0(VALU_DEP_1) | instskip(SKIP_3) | instid1(VALU_DEP_1)
	v_fma_f64 v[29:30], v[25:26], v[29:30], s[16:17]
	s_mov_b32 s16, 0x998ef7b6
	s_mov_b32 s17, 0x3fd99999
	s_wait_alu 0xfffe
	v_fma_f64 v[29:30], v[25:26], v[29:30], s[16:17]
	s_delay_alu instid0(VALU_DEP_1) | instskip(SKIP_2) | instid1(VALU_DEP_3)
	v_fma_f64 v[25:26], v[25:26], v[29:30], s[12:13]
	v_ldexp_f64 v[29:30], v[23:24], 1
	v_add_f64_e64 v[23:24], v[23:24], -v[27:28]
	v_mul_f64_e32 v[25:26], v[31:32], v[25:26]
	v_cvt_f64_i32_e32 v[31:32], v75
	s_delay_alu instid0(VALU_DEP_3) | instskip(NEXT) | instid1(VALU_DEP_3)
	v_add_f64_e64 v[9:10], v[9:10], -v[23:24]
	v_add_f64_e32 v[27:28], v[29:30], v[25:26]
	s_delay_alu instid0(VALU_DEP_3) | instskip(NEXT) | instid1(VALU_DEP_3)
	v_mul_f64_e32 v[33:34], s[8:9], v[31:32]
	v_ldexp_f64 v[9:10], v[9:10], 1
	s_delay_alu instid0(VALU_DEP_3) | instskip(NEXT) | instid1(VALU_DEP_3)
	v_add_f64_e64 v[23:24], v[27:28], -v[29:30]
	v_fma_f64 v[29:30], v[31:32], s[8:9], -v[33:34]
	v_cmp_ngt_f64_e64 s8, -1.0, v[5:6]
	s_delay_alu instid0(VALU_DEP_3) | instskip(NEXT) | instid1(VALU_DEP_3)
	v_add_f64_e64 v[23:24], v[25:26], -v[23:24]
	v_fma_f64 v[25:26], v[31:32], s[10:11], v[29:30]
	s_delay_alu instid0(VALU_DEP_2) | instskip(NEXT) | instid1(VALU_DEP_2)
	v_add_f64_e32 v[9:10], v[9:10], v[23:24]
	v_add_f64_e32 v[23:24], v[33:34], v[25:26]
	s_delay_alu instid0(VALU_DEP_2) | instskip(NEXT) | instid1(VALU_DEP_2)
	v_add_f64_e32 v[29:30], v[27:28], v[9:10]
	v_add_f64_e64 v[33:34], v[23:24], -v[33:34]
	s_delay_alu instid0(VALU_DEP_2) | instskip(SKIP_1) | instid1(VALU_DEP_3)
	v_add_f64_e32 v[31:32], v[23:24], v[29:30]
	v_add_f64_e64 v[27:28], v[29:30], -v[27:28]
	v_add_f64_e64 v[25:26], v[25:26], -v[33:34]
	s_delay_alu instid0(VALU_DEP_3) | instskip(NEXT) | instid1(VALU_DEP_3)
	v_add_f64_e64 v[35:36], v[31:32], -v[23:24]
	v_add_f64_e64 v[9:10], v[9:10], -v[27:28]
	s_delay_alu instid0(VALU_DEP_2) | instskip(SKIP_1) | instid1(VALU_DEP_3)
	v_add_f64_e64 v[67:68], v[31:32], -v[35:36]
	v_add_f64_e64 v[27:28], v[29:30], -v[35:36]
	v_add_f64_e32 v[29:30], v[25:26], v[9:10]
	s_delay_alu instid0(VALU_DEP_3) | instskip(NEXT) | instid1(VALU_DEP_1)
	v_add_f64_e64 v[23:24], v[23:24], -v[67:68]
	v_add_f64_e32 v[23:24], v[27:28], v[23:24]
	s_delay_alu instid0(VALU_DEP_3) | instskip(NEXT) | instid1(VALU_DEP_2)
	v_add_f64_e64 v[27:28], v[29:30], -v[25:26]
	v_add_f64_e32 v[23:24], v[29:30], v[23:24]
	s_delay_alu instid0(VALU_DEP_2) | instskip(SKIP_1) | instid1(VALU_DEP_3)
	v_add_f64_e64 v[29:30], v[29:30], -v[27:28]
	v_add_f64_e64 v[9:10], v[9:10], -v[27:28]
	v_add_f64_e32 v[33:34], v[31:32], v[23:24]
	s_delay_alu instid0(VALU_DEP_3) | instskip(NEXT) | instid1(VALU_DEP_2)
	v_add_f64_e64 v[25:26], v[25:26], -v[29:30]
	v_add_f64_e64 v[27:28], v[33:34], -v[31:32]
	s_delay_alu instid0(VALU_DEP_2) | instskip(NEXT) | instid1(VALU_DEP_2)
	v_add_f64_e32 v[9:10], v[9:10], v[25:26]
	v_add_f64_e64 v[23:24], v[23:24], -v[27:28]
	s_delay_alu instid0(VALU_DEP_1) | instskip(NEXT) | instid1(VALU_DEP_1)
	v_add_f64_e32 v[9:10], v[9:10], v[23:24]
	v_add_f64_e32 v[9:10], v[33:34], v[9:10]
	s_delay_alu instid0(VALU_DEP_1) | instskip(SKIP_1) | instid1(VALU_DEP_3)
	v_cndmask_b32_e32 v9, 0, v9, vcc_lo
	v_cmp_neq_f64_e32 vcc_lo, -1.0, v[5:6]
	v_cndmask_b32_e64 v10, 0x7ff00000, v10, s7
	s_wait_alu 0xf1ff
	s_delay_alu instid0(VALU_DEP_1) | instskip(SKIP_1) | instid1(VALU_DEP_1)
	v_cndmask_b32_e64 v10, 0x7ff80000, v10, s8
	s_wait_alu 0xfffd
	v_cndmask_b32_e32 v10, 0xfff00000, v10, vcc_lo
	s_delay_alu instid0(VALU_DEP_1)
	v_add_f64_e32 v[5:6], v[7:8], v[9:10]
.LBB6_36:
	s_wait_alu 0xfffe
	s_or_b32 exec_lo, exec_lo, s14
	v_max_num_f64_e32 v[23:24], v[49:50], v[49:50]
	s_delay_alu instid0(VALU_DEP_2) | instskip(SKIP_2) | instid1(VALU_DEP_3)
	v_max_num_f64_e32 v[7:8], v[5:6], v[5:6]
	v_cmp_u_f64_e32 vcc_lo, v[5:6], v[5:6]
	v_cmp_u_f64_e64 s7, v[49:50], v[49:50]
	v_min_num_f64_e32 v[9:10], v[7:8], v[23:24]
	v_max_num_f64_e32 v[7:8], v[7:8], v[23:24]
	s_wait_alu 0xfffd
	s_delay_alu instid0(VALU_DEP_2) | instskip(NEXT) | instid1(VALU_DEP_2)
	v_dual_cndmask_b32 v9, v9, v5 :: v_dual_cndmask_b32 v10, v10, v6
	v_dual_cndmask_b32 v8, v8, v6 :: v_dual_cndmask_b32 v7, v7, v5
	s_wait_alu 0xf1ff
	s_delay_alu instid0(VALU_DEP_2) | instskip(NEXT) | instid1(VALU_DEP_3)
	v_cndmask_b32_e64 v9, v9, v49, s7
	v_cndmask_b32_e64 v10, v10, v50, s7
	s_delay_alu instid0(VALU_DEP_3) | instskip(SKIP_1) | instid1(VALU_DEP_3)
	v_cndmask_b32_e64 v8, v8, v50, s7
	v_cndmask_b32_e64 v7, v7, v49, s7
	v_cmp_class_f64_e64 s8, v[9:10], 0x1f8
	s_delay_alu instid0(VALU_DEP_2)
	v_cmp_neq_f64_e32 vcc_lo, v[9:10], v[7:8]
	s_or_b32 s8, vcc_lo, s8
	s_wait_alu 0xfffe
	s_and_saveexec_b32 s14, s8
	s_cbranch_execz .LBB6_38
; %bb.37:
	v_add_f64_e64 v[5:6], v[9:10], -v[7:8]
	s_mov_b32 s8, 0x652b82fe
	s_mov_b32 s9, 0x3ff71547
	;; [unrolled: 1-line block ×10, first 2 shown]
	s_wait_alu 0xfffe
	s_delay_alu instid0(VALU_DEP_1) | instskip(SKIP_3) | instid1(VALU_DEP_2)
	v_mul_f64_e32 v[9:10], s[8:9], v[5:6]
	s_mov_b32 s8, 0xfca7ab0c
	s_mov_b32 s9, 0x3e928af3
	v_cmp_nlt_f64_e32 vcc_lo, 0x40900000, v[5:6]
	v_rndne_f64_e32 v[9:10], v[9:10]
	s_delay_alu instid0(VALU_DEP_1) | instskip(SKIP_2) | instid1(VALU_DEP_2)
	v_fma_f64 v[25:26], v[9:10], s[10:11], v[5:6]
	v_cvt_i32_f64_e32 v29, v[9:10]
	s_mov_b32 s11, 0x3fe62e42
	v_fma_f64 v[25:26], v[9:10], s[12:13], v[25:26]
	s_mov_b32 s13, 0x3c7abc9e
	s_wait_alu 0xfffe
	s_delay_alu instid0(VALU_DEP_1)
	v_fma_f64 v[27:28], v[25:26], s[16:17], s[8:9]
	s_mov_b32 s8, 0x623fde64
	s_mov_b32 s9, 0x3ec71dee
	;; [unrolled: 1-line block ×4, first 2 shown]
	s_wait_alu 0xfffe
	s_delay_alu instid0(VALU_DEP_1) | instskip(SKIP_3) | instid1(VALU_DEP_1)
	v_fma_f64 v[27:28], v[25:26], v[27:28], s[8:9]
	s_mov_b32 s8, 0x7c89e6b0
	s_mov_b32 s9, 0x3efa0199
	s_wait_alu 0xfffe
	v_fma_f64 v[27:28], v[25:26], v[27:28], s[8:9]
	s_mov_b32 s8, 0x14761f6e
	s_mov_b32 s9, 0x3f2a01a0
	s_wait_alu 0xfffe
	s_delay_alu instid0(VALU_DEP_1) | instskip(SKIP_3) | instid1(VALU_DEP_1)
	v_fma_f64 v[27:28], v[25:26], v[27:28], s[8:9]
	s_mov_b32 s8, 0x1852b7b0
	s_mov_b32 s9, 0x3f56c16c
	s_wait_alu 0xfffe
	v_fma_f64 v[27:28], v[25:26], v[27:28], s[8:9]
	s_mov_b32 s8, 0x11122322
	s_mov_b32 s9, 0x3f811111
	;; [unrolled: 9-line block ×3, first 2 shown]
	s_wait_alu 0xfffe
	s_delay_alu instid0(VALU_DEP_1) | instskip(SKIP_3) | instid1(VALU_DEP_1)
	v_fma_f64 v[27:28], v[25:26], v[27:28], s[8:9]
	s_mov_b32 s8, 11
	s_mov_b32 s9, 0x3fe00000
	s_wait_alu 0xfffe
	v_fma_f64 v[27:28], v[25:26], v[27:28], s[8:9]
	v_cmp_ngt_f64_e64 s8, 0xc090cc00, v[5:6]
	s_mov_b32 s9, 0x3fe55555
	v_fma_f64 v[27:28], v[25:26], v[27:28], 1.0
	s_delay_alu instid0(VALU_DEP_1) | instskip(NEXT) | instid1(VALU_DEP_1)
	v_fma_f64 v[9:10], v[25:26], v[27:28], 1.0
	v_ldexp_f64 v[9:10], v[9:10], v29
	s_wait_alu 0xfffd
	s_delay_alu instid0(VALU_DEP_1) | instskip(SKIP_2) | instid1(VALU_DEP_2)
	v_cndmask_b32_e32 v10, 0x7ff00000, v10, vcc_lo
	s_and_b32 vcc_lo, s8, vcc_lo
	s_wait_alu 0xfffe
	v_cndmask_b32_e32 v5, 0, v9, vcc_lo
	s_delay_alu instid0(VALU_DEP_2) | instskip(SKIP_1) | instid1(VALU_DEP_1)
	v_cndmask_b32_e64 v6, 0, v10, s8
	s_mov_b32 s8, 0x55555555
	v_add_f64_e32 v[9:10], 1.0, v[5:6]
	s_delay_alu instid0(VALU_DEP_1) | instskip(SKIP_3) | instid1(VALU_DEP_3)
	v_frexp_mant_f64_e32 v[25:26], v[9:10]
	v_frexp_exp_i32_f64_e32 v29, v[9:10]
	v_add_f64_e32 v[27:28], -1.0, v[9:10]
	s_wait_alu 0xfffe
	v_cmp_gt_f64_e32 vcc_lo, s[8:9], v[25:26]
	s_mov_b32 s8, 0x55555780
	s_delay_alu instid0(VALU_DEP_2) | instskip(SKIP_3) | instid1(VALU_DEP_3)
	v_add_f64_e64 v[25:26], v[27:28], -v[9:10]
	v_add_f64_e64 v[27:28], v[5:6], -v[27:28]
	s_wait_alu 0xfffd
	v_subrev_co_ci_u32_e64 v77, null, 0, v29, vcc_lo
	v_add_f64_e32 v[25:26], 1.0, v[25:26]
	v_cmp_nge_f64_e32 vcc_lo, -1.0, v[5:6]
	s_delay_alu instid0(VALU_DEP_3) | instskip(NEXT) | instid1(VALU_DEP_1)
	v_sub_nc_u32_e32 v31, 0, v77
	v_ldexp_f64 v[9:10], v[9:10], v31
	s_delay_alu instid0(VALU_DEP_4) | instskip(NEXT) | instid1(VALU_DEP_2)
	v_add_f64_e32 v[25:26], v[27:28], v[25:26]
	v_add_f64_e32 v[29:30], 1.0, v[9:10]
	v_add_f64_e32 v[35:36], -1.0, v[9:10]
	s_delay_alu instid0(VALU_DEP_3) | instskip(NEXT) | instid1(VALU_DEP_3)
	v_ldexp_f64 v[25:26], v[25:26], v31
	v_add_f64_e32 v[27:28], -1.0, v[29:30]
	s_delay_alu instid0(VALU_DEP_3) | instskip(NEXT) | instid1(VALU_DEP_2)
	v_add_f64_e32 v[67:68], 1.0, v[35:36]
	v_add_f64_e64 v[27:28], v[9:10], -v[27:28]
	s_delay_alu instid0(VALU_DEP_2) | instskip(NEXT) | instid1(VALU_DEP_2)
	v_add_f64_e64 v[9:10], v[9:10], -v[67:68]
	v_add_f64_e32 v[27:28], v[25:26], v[27:28]
	s_delay_alu instid0(VALU_DEP_2) | instskip(NEXT) | instid1(VALU_DEP_2)
	v_add_f64_e32 v[9:10], v[25:26], v[9:10]
	v_add_f64_e32 v[31:32], v[29:30], v[27:28]
	s_delay_alu instid0(VALU_DEP_2) | instskip(NEXT) | instid1(VALU_DEP_2)
	v_add_f64_e32 v[67:68], v[35:36], v[9:10]
	v_rcp_f64_e32 v[33:34], v[31:32]
	v_add_f64_e64 v[29:30], v[31:32], -v[29:30]
	s_delay_alu instid0(VALU_DEP_2) | instskip(NEXT) | instid1(VALU_DEP_2)
	v_add_f64_e64 v[35:36], v[67:68], -v[35:36]
	v_add_f64_e64 v[27:28], v[27:28], -v[29:30]
	s_delay_alu instid0(TRANS32_DEP_1) | instskip(NEXT) | instid1(VALU_DEP_3)
	v_fma_f64 v[71:72], -v[31:32], v[33:34], 1.0
	v_add_f64_e64 v[9:10], v[9:10], -v[35:36]
	s_delay_alu instid0(VALU_DEP_2) | instskip(NEXT) | instid1(VALU_DEP_1)
	v_fma_f64 v[33:34], v[71:72], v[33:34], v[33:34]
	v_fma_f64 v[25:26], -v[31:32], v[33:34], 1.0
	s_delay_alu instid0(VALU_DEP_1) | instskip(NEXT) | instid1(VALU_DEP_1)
	v_fma_f64 v[25:26], v[25:26], v[33:34], v[33:34]
	v_mul_f64_e32 v[33:34], v[67:68], v[25:26]
	s_delay_alu instid0(VALU_DEP_1) | instskip(NEXT) | instid1(VALU_DEP_1)
	v_mul_f64_e32 v[71:72], v[31:32], v[33:34]
	v_fma_f64 v[29:30], v[33:34], v[31:32], -v[71:72]
	s_delay_alu instid0(VALU_DEP_1) | instskip(NEXT) | instid1(VALU_DEP_1)
	v_fma_f64 v[29:30], v[33:34], v[27:28], v[29:30]
	v_add_f64_e32 v[73:74], v[71:72], v[29:30]
	s_delay_alu instid0(VALU_DEP_1) | instskip(SKIP_1) | instid1(VALU_DEP_2)
	v_add_f64_e64 v[75:76], v[67:68], -v[73:74]
	v_add_f64_e64 v[35:36], v[73:74], -v[71:72]
	;; [unrolled: 1-line block ×3, first 2 shown]
	s_delay_alu instid0(VALU_DEP_2) | instskip(NEXT) | instid1(VALU_DEP_2)
	v_add_f64_e64 v[29:30], v[35:36], -v[29:30]
	v_add_f64_e64 v[67:68], v[67:68], -v[73:74]
	s_delay_alu instid0(VALU_DEP_1) | instskip(NEXT) | instid1(VALU_DEP_1)
	v_add_f64_e32 v[9:10], v[9:10], v[67:68]
	v_add_f64_e32 v[9:10], v[29:30], v[9:10]
	s_delay_alu instid0(VALU_DEP_1) | instskip(NEXT) | instid1(VALU_DEP_1)
	v_add_f64_e32 v[29:30], v[75:76], v[9:10]
	v_mul_f64_e32 v[35:36], v[25:26], v[29:30]
	v_add_f64_e64 v[73:74], v[75:76], -v[29:30]
	s_delay_alu instid0(VALU_DEP_2) | instskip(NEXT) | instid1(VALU_DEP_2)
	v_mul_f64_e32 v[67:68], v[31:32], v[35:36]
	v_add_f64_e32 v[9:10], v[9:10], v[73:74]
	s_delay_alu instid0(VALU_DEP_2) | instskip(NEXT) | instid1(VALU_DEP_1)
	v_fma_f64 v[31:32], v[35:36], v[31:32], -v[67:68]
	v_fma_f64 v[27:28], v[35:36], v[27:28], v[31:32]
	s_delay_alu instid0(VALU_DEP_1) | instskip(NEXT) | instid1(VALU_DEP_1)
	v_add_f64_e32 v[31:32], v[67:68], v[27:28]
	v_add_f64_e64 v[71:72], v[29:30], -v[31:32]
	v_add_f64_e64 v[67:68], v[31:32], -v[67:68]
	s_delay_alu instid0(VALU_DEP_2) | instskip(NEXT) | instid1(VALU_DEP_2)
	v_add_f64_e64 v[29:30], v[29:30], -v[71:72]
	v_add_f64_e64 v[27:28], v[67:68], -v[27:28]
	s_delay_alu instid0(VALU_DEP_2) | instskip(NEXT) | instid1(VALU_DEP_1)
	v_add_f64_e64 v[29:30], v[29:30], -v[31:32]
	v_add_f64_e32 v[9:10], v[9:10], v[29:30]
	v_add_f64_e32 v[29:30], v[33:34], v[35:36]
	s_delay_alu instid0(VALU_DEP_2) | instskip(NEXT) | instid1(VALU_DEP_2)
	v_add_f64_e32 v[9:10], v[27:28], v[9:10]
	v_add_f64_e64 v[27:28], v[29:30], -v[33:34]
	s_delay_alu instid0(VALU_DEP_2) | instskip(NEXT) | instid1(VALU_DEP_2)
	v_add_f64_e32 v[9:10], v[71:72], v[9:10]
	v_add_f64_e64 v[27:28], v[35:36], -v[27:28]
	s_delay_alu instid0(VALU_DEP_2) | instskip(NEXT) | instid1(VALU_DEP_1)
	v_mul_f64_e32 v[9:10], v[25:26], v[9:10]
	v_add_f64_e32 v[9:10], v[27:28], v[9:10]
	s_delay_alu instid0(VALU_DEP_1) | instskip(NEXT) | instid1(VALU_DEP_1)
	v_add_f64_e32 v[25:26], v[29:30], v[9:10]
	v_mul_f64_e32 v[27:28], v[25:26], v[25:26]
	s_delay_alu instid0(VALU_DEP_1) | instskip(SKIP_4) | instid1(VALU_DEP_2)
	v_fma_f64 v[31:32], v[27:28], s[18:19], s[16:17]
	s_mov_b32 s16, 0xd7f4df2e
	s_mov_b32 s17, 0x3fc7474d
	v_mul_f64_e32 v[33:34], v[25:26], v[27:28]
	s_wait_alu 0xfffe
	v_fma_f64 v[31:32], v[27:28], v[31:32], s[16:17]
	s_mov_b32 s16, 0x16291751
	s_mov_b32 s17, 0x3fcc71c0
	s_wait_alu 0xfffe
	s_delay_alu instid0(VALU_DEP_1) | instskip(SKIP_3) | instid1(VALU_DEP_1)
	v_fma_f64 v[31:32], v[27:28], v[31:32], s[16:17]
	s_mov_b32 s16, 0x9b27acf1
	s_mov_b32 s17, 0x3fd24924
	s_wait_alu 0xfffe
	v_fma_f64 v[31:32], v[27:28], v[31:32], s[16:17]
	s_mov_b32 s16, 0x998ef7b6
	s_mov_b32 s17, 0x3fd99999
	s_wait_alu 0xfffe
	s_delay_alu instid0(VALU_DEP_1) | instskip(NEXT) | instid1(VALU_DEP_1)
	v_fma_f64 v[31:32], v[27:28], v[31:32], s[16:17]
	v_fma_f64 v[27:28], v[27:28], v[31:32], s[8:9]
	v_ldexp_f64 v[31:32], v[25:26], 1
	v_add_f64_e64 v[25:26], v[25:26], -v[29:30]
	v_cmp_neq_f64_e64 s8, 0x7ff00000, v[5:6]
	v_cmp_ngt_f64_e64 s9, -1.0, v[5:6]
	v_mul_f64_e32 v[27:28], v[33:34], v[27:28]
	v_cvt_f64_i32_e32 v[33:34], v77
	v_add_f64_e64 v[9:10], v[9:10], -v[25:26]
	s_and_b32 vcc_lo, vcc_lo, s8
	s_delay_alu instid0(VALU_DEP_3) | instskip(NEXT) | instid1(VALU_DEP_3)
	v_add_f64_e32 v[29:30], v[31:32], v[27:28]
	v_mul_f64_e32 v[35:36], s[10:11], v[33:34]
	s_delay_alu instid0(VALU_DEP_3) | instskip(NEXT) | instid1(VALU_DEP_3)
	v_ldexp_f64 v[9:10], v[9:10], 1
	v_add_f64_e64 v[25:26], v[29:30], -v[31:32]
	s_delay_alu instid0(VALU_DEP_3) | instskip(NEXT) | instid1(VALU_DEP_2)
	v_fma_f64 v[31:32], v[33:34], s[10:11], -v[35:36]
	v_add_f64_e64 v[25:26], v[27:28], -v[25:26]
	s_delay_alu instid0(VALU_DEP_2) | instskip(NEXT) | instid1(VALU_DEP_2)
	v_fma_f64 v[27:28], v[33:34], s[12:13], v[31:32]
	v_add_f64_e32 v[9:10], v[9:10], v[25:26]
	s_delay_alu instid0(VALU_DEP_2) | instskip(NEXT) | instid1(VALU_DEP_2)
	v_add_f64_e32 v[25:26], v[35:36], v[27:28]
	v_add_f64_e32 v[31:32], v[29:30], v[9:10]
	s_delay_alu instid0(VALU_DEP_2) | instskip(NEXT) | instid1(VALU_DEP_2)
	v_add_f64_e64 v[35:36], v[25:26], -v[35:36]
	v_add_f64_e32 v[33:34], v[25:26], v[31:32]
	v_add_f64_e64 v[29:30], v[31:32], -v[29:30]
	s_delay_alu instid0(VALU_DEP_3) | instskip(NEXT) | instid1(VALU_DEP_3)
	v_add_f64_e64 v[27:28], v[27:28], -v[35:36]
	v_add_f64_e64 v[67:68], v[33:34], -v[25:26]
	s_delay_alu instid0(VALU_DEP_3) | instskip(NEXT) | instid1(VALU_DEP_2)
	v_add_f64_e64 v[9:10], v[9:10], -v[29:30]
	v_add_f64_e64 v[71:72], v[33:34], -v[67:68]
	;; [unrolled: 1-line block ×3, first 2 shown]
	s_delay_alu instid0(VALU_DEP_3) | instskip(NEXT) | instid1(VALU_DEP_3)
	v_add_f64_e32 v[31:32], v[27:28], v[9:10]
	v_add_f64_e64 v[25:26], v[25:26], -v[71:72]
	s_delay_alu instid0(VALU_DEP_1) | instskip(NEXT) | instid1(VALU_DEP_3)
	v_add_f64_e32 v[25:26], v[29:30], v[25:26]
	v_add_f64_e64 v[29:30], v[31:32], -v[27:28]
	s_delay_alu instid0(VALU_DEP_2) | instskip(NEXT) | instid1(VALU_DEP_2)
	v_add_f64_e32 v[25:26], v[31:32], v[25:26]
	v_add_f64_e64 v[31:32], v[31:32], -v[29:30]
	v_add_f64_e64 v[9:10], v[9:10], -v[29:30]
	s_delay_alu instid0(VALU_DEP_3) | instskip(NEXT) | instid1(VALU_DEP_3)
	v_add_f64_e32 v[35:36], v[33:34], v[25:26]
	v_add_f64_e64 v[27:28], v[27:28], -v[31:32]
	s_delay_alu instid0(VALU_DEP_2) | instskip(NEXT) | instid1(VALU_DEP_2)
	v_add_f64_e64 v[29:30], v[35:36], -v[33:34]
	v_add_f64_e32 v[9:10], v[9:10], v[27:28]
	s_delay_alu instid0(VALU_DEP_2) | instskip(NEXT) | instid1(VALU_DEP_1)
	v_add_f64_e64 v[25:26], v[25:26], -v[29:30]
	v_add_f64_e32 v[9:10], v[9:10], v[25:26]
	s_delay_alu instid0(VALU_DEP_1) | instskip(SKIP_1) | instid1(VALU_DEP_1)
	v_add_f64_e32 v[9:10], v[35:36], v[9:10]
	s_wait_alu 0xfffe
	v_cndmask_b32_e32 v9, 0, v9, vcc_lo
	v_cmp_neq_f64_e32 vcc_lo, -1.0, v[5:6]
	s_delay_alu instid0(VALU_DEP_3) | instskip(NEXT) | instid1(VALU_DEP_1)
	v_cndmask_b32_e64 v10, 0x7ff00000, v10, s8
	v_cndmask_b32_e64 v10, 0x7ff80000, v10, s9
	s_wait_alu 0xfffd
	s_delay_alu instid0(VALU_DEP_1) | instskip(NEXT) | instid1(VALU_DEP_1)
	v_cndmask_b32_e32 v10, 0xfff00000, v10, vcc_lo
	v_add_f64_e32 v[5:6], v[7:8], v[9:10]
.LBB6_38:
	s_wait_alu 0xfffe
	s_or_b32 exec_lo, exec_lo, s14
	v_max_num_f64_e32 v[25:26], v[51:52], v[51:52]
	s_delay_alu instid0(VALU_DEP_2) | instskip(SKIP_2) | instid1(VALU_DEP_3)
	v_max_num_f64_e32 v[7:8], v[5:6], v[5:6]
	v_cmp_u_f64_e32 vcc_lo, v[5:6], v[5:6]
	v_cmp_u_f64_e64 s8, v[51:52], v[51:52]
	v_min_num_f64_e32 v[9:10], v[7:8], v[25:26]
	v_max_num_f64_e32 v[7:8], v[7:8], v[25:26]
	s_wait_alu 0xfffd
	s_delay_alu instid0(VALU_DEP_2) | instskip(NEXT) | instid1(VALU_DEP_2)
	v_dual_cndmask_b32 v9, v9, v5 :: v_dual_cndmask_b32 v10, v10, v6
	v_dual_cndmask_b32 v8, v8, v6 :: v_dual_cndmask_b32 v7, v7, v5
	s_wait_alu 0xf1ff
	s_delay_alu instid0(VALU_DEP_2) | instskip(NEXT) | instid1(VALU_DEP_3)
	v_cndmask_b32_e64 v9, v9, v51, s8
	v_cndmask_b32_e64 v10, v10, v52, s8
	s_delay_alu instid0(VALU_DEP_3) | instskip(SKIP_1) | instid1(VALU_DEP_3)
	v_cndmask_b32_e64 v8, v8, v52, s8
	v_cndmask_b32_e64 v7, v7, v51, s8
	v_cmp_class_f64_e64 s9, v[9:10], 0x1f8
	s_delay_alu instid0(VALU_DEP_2)
	v_cmp_neq_f64_e32 vcc_lo, v[9:10], v[7:8]
	s_or_b32 s9, vcc_lo, s9
	s_wait_alu 0xfffe
	s_and_saveexec_b32 s14, s9
	s_cbranch_execz .LBB6_40
; %bb.39:
	v_add_f64_e64 v[5:6], v[9:10], -v[7:8]
	s_mov_b32 s10, 0x652b82fe
	s_mov_b32 s11, 0x3ff71547
	;; [unrolled: 1-line block ×10, first 2 shown]
	s_wait_alu 0xfffe
	s_delay_alu instid0(VALU_DEP_1) | instskip(SKIP_4) | instid1(VALU_DEP_3)
	v_mul_f64_e32 v[9:10], s[10:11], v[5:6]
	s_mov_b32 s11, 0xbfe62e42
	s_mov_b32 s10, 0xfefa39ef
	v_cmp_nlt_f64_e32 vcc_lo, 0x40900000, v[5:6]
	v_cmp_ngt_f64_e64 s9, 0xc090cc00, v[5:6]
	v_rndne_f64_e32 v[9:10], v[9:10]
	s_wait_alu 0xfffe
	s_delay_alu instid0(VALU_DEP_1) | instskip(SKIP_2) | instid1(VALU_DEP_2)
	v_fma_f64 v[27:28], v[9:10], s[10:11], v[5:6]
	v_cvt_i32_f64_e32 v31, v[9:10]
	s_mov_b32 s11, 0x3fe62e42
	v_fma_f64 v[27:28], v[9:10], s[12:13], v[27:28]
	s_mov_b32 s13, 0x3c7abc9e
	s_delay_alu instid0(VALU_DEP_1)
	v_fma_f64 v[29:30], v[27:28], s[18:19], s[16:17]
	s_mov_b32 s16, 0x623fde64
	s_mov_b32 s17, 0x3ec71dee
	;; [unrolled: 1-line block ×4, first 2 shown]
	s_wait_alu 0xfffe
	s_delay_alu instid0(VALU_DEP_1) | instskip(SKIP_3) | instid1(VALU_DEP_1)
	v_fma_f64 v[29:30], v[27:28], v[29:30], s[16:17]
	s_mov_b32 s16, 0x7c89e6b0
	s_mov_b32 s17, 0x3efa0199
	s_wait_alu 0xfffe
	v_fma_f64 v[29:30], v[27:28], v[29:30], s[16:17]
	s_mov_b32 s16, 0x14761f6e
	s_mov_b32 s17, 0x3f2a01a0
	s_wait_alu 0xfffe
	s_delay_alu instid0(VALU_DEP_1) | instskip(SKIP_3) | instid1(VALU_DEP_1)
	v_fma_f64 v[29:30], v[27:28], v[29:30], s[16:17]
	s_mov_b32 s16, 0x1852b7b0
	s_mov_b32 s17, 0x3f56c16c
	s_wait_alu 0xfffe
	v_fma_f64 v[29:30], v[27:28], v[29:30], s[16:17]
	s_mov_b32 s16, 0x11122322
	s_mov_b32 s17, 0x3f811111
	;; [unrolled: 9-line block ×4, first 2 shown]
	s_delay_alu instid0(VALU_DEP_1) | instskip(NEXT) | instid1(VALU_DEP_1)
	v_fma_f64 v[29:30], v[27:28], v[29:30], 1.0
	v_fma_f64 v[9:10], v[27:28], v[29:30], 1.0
	s_delay_alu instid0(VALU_DEP_1) | instskip(SKIP_1) | instid1(VALU_DEP_1)
	v_ldexp_f64 v[9:10], v[9:10], v31
	s_wait_alu 0xfffd
	v_cndmask_b32_e32 v10, 0x7ff00000, v10, vcc_lo
	s_and_b32 vcc_lo, s9, vcc_lo
	s_wait_alu 0xfffe
	s_delay_alu instid0(VALU_DEP_2) | instskip(NEXT) | instid1(VALU_DEP_2)
	v_cndmask_b32_e32 v5, 0, v9, vcc_lo
	v_cndmask_b32_e64 v6, 0, v10, s9
	s_delay_alu instid0(VALU_DEP_1) | instskip(SKIP_1) | instid1(VALU_DEP_2)
	v_add_f64_e32 v[9:10], 1.0, v[5:6]
	v_cmp_neq_f64_e64 s9, 0x7ff00000, v[5:6]
	v_frexp_mant_f64_e32 v[27:28], v[9:10]
	v_frexp_exp_i32_f64_e32 v31, v[9:10]
	v_add_f64_e32 v[29:30], -1.0, v[9:10]
	s_delay_alu instid0(VALU_DEP_3) | instskip(SKIP_1) | instid1(VALU_DEP_2)
	v_cmp_gt_f64_e32 vcc_lo, s[16:17], v[27:28]
	s_mov_b32 s16, 0x55555780
	v_add_f64_e64 v[27:28], v[29:30], -v[9:10]
	v_add_f64_e64 v[29:30], v[5:6], -v[29:30]
	s_wait_alu 0xfffd
	v_subrev_co_ci_u32_e64 v79, null, 0, v31, vcc_lo
	s_delay_alu instid0(VALU_DEP_3) | instskip(SKIP_1) | instid1(VALU_DEP_3)
	v_add_f64_e32 v[27:28], 1.0, v[27:28]
	v_cmp_nge_f64_e32 vcc_lo, -1.0, v[5:6]
	v_sub_nc_u32_e32 v33, 0, v79
	s_delay_alu instid0(VALU_DEP_1) | instskip(NEXT) | instid1(VALU_DEP_4)
	v_ldexp_f64 v[9:10], v[9:10], v33
	v_add_f64_e32 v[27:28], v[29:30], v[27:28]
	s_and_b32 vcc_lo, vcc_lo, s9
	s_delay_alu instid0(VALU_DEP_2) | instskip(SKIP_1) | instid1(VALU_DEP_3)
	v_add_f64_e32 v[31:32], 1.0, v[9:10]
	v_add_f64_e32 v[67:68], -1.0, v[9:10]
	v_ldexp_f64 v[27:28], v[27:28], v33
	s_delay_alu instid0(VALU_DEP_3) | instskip(NEXT) | instid1(VALU_DEP_3)
	v_add_f64_e32 v[29:30], -1.0, v[31:32]
	v_add_f64_e32 v[71:72], 1.0, v[67:68]
	s_delay_alu instid0(VALU_DEP_2) | instskip(NEXT) | instid1(VALU_DEP_2)
	v_add_f64_e64 v[29:30], v[9:10], -v[29:30]
	v_add_f64_e64 v[9:10], v[9:10], -v[71:72]
	s_delay_alu instid0(VALU_DEP_2) | instskip(NEXT) | instid1(VALU_DEP_2)
	v_add_f64_e32 v[29:30], v[27:28], v[29:30]
	v_add_f64_e32 v[9:10], v[27:28], v[9:10]
	s_delay_alu instid0(VALU_DEP_2) | instskip(NEXT) | instid1(VALU_DEP_2)
	v_add_f64_e32 v[33:34], v[31:32], v[29:30]
	v_add_f64_e32 v[71:72], v[67:68], v[9:10]
	s_delay_alu instid0(VALU_DEP_2) | instskip(SKIP_1) | instid1(VALU_DEP_2)
	v_rcp_f64_e32 v[35:36], v[33:34]
	v_add_f64_e64 v[31:32], v[33:34], -v[31:32]
	v_add_f64_e64 v[67:68], v[71:72], -v[67:68]
	s_delay_alu instid0(VALU_DEP_2) | instskip(NEXT) | instid1(TRANS32_DEP_1)
	v_add_f64_e64 v[29:30], v[29:30], -v[31:32]
	v_fma_f64 v[73:74], -v[33:34], v[35:36], 1.0
	s_delay_alu instid0(VALU_DEP_3) | instskip(NEXT) | instid1(VALU_DEP_2)
	v_add_f64_e64 v[9:10], v[9:10], -v[67:68]
	v_fma_f64 v[35:36], v[73:74], v[35:36], v[35:36]
	s_delay_alu instid0(VALU_DEP_1) | instskip(NEXT) | instid1(VALU_DEP_1)
	v_fma_f64 v[27:28], -v[33:34], v[35:36], 1.0
	v_fma_f64 v[27:28], v[27:28], v[35:36], v[35:36]
	s_delay_alu instid0(VALU_DEP_1) | instskip(NEXT) | instid1(VALU_DEP_1)
	v_mul_f64_e32 v[35:36], v[71:72], v[27:28]
	v_mul_f64_e32 v[73:74], v[33:34], v[35:36]
	s_delay_alu instid0(VALU_DEP_1) | instskip(NEXT) | instid1(VALU_DEP_1)
	v_fma_f64 v[31:32], v[35:36], v[33:34], -v[73:74]
	v_fma_f64 v[31:32], v[35:36], v[29:30], v[31:32]
	s_delay_alu instid0(VALU_DEP_1) | instskip(NEXT) | instid1(VALU_DEP_1)
	v_add_f64_e32 v[75:76], v[73:74], v[31:32]
	v_add_f64_e64 v[77:78], v[71:72], -v[75:76]
	v_add_f64_e64 v[67:68], v[75:76], -v[73:74]
	s_delay_alu instid0(VALU_DEP_2) | instskip(NEXT) | instid1(VALU_DEP_2)
	v_add_f64_e64 v[71:72], v[71:72], -v[77:78]
	v_add_f64_e64 v[31:32], v[67:68], -v[31:32]
	s_delay_alu instid0(VALU_DEP_2) | instskip(NEXT) | instid1(VALU_DEP_1)
	v_add_f64_e64 v[71:72], v[71:72], -v[75:76]
	v_add_f64_e32 v[9:10], v[9:10], v[71:72]
	s_delay_alu instid0(VALU_DEP_1) | instskip(NEXT) | instid1(VALU_DEP_1)
	v_add_f64_e32 v[9:10], v[31:32], v[9:10]
	v_add_f64_e32 v[31:32], v[77:78], v[9:10]
	s_delay_alu instid0(VALU_DEP_1) | instskip(SKIP_1) | instid1(VALU_DEP_2)
	v_mul_f64_e32 v[67:68], v[27:28], v[31:32]
	v_add_f64_e64 v[75:76], v[77:78], -v[31:32]
	v_mul_f64_e32 v[71:72], v[33:34], v[67:68]
	s_delay_alu instid0(VALU_DEP_2) | instskip(NEXT) | instid1(VALU_DEP_2)
	v_add_f64_e32 v[9:10], v[9:10], v[75:76]
	v_fma_f64 v[33:34], v[67:68], v[33:34], -v[71:72]
	s_delay_alu instid0(VALU_DEP_1) | instskip(NEXT) | instid1(VALU_DEP_1)
	v_fma_f64 v[29:30], v[67:68], v[29:30], v[33:34]
	v_add_f64_e32 v[33:34], v[71:72], v[29:30]
	s_delay_alu instid0(VALU_DEP_1) | instskip(SKIP_1) | instid1(VALU_DEP_2)
	v_add_f64_e64 v[73:74], v[31:32], -v[33:34]
	v_add_f64_e64 v[71:72], v[33:34], -v[71:72]
	;; [unrolled: 1-line block ×3, first 2 shown]
	s_delay_alu instid0(VALU_DEP_2) | instskip(NEXT) | instid1(VALU_DEP_2)
	v_add_f64_e64 v[29:30], v[71:72], -v[29:30]
	v_add_f64_e64 v[31:32], v[31:32], -v[33:34]
	s_delay_alu instid0(VALU_DEP_1) | instskip(SKIP_1) | instid1(VALU_DEP_2)
	v_add_f64_e32 v[9:10], v[9:10], v[31:32]
	v_add_f64_e32 v[31:32], v[35:36], v[67:68]
	;; [unrolled: 1-line block ×3, first 2 shown]
	s_delay_alu instid0(VALU_DEP_2) | instskip(NEXT) | instid1(VALU_DEP_2)
	v_add_f64_e64 v[29:30], v[31:32], -v[35:36]
	v_add_f64_e32 v[9:10], v[73:74], v[9:10]
	s_delay_alu instid0(VALU_DEP_2) | instskip(NEXT) | instid1(VALU_DEP_2)
	v_add_f64_e64 v[29:30], v[67:68], -v[29:30]
	v_mul_f64_e32 v[9:10], v[27:28], v[9:10]
	s_delay_alu instid0(VALU_DEP_1) | instskip(NEXT) | instid1(VALU_DEP_1)
	v_add_f64_e32 v[9:10], v[29:30], v[9:10]
	v_add_f64_e32 v[27:28], v[31:32], v[9:10]
	s_delay_alu instid0(VALU_DEP_1) | instskip(NEXT) | instid1(VALU_DEP_1)
	v_mul_f64_e32 v[29:30], v[27:28], v[27:28]
	v_fma_f64 v[33:34], v[29:30], s[36:37], s[18:19]
	s_mov_b32 s18, 0xd7f4df2e
	s_mov_b32 s19, 0x3fc7474d
	v_mul_f64_e32 v[35:36], v[27:28], v[29:30]
	s_wait_alu 0xfffe
	s_delay_alu instid0(VALU_DEP_2) | instskip(SKIP_3) | instid1(VALU_DEP_1)
	v_fma_f64 v[33:34], v[29:30], v[33:34], s[18:19]
	s_mov_b32 s18, 0x16291751
	s_mov_b32 s19, 0x3fcc71c0
	s_wait_alu 0xfffe
	v_fma_f64 v[33:34], v[29:30], v[33:34], s[18:19]
	s_mov_b32 s18, 0x9b27acf1
	s_mov_b32 s19, 0x3fd24924
	s_wait_alu 0xfffe
	s_delay_alu instid0(VALU_DEP_1) | instskip(SKIP_3) | instid1(VALU_DEP_1)
	v_fma_f64 v[33:34], v[29:30], v[33:34], s[18:19]
	s_mov_b32 s18, 0x998ef7b6
	s_mov_b32 s19, 0x3fd99999
	s_wait_alu 0xfffe
	v_fma_f64 v[33:34], v[29:30], v[33:34], s[18:19]
	s_delay_alu instid0(VALU_DEP_1) | instskip(SKIP_2) | instid1(VALU_DEP_3)
	v_fma_f64 v[29:30], v[29:30], v[33:34], s[16:17]
	v_ldexp_f64 v[33:34], v[27:28], 1
	v_add_f64_e64 v[27:28], v[27:28], -v[31:32]
	v_mul_f64_e32 v[29:30], v[35:36], v[29:30]
	v_cvt_f64_i32_e32 v[35:36], v79
	s_delay_alu instid0(VALU_DEP_3) | instskip(NEXT) | instid1(VALU_DEP_3)
	v_add_f64_e64 v[9:10], v[9:10], -v[27:28]
	v_add_f64_e32 v[31:32], v[33:34], v[29:30]
	s_delay_alu instid0(VALU_DEP_3) | instskip(NEXT) | instid1(VALU_DEP_3)
	v_mul_f64_e32 v[67:68], s[10:11], v[35:36]
	v_ldexp_f64 v[9:10], v[9:10], 1
	s_delay_alu instid0(VALU_DEP_3) | instskip(NEXT) | instid1(VALU_DEP_3)
	v_add_f64_e64 v[27:28], v[31:32], -v[33:34]
	v_fma_f64 v[33:34], v[35:36], s[10:11], -v[67:68]
	v_cmp_ngt_f64_e64 s10, -1.0, v[5:6]
	s_delay_alu instid0(VALU_DEP_3) | instskip(NEXT) | instid1(VALU_DEP_3)
	v_add_f64_e64 v[27:28], v[29:30], -v[27:28]
	v_fma_f64 v[29:30], v[35:36], s[12:13], v[33:34]
	s_delay_alu instid0(VALU_DEP_2) | instskip(NEXT) | instid1(VALU_DEP_2)
	v_add_f64_e32 v[9:10], v[9:10], v[27:28]
	v_add_f64_e32 v[27:28], v[67:68], v[29:30]
	s_delay_alu instid0(VALU_DEP_2) | instskip(NEXT) | instid1(VALU_DEP_2)
	v_add_f64_e32 v[33:34], v[31:32], v[9:10]
	v_add_f64_e64 v[67:68], v[27:28], -v[67:68]
	s_delay_alu instid0(VALU_DEP_2) | instskip(SKIP_1) | instid1(VALU_DEP_3)
	v_add_f64_e32 v[35:36], v[27:28], v[33:34]
	v_add_f64_e64 v[31:32], v[33:34], -v[31:32]
	v_add_f64_e64 v[29:30], v[29:30], -v[67:68]
	s_delay_alu instid0(VALU_DEP_3) | instskip(NEXT) | instid1(VALU_DEP_3)
	v_add_f64_e64 v[71:72], v[35:36], -v[27:28]
	v_add_f64_e64 v[9:10], v[9:10], -v[31:32]
	s_delay_alu instid0(VALU_DEP_2) | instskip(SKIP_1) | instid1(VALU_DEP_3)
	v_add_f64_e64 v[73:74], v[35:36], -v[71:72]
	v_add_f64_e64 v[31:32], v[33:34], -v[71:72]
	v_add_f64_e32 v[33:34], v[29:30], v[9:10]
	s_delay_alu instid0(VALU_DEP_3) | instskip(NEXT) | instid1(VALU_DEP_1)
	v_add_f64_e64 v[27:28], v[27:28], -v[73:74]
	v_add_f64_e32 v[27:28], v[31:32], v[27:28]
	s_delay_alu instid0(VALU_DEP_3) | instskip(NEXT) | instid1(VALU_DEP_2)
	v_add_f64_e64 v[31:32], v[33:34], -v[29:30]
	v_add_f64_e32 v[27:28], v[33:34], v[27:28]
	s_delay_alu instid0(VALU_DEP_2) | instskip(SKIP_1) | instid1(VALU_DEP_3)
	v_add_f64_e64 v[33:34], v[33:34], -v[31:32]
	v_add_f64_e64 v[9:10], v[9:10], -v[31:32]
	v_add_f64_e32 v[67:68], v[35:36], v[27:28]
	s_delay_alu instid0(VALU_DEP_3) | instskip(NEXT) | instid1(VALU_DEP_2)
	v_add_f64_e64 v[29:30], v[29:30], -v[33:34]
	v_add_f64_e64 v[31:32], v[67:68], -v[35:36]
	s_delay_alu instid0(VALU_DEP_2) | instskip(NEXT) | instid1(VALU_DEP_2)
	v_add_f64_e32 v[9:10], v[9:10], v[29:30]
	v_add_f64_e64 v[27:28], v[27:28], -v[31:32]
	s_delay_alu instid0(VALU_DEP_1) | instskip(NEXT) | instid1(VALU_DEP_1)
	v_add_f64_e32 v[9:10], v[9:10], v[27:28]
	v_add_f64_e32 v[9:10], v[67:68], v[9:10]
	s_delay_alu instid0(VALU_DEP_1) | instskip(SKIP_1) | instid1(VALU_DEP_3)
	v_cndmask_b32_e32 v9, 0, v9, vcc_lo
	v_cmp_neq_f64_e32 vcc_lo, -1.0, v[5:6]
	v_cndmask_b32_e64 v10, 0x7ff00000, v10, s9
	s_wait_alu 0xf1ff
	s_delay_alu instid0(VALU_DEP_1) | instskip(SKIP_1) | instid1(VALU_DEP_1)
	v_cndmask_b32_e64 v10, 0x7ff80000, v10, s10
	s_wait_alu 0xfffd
	v_cndmask_b32_e32 v10, 0xfff00000, v10, vcc_lo
	s_delay_alu instid0(VALU_DEP_1)
	v_add_f64_e32 v[5:6], v[7:8], v[9:10]
.LBB6_40:
	s_wait_alu 0xfffe
	s_or_b32 exec_lo, exec_lo, s14
	v_max_num_f64_e32 v[27:28], v[45:46], v[45:46]
	s_delay_alu instid0(VALU_DEP_2) | instskip(SKIP_2) | instid1(VALU_DEP_3)
	v_max_num_f64_e32 v[7:8], v[5:6], v[5:6]
	v_cmp_u_f64_e32 vcc_lo, v[5:6], v[5:6]
	v_cmp_u_f64_e64 s9, v[45:46], v[45:46]
	v_min_num_f64_e32 v[9:10], v[7:8], v[27:28]
	v_max_num_f64_e32 v[7:8], v[7:8], v[27:28]
	s_wait_alu 0xfffd
	s_delay_alu instid0(VALU_DEP_2) | instskip(NEXT) | instid1(VALU_DEP_2)
	v_dual_cndmask_b32 v9, v9, v5 :: v_dual_cndmask_b32 v10, v10, v6
	v_dual_cndmask_b32 v8, v8, v6 :: v_dual_cndmask_b32 v7, v7, v5
	s_wait_alu 0xf1ff
	s_delay_alu instid0(VALU_DEP_2) | instskip(NEXT) | instid1(VALU_DEP_3)
	v_cndmask_b32_e64 v9, v9, v45, s9
	v_cndmask_b32_e64 v10, v10, v46, s9
	s_delay_alu instid0(VALU_DEP_3) | instskip(SKIP_1) | instid1(VALU_DEP_3)
	v_cndmask_b32_e64 v8, v8, v46, s9
	v_cndmask_b32_e64 v7, v7, v45, s9
	v_cmp_class_f64_e64 s10, v[9:10], 0x1f8
	s_delay_alu instid0(VALU_DEP_2)
	v_cmp_neq_f64_e32 vcc_lo, v[9:10], v[7:8]
	s_or_b32 s10, vcc_lo, s10
	s_wait_alu 0xfffe
	s_and_saveexec_b32 s14, s10
	s_cbranch_execz .LBB6_42
; %bb.41:
	v_add_f64_e64 v[5:6], v[9:10], -v[7:8]
	s_mov_b32 s10, 0x652b82fe
	s_mov_b32 s11, 0x3ff71547
	;; [unrolled: 1-line block ×10, first 2 shown]
	s_wait_alu 0xfffe
	s_delay_alu instid0(VALU_DEP_1) | instskip(SKIP_3) | instid1(VALU_DEP_2)
	v_mul_f64_e32 v[9:10], s[10:11], v[5:6]
	s_mov_b32 s10, 0xfca7ab0c
	s_mov_b32 s11, 0x3e928af3
	v_cmp_nlt_f64_e32 vcc_lo, 0x40900000, v[5:6]
	v_rndne_f64_e32 v[9:10], v[9:10]
	s_delay_alu instid0(VALU_DEP_1) | instskip(SKIP_2) | instid1(VALU_DEP_2)
	v_fma_f64 v[29:30], v[9:10], s[12:13], v[5:6]
	v_cvt_i32_f64_e32 v33, v[9:10]
	s_mov_b32 s13, 0x3fe62e42
	v_fma_f64 v[29:30], v[9:10], s[16:17], v[29:30]
	s_mov_b32 s17, 0x3c7abc9e
	s_wait_alu 0xfffe
	s_delay_alu instid0(VALU_DEP_1)
	v_fma_f64 v[31:32], v[29:30], s[18:19], s[10:11]
	s_mov_b32 s10, 0x623fde64
	s_mov_b32 s11, 0x3ec71dee
	;; [unrolled: 1-line block ×4, first 2 shown]
	s_wait_alu 0xfffe
	s_delay_alu instid0(VALU_DEP_1) | instskip(SKIP_3) | instid1(VALU_DEP_1)
	v_fma_f64 v[31:32], v[29:30], v[31:32], s[10:11]
	s_mov_b32 s10, 0x7c89e6b0
	s_mov_b32 s11, 0x3efa0199
	s_wait_alu 0xfffe
	v_fma_f64 v[31:32], v[29:30], v[31:32], s[10:11]
	s_mov_b32 s10, 0x14761f6e
	s_mov_b32 s11, 0x3f2a01a0
	s_wait_alu 0xfffe
	s_delay_alu instid0(VALU_DEP_1) | instskip(SKIP_3) | instid1(VALU_DEP_1)
	v_fma_f64 v[31:32], v[29:30], v[31:32], s[10:11]
	s_mov_b32 s10, 0x1852b7b0
	s_mov_b32 s11, 0x3f56c16c
	s_wait_alu 0xfffe
	v_fma_f64 v[31:32], v[29:30], v[31:32], s[10:11]
	s_mov_b32 s10, 0x11122322
	s_mov_b32 s11, 0x3f811111
	;; [unrolled: 9-line block ×3, first 2 shown]
	s_wait_alu 0xfffe
	s_delay_alu instid0(VALU_DEP_1) | instskip(SKIP_3) | instid1(VALU_DEP_1)
	v_fma_f64 v[31:32], v[29:30], v[31:32], s[10:11]
	s_mov_b32 s10, 11
	s_mov_b32 s11, 0x3fe00000
	s_wait_alu 0xfffe
	v_fma_f64 v[31:32], v[29:30], v[31:32], s[10:11]
	v_cmp_ngt_f64_e64 s10, 0xc090cc00, v[5:6]
	s_mov_b32 s11, 0x3fe55555
	v_fma_f64 v[31:32], v[29:30], v[31:32], 1.0
	s_delay_alu instid0(VALU_DEP_1) | instskip(NEXT) | instid1(VALU_DEP_1)
	v_fma_f64 v[9:10], v[29:30], v[31:32], 1.0
	v_ldexp_f64 v[9:10], v[9:10], v33
	s_wait_alu 0xfffd
	s_delay_alu instid0(VALU_DEP_1) | instskip(SKIP_2) | instid1(VALU_DEP_2)
	v_cndmask_b32_e32 v10, 0x7ff00000, v10, vcc_lo
	s_and_b32 vcc_lo, s10, vcc_lo
	s_wait_alu 0xfffe
	v_cndmask_b32_e32 v5, 0, v9, vcc_lo
	s_delay_alu instid0(VALU_DEP_2) | instskip(SKIP_1) | instid1(VALU_DEP_1)
	v_cndmask_b32_e64 v6, 0, v10, s10
	s_mov_b32 s10, 0x55555555
	v_add_f64_e32 v[9:10], 1.0, v[5:6]
	s_delay_alu instid0(VALU_DEP_1) | instskip(SKIP_3) | instid1(VALU_DEP_3)
	v_frexp_mant_f64_e32 v[29:30], v[9:10]
	v_frexp_exp_i32_f64_e32 v33, v[9:10]
	v_add_f64_e32 v[31:32], -1.0, v[9:10]
	s_wait_alu 0xfffe
	v_cmp_gt_f64_e32 vcc_lo, s[10:11], v[29:30]
	s_mov_b32 s10, 0x55555780
	s_delay_alu instid0(VALU_DEP_2) | instskip(SKIP_3) | instid1(VALU_DEP_3)
	v_add_f64_e64 v[29:30], v[31:32], -v[9:10]
	v_add_f64_e64 v[31:32], v[5:6], -v[31:32]
	s_wait_alu 0xfffd
	v_subrev_co_ci_u32_e64 v81, null, 0, v33, vcc_lo
	v_add_f64_e32 v[29:30], 1.0, v[29:30]
	v_cmp_nge_f64_e32 vcc_lo, -1.0, v[5:6]
	s_delay_alu instid0(VALU_DEP_3) | instskip(NEXT) | instid1(VALU_DEP_1)
	v_sub_nc_u32_e32 v35, 0, v81
	v_ldexp_f64 v[9:10], v[9:10], v35
	s_delay_alu instid0(VALU_DEP_4) | instskip(NEXT) | instid1(VALU_DEP_2)
	v_add_f64_e32 v[29:30], v[31:32], v[29:30]
	v_add_f64_e32 v[33:34], 1.0, v[9:10]
	v_add_f64_e32 v[71:72], -1.0, v[9:10]
	s_delay_alu instid0(VALU_DEP_3) | instskip(NEXT) | instid1(VALU_DEP_3)
	v_ldexp_f64 v[29:30], v[29:30], v35
	v_add_f64_e32 v[31:32], -1.0, v[33:34]
	s_delay_alu instid0(VALU_DEP_3) | instskip(NEXT) | instid1(VALU_DEP_2)
	v_add_f64_e32 v[73:74], 1.0, v[71:72]
	v_add_f64_e64 v[31:32], v[9:10], -v[31:32]
	s_delay_alu instid0(VALU_DEP_2) | instskip(NEXT) | instid1(VALU_DEP_2)
	v_add_f64_e64 v[9:10], v[9:10], -v[73:74]
	v_add_f64_e32 v[31:32], v[29:30], v[31:32]
	s_delay_alu instid0(VALU_DEP_2) | instskip(NEXT) | instid1(VALU_DEP_2)
	v_add_f64_e32 v[9:10], v[29:30], v[9:10]
	v_add_f64_e32 v[35:36], v[33:34], v[31:32]
	s_delay_alu instid0(VALU_DEP_2) | instskip(NEXT) | instid1(VALU_DEP_2)
	v_add_f64_e32 v[73:74], v[71:72], v[9:10]
	v_rcp_f64_e32 v[67:68], v[35:36]
	v_add_f64_e64 v[33:34], v[35:36], -v[33:34]
	s_delay_alu instid0(VALU_DEP_2) | instskip(NEXT) | instid1(VALU_DEP_2)
	v_add_f64_e64 v[71:72], v[73:74], -v[71:72]
	v_add_f64_e64 v[31:32], v[31:32], -v[33:34]
	s_delay_alu instid0(TRANS32_DEP_1) | instskip(NEXT) | instid1(VALU_DEP_3)
	v_fma_f64 v[75:76], -v[35:36], v[67:68], 1.0
	v_add_f64_e64 v[9:10], v[9:10], -v[71:72]
	s_delay_alu instid0(VALU_DEP_2) | instskip(NEXT) | instid1(VALU_DEP_1)
	v_fma_f64 v[67:68], v[75:76], v[67:68], v[67:68]
	v_fma_f64 v[29:30], -v[35:36], v[67:68], 1.0
	s_delay_alu instid0(VALU_DEP_1) | instskip(NEXT) | instid1(VALU_DEP_1)
	v_fma_f64 v[29:30], v[29:30], v[67:68], v[67:68]
	v_mul_f64_e32 v[67:68], v[73:74], v[29:30]
	s_delay_alu instid0(VALU_DEP_1) | instskip(NEXT) | instid1(VALU_DEP_1)
	v_mul_f64_e32 v[75:76], v[35:36], v[67:68]
	v_fma_f64 v[33:34], v[67:68], v[35:36], -v[75:76]
	s_delay_alu instid0(VALU_DEP_1) | instskip(NEXT) | instid1(VALU_DEP_1)
	v_fma_f64 v[33:34], v[67:68], v[31:32], v[33:34]
	v_add_f64_e32 v[77:78], v[75:76], v[33:34]
	s_delay_alu instid0(VALU_DEP_1) | instskip(SKIP_1) | instid1(VALU_DEP_2)
	v_add_f64_e64 v[79:80], v[73:74], -v[77:78]
	v_add_f64_e64 v[71:72], v[77:78], -v[75:76]
	;; [unrolled: 1-line block ×3, first 2 shown]
	s_delay_alu instid0(VALU_DEP_2) | instskip(NEXT) | instid1(VALU_DEP_2)
	v_add_f64_e64 v[33:34], v[71:72], -v[33:34]
	v_add_f64_e64 v[73:74], v[73:74], -v[77:78]
	s_delay_alu instid0(VALU_DEP_1) | instskip(NEXT) | instid1(VALU_DEP_1)
	v_add_f64_e32 v[9:10], v[9:10], v[73:74]
	v_add_f64_e32 v[9:10], v[33:34], v[9:10]
	s_delay_alu instid0(VALU_DEP_1) | instskip(NEXT) | instid1(VALU_DEP_1)
	v_add_f64_e32 v[33:34], v[79:80], v[9:10]
	v_mul_f64_e32 v[71:72], v[29:30], v[33:34]
	v_add_f64_e64 v[77:78], v[79:80], -v[33:34]
	s_delay_alu instid0(VALU_DEP_2) | instskip(NEXT) | instid1(VALU_DEP_2)
	v_mul_f64_e32 v[73:74], v[35:36], v[71:72]
	v_add_f64_e32 v[9:10], v[9:10], v[77:78]
	s_delay_alu instid0(VALU_DEP_2) | instskip(NEXT) | instid1(VALU_DEP_1)
	v_fma_f64 v[35:36], v[71:72], v[35:36], -v[73:74]
	v_fma_f64 v[31:32], v[71:72], v[31:32], v[35:36]
	s_delay_alu instid0(VALU_DEP_1) | instskip(NEXT) | instid1(VALU_DEP_1)
	v_add_f64_e32 v[35:36], v[73:74], v[31:32]
	v_add_f64_e64 v[75:76], v[33:34], -v[35:36]
	v_add_f64_e64 v[73:74], v[35:36], -v[73:74]
	s_delay_alu instid0(VALU_DEP_2) | instskip(NEXT) | instid1(VALU_DEP_2)
	v_add_f64_e64 v[33:34], v[33:34], -v[75:76]
	v_add_f64_e64 v[31:32], v[73:74], -v[31:32]
	s_delay_alu instid0(VALU_DEP_2) | instskip(NEXT) | instid1(VALU_DEP_1)
	v_add_f64_e64 v[33:34], v[33:34], -v[35:36]
	v_add_f64_e32 v[9:10], v[9:10], v[33:34]
	v_add_f64_e32 v[33:34], v[67:68], v[71:72]
	s_delay_alu instid0(VALU_DEP_2) | instskip(NEXT) | instid1(VALU_DEP_2)
	v_add_f64_e32 v[9:10], v[31:32], v[9:10]
	v_add_f64_e64 v[31:32], v[33:34], -v[67:68]
	s_delay_alu instid0(VALU_DEP_2) | instskip(NEXT) | instid1(VALU_DEP_2)
	v_add_f64_e32 v[9:10], v[75:76], v[9:10]
	v_add_f64_e64 v[31:32], v[71:72], -v[31:32]
	s_delay_alu instid0(VALU_DEP_2) | instskip(NEXT) | instid1(VALU_DEP_1)
	v_mul_f64_e32 v[9:10], v[29:30], v[9:10]
	v_add_f64_e32 v[9:10], v[31:32], v[9:10]
	s_delay_alu instid0(VALU_DEP_1) | instskip(NEXT) | instid1(VALU_DEP_1)
	v_add_f64_e32 v[29:30], v[33:34], v[9:10]
	v_mul_f64_e32 v[31:32], v[29:30], v[29:30]
	s_delay_alu instid0(VALU_DEP_1) | instskip(SKIP_4) | instid1(VALU_DEP_2)
	v_fma_f64 v[35:36], v[31:32], s[36:37], s[18:19]
	s_mov_b32 s18, 0xd7f4df2e
	s_mov_b32 s19, 0x3fc7474d
	v_mul_f64_e32 v[67:68], v[29:30], v[31:32]
	s_wait_alu 0xfffe
	v_fma_f64 v[35:36], v[31:32], v[35:36], s[18:19]
	s_mov_b32 s18, 0x16291751
	s_mov_b32 s19, 0x3fcc71c0
	s_wait_alu 0xfffe
	s_delay_alu instid0(VALU_DEP_1) | instskip(SKIP_3) | instid1(VALU_DEP_1)
	v_fma_f64 v[35:36], v[31:32], v[35:36], s[18:19]
	s_mov_b32 s18, 0x9b27acf1
	s_mov_b32 s19, 0x3fd24924
	s_wait_alu 0xfffe
	v_fma_f64 v[35:36], v[31:32], v[35:36], s[18:19]
	s_mov_b32 s18, 0x998ef7b6
	s_mov_b32 s19, 0x3fd99999
	s_wait_alu 0xfffe
	s_delay_alu instid0(VALU_DEP_1) | instskip(NEXT) | instid1(VALU_DEP_1)
	v_fma_f64 v[35:36], v[31:32], v[35:36], s[18:19]
	v_fma_f64 v[31:32], v[31:32], v[35:36], s[10:11]
	v_ldexp_f64 v[35:36], v[29:30], 1
	v_add_f64_e64 v[29:30], v[29:30], -v[33:34]
	v_cmp_neq_f64_e64 s10, 0x7ff00000, v[5:6]
	v_cmp_ngt_f64_e64 s11, -1.0, v[5:6]
	v_mul_f64_e32 v[31:32], v[67:68], v[31:32]
	v_cvt_f64_i32_e32 v[67:68], v81
	v_add_f64_e64 v[9:10], v[9:10], -v[29:30]
	s_and_b32 vcc_lo, vcc_lo, s10
	s_delay_alu instid0(VALU_DEP_3) | instskip(NEXT) | instid1(VALU_DEP_3)
	v_add_f64_e32 v[33:34], v[35:36], v[31:32]
	v_mul_f64_e32 v[71:72], s[12:13], v[67:68]
	s_delay_alu instid0(VALU_DEP_3) | instskip(NEXT) | instid1(VALU_DEP_3)
	v_ldexp_f64 v[9:10], v[9:10], 1
	v_add_f64_e64 v[29:30], v[33:34], -v[35:36]
	s_delay_alu instid0(VALU_DEP_3) | instskip(NEXT) | instid1(VALU_DEP_2)
	v_fma_f64 v[35:36], v[67:68], s[12:13], -v[71:72]
	v_add_f64_e64 v[29:30], v[31:32], -v[29:30]
	s_delay_alu instid0(VALU_DEP_2) | instskip(NEXT) | instid1(VALU_DEP_2)
	v_fma_f64 v[31:32], v[67:68], s[16:17], v[35:36]
	v_add_f64_e32 v[9:10], v[9:10], v[29:30]
	s_delay_alu instid0(VALU_DEP_2) | instskip(NEXT) | instid1(VALU_DEP_2)
	v_add_f64_e32 v[29:30], v[71:72], v[31:32]
	v_add_f64_e32 v[35:36], v[33:34], v[9:10]
	s_delay_alu instid0(VALU_DEP_2) | instskip(NEXT) | instid1(VALU_DEP_2)
	v_add_f64_e64 v[71:72], v[29:30], -v[71:72]
	v_add_f64_e32 v[67:68], v[29:30], v[35:36]
	v_add_f64_e64 v[33:34], v[35:36], -v[33:34]
	s_delay_alu instid0(VALU_DEP_3) | instskip(NEXT) | instid1(VALU_DEP_3)
	v_add_f64_e64 v[31:32], v[31:32], -v[71:72]
	v_add_f64_e64 v[73:74], v[67:68], -v[29:30]
	s_delay_alu instid0(VALU_DEP_3) | instskip(NEXT) | instid1(VALU_DEP_2)
	v_add_f64_e64 v[9:10], v[9:10], -v[33:34]
	v_add_f64_e64 v[75:76], v[67:68], -v[73:74]
	v_add_f64_e64 v[33:34], v[35:36], -v[73:74]
	s_delay_alu instid0(VALU_DEP_3) | instskip(NEXT) | instid1(VALU_DEP_3)
	v_add_f64_e32 v[35:36], v[31:32], v[9:10]
	v_add_f64_e64 v[29:30], v[29:30], -v[75:76]
	s_delay_alu instid0(VALU_DEP_1) | instskip(NEXT) | instid1(VALU_DEP_3)
	v_add_f64_e32 v[29:30], v[33:34], v[29:30]
	v_add_f64_e64 v[33:34], v[35:36], -v[31:32]
	s_delay_alu instid0(VALU_DEP_2) | instskip(NEXT) | instid1(VALU_DEP_2)
	v_add_f64_e32 v[29:30], v[35:36], v[29:30]
	v_add_f64_e64 v[35:36], v[35:36], -v[33:34]
	v_add_f64_e64 v[9:10], v[9:10], -v[33:34]
	s_delay_alu instid0(VALU_DEP_3) | instskip(NEXT) | instid1(VALU_DEP_3)
	v_add_f64_e32 v[71:72], v[67:68], v[29:30]
	v_add_f64_e64 v[31:32], v[31:32], -v[35:36]
	s_delay_alu instid0(VALU_DEP_2) | instskip(NEXT) | instid1(VALU_DEP_2)
	v_add_f64_e64 v[33:34], v[71:72], -v[67:68]
	v_add_f64_e32 v[9:10], v[9:10], v[31:32]
	s_delay_alu instid0(VALU_DEP_2) | instskip(NEXT) | instid1(VALU_DEP_1)
	v_add_f64_e64 v[29:30], v[29:30], -v[33:34]
	v_add_f64_e32 v[9:10], v[9:10], v[29:30]
	s_delay_alu instid0(VALU_DEP_1) | instskip(SKIP_1) | instid1(VALU_DEP_1)
	v_add_f64_e32 v[9:10], v[71:72], v[9:10]
	s_wait_alu 0xfffe
	v_cndmask_b32_e32 v9, 0, v9, vcc_lo
	v_cmp_neq_f64_e32 vcc_lo, -1.0, v[5:6]
	s_delay_alu instid0(VALU_DEP_3) | instskip(NEXT) | instid1(VALU_DEP_1)
	v_cndmask_b32_e64 v10, 0x7ff00000, v10, s10
	v_cndmask_b32_e64 v10, 0x7ff80000, v10, s11
	s_wait_alu 0xfffd
	s_delay_alu instid0(VALU_DEP_1) | instskip(NEXT) | instid1(VALU_DEP_1)
	v_cndmask_b32_e32 v10, 0xfff00000, v10, vcc_lo
	v_add_f64_e32 v[5:6], v[7:8], v[9:10]
.LBB6_42:
	s_wait_alu 0xfffe
	s_or_b32 exec_lo, exec_lo, s14
	v_max_num_f64_e32 v[29:30], v[47:48], v[47:48]
	s_delay_alu instid0(VALU_DEP_2) | instskip(SKIP_2) | instid1(VALU_DEP_3)
	v_max_num_f64_e32 v[7:8], v[5:6], v[5:6]
	v_cmp_u_f64_e32 vcc_lo, v[5:6], v[5:6]
	v_cmp_u_f64_e64 s10, v[47:48], v[47:48]
	v_min_num_f64_e32 v[9:10], v[7:8], v[29:30]
	v_max_num_f64_e32 v[7:8], v[7:8], v[29:30]
	s_wait_alu 0xfffd
	s_delay_alu instid0(VALU_DEP_2) | instskip(NEXT) | instid1(VALU_DEP_2)
	v_dual_cndmask_b32 v9, v9, v5 :: v_dual_cndmask_b32 v10, v10, v6
	v_dual_cndmask_b32 v8, v8, v6 :: v_dual_cndmask_b32 v7, v7, v5
	s_wait_alu 0xf1ff
	s_delay_alu instid0(VALU_DEP_2) | instskip(NEXT) | instid1(VALU_DEP_3)
	v_cndmask_b32_e64 v9, v9, v47, s10
	v_cndmask_b32_e64 v10, v10, v48, s10
	s_delay_alu instid0(VALU_DEP_3) | instskip(SKIP_1) | instid1(VALU_DEP_3)
	v_cndmask_b32_e64 v8, v8, v48, s10
	v_cndmask_b32_e64 v7, v7, v47, s10
	v_cmp_class_f64_e64 s11, v[9:10], 0x1f8
	s_delay_alu instid0(VALU_DEP_2)
	v_cmp_neq_f64_e32 vcc_lo, v[9:10], v[7:8]
	s_or_b32 s11, vcc_lo, s11
	s_wait_alu 0xfffe
	s_and_saveexec_b32 s14, s11
	s_cbranch_execz .LBB6_44
; %bb.43:
	v_add_f64_e64 v[5:6], v[9:10], -v[7:8]
	s_mov_b32 s12, 0x652b82fe
	s_mov_b32 s13, 0x3ff71547
	;; [unrolled: 1-line block ×10, first 2 shown]
	s_wait_alu 0xfffe
	s_delay_alu instid0(VALU_DEP_1) | instskip(SKIP_4) | instid1(VALU_DEP_3)
	v_mul_f64_e32 v[9:10], s[12:13], v[5:6]
	s_mov_b32 s13, 0xbfe62e42
	s_mov_b32 s12, 0xfefa39ef
	v_cmp_nlt_f64_e32 vcc_lo, 0x40900000, v[5:6]
	v_cmp_ngt_f64_e64 s11, 0xc090cc00, v[5:6]
	v_rndne_f64_e32 v[9:10], v[9:10]
	s_wait_alu 0xfffe
	s_delay_alu instid0(VALU_DEP_1) | instskip(SKIP_2) | instid1(VALU_DEP_2)
	v_fma_f64 v[31:32], v[9:10], s[12:13], v[5:6]
	v_cvt_i32_f64_e32 v35, v[9:10]
	s_mov_b32 s13, 0x3fe62e42
	v_fma_f64 v[31:32], v[9:10], s[16:17], v[31:32]
	s_mov_b32 s17, 0x3c7abc9e
	s_delay_alu instid0(VALU_DEP_1)
	v_fma_f64 v[33:34], v[31:32], s[36:37], s[18:19]
	s_mov_b32 s18, 0x623fde64
	s_mov_b32 s19, 0x3ec71dee
	;; [unrolled: 1-line block ×4, first 2 shown]
	s_wait_alu 0xfffe
	s_delay_alu instid0(VALU_DEP_1) | instskip(SKIP_3) | instid1(VALU_DEP_1)
	v_fma_f64 v[33:34], v[31:32], v[33:34], s[18:19]
	s_mov_b32 s18, 0x7c89e6b0
	s_mov_b32 s19, 0x3efa0199
	s_wait_alu 0xfffe
	v_fma_f64 v[33:34], v[31:32], v[33:34], s[18:19]
	s_mov_b32 s18, 0x14761f6e
	s_mov_b32 s19, 0x3f2a01a0
	s_wait_alu 0xfffe
	s_delay_alu instid0(VALU_DEP_1) | instskip(SKIP_3) | instid1(VALU_DEP_1)
	v_fma_f64 v[33:34], v[31:32], v[33:34], s[18:19]
	s_mov_b32 s18, 0x1852b7b0
	s_mov_b32 s19, 0x3f56c16c
	s_wait_alu 0xfffe
	v_fma_f64 v[33:34], v[31:32], v[33:34], s[18:19]
	s_mov_b32 s18, 0x11122322
	s_mov_b32 s19, 0x3f811111
	;; [unrolled: 9-line block ×4, first 2 shown]
	s_delay_alu instid0(VALU_DEP_1) | instskip(NEXT) | instid1(VALU_DEP_1)
	v_fma_f64 v[33:34], v[31:32], v[33:34], 1.0
	v_fma_f64 v[9:10], v[31:32], v[33:34], 1.0
	s_delay_alu instid0(VALU_DEP_1) | instskip(SKIP_1) | instid1(VALU_DEP_1)
	v_ldexp_f64 v[9:10], v[9:10], v35
	s_wait_alu 0xfffd
	v_cndmask_b32_e32 v10, 0x7ff00000, v10, vcc_lo
	s_and_b32 vcc_lo, s11, vcc_lo
	s_wait_alu 0xfffe
	s_delay_alu instid0(VALU_DEP_2) | instskip(NEXT) | instid1(VALU_DEP_2)
	v_cndmask_b32_e32 v5, 0, v9, vcc_lo
	v_cndmask_b32_e64 v6, 0, v10, s11
	s_delay_alu instid0(VALU_DEP_1) | instskip(SKIP_1) | instid1(VALU_DEP_2)
	v_add_f64_e32 v[9:10], 1.0, v[5:6]
	v_cmp_neq_f64_e64 s11, 0x7ff00000, v[5:6]
	v_frexp_mant_f64_e32 v[31:32], v[9:10]
	v_frexp_exp_i32_f64_e32 v35, v[9:10]
	v_add_f64_e32 v[33:34], -1.0, v[9:10]
	s_delay_alu instid0(VALU_DEP_3) | instskip(SKIP_1) | instid1(VALU_DEP_2)
	v_cmp_gt_f64_e32 vcc_lo, s[18:19], v[31:32]
	s_mov_b32 s18, 0x55555780
	v_add_f64_e64 v[31:32], v[33:34], -v[9:10]
	v_add_f64_e64 v[33:34], v[5:6], -v[33:34]
	s_wait_alu 0xfffd
	v_subrev_co_ci_u32_e64 v101, null, 0, v35, vcc_lo
	s_delay_alu instid0(VALU_DEP_3) | instskip(SKIP_1) | instid1(VALU_DEP_3)
	v_add_f64_e32 v[31:32], 1.0, v[31:32]
	v_cmp_nge_f64_e32 vcc_lo, -1.0, v[5:6]
	v_sub_nc_u32_e32 v67, 0, v101
	s_delay_alu instid0(VALU_DEP_1) | instskip(NEXT) | instid1(VALU_DEP_4)
	v_ldexp_f64 v[9:10], v[9:10], v67
	v_add_f64_e32 v[31:32], v[33:34], v[31:32]
	s_and_b32 vcc_lo, vcc_lo, s11
	s_delay_alu instid0(VALU_DEP_2) | instskip(SKIP_1) | instid1(VALU_DEP_3)
	v_add_f64_e32 v[35:36], 1.0, v[9:10]
	v_add_f64_e32 v[73:74], -1.0, v[9:10]
	v_ldexp_f64 v[31:32], v[31:32], v67
	s_delay_alu instid0(VALU_DEP_3) | instskip(NEXT) | instid1(VALU_DEP_3)
	v_add_f64_e32 v[33:34], -1.0, v[35:36]
	v_add_f64_e32 v[75:76], 1.0, v[73:74]
	s_delay_alu instid0(VALU_DEP_2) | instskip(NEXT) | instid1(VALU_DEP_2)
	v_add_f64_e64 v[33:34], v[9:10], -v[33:34]
	v_add_f64_e64 v[9:10], v[9:10], -v[75:76]
	s_delay_alu instid0(VALU_DEP_2) | instskip(NEXT) | instid1(VALU_DEP_2)
	v_add_f64_e32 v[33:34], v[31:32], v[33:34]
	v_add_f64_e32 v[9:10], v[31:32], v[9:10]
	s_delay_alu instid0(VALU_DEP_2) | instskip(NEXT) | instid1(VALU_DEP_2)
	v_add_f64_e32 v[67:68], v[35:36], v[33:34]
	v_add_f64_e32 v[75:76], v[73:74], v[9:10]
	s_delay_alu instid0(VALU_DEP_2) | instskip(SKIP_1) | instid1(VALU_DEP_2)
	v_rcp_f64_e32 v[71:72], v[67:68]
	v_add_f64_e64 v[35:36], v[67:68], -v[35:36]
	v_add_f64_e64 v[73:74], v[75:76], -v[73:74]
	s_delay_alu instid0(VALU_DEP_2) | instskip(NEXT) | instid1(TRANS32_DEP_1)
	v_add_f64_e64 v[33:34], v[33:34], -v[35:36]
	v_fma_f64 v[77:78], -v[67:68], v[71:72], 1.0
	s_delay_alu instid0(VALU_DEP_3) | instskip(NEXT) | instid1(VALU_DEP_2)
	v_add_f64_e64 v[9:10], v[9:10], -v[73:74]
	v_fma_f64 v[71:72], v[77:78], v[71:72], v[71:72]
	s_delay_alu instid0(VALU_DEP_1) | instskip(NEXT) | instid1(VALU_DEP_1)
	v_fma_f64 v[31:32], -v[67:68], v[71:72], 1.0
	v_fma_f64 v[31:32], v[31:32], v[71:72], v[71:72]
	s_delay_alu instid0(VALU_DEP_1) | instskip(NEXT) | instid1(VALU_DEP_1)
	v_mul_f64_e32 v[71:72], v[75:76], v[31:32]
	v_mul_f64_e32 v[77:78], v[67:68], v[71:72]
	s_delay_alu instid0(VALU_DEP_1) | instskip(NEXT) | instid1(VALU_DEP_1)
	v_fma_f64 v[35:36], v[71:72], v[67:68], -v[77:78]
	v_fma_f64 v[35:36], v[71:72], v[33:34], v[35:36]
	s_delay_alu instid0(VALU_DEP_1) | instskip(NEXT) | instid1(VALU_DEP_1)
	v_add_f64_e32 v[79:80], v[77:78], v[35:36]
	v_add_f64_e64 v[81:82], v[75:76], -v[79:80]
	v_add_f64_e64 v[73:74], v[79:80], -v[77:78]
	s_delay_alu instid0(VALU_DEP_2) | instskip(NEXT) | instid1(VALU_DEP_2)
	v_add_f64_e64 v[75:76], v[75:76], -v[81:82]
	v_add_f64_e64 v[35:36], v[73:74], -v[35:36]
	s_delay_alu instid0(VALU_DEP_2) | instskip(NEXT) | instid1(VALU_DEP_1)
	v_add_f64_e64 v[75:76], v[75:76], -v[79:80]
	v_add_f64_e32 v[9:10], v[9:10], v[75:76]
	s_delay_alu instid0(VALU_DEP_1) | instskip(NEXT) | instid1(VALU_DEP_1)
	v_add_f64_e32 v[9:10], v[35:36], v[9:10]
	v_add_f64_e32 v[35:36], v[81:82], v[9:10]
	s_delay_alu instid0(VALU_DEP_1) | instskip(SKIP_1) | instid1(VALU_DEP_2)
	v_mul_f64_e32 v[73:74], v[31:32], v[35:36]
	v_add_f64_e64 v[79:80], v[81:82], -v[35:36]
	v_mul_f64_e32 v[75:76], v[67:68], v[73:74]
	s_delay_alu instid0(VALU_DEP_2) | instskip(NEXT) | instid1(VALU_DEP_2)
	v_add_f64_e32 v[9:10], v[9:10], v[79:80]
	v_fma_f64 v[67:68], v[73:74], v[67:68], -v[75:76]
	s_delay_alu instid0(VALU_DEP_1) | instskip(NEXT) | instid1(VALU_DEP_1)
	v_fma_f64 v[33:34], v[73:74], v[33:34], v[67:68]
	v_add_f64_e32 v[67:68], v[75:76], v[33:34]
	s_delay_alu instid0(VALU_DEP_1) | instskip(SKIP_1) | instid1(VALU_DEP_2)
	v_add_f64_e64 v[77:78], v[35:36], -v[67:68]
	v_add_f64_e64 v[75:76], v[67:68], -v[75:76]
	;; [unrolled: 1-line block ×3, first 2 shown]
	s_delay_alu instid0(VALU_DEP_2) | instskip(NEXT) | instid1(VALU_DEP_2)
	v_add_f64_e64 v[33:34], v[75:76], -v[33:34]
	v_add_f64_e64 v[35:36], v[35:36], -v[67:68]
	s_delay_alu instid0(VALU_DEP_1) | instskip(SKIP_1) | instid1(VALU_DEP_2)
	v_add_f64_e32 v[9:10], v[9:10], v[35:36]
	v_add_f64_e32 v[35:36], v[71:72], v[73:74]
	;; [unrolled: 1-line block ×3, first 2 shown]
	s_delay_alu instid0(VALU_DEP_2) | instskip(NEXT) | instid1(VALU_DEP_2)
	v_add_f64_e64 v[33:34], v[35:36], -v[71:72]
	v_add_f64_e32 v[9:10], v[77:78], v[9:10]
	s_delay_alu instid0(VALU_DEP_2) | instskip(NEXT) | instid1(VALU_DEP_2)
	v_add_f64_e64 v[33:34], v[73:74], -v[33:34]
	v_mul_f64_e32 v[9:10], v[31:32], v[9:10]
	s_delay_alu instid0(VALU_DEP_1) | instskip(NEXT) | instid1(VALU_DEP_1)
	v_add_f64_e32 v[9:10], v[33:34], v[9:10]
	v_add_f64_e32 v[31:32], v[35:36], v[9:10]
	s_delay_alu instid0(VALU_DEP_1) | instskip(NEXT) | instid1(VALU_DEP_1)
	v_mul_f64_e32 v[33:34], v[31:32], v[31:32]
	v_fma_f64 v[67:68], v[33:34], s[38:39], s[36:37]
	s_mov_b32 s36, 0xd7f4df2e
	s_mov_b32 s37, 0x3fc7474d
	v_mul_f64_e32 v[71:72], v[31:32], v[33:34]
	s_wait_alu 0xfffe
	s_delay_alu instid0(VALU_DEP_2) | instskip(SKIP_3) | instid1(VALU_DEP_1)
	v_fma_f64 v[67:68], v[33:34], v[67:68], s[36:37]
	s_mov_b32 s36, 0x16291751
	s_mov_b32 s37, 0x3fcc71c0
	s_wait_alu 0xfffe
	v_fma_f64 v[67:68], v[33:34], v[67:68], s[36:37]
	s_mov_b32 s36, 0x9b27acf1
	s_mov_b32 s37, 0x3fd24924
	s_wait_alu 0xfffe
	s_delay_alu instid0(VALU_DEP_1) | instskip(SKIP_3) | instid1(VALU_DEP_1)
	v_fma_f64 v[67:68], v[33:34], v[67:68], s[36:37]
	s_mov_b32 s36, 0x998ef7b6
	s_mov_b32 s37, 0x3fd99999
	s_wait_alu 0xfffe
	v_fma_f64 v[67:68], v[33:34], v[67:68], s[36:37]
	s_delay_alu instid0(VALU_DEP_1) | instskip(SKIP_2) | instid1(VALU_DEP_3)
	v_fma_f64 v[33:34], v[33:34], v[67:68], s[18:19]
	v_ldexp_f64 v[67:68], v[31:32], 1
	v_add_f64_e64 v[31:32], v[31:32], -v[35:36]
	v_mul_f64_e32 v[33:34], v[71:72], v[33:34]
	v_cvt_f64_i32_e32 v[71:72], v101
	s_delay_alu instid0(VALU_DEP_3) | instskip(NEXT) | instid1(VALU_DEP_3)
	v_add_f64_e64 v[9:10], v[9:10], -v[31:32]
	v_add_f64_e32 v[35:36], v[67:68], v[33:34]
	s_delay_alu instid0(VALU_DEP_3) | instskip(NEXT) | instid1(VALU_DEP_3)
	v_mul_f64_e32 v[73:74], s[12:13], v[71:72]
	v_ldexp_f64 v[9:10], v[9:10], 1
	s_delay_alu instid0(VALU_DEP_3) | instskip(NEXT) | instid1(VALU_DEP_3)
	v_add_f64_e64 v[31:32], v[35:36], -v[67:68]
	v_fma_f64 v[67:68], v[71:72], s[12:13], -v[73:74]
	v_cmp_ngt_f64_e64 s12, -1.0, v[5:6]
	s_delay_alu instid0(VALU_DEP_3) | instskip(NEXT) | instid1(VALU_DEP_3)
	v_add_f64_e64 v[31:32], v[33:34], -v[31:32]
	v_fma_f64 v[33:34], v[71:72], s[16:17], v[67:68]
	s_delay_alu instid0(VALU_DEP_2) | instskip(NEXT) | instid1(VALU_DEP_2)
	v_add_f64_e32 v[9:10], v[9:10], v[31:32]
	v_add_f64_e32 v[31:32], v[73:74], v[33:34]
	s_delay_alu instid0(VALU_DEP_2) | instskip(NEXT) | instid1(VALU_DEP_2)
	v_add_f64_e32 v[67:68], v[35:36], v[9:10]
	v_add_f64_e64 v[73:74], v[31:32], -v[73:74]
	s_delay_alu instid0(VALU_DEP_2) | instskip(SKIP_1) | instid1(VALU_DEP_3)
	v_add_f64_e32 v[71:72], v[31:32], v[67:68]
	v_add_f64_e64 v[35:36], v[67:68], -v[35:36]
	v_add_f64_e64 v[33:34], v[33:34], -v[73:74]
	s_delay_alu instid0(VALU_DEP_3) | instskip(NEXT) | instid1(VALU_DEP_3)
	v_add_f64_e64 v[75:76], v[71:72], -v[31:32]
	v_add_f64_e64 v[9:10], v[9:10], -v[35:36]
	s_delay_alu instid0(VALU_DEP_2) | instskip(SKIP_1) | instid1(VALU_DEP_3)
	v_add_f64_e64 v[77:78], v[71:72], -v[75:76]
	v_add_f64_e64 v[35:36], v[67:68], -v[75:76]
	v_add_f64_e32 v[67:68], v[33:34], v[9:10]
	s_delay_alu instid0(VALU_DEP_3) | instskip(NEXT) | instid1(VALU_DEP_1)
	v_add_f64_e64 v[31:32], v[31:32], -v[77:78]
	v_add_f64_e32 v[31:32], v[35:36], v[31:32]
	s_delay_alu instid0(VALU_DEP_3) | instskip(NEXT) | instid1(VALU_DEP_2)
	v_add_f64_e64 v[35:36], v[67:68], -v[33:34]
	v_add_f64_e32 v[31:32], v[67:68], v[31:32]
	s_delay_alu instid0(VALU_DEP_2) | instskip(SKIP_1) | instid1(VALU_DEP_3)
	v_add_f64_e64 v[67:68], v[67:68], -v[35:36]
	v_add_f64_e64 v[9:10], v[9:10], -v[35:36]
	v_add_f64_e32 v[73:74], v[71:72], v[31:32]
	s_delay_alu instid0(VALU_DEP_3) | instskip(NEXT) | instid1(VALU_DEP_2)
	v_add_f64_e64 v[33:34], v[33:34], -v[67:68]
	v_add_f64_e64 v[35:36], v[73:74], -v[71:72]
	s_delay_alu instid0(VALU_DEP_2) | instskip(NEXT) | instid1(VALU_DEP_2)
	v_add_f64_e32 v[9:10], v[9:10], v[33:34]
	v_add_f64_e64 v[31:32], v[31:32], -v[35:36]
	s_delay_alu instid0(VALU_DEP_1) | instskip(NEXT) | instid1(VALU_DEP_1)
	v_add_f64_e32 v[9:10], v[9:10], v[31:32]
	v_add_f64_e32 v[9:10], v[73:74], v[9:10]
	s_delay_alu instid0(VALU_DEP_1) | instskip(SKIP_1) | instid1(VALU_DEP_3)
	v_cndmask_b32_e32 v9, 0, v9, vcc_lo
	v_cmp_neq_f64_e32 vcc_lo, -1.0, v[5:6]
	v_cndmask_b32_e64 v10, 0x7ff00000, v10, s11
	s_wait_alu 0xf1ff
	s_delay_alu instid0(VALU_DEP_1) | instskip(SKIP_1) | instid1(VALU_DEP_1)
	v_cndmask_b32_e64 v10, 0x7ff80000, v10, s12
	s_wait_alu 0xfffd
	v_cndmask_b32_e32 v10, 0xfff00000, v10, vcc_lo
	s_delay_alu instid0(VALU_DEP_1)
	v_add_f64_e32 v[5:6], v[7:8], v[9:10]
.LBB6_44:
	s_wait_alu 0xfffe
	s_or_b32 exec_lo, exec_lo, s14
	v_max_num_f64_e32 v[31:32], v[41:42], v[41:42]
	s_delay_alu instid0(VALU_DEP_2) | instskip(SKIP_2) | instid1(VALU_DEP_3)
	v_max_num_f64_e32 v[7:8], v[5:6], v[5:6]
	v_cmp_u_f64_e32 vcc_lo, v[5:6], v[5:6]
	v_cmp_u_f64_e64 s11, v[41:42], v[41:42]
	v_min_num_f64_e32 v[9:10], v[7:8], v[31:32]
	v_max_num_f64_e32 v[7:8], v[7:8], v[31:32]
	s_wait_alu 0xfffd
	s_delay_alu instid0(VALU_DEP_2) | instskip(NEXT) | instid1(VALU_DEP_2)
	v_dual_cndmask_b32 v9, v9, v5 :: v_dual_cndmask_b32 v10, v10, v6
	v_dual_cndmask_b32 v8, v8, v6 :: v_dual_cndmask_b32 v7, v7, v5
	s_wait_alu 0xf1ff
	s_delay_alu instid0(VALU_DEP_2) | instskip(NEXT) | instid1(VALU_DEP_3)
	v_cndmask_b32_e64 v9, v9, v41, s11
	v_cndmask_b32_e64 v10, v10, v42, s11
	s_delay_alu instid0(VALU_DEP_3) | instskip(SKIP_1) | instid1(VALU_DEP_3)
	v_cndmask_b32_e64 v8, v8, v42, s11
	v_cndmask_b32_e64 v7, v7, v41, s11
	v_cmp_class_f64_e64 s12, v[9:10], 0x1f8
	s_delay_alu instid0(VALU_DEP_2)
	v_cmp_neq_f64_e32 vcc_lo, v[9:10], v[7:8]
	s_or_b32 s12, vcc_lo, s12
	s_wait_alu 0xfffe
	s_and_saveexec_b32 s14, s12
	s_cbranch_execz .LBB6_46
; %bb.45:
	v_add_f64_e64 v[5:6], v[9:10], -v[7:8]
	s_mov_b32 s12, 0x652b82fe
	s_mov_b32 s13, 0x3ff71547
	;; [unrolled: 1-line block ×10, first 2 shown]
	s_wait_alu 0xfffe
	s_delay_alu instid0(VALU_DEP_1) | instskip(SKIP_3) | instid1(VALU_DEP_2)
	v_mul_f64_e32 v[9:10], s[12:13], v[5:6]
	s_mov_b32 s12, 0xfca7ab0c
	s_mov_b32 s13, 0x3e928af3
	v_cmp_nlt_f64_e32 vcc_lo, 0x40900000, v[5:6]
	v_rndne_f64_e32 v[9:10], v[9:10]
	s_delay_alu instid0(VALU_DEP_1) | instskip(SKIP_2) | instid1(VALU_DEP_2)
	v_fma_f64 v[33:34], v[9:10], s[16:17], v[5:6]
	v_cvt_i32_f64_e32 v67, v[9:10]
	s_mov_b32 s17, 0x3fe62e42
	v_fma_f64 v[33:34], v[9:10], s[18:19], v[33:34]
	s_mov_b32 s19, 0x3c7abc9e
	s_wait_alu 0xfffe
	s_delay_alu instid0(VALU_DEP_1)
	v_fma_f64 v[35:36], v[33:34], s[36:37], s[12:13]
	s_mov_b32 s12, 0x623fde64
	s_mov_b32 s13, 0x3ec71dee
	;; [unrolled: 1-line block ×4, first 2 shown]
	s_wait_alu 0xfffe
	s_delay_alu instid0(VALU_DEP_1) | instskip(SKIP_3) | instid1(VALU_DEP_1)
	v_fma_f64 v[35:36], v[33:34], v[35:36], s[12:13]
	s_mov_b32 s12, 0x7c89e6b0
	s_mov_b32 s13, 0x3efa0199
	s_wait_alu 0xfffe
	v_fma_f64 v[35:36], v[33:34], v[35:36], s[12:13]
	s_mov_b32 s12, 0x14761f6e
	s_mov_b32 s13, 0x3f2a01a0
	s_wait_alu 0xfffe
	s_delay_alu instid0(VALU_DEP_1) | instskip(SKIP_3) | instid1(VALU_DEP_1)
	v_fma_f64 v[35:36], v[33:34], v[35:36], s[12:13]
	s_mov_b32 s12, 0x1852b7b0
	s_mov_b32 s13, 0x3f56c16c
	s_wait_alu 0xfffe
	v_fma_f64 v[35:36], v[33:34], v[35:36], s[12:13]
	s_mov_b32 s12, 0x11122322
	s_mov_b32 s13, 0x3f811111
	;; [unrolled: 9-line block ×3, first 2 shown]
	s_wait_alu 0xfffe
	s_delay_alu instid0(VALU_DEP_1) | instskip(SKIP_3) | instid1(VALU_DEP_1)
	v_fma_f64 v[35:36], v[33:34], v[35:36], s[12:13]
	s_mov_b32 s12, 11
	s_mov_b32 s13, 0x3fe00000
	s_wait_alu 0xfffe
	v_fma_f64 v[35:36], v[33:34], v[35:36], s[12:13]
	v_cmp_ngt_f64_e64 s12, 0xc090cc00, v[5:6]
	s_mov_b32 s13, 0x3fe55555
	v_fma_f64 v[35:36], v[33:34], v[35:36], 1.0
	s_delay_alu instid0(VALU_DEP_1) | instskip(NEXT) | instid1(VALU_DEP_1)
	v_fma_f64 v[9:10], v[33:34], v[35:36], 1.0
	v_ldexp_f64 v[9:10], v[9:10], v67
	s_wait_alu 0xfffd
	s_delay_alu instid0(VALU_DEP_1) | instskip(SKIP_2) | instid1(VALU_DEP_2)
	v_cndmask_b32_e32 v10, 0x7ff00000, v10, vcc_lo
	s_and_b32 vcc_lo, s12, vcc_lo
	s_wait_alu 0xfffe
	v_cndmask_b32_e32 v5, 0, v9, vcc_lo
	s_delay_alu instid0(VALU_DEP_2) | instskip(SKIP_1) | instid1(VALU_DEP_1)
	v_cndmask_b32_e64 v6, 0, v10, s12
	s_mov_b32 s12, 0x55555555
	v_add_f64_e32 v[9:10], 1.0, v[5:6]
	s_delay_alu instid0(VALU_DEP_1) | instskip(SKIP_3) | instid1(VALU_DEP_3)
	v_frexp_mant_f64_e32 v[33:34], v[9:10]
	v_frexp_exp_i32_f64_e32 v67, v[9:10]
	v_add_f64_e32 v[35:36], -1.0, v[9:10]
	s_wait_alu 0xfffe
	v_cmp_gt_f64_e32 vcc_lo, s[12:13], v[33:34]
	s_mov_b32 s12, 0x55555780
	s_delay_alu instid0(VALU_DEP_2) | instskip(SKIP_3) | instid1(VALU_DEP_3)
	v_add_f64_e64 v[33:34], v[35:36], -v[9:10]
	v_add_f64_e64 v[35:36], v[5:6], -v[35:36]
	s_wait_alu 0xfffd
	v_subrev_co_ci_u32_e64 v103, null, 0, v67, vcc_lo
	v_add_f64_e32 v[33:34], 1.0, v[33:34]
	v_cmp_nge_f64_e32 vcc_lo, -1.0, v[5:6]
	s_delay_alu instid0(VALU_DEP_3) | instskip(NEXT) | instid1(VALU_DEP_1)
	v_sub_nc_u32_e32 v71, 0, v103
	v_ldexp_f64 v[9:10], v[9:10], v71
	s_delay_alu instid0(VALU_DEP_4) | instskip(NEXT) | instid1(VALU_DEP_2)
	v_add_f64_e32 v[33:34], v[35:36], v[33:34]
	v_add_f64_e32 v[67:68], 1.0, v[9:10]
	v_add_f64_e32 v[75:76], -1.0, v[9:10]
	s_delay_alu instid0(VALU_DEP_3) | instskip(NEXT) | instid1(VALU_DEP_3)
	v_ldexp_f64 v[33:34], v[33:34], v71
	v_add_f64_e32 v[35:36], -1.0, v[67:68]
	s_delay_alu instid0(VALU_DEP_3) | instskip(NEXT) | instid1(VALU_DEP_2)
	v_add_f64_e32 v[77:78], 1.0, v[75:76]
	v_add_f64_e64 v[35:36], v[9:10], -v[35:36]
	s_delay_alu instid0(VALU_DEP_2) | instskip(NEXT) | instid1(VALU_DEP_2)
	v_add_f64_e64 v[9:10], v[9:10], -v[77:78]
	v_add_f64_e32 v[35:36], v[33:34], v[35:36]
	s_delay_alu instid0(VALU_DEP_2) | instskip(NEXT) | instid1(VALU_DEP_2)
	v_add_f64_e32 v[9:10], v[33:34], v[9:10]
	v_add_f64_e32 v[71:72], v[67:68], v[35:36]
	s_delay_alu instid0(VALU_DEP_2) | instskip(NEXT) | instid1(VALU_DEP_2)
	v_add_f64_e32 v[77:78], v[75:76], v[9:10]
	v_rcp_f64_e32 v[73:74], v[71:72]
	v_add_f64_e64 v[67:68], v[71:72], -v[67:68]
	s_delay_alu instid0(VALU_DEP_2) | instskip(NEXT) | instid1(VALU_DEP_2)
	v_add_f64_e64 v[75:76], v[77:78], -v[75:76]
	v_add_f64_e64 v[35:36], v[35:36], -v[67:68]
	s_delay_alu instid0(TRANS32_DEP_1) | instskip(NEXT) | instid1(VALU_DEP_3)
	v_fma_f64 v[79:80], -v[71:72], v[73:74], 1.0
	v_add_f64_e64 v[9:10], v[9:10], -v[75:76]
	s_delay_alu instid0(VALU_DEP_2) | instskip(NEXT) | instid1(VALU_DEP_1)
	v_fma_f64 v[73:74], v[79:80], v[73:74], v[73:74]
	v_fma_f64 v[33:34], -v[71:72], v[73:74], 1.0
	s_delay_alu instid0(VALU_DEP_1) | instskip(NEXT) | instid1(VALU_DEP_1)
	v_fma_f64 v[33:34], v[33:34], v[73:74], v[73:74]
	v_mul_f64_e32 v[73:74], v[77:78], v[33:34]
	s_delay_alu instid0(VALU_DEP_1) | instskip(NEXT) | instid1(VALU_DEP_1)
	v_mul_f64_e32 v[79:80], v[71:72], v[73:74]
	v_fma_f64 v[67:68], v[73:74], v[71:72], -v[79:80]
	s_delay_alu instid0(VALU_DEP_1) | instskip(NEXT) | instid1(VALU_DEP_1)
	v_fma_f64 v[67:68], v[73:74], v[35:36], v[67:68]
	v_add_f64_e32 v[81:82], v[79:80], v[67:68]
	s_delay_alu instid0(VALU_DEP_1) | instskip(SKIP_1) | instid1(VALU_DEP_2)
	v_add_f64_e64 v[101:102], v[77:78], -v[81:82]
	v_add_f64_e64 v[75:76], v[81:82], -v[79:80]
	;; [unrolled: 1-line block ×3, first 2 shown]
	s_delay_alu instid0(VALU_DEP_2) | instskip(NEXT) | instid1(VALU_DEP_2)
	v_add_f64_e64 v[67:68], v[75:76], -v[67:68]
	v_add_f64_e64 v[77:78], v[77:78], -v[81:82]
	s_delay_alu instid0(VALU_DEP_1) | instskip(NEXT) | instid1(VALU_DEP_1)
	v_add_f64_e32 v[9:10], v[9:10], v[77:78]
	v_add_f64_e32 v[9:10], v[67:68], v[9:10]
	s_delay_alu instid0(VALU_DEP_1) | instskip(NEXT) | instid1(VALU_DEP_1)
	v_add_f64_e32 v[67:68], v[101:102], v[9:10]
	v_mul_f64_e32 v[75:76], v[33:34], v[67:68]
	v_add_f64_e64 v[81:82], v[101:102], -v[67:68]
	s_delay_alu instid0(VALU_DEP_2) | instskip(NEXT) | instid1(VALU_DEP_2)
	v_mul_f64_e32 v[77:78], v[71:72], v[75:76]
	v_add_f64_e32 v[9:10], v[9:10], v[81:82]
	s_delay_alu instid0(VALU_DEP_2) | instskip(NEXT) | instid1(VALU_DEP_1)
	v_fma_f64 v[71:72], v[75:76], v[71:72], -v[77:78]
	v_fma_f64 v[35:36], v[75:76], v[35:36], v[71:72]
	s_delay_alu instid0(VALU_DEP_1) | instskip(NEXT) | instid1(VALU_DEP_1)
	v_add_f64_e32 v[71:72], v[77:78], v[35:36]
	v_add_f64_e64 v[79:80], v[67:68], -v[71:72]
	v_add_f64_e64 v[77:78], v[71:72], -v[77:78]
	s_delay_alu instid0(VALU_DEP_2) | instskip(NEXT) | instid1(VALU_DEP_2)
	v_add_f64_e64 v[67:68], v[67:68], -v[79:80]
	v_add_f64_e64 v[35:36], v[77:78], -v[35:36]
	s_delay_alu instid0(VALU_DEP_2) | instskip(NEXT) | instid1(VALU_DEP_1)
	v_add_f64_e64 v[67:68], v[67:68], -v[71:72]
	v_add_f64_e32 v[9:10], v[9:10], v[67:68]
	v_add_f64_e32 v[67:68], v[73:74], v[75:76]
	s_delay_alu instid0(VALU_DEP_2) | instskip(NEXT) | instid1(VALU_DEP_2)
	v_add_f64_e32 v[9:10], v[35:36], v[9:10]
	v_add_f64_e64 v[35:36], v[67:68], -v[73:74]
	s_delay_alu instid0(VALU_DEP_2) | instskip(NEXT) | instid1(VALU_DEP_2)
	v_add_f64_e32 v[9:10], v[79:80], v[9:10]
	v_add_f64_e64 v[35:36], v[75:76], -v[35:36]
	s_delay_alu instid0(VALU_DEP_2) | instskip(NEXT) | instid1(VALU_DEP_1)
	v_mul_f64_e32 v[9:10], v[33:34], v[9:10]
	v_add_f64_e32 v[9:10], v[35:36], v[9:10]
	s_delay_alu instid0(VALU_DEP_1) | instskip(NEXT) | instid1(VALU_DEP_1)
	v_add_f64_e32 v[33:34], v[67:68], v[9:10]
	v_mul_f64_e32 v[35:36], v[33:34], v[33:34]
	s_delay_alu instid0(VALU_DEP_1) | instskip(SKIP_4) | instid1(VALU_DEP_2)
	v_fma_f64 v[71:72], v[35:36], s[38:39], s[36:37]
	s_mov_b32 s36, 0xd7f4df2e
	s_mov_b32 s37, 0x3fc7474d
	v_mul_f64_e32 v[73:74], v[33:34], v[35:36]
	s_wait_alu 0xfffe
	v_fma_f64 v[71:72], v[35:36], v[71:72], s[36:37]
	s_mov_b32 s36, 0x16291751
	s_mov_b32 s37, 0x3fcc71c0
	s_wait_alu 0xfffe
	s_delay_alu instid0(VALU_DEP_1) | instskip(SKIP_3) | instid1(VALU_DEP_1)
	v_fma_f64 v[71:72], v[35:36], v[71:72], s[36:37]
	s_mov_b32 s36, 0x9b27acf1
	s_mov_b32 s37, 0x3fd24924
	s_wait_alu 0xfffe
	v_fma_f64 v[71:72], v[35:36], v[71:72], s[36:37]
	s_mov_b32 s36, 0x998ef7b6
	s_mov_b32 s37, 0x3fd99999
	s_wait_alu 0xfffe
	s_delay_alu instid0(VALU_DEP_1) | instskip(NEXT) | instid1(VALU_DEP_1)
	v_fma_f64 v[71:72], v[35:36], v[71:72], s[36:37]
	v_fma_f64 v[35:36], v[35:36], v[71:72], s[12:13]
	v_ldexp_f64 v[71:72], v[33:34], 1
	v_add_f64_e64 v[33:34], v[33:34], -v[67:68]
	v_cmp_neq_f64_e64 s12, 0x7ff00000, v[5:6]
	v_cmp_ngt_f64_e64 s13, -1.0, v[5:6]
	v_mul_f64_e32 v[35:36], v[73:74], v[35:36]
	v_cvt_f64_i32_e32 v[73:74], v103
	v_add_f64_e64 v[9:10], v[9:10], -v[33:34]
	s_and_b32 vcc_lo, vcc_lo, s12
	s_delay_alu instid0(VALU_DEP_3) | instskip(NEXT) | instid1(VALU_DEP_3)
	v_add_f64_e32 v[67:68], v[71:72], v[35:36]
	v_mul_f64_e32 v[75:76], s[16:17], v[73:74]
	s_delay_alu instid0(VALU_DEP_3) | instskip(NEXT) | instid1(VALU_DEP_3)
	v_ldexp_f64 v[9:10], v[9:10], 1
	v_add_f64_e64 v[33:34], v[67:68], -v[71:72]
	s_delay_alu instid0(VALU_DEP_3) | instskip(NEXT) | instid1(VALU_DEP_2)
	v_fma_f64 v[71:72], v[73:74], s[16:17], -v[75:76]
	v_add_f64_e64 v[33:34], v[35:36], -v[33:34]
	s_delay_alu instid0(VALU_DEP_2) | instskip(NEXT) | instid1(VALU_DEP_2)
	v_fma_f64 v[35:36], v[73:74], s[18:19], v[71:72]
	v_add_f64_e32 v[9:10], v[9:10], v[33:34]
	s_delay_alu instid0(VALU_DEP_2) | instskip(NEXT) | instid1(VALU_DEP_2)
	v_add_f64_e32 v[33:34], v[75:76], v[35:36]
	v_add_f64_e32 v[71:72], v[67:68], v[9:10]
	s_delay_alu instid0(VALU_DEP_2) | instskip(NEXT) | instid1(VALU_DEP_2)
	v_add_f64_e64 v[75:76], v[33:34], -v[75:76]
	v_add_f64_e32 v[73:74], v[33:34], v[71:72]
	v_add_f64_e64 v[67:68], v[71:72], -v[67:68]
	s_delay_alu instid0(VALU_DEP_3) | instskip(NEXT) | instid1(VALU_DEP_3)
	v_add_f64_e64 v[35:36], v[35:36], -v[75:76]
	v_add_f64_e64 v[77:78], v[73:74], -v[33:34]
	s_delay_alu instid0(VALU_DEP_3) | instskip(NEXT) | instid1(VALU_DEP_2)
	v_add_f64_e64 v[9:10], v[9:10], -v[67:68]
	v_add_f64_e64 v[79:80], v[73:74], -v[77:78]
	;; [unrolled: 1-line block ×3, first 2 shown]
	s_delay_alu instid0(VALU_DEP_3) | instskip(NEXT) | instid1(VALU_DEP_3)
	v_add_f64_e32 v[71:72], v[35:36], v[9:10]
	v_add_f64_e64 v[33:34], v[33:34], -v[79:80]
	s_delay_alu instid0(VALU_DEP_1) | instskip(NEXT) | instid1(VALU_DEP_3)
	v_add_f64_e32 v[33:34], v[67:68], v[33:34]
	v_add_f64_e64 v[67:68], v[71:72], -v[35:36]
	s_delay_alu instid0(VALU_DEP_2) | instskip(NEXT) | instid1(VALU_DEP_2)
	v_add_f64_e32 v[33:34], v[71:72], v[33:34]
	v_add_f64_e64 v[71:72], v[71:72], -v[67:68]
	v_add_f64_e64 v[9:10], v[9:10], -v[67:68]
	s_delay_alu instid0(VALU_DEP_3) | instskip(NEXT) | instid1(VALU_DEP_3)
	v_add_f64_e32 v[75:76], v[73:74], v[33:34]
	v_add_f64_e64 v[35:36], v[35:36], -v[71:72]
	s_delay_alu instid0(VALU_DEP_2) | instskip(NEXT) | instid1(VALU_DEP_2)
	v_add_f64_e64 v[67:68], v[75:76], -v[73:74]
	v_add_f64_e32 v[9:10], v[9:10], v[35:36]
	s_delay_alu instid0(VALU_DEP_2) | instskip(NEXT) | instid1(VALU_DEP_1)
	v_add_f64_e64 v[33:34], v[33:34], -v[67:68]
	v_add_f64_e32 v[9:10], v[9:10], v[33:34]
	s_delay_alu instid0(VALU_DEP_1) | instskip(SKIP_1) | instid1(VALU_DEP_1)
	v_add_f64_e32 v[9:10], v[75:76], v[9:10]
	s_wait_alu 0xfffe
	v_cndmask_b32_e32 v9, 0, v9, vcc_lo
	v_cmp_neq_f64_e32 vcc_lo, -1.0, v[5:6]
	s_delay_alu instid0(VALU_DEP_3) | instskip(NEXT) | instid1(VALU_DEP_1)
	v_cndmask_b32_e64 v10, 0x7ff00000, v10, s12
	v_cndmask_b32_e64 v10, 0x7ff80000, v10, s13
	s_wait_alu 0xfffd
	s_delay_alu instid0(VALU_DEP_1) | instskip(NEXT) | instid1(VALU_DEP_1)
	v_cndmask_b32_e32 v10, 0xfff00000, v10, vcc_lo
	v_add_f64_e32 v[5:6], v[7:8], v[9:10]
.LBB6_46:
	s_wait_alu 0xfffe
	s_or_b32 exec_lo, exec_lo, s14
	v_max_num_f64_e32 v[33:34], v[43:44], v[43:44]
	s_delay_alu instid0(VALU_DEP_2) | instskip(SKIP_2) | instid1(VALU_DEP_3)
	v_max_num_f64_e32 v[7:8], v[5:6], v[5:6]
	v_cmp_u_f64_e32 vcc_lo, v[5:6], v[5:6]
	v_cmp_u_f64_e64 s12, v[43:44], v[43:44]
	v_min_num_f64_e32 v[9:10], v[7:8], v[33:34]
	v_max_num_f64_e32 v[7:8], v[7:8], v[33:34]
	s_wait_alu 0xfffd
	s_delay_alu instid0(VALU_DEP_2) | instskip(NEXT) | instid1(VALU_DEP_2)
	v_dual_cndmask_b32 v9, v9, v5 :: v_dual_cndmask_b32 v10, v10, v6
	v_dual_cndmask_b32 v8, v8, v6 :: v_dual_cndmask_b32 v7, v7, v5
	s_wait_alu 0xf1ff
	s_delay_alu instid0(VALU_DEP_2) | instskip(NEXT) | instid1(VALU_DEP_3)
	v_cndmask_b32_e64 v9, v9, v43, s12
	v_cndmask_b32_e64 v10, v10, v44, s12
	s_delay_alu instid0(VALU_DEP_3) | instskip(SKIP_1) | instid1(VALU_DEP_3)
	v_cndmask_b32_e64 v8, v8, v44, s12
	v_cndmask_b32_e64 v7, v7, v43, s12
	v_cmp_class_f64_e64 s13, v[9:10], 0x1f8
	s_delay_alu instid0(VALU_DEP_2)
	v_cmp_neq_f64_e32 vcc_lo, v[9:10], v[7:8]
	s_or_b32 s13, vcc_lo, s13
	s_wait_alu 0xfffe
	s_and_saveexec_b32 s38, s13
	s_cbranch_execz .LBB6_48
; %bb.47:
	v_add_f64_e64 v[5:6], v[9:10], -v[7:8]
	s_mov_b32 s16, 0x652b82fe
	s_mov_b32 s17, 0x3ff71547
	s_mov_b32 s19, 0xbc7abc9e
	s_mov_b32 s18, 0x3b39803f
	s_mov_b32 s36, 0xfca7ab0c
	s_mov_b32 s40, 0x6a5dcb37
	s_mov_b32 s37, 0x3e928af3
	s_mov_b32 s41, 0x3e5ade15
	s_mov_b32 s42, 0xbf559e2b
	s_mov_b32 s43, 0x3fc3ab76
	s_wait_alu 0xfffe
	s_delay_alu instid0(VALU_DEP_1) | instskip(SKIP_4) | instid1(VALU_DEP_3)
	v_mul_f64_e32 v[9:10], s[16:17], v[5:6]
	s_mov_b32 s17, 0xbfe62e42
	s_mov_b32 s16, 0xfefa39ef
	v_cmp_nlt_f64_e32 vcc_lo, 0x40900000, v[5:6]
	v_cmp_ngt_f64_e64 s13, 0xc090cc00, v[5:6]
	v_rndne_f64_e32 v[9:10], v[9:10]
	s_wait_alu 0xfffe
	s_delay_alu instid0(VALU_DEP_1) | instskip(SKIP_2) | instid1(VALU_DEP_2)
	v_fma_f64 v[35:36], v[9:10], s[16:17], v[5:6]
	v_cvt_i32_f64_e32 v71, v[9:10]
	s_mov_b32 s17, 0x3fe62e42
	v_fma_f64 v[35:36], v[9:10], s[18:19], v[35:36]
	s_mov_b32 s19, 0x3c7abc9e
	s_delay_alu instid0(VALU_DEP_1)
	v_fma_f64 v[67:68], v[35:36], s[40:41], s[36:37]
	s_mov_b32 s36, 0x623fde64
	s_mov_b32 s37, 0x3ec71dee
	;; [unrolled: 1-line block ×4, first 2 shown]
	s_wait_alu 0xfffe
	s_delay_alu instid0(VALU_DEP_1) | instskip(SKIP_3) | instid1(VALU_DEP_1)
	v_fma_f64 v[67:68], v[35:36], v[67:68], s[36:37]
	s_mov_b32 s36, 0x7c89e6b0
	s_mov_b32 s37, 0x3efa0199
	s_wait_alu 0xfffe
	v_fma_f64 v[67:68], v[35:36], v[67:68], s[36:37]
	s_mov_b32 s36, 0x14761f6e
	s_mov_b32 s37, 0x3f2a01a0
	s_wait_alu 0xfffe
	s_delay_alu instid0(VALU_DEP_1) | instskip(SKIP_3) | instid1(VALU_DEP_1)
	v_fma_f64 v[67:68], v[35:36], v[67:68], s[36:37]
	s_mov_b32 s36, 0x1852b7b0
	s_mov_b32 s37, 0x3f56c16c
	s_wait_alu 0xfffe
	v_fma_f64 v[67:68], v[35:36], v[67:68], s[36:37]
	s_mov_b32 s36, 0x11122322
	s_mov_b32 s37, 0x3f811111
	;; [unrolled: 9-line block ×4, first 2 shown]
	s_delay_alu instid0(VALU_DEP_1) | instskip(NEXT) | instid1(VALU_DEP_1)
	v_fma_f64 v[67:68], v[35:36], v[67:68], 1.0
	v_fma_f64 v[9:10], v[35:36], v[67:68], 1.0
	s_delay_alu instid0(VALU_DEP_1) | instskip(SKIP_1) | instid1(VALU_DEP_1)
	v_ldexp_f64 v[9:10], v[9:10], v71
	s_wait_alu 0xfffd
	v_cndmask_b32_e32 v10, 0x7ff00000, v10, vcc_lo
	s_and_b32 vcc_lo, s13, vcc_lo
	s_wait_alu 0xfffe
	s_delay_alu instid0(VALU_DEP_2) | instskip(NEXT) | instid1(VALU_DEP_2)
	v_cndmask_b32_e32 v5, 0, v9, vcc_lo
	v_cndmask_b32_e64 v6, 0, v10, s13
	s_delay_alu instid0(VALU_DEP_1) | instskip(SKIP_2) | instid1(VALU_DEP_3)
	v_add_f64_e32 v[9:10], 1.0, v[5:6]
	v_cmp_neq_f64_e64 s13, 0x7ff00000, v[5:6]
	v_cmp_ngt_f64_e64 s14, -1.0, v[5:6]
	v_frexp_mant_f64_e32 v[35:36], v[9:10]
	v_frexp_exp_i32_f64_e32 v71, v[9:10]
	v_add_f64_e32 v[67:68], -1.0, v[9:10]
	s_delay_alu instid0(VALU_DEP_3) | instskip(SKIP_1) | instid1(VALU_DEP_2)
	v_cmp_gt_f64_e32 vcc_lo, s[36:37], v[35:36]
	s_mov_b32 s36, 0x55555780
	v_add_f64_e64 v[35:36], v[67:68], -v[9:10]
	v_add_f64_e64 v[67:68], v[5:6], -v[67:68]
	s_wait_alu 0xfffd
	v_subrev_co_ci_u32_e64 v105, null, 0, v71, vcc_lo
	s_delay_alu instid0(VALU_DEP_3) | instskip(SKIP_1) | instid1(VALU_DEP_3)
	v_add_f64_e32 v[35:36], 1.0, v[35:36]
	v_cmp_nge_f64_e32 vcc_lo, -1.0, v[5:6]
	v_sub_nc_u32_e32 v73, 0, v105
	s_delay_alu instid0(VALU_DEP_1) | instskip(NEXT) | instid1(VALU_DEP_4)
	v_ldexp_f64 v[9:10], v[9:10], v73
	v_add_f64_e32 v[35:36], v[67:68], v[35:36]
	s_and_b32 vcc_lo, vcc_lo, s13
	s_delay_alu instid0(VALU_DEP_2) | instskip(SKIP_1) | instid1(VALU_DEP_3)
	v_add_f64_e32 v[71:72], 1.0, v[9:10]
	v_add_f64_e32 v[77:78], -1.0, v[9:10]
	v_ldexp_f64 v[35:36], v[35:36], v73
	s_delay_alu instid0(VALU_DEP_3) | instskip(NEXT) | instid1(VALU_DEP_3)
	v_add_f64_e32 v[67:68], -1.0, v[71:72]
	v_add_f64_e32 v[79:80], 1.0, v[77:78]
	s_delay_alu instid0(VALU_DEP_2) | instskip(NEXT) | instid1(VALU_DEP_2)
	v_add_f64_e64 v[67:68], v[9:10], -v[67:68]
	v_add_f64_e64 v[9:10], v[9:10], -v[79:80]
	s_delay_alu instid0(VALU_DEP_2) | instskip(NEXT) | instid1(VALU_DEP_2)
	v_add_f64_e32 v[67:68], v[35:36], v[67:68]
	v_add_f64_e32 v[9:10], v[35:36], v[9:10]
	s_delay_alu instid0(VALU_DEP_2) | instskip(NEXT) | instid1(VALU_DEP_2)
	v_add_f64_e32 v[73:74], v[71:72], v[67:68]
	v_add_f64_e32 v[79:80], v[77:78], v[9:10]
	s_delay_alu instid0(VALU_DEP_2) | instskip(SKIP_1) | instid1(VALU_DEP_2)
	v_rcp_f64_e32 v[75:76], v[73:74]
	v_add_f64_e64 v[71:72], v[73:74], -v[71:72]
	v_add_f64_e64 v[77:78], v[79:80], -v[77:78]
	s_delay_alu instid0(VALU_DEP_2) | instskip(NEXT) | instid1(TRANS32_DEP_1)
	v_add_f64_e64 v[67:68], v[67:68], -v[71:72]
	v_fma_f64 v[81:82], -v[73:74], v[75:76], 1.0
	s_delay_alu instid0(VALU_DEP_3) | instskip(NEXT) | instid1(VALU_DEP_2)
	v_add_f64_e64 v[9:10], v[9:10], -v[77:78]
	v_fma_f64 v[75:76], v[81:82], v[75:76], v[75:76]
	s_delay_alu instid0(VALU_DEP_1) | instskip(NEXT) | instid1(VALU_DEP_1)
	v_fma_f64 v[35:36], -v[73:74], v[75:76], 1.0
	v_fma_f64 v[35:36], v[35:36], v[75:76], v[75:76]
	s_delay_alu instid0(VALU_DEP_1) | instskip(NEXT) | instid1(VALU_DEP_1)
	v_mul_f64_e32 v[75:76], v[79:80], v[35:36]
	v_mul_f64_e32 v[81:82], v[73:74], v[75:76]
	s_delay_alu instid0(VALU_DEP_1) | instskip(NEXT) | instid1(VALU_DEP_1)
	v_fma_f64 v[71:72], v[75:76], v[73:74], -v[81:82]
	v_fma_f64 v[71:72], v[75:76], v[67:68], v[71:72]
	s_delay_alu instid0(VALU_DEP_1) | instskip(NEXT) | instid1(VALU_DEP_1)
	v_add_f64_e32 v[101:102], v[81:82], v[71:72]
	v_add_f64_e64 v[103:104], v[79:80], -v[101:102]
	v_add_f64_e64 v[77:78], v[101:102], -v[81:82]
	s_delay_alu instid0(VALU_DEP_2) | instskip(NEXT) | instid1(VALU_DEP_2)
	v_add_f64_e64 v[79:80], v[79:80], -v[103:104]
	v_add_f64_e64 v[71:72], v[77:78], -v[71:72]
	s_delay_alu instid0(VALU_DEP_2) | instskip(NEXT) | instid1(VALU_DEP_1)
	v_add_f64_e64 v[79:80], v[79:80], -v[101:102]
	v_add_f64_e32 v[9:10], v[9:10], v[79:80]
	s_delay_alu instid0(VALU_DEP_1) | instskip(NEXT) | instid1(VALU_DEP_1)
	v_add_f64_e32 v[9:10], v[71:72], v[9:10]
	v_add_f64_e32 v[71:72], v[103:104], v[9:10]
	s_delay_alu instid0(VALU_DEP_1) | instskip(SKIP_1) | instid1(VALU_DEP_2)
	v_mul_f64_e32 v[77:78], v[35:36], v[71:72]
	v_add_f64_e64 v[101:102], v[103:104], -v[71:72]
	v_mul_f64_e32 v[79:80], v[73:74], v[77:78]
	s_delay_alu instid0(VALU_DEP_2) | instskip(NEXT) | instid1(VALU_DEP_2)
	v_add_f64_e32 v[9:10], v[9:10], v[101:102]
	v_fma_f64 v[73:74], v[77:78], v[73:74], -v[79:80]
	s_delay_alu instid0(VALU_DEP_1) | instskip(NEXT) | instid1(VALU_DEP_1)
	v_fma_f64 v[67:68], v[77:78], v[67:68], v[73:74]
	v_add_f64_e32 v[73:74], v[79:80], v[67:68]
	s_delay_alu instid0(VALU_DEP_1) | instskip(SKIP_1) | instid1(VALU_DEP_2)
	v_add_f64_e64 v[81:82], v[71:72], -v[73:74]
	v_add_f64_e64 v[79:80], v[73:74], -v[79:80]
	v_add_f64_e64 v[71:72], v[71:72], -v[81:82]
	s_delay_alu instid0(VALU_DEP_2) | instskip(NEXT) | instid1(VALU_DEP_2)
	v_add_f64_e64 v[67:68], v[79:80], -v[67:68]
	v_add_f64_e64 v[71:72], v[71:72], -v[73:74]
	s_delay_alu instid0(VALU_DEP_1) | instskip(SKIP_1) | instid1(VALU_DEP_2)
	v_add_f64_e32 v[9:10], v[9:10], v[71:72]
	v_add_f64_e32 v[71:72], v[75:76], v[77:78]
	;; [unrolled: 1-line block ×3, first 2 shown]
	s_delay_alu instid0(VALU_DEP_2) | instskip(NEXT) | instid1(VALU_DEP_2)
	v_add_f64_e64 v[67:68], v[71:72], -v[75:76]
	v_add_f64_e32 v[9:10], v[81:82], v[9:10]
	s_delay_alu instid0(VALU_DEP_2) | instskip(NEXT) | instid1(VALU_DEP_2)
	v_add_f64_e64 v[67:68], v[77:78], -v[67:68]
	v_mul_f64_e32 v[9:10], v[35:36], v[9:10]
	s_delay_alu instid0(VALU_DEP_1) | instskip(NEXT) | instid1(VALU_DEP_1)
	v_add_f64_e32 v[9:10], v[67:68], v[9:10]
	v_add_f64_e32 v[35:36], v[71:72], v[9:10]
	s_delay_alu instid0(VALU_DEP_1) | instskip(NEXT) | instid1(VALU_DEP_1)
	v_mul_f64_e32 v[67:68], v[35:36], v[35:36]
	v_fma_f64 v[73:74], v[67:68], s[42:43], s[40:41]
	s_mov_b32 s40, 0xd7f4df2e
	s_mov_b32 s41, 0x3fc7474d
	v_mul_f64_e32 v[75:76], v[35:36], v[67:68]
	s_wait_alu 0xfffe
	s_delay_alu instid0(VALU_DEP_2) | instskip(SKIP_3) | instid1(VALU_DEP_1)
	v_fma_f64 v[73:74], v[67:68], v[73:74], s[40:41]
	s_mov_b32 s40, 0x16291751
	s_mov_b32 s41, 0x3fcc71c0
	s_wait_alu 0xfffe
	v_fma_f64 v[73:74], v[67:68], v[73:74], s[40:41]
	s_mov_b32 s40, 0x9b27acf1
	s_mov_b32 s41, 0x3fd24924
	s_wait_alu 0xfffe
	s_delay_alu instid0(VALU_DEP_1) | instskip(SKIP_3) | instid1(VALU_DEP_1)
	v_fma_f64 v[73:74], v[67:68], v[73:74], s[40:41]
	s_mov_b32 s40, 0x998ef7b6
	s_mov_b32 s41, 0x3fd99999
	s_wait_alu 0xfffe
	v_fma_f64 v[73:74], v[67:68], v[73:74], s[40:41]
	s_delay_alu instid0(VALU_DEP_1) | instskip(SKIP_2) | instid1(VALU_DEP_3)
	v_fma_f64 v[67:68], v[67:68], v[73:74], s[36:37]
	v_ldexp_f64 v[73:74], v[35:36], 1
	v_add_f64_e64 v[35:36], v[35:36], -v[71:72]
	v_mul_f64_e32 v[67:68], v[75:76], v[67:68]
	v_cvt_f64_i32_e32 v[75:76], v105
	s_delay_alu instid0(VALU_DEP_3) | instskip(NEXT) | instid1(VALU_DEP_3)
	v_add_f64_e64 v[9:10], v[9:10], -v[35:36]
	v_add_f64_e32 v[71:72], v[73:74], v[67:68]
	s_delay_alu instid0(VALU_DEP_3) | instskip(NEXT) | instid1(VALU_DEP_3)
	v_mul_f64_e32 v[77:78], s[16:17], v[75:76]
	v_ldexp_f64 v[9:10], v[9:10], 1
	s_delay_alu instid0(VALU_DEP_3) | instskip(NEXT) | instid1(VALU_DEP_3)
	v_add_f64_e64 v[35:36], v[71:72], -v[73:74]
	v_fma_f64 v[73:74], v[75:76], s[16:17], -v[77:78]
	s_delay_alu instid0(VALU_DEP_2) | instskip(NEXT) | instid1(VALU_DEP_2)
	v_add_f64_e64 v[35:36], v[67:68], -v[35:36]
	v_fma_f64 v[67:68], v[75:76], s[18:19], v[73:74]
	s_delay_alu instid0(VALU_DEP_2) | instskip(NEXT) | instid1(VALU_DEP_2)
	v_add_f64_e32 v[9:10], v[9:10], v[35:36]
	v_add_f64_e32 v[35:36], v[77:78], v[67:68]
	s_delay_alu instid0(VALU_DEP_2) | instskip(NEXT) | instid1(VALU_DEP_2)
	v_add_f64_e32 v[73:74], v[71:72], v[9:10]
	v_add_f64_e64 v[77:78], v[35:36], -v[77:78]
	s_delay_alu instid0(VALU_DEP_2) | instskip(SKIP_1) | instid1(VALU_DEP_3)
	v_add_f64_e32 v[75:76], v[35:36], v[73:74]
	v_add_f64_e64 v[71:72], v[73:74], -v[71:72]
	v_add_f64_e64 v[67:68], v[67:68], -v[77:78]
	s_delay_alu instid0(VALU_DEP_3) | instskip(NEXT) | instid1(VALU_DEP_3)
	v_add_f64_e64 v[79:80], v[75:76], -v[35:36]
	v_add_f64_e64 v[9:10], v[9:10], -v[71:72]
	s_delay_alu instid0(VALU_DEP_2) | instskip(SKIP_1) | instid1(VALU_DEP_3)
	v_add_f64_e64 v[81:82], v[75:76], -v[79:80]
	v_add_f64_e64 v[71:72], v[73:74], -v[79:80]
	v_add_f64_e32 v[73:74], v[67:68], v[9:10]
	s_delay_alu instid0(VALU_DEP_3) | instskip(NEXT) | instid1(VALU_DEP_1)
	v_add_f64_e64 v[35:36], v[35:36], -v[81:82]
	v_add_f64_e32 v[35:36], v[71:72], v[35:36]
	s_delay_alu instid0(VALU_DEP_3) | instskip(NEXT) | instid1(VALU_DEP_2)
	v_add_f64_e64 v[71:72], v[73:74], -v[67:68]
	v_add_f64_e32 v[35:36], v[73:74], v[35:36]
	s_delay_alu instid0(VALU_DEP_2) | instskip(SKIP_1) | instid1(VALU_DEP_3)
	v_add_f64_e64 v[73:74], v[73:74], -v[71:72]
	v_add_f64_e64 v[9:10], v[9:10], -v[71:72]
	v_add_f64_e32 v[77:78], v[75:76], v[35:36]
	s_delay_alu instid0(VALU_DEP_3) | instskip(NEXT) | instid1(VALU_DEP_2)
	v_add_f64_e64 v[67:68], v[67:68], -v[73:74]
	v_add_f64_e64 v[71:72], v[77:78], -v[75:76]
	s_delay_alu instid0(VALU_DEP_2) | instskip(NEXT) | instid1(VALU_DEP_2)
	v_add_f64_e32 v[9:10], v[9:10], v[67:68]
	v_add_f64_e64 v[35:36], v[35:36], -v[71:72]
	s_delay_alu instid0(VALU_DEP_1) | instskip(NEXT) | instid1(VALU_DEP_1)
	v_add_f64_e32 v[9:10], v[9:10], v[35:36]
	v_add_f64_e32 v[9:10], v[77:78], v[9:10]
	s_delay_alu instid0(VALU_DEP_1) | instskip(SKIP_1) | instid1(VALU_DEP_3)
	v_cndmask_b32_e32 v9, 0, v9, vcc_lo
	v_cmp_neq_f64_e32 vcc_lo, -1.0, v[5:6]
	v_cndmask_b32_e64 v10, 0x7ff00000, v10, s13
	s_delay_alu instid0(VALU_DEP_1) | instskip(SKIP_1) | instid1(VALU_DEP_1)
	v_cndmask_b32_e64 v10, 0x7ff80000, v10, s14
	s_wait_alu 0xfffd
	v_cndmask_b32_e32 v10, 0xfff00000, v10, vcc_lo
	s_delay_alu instid0(VALU_DEP_1)
	v_add_f64_e32 v[5:6], v[7:8], v[9:10]
.LBB6_48:
	s_wait_alu 0xfffe
	s_or_b32 exec_lo, exec_lo, s38
	v_max_num_f64_e32 v[35:36], v[37:38], v[37:38]
	s_delay_alu instid0(VALU_DEP_2) | instskip(SKIP_2) | instid1(VALU_DEP_3)
	v_max_num_f64_e32 v[7:8], v[5:6], v[5:6]
	v_cmp_u_f64_e32 vcc_lo, v[5:6], v[5:6]
	v_cmp_u_f64_e64 s13, v[37:38], v[37:38]
	v_min_num_f64_e32 v[9:10], v[7:8], v[35:36]
	v_max_num_f64_e32 v[7:8], v[7:8], v[35:36]
	s_wait_alu 0xfffd
	s_delay_alu instid0(VALU_DEP_2) | instskip(NEXT) | instid1(VALU_DEP_2)
	v_dual_cndmask_b32 v9, v9, v5 :: v_dual_cndmask_b32 v10, v10, v6
	v_dual_cndmask_b32 v8, v8, v6 :: v_dual_cndmask_b32 v7, v7, v5
	s_wait_alu 0xf1ff
	s_delay_alu instid0(VALU_DEP_2) | instskip(NEXT) | instid1(VALU_DEP_3)
	v_cndmask_b32_e64 v9, v9, v37, s13
	v_cndmask_b32_e64 v10, v10, v38, s13
	s_delay_alu instid0(VALU_DEP_3) | instskip(SKIP_1) | instid1(VALU_DEP_3)
	v_cndmask_b32_e64 v8, v8, v38, s13
	v_cndmask_b32_e64 v7, v7, v37, s13
	v_cmp_class_f64_e64 s14, v[9:10], 0x1f8
	s_delay_alu instid0(VALU_DEP_2)
	v_cmp_neq_f64_e32 vcc_lo, v[9:10], v[7:8]
	s_or_b32 s14, vcc_lo, s14
	s_wait_alu 0xfffe
	s_and_saveexec_b32 s38, s14
	s_cbranch_execz .LBB6_50
; %bb.49:
	v_add_f64_e64 v[5:6], v[9:10], -v[7:8]
	s_mov_b32 s16, 0x652b82fe
	s_mov_b32 s17, 0x3ff71547
	;; [unrolled: 1-line block ×10, first 2 shown]
	s_wait_alu 0xfffe
	s_delay_alu instid0(VALU_DEP_1) | instskip(SKIP_4) | instid1(VALU_DEP_3)
	v_mul_f64_e32 v[9:10], s[16:17], v[5:6]
	s_mov_b32 s17, 0xbfe62e42
	s_mov_b32 s16, 0xfefa39ef
	v_cmp_nlt_f64_e32 vcc_lo, 0x40900000, v[5:6]
	v_cmp_ngt_f64_e64 s14, 0xc090cc00, v[5:6]
	v_rndne_f64_e32 v[9:10], v[9:10]
	s_wait_alu 0xfffe
	s_delay_alu instid0(VALU_DEP_1) | instskip(SKIP_2) | instid1(VALU_DEP_2)
	v_fma_f64 v[67:68], v[9:10], s[16:17], v[5:6]
	v_cvt_i32_f64_e32 v73, v[9:10]
	s_mov_b32 s17, 0x3fe62e42
	v_fma_f64 v[67:68], v[9:10], s[18:19], v[67:68]
	s_mov_b32 s19, 0x3c7abc9e
	s_delay_alu instid0(VALU_DEP_1)
	v_fma_f64 v[71:72], v[67:68], s[40:41], s[36:37]
	s_mov_b32 s36, 0x623fde64
	s_mov_b32 s37, 0x3ec71dee
	;; [unrolled: 1-line block ×4, first 2 shown]
	s_wait_alu 0xfffe
	s_delay_alu instid0(VALU_DEP_1) | instskip(SKIP_3) | instid1(VALU_DEP_1)
	v_fma_f64 v[71:72], v[67:68], v[71:72], s[36:37]
	s_mov_b32 s36, 0x7c89e6b0
	s_mov_b32 s37, 0x3efa0199
	s_wait_alu 0xfffe
	v_fma_f64 v[71:72], v[67:68], v[71:72], s[36:37]
	s_mov_b32 s36, 0x14761f6e
	s_mov_b32 s37, 0x3f2a01a0
	s_wait_alu 0xfffe
	s_delay_alu instid0(VALU_DEP_1) | instskip(SKIP_3) | instid1(VALU_DEP_1)
	v_fma_f64 v[71:72], v[67:68], v[71:72], s[36:37]
	s_mov_b32 s36, 0x1852b7b0
	s_mov_b32 s37, 0x3f56c16c
	s_wait_alu 0xfffe
	v_fma_f64 v[71:72], v[67:68], v[71:72], s[36:37]
	s_mov_b32 s36, 0x11122322
	s_mov_b32 s37, 0x3f811111
	;; [unrolled: 9-line block ×4, first 2 shown]
	s_delay_alu instid0(VALU_DEP_1) | instskip(NEXT) | instid1(VALU_DEP_1)
	v_fma_f64 v[71:72], v[67:68], v[71:72], 1.0
	v_fma_f64 v[9:10], v[67:68], v[71:72], 1.0
	s_delay_alu instid0(VALU_DEP_1) | instskip(SKIP_1) | instid1(VALU_DEP_1)
	v_ldexp_f64 v[9:10], v[9:10], v73
	s_wait_alu 0xfffd
	v_cndmask_b32_e32 v10, 0x7ff00000, v10, vcc_lo
	s_and_b32 vcc_lo, s14, vcc_lo
	s_wait_alu 0xfffe
	s_delay_alu instid0(VALU_DEP_2) | instskip(NEXT) | instid1(VALU_DEP_2)
	v_cndmask_b32_e32 v5, 0, v9, vcc_lo
	v_cndmask_b32_e64 v6, 0, v10, s14
	s_delay_alu instid0(VALU_DEP_1) | instskip(SKIP_1) | instid1(VALU_DEP_2)
	v_add_f64_e32 v[9:10], 1.0, v[5:6]
	v_cmp_neq_f64_e64 s14, 0x7ff00000, v[5:6]
	v_frexp_mant_f64_e32 v[67:68], v[9:10]
	v_frexp_exp_i32_f64_e32 v73, v[9:10]
	v_add_f64_e32 v[71:72], -1.0, v[9:10]
	s_delay_alu instid0(VALU_DEP_3) | instskip(SKIP_1) | instid1(VALU_DEP_2)
	v_cmp_gt_f64_e32 vcc_lo, s[36:37], v[67:68]
	s_mov_b32 s36, 0x55555780
	v_add_f64_e64 v[67:68], v[71:72], -v[9:10]
	v_add_f64_e64 v[71:72], v[5:6], -v[71:72]
	s_wait_alu 0xfffd
	v_subrev_co_ci_u32_e64 v107, null, 0, v73, vcc_lo
	s_delay_alu instid0(VALU_DEP_3) | instskip(SKIP_1) | instid1(VALU_DEP_3)
	v_add_f64_e32 v[67:68], 1.0, v[67:68]
	v_cmp_nge_f64_e32 vcc_lo, -1.0, v[5:6]
	v_sub_nc_u32_e32 v75, 0, v107
	s_delay_alu instid0(VALU_DEP_1) | instskip(NEXT) | instid1(VALU_DEP_4)
	v_ldexp_f64 v[9:10], v[9:10], v75
	v_add_f64_e32 v[67:68], v[71:72], v[67:68]
	s_and_b32 vcc_lo, vcc_lo, s14
	s_delay_alu instid0(VALU_DEP_2) | instskip(SKIP_1) | instid1(VALU_DEP_3)
	v_add_f64_e32 v[73:74], 1.0, v[9:10]
	v_add_f64_e32 v[79:80], -1.0, v[9:10]
	v_ldexp_f64 v[67:68], v[67:68], v75
	s_delay_alu instid0(VALU_DEP_3) | instskip(NEXT) | instid1(VALU_DEP_3)
	v_add_f64_e32 v[71:72], -1.0, v[73:74]
	v_add_f64_e32 v[81:82], 1.0, v[79:80]
	s_delay_alu instid0(VALU_DEP_2) | instskip(NEXT) | instid1(VALU_DEP_2)
	v_add_f64_e64 v[71:72], v[9:10], -v[71:72]
	v_add_f64_e64 v[9:10], v[9:10], -v[81:82]
	s_delay_alu instid0(VALU_DEP_2) | instskip(NEXT) | instid1(VALU_DEP_2)
	v_add_f64_e32 v[71:72], v[67:68], v[71:72]
	v_add_f64_e32 v[9:10], v[67:68], v[9:10]
	s_delay_alu instid0(VALU_DEP_2) | instskip(NEXT) | instid1(VALU_DEP_2)
	v_add_f64_e32 v[75:76], v[73:74], v[71:72]
	v_add_f64_e32 v[81:82], v[79:80], v[9:10]
	s_delay_alu instid0(VALU_DEP_2) | instskip(SKIP_1) | instid1(VALU_DEP_2)
	v_rcp_f64_e32 v[77:78], v[75:76]
	v_add_f64_e64 v[73:74], v[75:76], -v[73:74]
	v_add_f64_e64 v[79:80], v[81:82], -v[79:80]
	s_delay_alu instid0(VALU_DEP_2) | instskip(NEXT) | instid1(TRANS32_DEP_1)
	v_add_f64_e64 v[71:72], v[71:72], -v[73:74]
	v_fma_f64 v[101:102], -v[75:76], v[77:78], 1.0
	s_delay_alu instid0(VALU_DEP_3) | instskip(NEXT) | instid1(VALU_DEP_2)
	v_add_f64_e64 v[9:10], v[9:10], -v[79:80]
	v_fma_f64 v[77:78], v[101:102], v[77:78], v[77:78]
	s_delay_alu instid0(VALU_DEP_1) | instskip(NEXT) | instid1(VALU_DEP_1)
	v_fma_f64 v[67:68], -v[75:76], v[77:78], 1.0
	v_fma_f64 v[67:68], v[67:68], v[77:78], v[77:78]
	s_delay_alu instid0(VALU_DEP_1) | instskip(NEXT) | instid1(VALU_DEP_1)
	v_mul_f64_e32 v[77:78], v[81:82], v[67:68]
	v_mul_f64_e32 v[101:102], v[75:76], v[77:78]
	s_delay_alu instid0(VALU_DEP_1) | instskip(NEXT) | instid1(VALU_DEP_1)
	v_fma_f64 v[73:74], v[77:78], v[75:76], -v[101:102]
	v_fma_f64 v[73:74], v[77:78], v[71:72], v[73:74]
	s_delay_alu instid0(VALU_DEP_1) | instskip(NEXT) | instid1(VALU_DEP_1)
	v_add_f64_e32 v[103:104], v[101:102], v[73:74]
	v_add_f64_e64 v[105:106], v[81:82], -v[103:104]
	v_add_f64_e64 v[79:80], v[103:104], -v[101:102]
	s_delay_alu instid0(VALU_DEP_2) | instskip(NEXT) | instid1(VALU_DEP_2)
	v_add_f64_e64 v[81:82], v[81:82], -v[105:106]
	v_add_f64_e64 v[73:74], v[79:80], -v[73:74]
	s_delay_alu instid0(VALU_DEP_2) | instskip(NEXT) | instid1(VALU_DEP_1)
	v_add_f64_e64 v[81:82], v[81:82], -v[103:104]
	v_add_f64_e32 v[9:10], v[9:10], v[81:82]
	s_delay_alu instid0(VALU_DEP_1) | instskip(NEXT) | instid1(VALU_DEP_1)
	v_add_f64_e32 v[9:10], v[73:74], v[9:10]
	v_add_f64_e32 v[73:74], v[105:106], v[9:10]
	s_delay_alu instid0(VALU_DEP_1) | instskip(SKIP_1) | instid1(VALU_DEP_2)
	v_mul_f64_e32 v[79:80], v[67:68], v[73:74]
	v_add_f64_e64 v[103:104], v[105:106], -v[73:74]
	v_mul_f64_e32 v[81:82], v[75:76], v[79:80]
	s_delay_alu instid0(VALU_DEP_2) | instskip(NEXT) | instid1(VALU_DEP_2)
	v_add_f64_e32 v[9:10], v[9:10], v[103:104]
	v_fma_f64 v[75:76], v[79:80], v[75:76], -v[81:82]
	s_delay_alu instid0(VALU_DEP_1) | instskip(NEXT) | instid1(VALU_DEP_1)
	v_fma_f64 v[71:72], v[79:80], v[71:72], v[75:76]
	v_add_f64_e32 v[75:76], v[81:82], v[71:72]
	s_delay_alu instid0(VALU_DEP_1) | instskip(SKIP_1) | instid1(VALU_DEP_2)
	v_add_f64_e64 v[101:102], v[73:74], -v[75:76]
	v_add_f64_e64 v[81:82], v[75:76], -v[81:82]
	;; [unrolled: 1-line block ×3, first 2 shown]
	s_delay_alu instid0(VALU_DEP_2) | instskip(NEXT) | instid1(VALU_DEP_2)
	v_add_f64_e64 v[71:72], v[81:82], -v[71:72]
	v_add_f64_e64 v[73:74], v[73:74], -v[75:76]
	s_delay_alu instid0(VALU_DEP_1) | instskip(SKIP_1) | instid1(VALU_DEP_2)
	v_add_f64_e32 v[9:10], v[9:10], v[73:74]
	v_add_f64_e32 v[73:74], v[77:78], v[79:80]
	;; [unrolled: 1-line block ×3, first 2 shown]
	s_delay_alu instid0(VALU_DEP_2) | instskip(NEXT) | instid1(VALU_DEP_2)
	v_add_f64_e64 v[71:72], v[73:74], -v[77:78]
	v_add_f64_e32 v[9:10], v[101:102], v[9:10]
	s_delay_alu instid0(VALU_DEP_2) | instskip(NEXT) | instid1(VALU_DEP_2)
	v_add_f64_e64 v[71:72], v[79:80], -v[71:72]
	v_mul_f64_e32 v[9:10], v[67:68], v[9:10]
	s_delay_alu instid0(VALU_DEP_1) | instskip(NEXT) | instid1(VALU_DEP_1)
	v_add_f64_e32 v[9:10], v[71:72], v[9:10]
	v_add_f64_e32 v[67:68], v[73:74], v[9:10]
	s_delay_alu instid0(VALU_DEP_1) | instskip(NEXT) | instid1(VALU_DEP_1)
	v_mul_f64_e32 v[71:72], v[67:68], v[67:68]
	v_fma_f64 v[75:76], v[71:72], s[42:43], s[40:41]
	s_mov_b32 s40, 0xd7f4df2e
	s_mov_b32 s41, 0x3fc7474d
	v_mul_f64_e32 v[77:78], v[67:68], v[71:72]
	s_wait_alu 0xfffe
	s_delay_alu instid0(VALU_DEP_2) | instskip(SKIP_3) | instid1(VALU_DEP_1)
	v_fma_f64 v[75:76], v[71:72], v[75:76], s[40:41]
	s_mov_b32 s40, 0x16291751
	s_mov_b32 s41, 0x3fcc71c0
	s_wait_alu 0xfffe
	v_fma_f64 v[75:76], v[71:72], v[75:76], s[40:41]
	s_mov_b32 s40, 0x9b27acf1
	s_mov_b32 s41, 0x3fd24924
	s_wait_alu 0xfffe
	s_delay_alu instid0(VALU_DEP_1) | instskip(SKIP_3) | instid1(VALU_DEP_1)
	v_fma_f64 v[75:76], v[71:72], v[75:76], s[40:41]
	s_mov_b32 s40, 0x998ef7b6
	s_mov_b32 s41, 0x3fd99999
	s_wait_alu 0xfffe
	v_fma_f64 v[75:76], v[71:72], v[75:76], s[40:41]
	s_delay_alu instid0(VALU_DEP_1) | instskip(SKIP_2) | instid1(VALU_DEP_3)
	v_fma_f64 v[71:72], v[71:72], v[75:76], s[36:37]
	v_ldexp_f64 v[75:76], v[67:68], 1
	v_add_f64_e64 v[67:68], v[67:68], -v[73:74]
	v_mul_f64_e32 v[71:72], v[77:78], v[71:72]
	v_cvt_f64_i32_e32 v[77:78], v107
	s_delay_alu instid0(VALU_DEP_3) | instskip(NEXT) | instid1(VALU_DEP_3)
	v_add_f64_e64 v[9:10], v[9:10], -v[67:68]
	v_add_f64_e32 v[73:74], v[75:76], v[71:72]
	s_delay_alu instid0(VALU_DEP_3) | instskip(NEXT) | instid1(VALU_DEP_3)
	v_mul_f64_e32 v[79:80], s[16:17], v[77:78]
	v_ldexp_f64 v[9:10], v[9:10], 1
	s_delay_alu instid0(VALU_DEP_3) | instskip(NEXT) | instid1(VALU_DEP_3)
	v_add_f64_e64 v[67:68], v[73:74], -v[75:76]
	v_fma_f64 v[75:76], v[77:78], s[16:17], -v[79:80]
	v_cmp_ngt_f64_e64 s16, -1.0, v[5:6]
	s_delay_alu instid0(VALU_DEP_3) | instskip(NEXT) | instid1(VALU_DEP_3)
	v_add_f64_e64 v[67:68], v[71:72], -v[67:68]
	v_fma_f64 v[71:72], v[77:78], s[18:19], v[75:76]
	s_delay_alu instid0(VALU_DEP_2) | instskip(NEXT) | instid1(VALU_DEP_2)
	v_add_f64_e32 v[9:10], v[9:10], v[67:68]
	v_add_f64_e32 v[67:68], v[79:80], v[71:72]
	s_delay_alu instid0(VALU_DEP_2) | instskip(NEXT) | instid1(VALU_DEP_2)
	v_add_f64_e32 v[75:76], v[73:74], v[9:10]
	v_add_f64_e64 v[79:80], v[67:68], -v[79:80]
	s_delay_alu instid0(VALU_DEP_2) | instskip(SKIP_1) | instid1(VALU_DEP_3)
	v_add_f64_e32 v[77:78], v[67:68], v[75:76]
	v_add_f64_e64 v[73:74], v[75:76], -v[73:74]
	v_add_f64_e64 v[71:72], v[71:72], -v[79:80]
	s_delay_alu instid0(VALU_DEP_3) | instskip(NEXT) | instid1(VALU_DEP_3)
	v_add_f64_e64 v[81:82], v[77:78], -v[67:68]
	v_add_f64_e64 v[9:10], v[9:10], -v[73:74]
	s_delay_alu instid0(VALU_DEP_2) | instskip(SKIP_1) | instid1(VALU_DEP_3)
	v_add_f64_e64 v[101:102], v[77:78], -v[81:82]
	v_add_f64_e64 v[73:74], v[75:76], -v[81:82]
	v_add_f64_e32 v[75:76], v[71:72], v[9:10]
	s_delay_alu instid0(VALU_DEP_3) | instskip(NEXT) | instid1(VALU_DEP_1)
	v_add_f64_e64 v[67:68], v[67:68], -v[101:102]
	v_add_f64_e32 v[67:68], v[73:74], v[67:68]
	s_delay_alu instid0(VALU_DEP_3) | instskip(NEXT) | instid1(VALU_DEP_2)
	v_add_f64_e64 v[73:74], v[75:76], -v[71:72]
	v_add_f64_e32 v[67:68], v[75:76], v[67:68]
	s_delay_alu instid0(VALU_DEP_2) | instskip(SKIP_1) | instid1(VALU_DEP_3)
	v_add_f64_e64 v[75:76], v[75:76], -v[73:74]
	v_add_f64_e64 v[9:10], v[9:10], -v[73:74]
	v_add_f64_e32 v[79:80], v[77:78], v[67:68]
	s_delay_alu instid0(VALU_DEP_3) | instskip(NEXT) | instid1(VALU_DEP_2)
	v_add_f64_e64 v[71:72], v[71:72], -v[75:76]
	v_add_f64_e64 v[73:74], v[79:80], -v[77:78]
	s_delay_alu instid0(VALU_DEP_2) | instskip(NEXT) | instid1(VALU_DEP_2)
	v_add_f64_e32 v[9:10], v[9:10], v[71:72]
	v_add_f64_e64 v[67:68], v[67:68], -v[73:74]
	s_delay_alu instid0(VALU_DEP_1) | instskip(NEXT) | instid1(VALU_DEP_1)
	v_add_f64_e32 v[9:10], v[9:10], v[67:68]
	v_add_f64_e32 v[9:10], v[79:80], v[9:10]
	s_delay_alu instid0(VALU_DEP_1) | instskip(SKIP_1) | instid1(VALU_DEP_3)
	v_cndmask_b32_e32 v9, 0, v9, vcc_lo
	v_cmp_neq_f64_e32 vcc_lo, -1.0, v[5:6]
	v_cndmask_b32_e64 v10, 0x7ff00000, v10, s14
	s_wait_alu 0xf1ff
	s_delay_alu instid0(VALU_DEP_1) | instskip(SKIP_1) | instid1(VALU_DEP_1)
	v_cndmask_b32_e64 v10, 0x7ff80000, v10, s16
	s_wait_alu 0xfffd
	v_cndmask_b32_e32 v10, 0xfff00000, v10, vcc_lo
	s_delay_alu instid0(VALU_DEP_1)
	v_add_f64_e32 v[5:6], v[7:8], v[9:10]
.LBB6_50:
	s_wait_alu 0xfffe
	s_or_b32 exec_lo, exec_lo, s38
	v_max_num_f64_e32 v[67:68], v[39:40], v[39:40]
	s_delay_alu instid0(VALU_DEP_2) | instskip(SKIP_2) | instid1(VALU_DEP_3)
	v_max_num_f64_e32 v[7:8], v[5:6], v[5:6]
	v_cmp_u_f64_e32 vcc_lo, v[5:6], v[5:6]
	v_cmp_u_f64_e64 s14, v[39:40], v[39:40]
	v_min_num_f64_e32 v[9:10], v[7:8], v[67:68]
	v_max_num_f64_e32 v[7:8], v[7:8], v[67:68]
	s_wait_alu 0xfffd
	s_delay_alu instid0(VALU_DEP_2) | instskip(NEXT) | instid1(VALU_DEP_2)
	v_dual_cndmask_b32 v9, v9, v5 :: v_dual_cndmask_b32 v10, v10, v6
	v_dual_cndmask_b32 v8, v8, v6 :: v_dual_cndmask_b32 v7, v7, v5
	s_wait_alu 0xf1ff
	s_delay_alu instid0(VALU_DEP_2) | instskip(NEXT) | instid1(VALU_DEP_3)
	v_cndmask_b32_e64 v9, v9, v39, s14
	v_cndmask_b32_e64 v10, v10, v40, s14
	s_delay_alu instid0(VALU_DEP_3) | instskip(SKIP_1) | instid1(VALU_DEP_3)
	v_cndmask_b32_e64 v8, v8, v40, s14
	v_cndmask_b32_e64 v7, v7, v39, s14
	v_cmp_class_f64_e64 s16, v[9:10], 0x1f8
	s_delay_alu instid0(VALU_DEP_2)
	v_cmp_neq_f64_e32 vcc_lo, v[9:10], v[7:8]
	s_or_b32 s16, vcc_lo, s16
	s_wait_alu 0xfffe
	s_and_saveexec_b32 s38, s16
	s_cbranch_execz .LBB6_52
; %bb.51:
	v_add_f64_e64 v[5:6], v[9:10], -v[7:8]
	s_mov_b32 s16, 0x652b82fe
	s_mov_b32 s17, 0x3ff71547
	;; [unrolled: 1-line block ×10, first 2 shown]
	s_wait_alu 0xfffe
	s_delay_alu instid0(VALU_DEP_1) | instskip(SKIP_3) | instid1(VALU_DEP_2)
	v_mul_f64_e32 v[9:10], s[16:17], v[5:6]
	s_mov_b32 s16, 0xfca7ab0c
	s_mov_b32 s17, 0x3e928af3
	v_cmp_nlt_f64_e32 vcc_lo, 0x40900000, v[5:6]
	v_rndne_f64_e32 v[9:10], v[9:10]
	s_delay_alu instid0(VALU_DEP_1) | instskip(SKIP_2) | instid1(VALU_DEP_2)
	v_fma_f64 v[71:72], v[9:10], s[18:19], v[5:6]
	v_cvt_i32_f64_e32 v75, v[9:10]
	s_mov_b32 s19, 0x3fe62e42
	v_fma_f64 v[71:72], v[9:10], s[36:37], v[71:72]
	s_mov_b32 s37, 0x3c7abc9e
	s_wait_alu 0xfffe
	s_delay_alu instid0(VALU_DEP_1)
	v_fma_f64 v[73:74], v[71:72], s[40:41], s[16:17]
	s_mov_b32 s16, 0x623fde64
	s_mov_b32 s17, 0x3ec71dee
	;; [unrolled: 1-line block ×4, first 2 shown]
	s_wait_alu 0xfffe
	s_delay_alu instid0(VALU_DEP_1) | instskip(SKIP_3) | instid1(VALU_DEP_1)
	v_fma_f64 v[73:74], v[71:72], v[73:74], s[16:17]
	s_mov_b32 s16, 0x7c89e6b0
	s_mov_b32 s17, 0x3efa0199
	s_wait_alu 0xfffe
	v_fma_f64 v[73:74], v[71:72], v[73:74], s[16:17]
	s_mov_b32 s16, 0x14761f6e
	s_mov_b32 s17, 0x3f2a01a0
	s_wait_alu 0xfffe
	s_delay_alu instid0(VALU_DEP_1) | instskip(SKIP_3) | instid1(VALU_DEP_1)
	v_fma_f64 v[73:74], v[71:72], v[73:74], s[16:17]
	s_mov_b32 s16, 0x1852b7b0
	s_mov_b32 s17, 0x3f56c16c
	s_wait_alu 0xfffe
	v_fma_f64 v[73:74], v[71:72], v[73:74], s[16:17]
	s_mov_b32 s16, 0x11122322
	s_mov_b32 s17, 0x3f811111
	;; [unrolled: 9-line block ×3, first 2 shown]
	s_wait_alu 0xfffe
	s_delay_alu instid0(VALU_DEP_1) | instskip(SKIP_3) | instid1(VALU_DEP_1)
	v_fma_f64 v[73:74], v[71:72], v[73:74], s[16:17]
	s_mov_b32 s16, 11
	s_mov_b32 s17, 0x3fe00000
	s_wait_alu 0xfffe
	v_fma_f64 v[73:74], v[71:72], v[73:74], s[16:17]
	v_cmp_ngt_f64_e64 s16, 0xc090cc00, v[5:6]
	s_mov_b32 s17, 0x3fe55555
	v_fma_f64 v[73:74], v[71:72], v[73:74], 1.0
	s_delay_alu instid0(VALU_DEP_1) | instskip(NEXT) | instid1(VALU_DEP_1)
	v_fma_f64 v[9:10], v[71:72], v[73:74], 1.0
	v_ldexp_f64 v[9:10], v[9:10], v75
	s_wait_alu 0xfffd
	s_delay_alu instid0(VALU_DEP_1) | instskip(SKIP_2) | instid1(VALU_DEP_2)
	v_cndmask_b32_e32 v10, 0x7ff00000, v10, vcc_lo
	s_and_b32 vcc_lo, s16, vcc_lo
	s_wait_alu 0xfffe
	v_cndmask_b32_e32 v5, 0, v9, vcc_lo
	s_delay_alu instid0(VALU_DEP_2) | instskip(SKIP_1) | instid1(VALU_DEP_1)
	v_cndmask_b32_e64 v6, 0, v10, s16
	s_mov_b32 s16, 0x55555555
	v_add_f64_e32 v[9:10], 1.0, v[5:6]
	s_delay_alu instid0(VALU_DEP_1) | instskip(SKIP_3) | instid1(VALU_DEP_3)
	v_frexp_mant_f64_e32 v[71:72], v[9:10]
	v_frexp_exp_i32_f64_e32 v75, v[9:10]
	v_add_f64_e32 v[73:74], -1.0, v[9:10]
	s_wait_alu 0xfffe
	v_cmp_gt_f64_e32 vcc_lo, s[16:17], v[71:72]
	s_mov_b32 s16, 0x55555780
	s_delay_alu instid0(VALU_DEP_2) | instskip(SKIP_3) | instid1(VALU_DEP_3)
	v_add_f64_e64 v[71:72], v[73:74], -v[9:10]
	v_add_f64_e64 v[73:74], v[5:6], -v[73:74]
	s_wait_alu 0xfffd
	v_subrev_co_ci_u32_e64 v109, null, 0, v75, vcc_lo
	v_add_f64_e32 v[71:72], 1.0, v[71:72]
	v_cmp_nge_f64_e32 vcc_lo, -1.0, v[5:6]
	s_delay_alu instid0(VALU_DEP_3) | instskip(NEXT) | instid1(VALU_DEP_1)
	v_sub_nc_u32_e32 v77, 0, v109
	v_ldexp_f64 v[9:10], v[9:10], v77
	s_delay_alu instid0(VALU_DEP_4) | instskip(NEXT) | instid1(VALU_DEP_2)
	v_add_f64_e32 v[71:72], v[73:74], v[71:72]
	v_add_f64_e32 v[75:76], 1.0, v[9:10]
	v_add_f64_e32 v[81:82], -1.0, v[9:10]
	s_delay_alu instid0(VALU_DEP_3) | instskip(NEXT) | instid1(VALU_DEP_3)
	v_ldexp_f64 v[71:72], v[71:72], v77
	v_add_f64_e32 v[73:74], -1.0, v[75:76]
	s_delay_alu instid0(VALU_DEP_3) | instskip(NEXT) | instid1(VALU_DEP_2)
	v_add_f64_e32 v[101:102], 1.0, v[81:82]
	v_add_f64_e64 v[73:74], v[9:10], -v[73:74]
	s_delay_alu instid0(VALU_DEP_2) | instskip(NEXT) | instid1(VALU_DEP_2)
	v_add_f64_e64 v[9:10], v[9:10], -v[101:102]
	v_add_f64_e32 v[73:74], v[71:72], v[73:74]
	s_delay_alu instid0(VALU_DEP_2) | instskip(NEXT) | instid1(VALU_DEP_2)
	v_add_f64_e32 v[9:10], v[71:72], v[9:10]
	v_add_f64_e32 v[77:78], v[75:76], v[73:74]
	s_delay_alu instid0(VALU_DEP_2) | instskip(NEXT) | instid1(VALU_DEP_2)
	v_add_f64_e32 v[101:102], v[81:82], v[9:10]
	v_rcp_f64_e32 v[79:80], v[77:78]
	v_add_f64_e64 v[75:76], v[77:78], -v[75:76]
	s_delay_alu instid0(VALU_DEP_2) | instskip(NEXT) | instid1(VALU_DEP_2)
	v_add_f64_e64 v[81:82], v[101:102], -v[81:82]
	v_add_f64_e64 v[73:74], v[73:74], -v[75:76]
	s_delay_alu instid0(TRANS32_DEP_1) | instskip(NEXT) | instid1(VALU_DEP_3)
	v_fma_f64 v[103:104], -v[77:78], v[79:80], 1.0
	v_add_f64_e64 v[9:10], v[9:10], -v[81:82]
	s_delay_alu instid0(VALU_DEP_2) | instskip(NEXT) | instid1(VALU_DEP_1)
	v_fma_f64 v[79:80], v[103:104], v[79:80], v[79:80]
	v_fma_f64 v[71:72], -v[77:78], v[79:80], 1.0
	s_delay_alu instid0(VALU_DEP_1) | instskip(NEXT) | instid1(VALU_DEP_1)
	v_fma_f64 v[71:72], v[71:72], v[79:80], v[79:80]
	v_mul_f64_e32 v[79:80], v[101:102], v[71:72]
	s_delay_alu instid0(VALU_DEP_1) | instskip(NEXT) | instid1(VALU_DEP_1)
	v_mul_f64_e32 v[103:104], v[77:78], v[79:80]
	v_fma_f64 v[75:76], v[79:80], v[77:78], -v[103:104]
	s_delay_alu instid0(VALU_DEP_1) | instskip(NEXT) | instid1(VALU_DEP_1)
	v_fma_f64 v[75:76], v[79:80], v[73:74], v[75:76]
	v_add_f64_e32 v[105:106], v[103:104], v[75:76]
	s_delay_alu instid0(VALU_DEP_1) | instskip(SKIP_1) | instid1(VALU_DEP_2)
	v_add_f64_e64 v[107:108], v[101:102], -v[105:106]
	v_add_f64_e64 v[81:82], v[105:106], -v[103:104]
	;; [unrolled: 1-line block ×3, first 2 shown]
	s_delay_alu instid0(VALU_DEP_2) | instskip(NEXT) | instid1(VALU_DEP_2)
	v_add_f64_e64 v[75:76], v[81:82], -v[75:76]
	v_add_f64_e64 v[101:102], v[101:102], -v[105:106]
	s_delay_alu instid0(VALU_DEP_1) | instskip(NEXT) | instid1(VALU_DEP_1)
	v_add_f64_e32 v[9:10], v[9:10], v[101:102]
	v_add_f64_e32 v[9:10], v[75:76], v[9:10]
	s_delay_alu instid0(VALU_DEP_1) | instskip(NEXT) | instid1(VALU_DEP_1)
	v_add_f64_e32 v[75:76], v[107:108], v[9:10]
	v_mul_f64_e32 v[81:82], v[71:72], v[75:76]
	v_add_f64_e64 v[105:106], v[107:108], -v[75:76]
	s_delay_alu instid0(VALU_DEP_2) | instskip(NEXT) | instid1(VALU_DEP_2)
	v_mul_f64_e32 v[101:102], v[77:78], v[81:82]
	v_add_f64_e32 v[9:10], v[9:10], v[105:106]
	s_delay_alu instid0(VALU_DEP_2) | instskip(NEXT) | instid1(VALU_DEP_1)
	v_fma_f64 v[77:78], v[81:82], v[77:78], -v[101:102]
	v_fma_f64 v[73:74], v[81:82], v[73:74], v[77:78]
	s_delay_alu instid0(VALU_DEP_1) | instskip(NEXT) | instid1(VALU_DEP_1)
	v_add_f64_e32 v[77:78], v[101:102], v[73:74]
	v_add_f64_e64 v[103:104], v[75:76], -v[77:78]
	v_add_f64_e64 v[101:102], v[77:78], -v[101:102]
	s_delay_alu instid0(VALU_DEP_2) | instskip(NEXT) | instid1(VALU_DEP_2)
	v_add_f64_e64 v[75:76], v[75:76], -v[103:104]
	v_add_f64_e64 v[73:74], v[101:102], -v[73:74]
	s_delay_alu instid0(VALU_DEP_2) | instskip(NEXT) | instid1(VALU_DEP_1)
	v_add_f64_e64 v[75:76], v[75:76], -v[77:78]
	v_add_f64_e32 v[9:10], v[9:10], v[75:76]
	v_add_f64_e32 v[75:76], v[79:80], v[81:82]
	s_delay_alu instid0(VALU_DEP_2) | instskip(NEXT) | instid1(VALU_DEP_2)
	v_add_f64_e32 v[9:10], v[73:74], v[9:10]
	v_add_f64_e64 v[73:74], v[75:76], -v[79:80]
	s_delay_alu instid0(VALU_DEP_2) | instskip(NEXT) | instid1(VALU_DEP_2)
	v_add_f64_e32 v[9:10], v[103:104], v[9:10]
	v_add_f64_e64 v[73:74], v[81:82], -v[73:74]
	s_delay_alu instid0(VALU_DEP_2) | instskip(NEXT) | instid1(VALU_DEP_1)
	v_mul_f64_e32 v[9:10], v[71:72], v[9:10]
	v_add_f64_e32 v[9:10], v[73:74], v[9:10]
	s_delay_alu instid0(VALU_DEP_1) | instskip(NEXT) | instid1(VALU_DEP_1)
	v_add_f64_e32 v[71:72], v[75:76], v[9:10]
	v_mul_f64_e32 v[73:74], v[71:72], v[71:72]
	s_delay_alu instid0(VALU_DEP_1) | instskip(SKIP_4) | instid1(VALU_DEP_2)
	v_fma_f64 v[77:78], v[73:74], s[42:43], s[40:41]
	s_mov_b32 s40, 0xd7f4df2e
	s_mov_b32 s41, 0x3fc7474d
	v_mul_f64_e32 v[79:80], v[71:72], v[73:74]
	s_wait_alu 0xfffe
	v_fma_f64 v[77:78], v[73:74], v[77:78], s[40:41]
	s_mov_b32 s40, 0x16291751
	s_mov_b32 s41, 0x3fcc71c0
	s_wait_alu 0xfffe
	s_delay_alu instid0(VALU_DEP_1) | instskip(SKIP_3) | instid1(VALU_DEP_1)
	v_fma_f64 v[77:78], v[73:74], v[77:78], s[40:41]
	s_mov_b32 s40, 0x9b27acf1
	s_mov_b32 s41, 0x3fd24924
	s_wait_alu 0xfffe
	v_fma_f64 v[77:78], v[73:74], v[77:78], s[40:41]
	s_mov_b32 s40, 0x998ef7b6
	s_mov_b32 s41, 0x3fd99999
	s_wait_alu 0xfffe
	s_delay_alu instid0(VALU_DEP_1) | instskip(NEXT) | instid1(VALU_DEP_1)
	v_fma_f64 v[77:78], v[73:74], v[77:78], s[40:41]
	v_fma_f64 v[73:74], v[73:74], v[77:78], s[16:17]
	v_ldexp_f64 v[77:78], v[71:72], 1
	v_add_f64_e64 v[71:72], v[71:72], -v[75:76]
	v_cmp_neq_f64_e64 s16, 0x7ff00000, v[5:6]
	v_cmp_ngt_f64_e64 s17, -1.0, v[5:6]
	v_mul_f64_e32 v[73:74], v[79:80], v[73:74]
	v_cvt_f64_i32_e32 v[79:80], v109
	v_add_f64_e64 v[9:10], v[9:10], -v[71:72]
	s_and_b32 vcc_lo, vcc_lo, s16
	s_delay_alu instid0(VALU_DEP_3) | instskip(NEXT) | instid1(VALU_DEP_3)
	v_add_f64_e32 v[75:76], v[77:78], v[73:74]
	v_mul_f64_e32 v[81:82], s[18:19], v[79:80]
	s_delay_alu instid0(VALU_DEP_3) | instskip(NEXT) | instid1(VALU_DEP_3)
	v_ldexp_f64 v[9:10], v[9:10], 1
	v_add_f64_e64 v[71:72], v[75:76], -v[77:78]
	s_delay_alu instid0(VALU_DEP_3) | instskip(NEXT) | instid1(VALU_DEP_2)
	v_fma_f64 v[77:78], v[79:80], s[18:19], -v[81:82]
	v_add_f64_e64 v[71:72], v[73:74], -v[71:72]
	s_delay_alu instid0(VALU_DEP_2) | instskip(NEXT) | instid1(VALU_DEP_2)
	v_fma_f64 v[73:74], v[79:80], s[36:37], v[77:78]
	v_add_f64_e32 v[9:10], v[9:10], v[71:72]
	s_delay_alu instid0(VALU_DEP_2) | instskip(NEXT) | instid1(VALU_DEP_2)
	v_add_f64_e32 v[71:72], v[81:82], v[73:74]
	v_add_f64_e32 v[77:78], v[75:76], v[9:10]
	s_delay_alu instid0(VALU_DEP_2) | instskip(NEXT) | instid1(VALU_DEP_2)
	v_add_f64_e64 v[81:82], v[71:72], -v[81:82]
	v_add_f64_e32 v[79:80], v[71:72], v[77:78]
	v_add_f64_e64 v[75:76], v[77:78], -v[75:76]
	s_delay_alu instid0(VALU_DEP_3) | instskip(NEXT) | instid1(VALU_DEP_3)
	v_add_f64_e64 v[73:74], v[73:74], -v[81:82]
	v_add_f64_e64 v[101:102], v[79:80], -v[71:72]
	s_delay_alu instid0(VALU_DEP_3) | instskip(NEXT) | instid1(VALU_DEP_2)
	v_add_f64_e64 v[9:10], v[9:10], -v[75:76]
	v_add_f64_e64 v[103:104], v[79:80], -v[101:102]
	v_add_f64_e64 v[75:76], v[77:78], -v[101:102]
	s_delay_alu instid0(VALU_DEP_3) | instskip(NEXT) | instid1(VALU_DEP_3)
	v_add_f64_e32 v[77:78], v[73:74], v[9:10]
	v_add_f64_e64 v[71:72], v[71:72], -v[103:104]
	s_delay_alu instid0(VALU_DEP_1) | instskip(NEXT) | instid1(VALU_DEP_3)
	v_add_f64_e32 v[71:72], v[75:76], v[71:72]
	v_add_f64_e64 v[75:76], v[77:78], -v[73:74]
	s_delay_alu instid0(VALU_DEP_2) | instskip(NEXT) | instid1(VALU_DEP_2)
	v_add_f64_e32 v[71:72], v[77:78], v[71:72]
	v_add_f64_e64 v[77:78], v[77:78], -v[75:76]
	v_add_f64_e64 v[9:10], v[9:10], -v[75:76]
	s_delay_alu instid0(VALU_DEP_3) | instskip(NEXT) | instid1(VALU_DEP_3)
	v_add_f64_e32 v[81:82], v[79:80], v[71:72]
	v_add_f64_e64 v[73:74], v[73:74], -v[77:78]
	s_delay_alu instid0(VALU_DEP_2) | instskip(NEXT) | instid1(VALU_DEP_2)
	v_add_f64_e64 v[75:76], v[81:82], -v[79:80]
	v_add_f64_e32 v[9:10], v[9:10], v[73:74]
	s_delay_alu instid0(VALU_DEP_2) | instskip(NEXT) | instid1(VALU_DEP_1)
	v_add_f64_e64 v[71:72], v[71:72], -v[75:76]
	v_add_f64_e32 v[9:10], v[9:10], v[71:72]
	s_delay_alu instid0(VALU_DEP_1) | instskip(SKIP_1) | instid1(VALU_DEP_1)
	v_add_f64_e32 v[9:10], v[81:82], v[9:10]
	s_wait_alu 0xfffe
	v_cndmask_b32_e32 v9, 0, v9, vcc_lo
	v_cmp_neq_f64_e32 vcc_lo, -1.0, v[5:6]
	s_delay_alu instid0(VALU_DEP_3) | instskip(NEXT) | instid1(VALU_DEP_1)
	v_cndmask_b32_e64 v10, 0x7ff00000, v10, s16
	v_cndmask_b32_e64 v10, 0x7ff80000, v10, s17
	s_wait_alu 0xfffd
	s_delay_alu instid0(VALU_DEP_1) | instskip(NEXT) | instid1(VALU_DEP_1)
	v_cndmask_b32_e32 v10, 0xfff00000, v10, vcc_lo
	v_add_f64_e32 v[5:6], v[7:8], v[9:10]
.LBB6_52:
	s_wait_alu 0xfffe
	s_or_b32 exec_lo, exec_lo, s38
	v_mbcnt_lo_u32_b32 v101, -1, 0
	s_delay_alu instid0(VALU_DEP_2) | instskip(NEXT) | instid1(VALU_DEP_3)
	v_mov_b32_dpp v7, v5 row_shr:1 row_mask:0xf bank_mask:0xf
	v_mov_b32_dpp v8, v6 row_shr:1 row_mask:0xf bank_mask:0xf
	v_mov_b32_e32 v9, v5
	s_mov_b32 s38, exec_lo
	v_dual_mov_b32 v10, v6 :: v_dual_and_b32 v71, 15, v101
	s_delay_alu instid0(VALU_DEP_1)
	v_cmpx_ne_u32_e32 0, v71
	s_cbranch_execz .LBB6_56
; %bb.53:
	v_max_num_f64_e32 v[9:10], v[7:8], v[7:8]
	v_max_num_f64_e32 v[72:73], v[5:6], v[5:6]
	v_cmp_u_f64_e32 vcc_lo, v[7:8], v[7:8]
	v_cmp_u_f64_e64 s16, v[5:6], v[5:6]
	s_delay_alu instid0(VALU_DEP_3) | instskip(SKIP_2) | instid1(VALU_DEP_2)
	v_min_num_f64_e32 v[74:75], v[9:10], v[72:73]
	v_max_num_f64_e32 v[9:10], v[9:10], v[72:73]
	s_wait_alu 0xfffd
	v_dual_cndmask_b32 v72, v75, v8 :: v_dual_cndmask_b32 v73, v74, v7
	s_delay_alu instid0(VALU_DEP_2) | instskip(SKIP_1) | instid1(VALU_DEP_2)
	v_dual_cndmask_b32 v74, v10, v8 :: v_dual_cndmask_b32 v75, v9, v7
	s_wait_alu 0xf1ff
	v_cndmask_b32_e64 v10, v72, v6, s16
	s_delay_alu instid0(VALU_DEP_3) | instskip(NEXT) | instid1(VALU_DEP_3)
	v_cndmask_b32_e64 v9, v73, v5, s16
	v_cndmask_b32_e64 v6, v74, v6, s16
	;; [unrolled: 1-line block ×3, first 2 shown]
	s_delay_alu instid0(VALU_DEP_3) | instskip(NEXT) | instid1(VALU_DEP_2)
	v_cmp_class_f64_e64 s16, v[9:10], 0x1f8
	v_cmp_neq_f64_e32 vcc_lo, v[9:10], v[5:6]
	s_or_b32 s16, vcc_lo, s16
	s_wait_alu 0xfffe
	s_and_saveexec_b32 s39, s16
	s_cbranch_execz .LBB6_55
; %bb.54:
	v_add_f64_e64 v[7:8], v[9:10], -v[5:6]
	s_mov_b32 s16, 0x652b82fe
	s_mov_b32 s17, 0x3ff71547
	;; [unrolled: 1-line block ×10, first 2 shown]
	s_wait_alu 0xfffe
	s_delay_alu instid0(VALU_DEP_1) | instskip(SKIP_3) | instid1(VALU_DEP_2)
	v_mul_f64_e32 v[9:10], s[16:17], v[7:8]
	s_mov_b32 s16, 0xfca7ab0c
	s_mov_b32 s17, 0x3e928af3
	v_cmp_nlt_f64_e32 vcc_lo, 0x40900000, v[7:8]
	v_rndne_f64_e32 v[9:10], v[9:10]
	s_delay_alu instid0(VALU_DEP_1) | instskip(SKIP_2) | instid1(VALU_DEP_2)
	v_fma_f64 v[72:73], v[9:10], s[18:19], v[7:8]
	v_cvt_i32_f64_e32 v76, v[9:10]
	s_mov_b32 s19, 0x3fe62e42
	v_fma_f64 v[72:73], v[9:10], s[36:37], v[72:73]
	s_mov_b32 s37, 0x3c7abc9e
	s_wait_alu 0xfffe
	s_delay_alu instid0(VALU_DEP_1)
	v_fma_f64 v[74:75], v[72:73], s[40:41], s[16:17]
	s_mov_b32 s16, 0x623fde64
	s_mov_b32 s17, 0x3ec71dee
	;; [unrolled: 1-line block ×4, first 2 shown]
	s_wait_alu 0xfffe
	s_delay_alu instid0(VALU_DEP_1) | instskip(SKIP_3) | instid1(VALU_DEP_1)
	v_fma_f64 v[74:75], v[72:73], v[74:75], s[16:17]
	s_mov_b32 s16, 0x7c89e6b0
	s_mov_b32 s17, 0x3efa0199
	s_wait_alu 0xfffe
	v_fma_f64 v[74:75], v[72:73], v[74:75], s[16:17]
	s_mov_b32 s16, 0x14761f6e
	s_mov_b32 s17, 0x3f2a01a0
	s_wait_alu 0xfffe
	s_delay_alu instid0(VALU_DEP_1) | instskip(SKIP_3) | instid1(VALU_DEP_1)
	v_fma_f64 v[74:75], v[72:73], v[74:75], s[16:17]
	s_mov_b32 s16, 0x1852b7b0
	s_mov_b32 s17, 0x3f56c16c
	s_wait_alu 0xfffe
	v_fma_f64 v[74:75], v[72:73], v[74:75], s[16:17]
	s_mov_b32 s16, 0x11122322
	s_mov_b32 s17, 0x3f811111
	;; [unrolled: 9-line block ×3, first 2 shown]
	s_wait_alu 0xfffe
	s_delay_alu instid0(VALU_DEP_1) | instskip(SKIP_3) | instid1(VALU_DEP_1)
	v_fma_f64 v[74:75], v[72:73], v[74:75], s[16:17]
	s_mov_b32 s16, 11
	s_mov_b32 s17, 0x3fe00000
	s_wait_alu 0xfffe
	v_fma_f64 v[74:75], v[72:73], v[74:75], s[16:17]
	v_cmp_ngt_f64_e64 s16, 0xc090cc00, v[7:8]
	s_mov_b32 s17, 0x3fe55555
	v_fma_f64 v[74:75], v[72:73], v[74:75], 1.0
	s_delay_alu instid0(VALU_DEP_1) | instskip(NEXT) | instid1(VALU_DEP_1)
	v_fma_f64 v[9:10], v[72:73], v[74:75], 1.0
	v_ldexp_f64 v[9:10], v[9:10], v76
	s_wait_alu 0xfffd
	s_delay_alu instid0(VALU_DEP_1) | instskip(SKIP_2) | instid1(VALU_DEP_2)
	v_cndmask_b32_e32 v10, 0x7ff00000, v10, vcc_lo
	s_and_b32 vcc_lo, s16, vcc_lo
	s_wait_alu 0xfffe
	v_cndmask_b32_e32 v7, 0, v9, vcc_lo
	s_delay_alu instid0(VALU_DEP_2) | instskip(SKIP_1) | instid1(VALU_DEP_1)
	v_cndmask_b32_e64 v8, 0, v10, s16
	s_mov_b32 s16, 0x55555555
	v_add_f64_e32 v[9:10], 1.0, v[7:8]
	s_delay_alu instid0(VALU_DEP_1) | instskip(SKIP_3) | instid1(VALU_DEP_3)
	v_frexp_mant_f64_e32 v[72:73], v[9:10]
	v_frexp_exp_i32_f64_e32 v76, v[9:10]
	v_add_f64_e32 v[74:75], -1.0, v[9:10]
	s_wait_alu 0xfffe
	v_cmp_gt_f64_e32 vcc_lo, s[16:17], v[72:73]
	s_mov_b32 s16, 0x55555780
	s_delay_alu instid0(VALU_DEP_2) | instskip(SKIP_3) | instid1(VALU_DEP_3)
	v_add_f64_e64 v[72:73], v[74:75], -v[9:10]
	v_add_f64_e64 v[74:75], v[7:8], -v[74:75]
	s_wait_alu 0xfffd
	v_subrev_co_ci_u32_e64 v82, null, 0, v76, vcc_lo
	v_add_f64_e32 v[72:73], 1.0, v[72:73]
	v_cmp_nge_f64_e32 vcc_lo, -1.0, v[7:8]
	s_delay_alu instid0(VALU_DEP_3) | instskip(NEXT) | instid1(VALU_DEP_1)
	v_sub_nc_u32_e32 v78, 0, v82
	v_ldexp_f64 v[9:10], v[9:10], v78
	s_delay_alu instid0(VALU_DEP_4) | instskip(NEXT) | instid1(VALU_DEP_2)
	v_add_f64_e32 v[72:73], v[74:75], v[72:73]
	v_add_f64_e32 v[76:77], 1.0, v[9:10]
	v_add_f64_e32 v[102:103], -1.0, v[9:10]
	s_delay_alu instid0(VALU_DEP_3) | instskip(NEXT) | instid1(VALU_DEP_3)
	v_ldexp_f64 v[72:73], v[72:73], v78
	v_add_f64_e32 v[74:75], -1.0, v[76:77]
	s_delay_alu instid0(VALU_DEP_3) | instskip(NEXT) | instid1(VALU_DEP_2)
	v_add_f64_e32 v[104:105], 1.0, v[102:103]
	v_add_f64_e64 v[74:75], v[9:10], -v[74:75]
	s_delay_alu instid0(VALU_DEP_2) | instskip(NEXT) | instid1(VALU_DEP_2)
	v_add_f64_e64 v[9:10], v[9:10], -v[104:105]
	v_add_f64_e32 v[74:75], v[72:73], v[74:75]
	s_delay_alu instid0(VALU_DEP_2) | instskip(NEXT) | instid1(VALU_DEP_2)
	v_add_f64_e32 v[9:10], v[72:73], v[9:10]
	v_add_f64_e32 v[78:79], v[76:77], v[74:75]
	s_delay_alu instid0(VALU_DEP_2) | instskip(NEXT) | instid1(VALU_DEP_2)
	v_add_f64_e32 v[104:105], v[102:103], v[9:10]
	v_rcp_f64_e32 v[80:81], v[78:79]
	v_add_f64_e64 v[76:77], v[78:79], -v[76:77]
	s_delay_alu instid0(VALU_DEP_2) | instskip(NEXT) | instid1(VALU_DEP_2)
	v_add_f64_e64 v[102:103], v[104:105], -v[102:103]
	v_add_f64_e64 v[74:75], v[74:75], -v[76:77]
	s_delay_alu instid0(TRANS32_DEP_1) | instskip(NEXT) | instid1(VALU_DEP_3)
	v_fma_f64 v[106:107], -v[78:79], v[80:81], 1.0
	v_add_f64_e64 v[9:10], v[9:10], -v[102:103]
	s_delay_alu instid0(VALU_DEP_2) | instskip(NEXT) | instid1(VALU_DEP_1)
	v_fma_f64 v[80:81], v[106:107], v[80:81], v[80:81]
	v_fma_f64 v[72:73], -v[78:79], v[80:81], 1.0
	s_delay_alu instid0(VALU_DEP_1) | instskip(NEXT) | instid1(VALU_DEP_1)
	v_fma_f64 v[72:73], v[72:73], v[80:81], v[80:81]
	v_mul_f64_e32 v[80:81], v[104:105], v[72:73]
	s_delay_alu instid0(VALU_DEP_1) | instskip(NEXT) | instid1(VALU_DEP_1)
	v_mul_f64_e32 v[106:107], v[78:79], v[80:81]
	v_fma_f64 v[76:77], v[80:81], v[78:79], -v[106:107]
	s_delay_alu instid0(VALU_DEP_1) | instskip(NEXT) | instid1(VALU_DEP_1)
	v_fma_f64 v[76:77], v[80:81], v[74:75], v[76:77]
	v_add_f64_e32 v[108:109], v[106:107], v[76:77]
	s_delay_alu instid0(VALU_DEP_1) | instskip(SKIP_1) | instid1(VALU_DEP_2)
	v_add_f64_e64 v[110:111], v[104:105], -v[108:109]
	v_add_f64_e64 v[102:103], v[108:109], -v[106:107]
	;; [unrolled: 1-line block ×3, first 2 shown]
	s_delay_alu instid0(VALU_DEP_2) | instskip(NEXT) | instid1(VALU_DEP_2)
	v_add_f64_e64 v[76:77], v[102:103], -v[76:77]
	v_add_f64_e64 v[104:105], v[104:105], -v[108:109]
	s_delay_alu instid0(VALU_DEP_1) | instskip(NEXT) | instid1(VALU_DEP_1)
	v_add_f64_e32 v[9:10], v[9:10], v[104:105]
	v_add_f64_e32 v[9:10], v[76:77], v[9:10]
	s_delay_alu instid0(VALU_DEP_1) | instskip(NEXT) | instid1(VALU_DEP_1)
	v_add_f64_e32 v[76:77], v[110:111], v[9:10]
	v_mul_f64_e32 v[102:103], v[72:73], v[76:77]
	v_add_f64_e64 v[108:109], v[110:111], -v[76:77]
	s_delay_alu instid0(VALU_DEP_2) | instskip(NEXT) | instid1(VALU_DEP_2)
	v_mul_f64_e32 v[104:105], v[78:79], v[102:103]
	v_add_f64_e32 v[9:10], v[9:10], v[108:109]
	s_delay_alu instid0(VALU_DEP_2) | instskip(NEXT) | instid1(VALU_DEP_1)
	v_fma_f64 v[78:79], v[102:103], v[78:79], -v[104:105]
	v_fma_f64 v[74:75], v[102:103], v[74:75], v[78:79]
	s_delay_alu instid0(VALU_DEP_1) | instskip(NEXT) | instid1(VALU_DEP_1)
	v_add_f64_e32 v[78:79], v[104:105], v[74:75]
	v_add_f64_e64 v[106:107], v[76:77], -v[78:79]
	v_add_f64_e64 v[104:105], v[78:79], -v[104:105]
	s_delay_alu instid0(VALU_DEP_2) | instskip(NEXT) | instid1(VALU_DEP_2)
	v_add_f64_e64 v[76:77], v[76:77], -v[106:107]
	v_add_f64_e64 v[74:75], v[104:105], -v[74:75]
	s_delay_alu instid0(VALU_DEP_2) | instskip(NEXT) | instid1(VALU_DEP_1)
	v_add_f64_e64 v[76:77], v[76:77], -v[78:79]
	v_add_f64_e32 v[9:10], v[9:10], v[76:77]
	v_add_f64_e32 v[76:77], v[80:81], v[102:103]
	s_delay_alu instid0(VALU_DEP_2) | instskip(NEXT) | instid1(VALU_DEP_2)
	v_add_f64_e32 v[9:10], v[74:75], v[9:10]
	v_add_f64_e64 v[74:75], v[76:77], -v[80:81]
	s_delay_alu instid0(VALU_DEP_2) | instskip(NEXT) | instid1(VALU_DEP_2)
	v_add_f64_e32 v[9:10], v[106:107], v[9:10]
	v_add_f64_e64 v[74:75], v[102:103], -v[74:75]
	s_delay_alu instid0(VALU_DEP_2) | instskip(NEXT) | instid1(VALU_DEP_1)
	v_mul_f64_e32 v[9:10], v[72:73], v[9:10]
	v_add_f64_e32 v[9:10], v[74:75], v[9:10]
	s_delay_alu instid0(VALU_DEP_1) | instskip(NEXT) | instid1(VALU_DEP_1)
	v_add_f64_e32 v[72:73], v[76:77], v[9:10]
	v_mul_f64_e32 v[74:75], v[72:73], v[72:73]
	s_delay_alu instid0(VALU_DEP_1) | instskip(SKIP_4) | instid1(VALU_DEP_2)
	v_fma_f64 v[78:79], v[74:75], s[42:43], s[40:41]
	s_mov_b32 s40, 0xd7f4df2e
	s_mov_b32 s41, 0x3fc7474d
	v_mul_f64_e32 v[80:81], v[72:73], v[74:75]
	s_wait_alu 0xfffe
	v_fma_f64 v[78:79], v[74:75], v[78:79], s[40:41]
	s_mov_b32 s40, 0x16291751
	s_mov_b32 s41, 0x3fcc71c0
	s_wait_alu 0xfffe
	s_delay_alu instid0(VALU_DEP_1) | instskip(SKIP_3) | instid1(VALU_DEP_1)
	v_fma_f64 v[78:79], v[74:75], v[78:79], s[40:41]
	s_mov_b32 s40, 0x9b27acf1
	s_mov_b32 s41, 0x3fd24924
	s_wait_alu 0xfffe
	v_fma_f64 v[78:79], v[74:75], v[78:79], s[40:41]
	s_mov_b32 s40, 0x998ef7b6
	s_mov_b32 s41, 0x3fd99999
	s_wait_alu 0xfffe
	s_delay_alu instid0(VALU_DEP_1) | instskip(NEXT) | instid1(VALU_DEP_1)
	v_fma_f64 v[78:79], v[74:75], v[78:79], s[40:41]
	v_fma_f64 v[74:75], v[74:75], v[78:79], s[16:17]
	v_ldexp_f64 v[78:79], v[72:73], 1
	v_add_f64_e64 v[72:73], v[72:73], -v[76:77]
	v_cmp_neq_f64_e64 s16, 0x7ff00000, v[7:8]
	v_cmp_ngt_f64_e64 s17, -1.0, v[7:8]
	v_mul_f64_e32 v[74:75], v[80:81], v[74:75]
	v_cvt_f64_i32_e32 v[80:81], v82
	v_add_f64_e64 v[9:10], v[9:10], -v[72:73]
	s_and_b32 vcc_lo, vcc_lo, s16
	s_delay_alu instid0(VALU_DEP_3) | instskip(NEXT) | instid1(VALU_DEP_3)
	v_add_f64_e32 v[76:77], v[78:79], v[74:75]
	v_mul_f64_e32 v[102:103], s[18:19], v[80:81]
	s_delay_alu instid0(VALU_DEP_3) | instskip(NEXT) | instid1(VALU_DEP_3)
	v_ldexp_f64 v[9:10], v[9:10], 1
	v_add_f64_e64 v[72:73], v[76:77], -v[78:79]
	s_delay_alu instid0(VALU_DEP_3) | instskip(NEXT) | instid1(VALU_DEP_2)
	v_fma_f64 v[78:79], v[80:81], s[18:19], -v[102:103]
	v_add_f64_e64 v[72:73], v[74:75], -v[72:73]
	s_delay_alu instid0(VALU_DEP_2) | instskip(NEXT) | instid1(VALU_DEP_2)
	v_fma_f64 v[74:75], v[80:81], s[36:37], v[78:79]
	v_add_f64_e32 v[9:10], v[9:10], v[72:73]
	s_delay_alu instid0(VALU_DEP_2) | instskip(NEXT) | instid1(VALU_DEP_2)
	v_add_f64_e32 v[72:73], v[102:103], v[74:75]
	v_add_f64_e32 v[78:79], v[76:77], v[9:10]
	s_delay_alu instid0(VALU_DEP_2) | instskip(NEXT) | instid1(VALU_DEP_2)
	v_add_f64_e64 v[102:103], v[72:73], -v[102:103]
	v_add_f64_e32 v[80:81], v[72:73], v[78:79]
	v_add_f64_e64 v[76:77], v[78:79], -v[76:77]
	s_delay_alu instid0(VALU_DEP_3) | instskip(NEXT) | instid1(VALU_DEP_3)
	v_add_f64_e64 v[74:75], v[74:75], -v[102:103]
	v_add_f64_e64 v[104:105], v[80:81], -v[72:73]
	s_delay_alu instid0(VALU_DEP_3) | instskip(NEXT) | instid1(VALU_DEP_2)
	v_add_f64_e64 v[9:10], v[9:10], -v[76:77]
	v_add_f64_e64 v[106:107], v[80:81], -v[104:105]
	;; [unrolled: 1-line block ×3, first 2 shown]
	s_delay_alu instid0(VALU_DEP_3) | instskip(NEXT) | instid1(VALU_DEP_3)
	v_add_f64_e32 v[78:79], v[74:75], v[9:10]
	v_add_f64_e64 v[72:73], v[72:73], -v[106:107]
	s_delay_alu instid0(VALU_DEP_1) | instskip(NEXT) | instid1(VALU_DEP_3)
	v_add_f64_e32 v[72:73], v[76:77], v[72:73]
	v_add_f64_e64 v[76:77], v[78:79], -v[74:75]
	s_delay_alu instid0(VALU_DEP_2) | instskip(NEXT) | instid1(VALU_DEP_2)
	v_add_f64_e32 v[72:73], v[78:79], v[72:73]
	v_add_f64_e64 v[78:79], v[78:79], -v[76:77]
	v_add_f64_e64 v[9:10], v[9:10], -v[76:77]
	s_delay_alu instid0(VALU_DEP_3) | instskip(NEXT) | instid1(VALU_DEP_3)
	v_add_f64_e32 v[102:103], v[80:81], v[72:73]
	v_add_f64_e64 v[74:75], v[74:75], -v[78:79]
	s_delay_alu instid0(VALU_DEP_2) | instskip(NEXT) | instid1(VALU_DEP_2)
	v_add_f64_e64 v[76:77], v[102:103], -v[80:81]
	v_add_f64_e32 v[9:10], v[9:10], v[74:75]
	s_delay_alu instid0(VALU_DEP_2) | instskip(NEXT) | instid1(VALU_DEP_1)
	v_add_f64_e64 v[72:73], v[72:73], -v[76:77]
	v_add_f64_e32 v[9:10], v[9:10], v[72:73]
	s_delay_alu instid0(VALU_DEP_1) | instskip(SKIP_1) | instid1(VALU_DEP_1)
	v_add_f64_e32 v[9:10], v[102:103], v[9:10]
	s_wait_alu 0xfffe
	v_cndmask_b32_e32 v9, 0, v9, vcc_lo
	v_cmp_neq_f64_e32 vcc_lo, -1.0, v[7:8]
	s_delay_alu instid0(VALU_DEP_3) | instskip(NEXT) | instid1(VALU_DEP_1)
	v_cndmask_b32_e64 v10, 0x7ff00000, v10, s16
	v_cndmask_b32_e64 v10, 0x7ff80000, v10, s17
	s_wait_alu 0xfffd
	s_delay_alu instid0(VALU_DEP_1) | instskip(NEXT) | instid1(VALU_DEP_1)
	v_cndmask_b32_e32 v10, 0xfff00000, v10, vcc_lo
	v_add_f64_e32 v[7:8], v[5:6], v[9:10]
.LBB6_55:
	s_wait_alu 0xfffe
	s_or_b32 exec_lo, exec_lo, s39
	s_delay_alu instid0(VALU_DEP_1)
	v_dual_mov_b32 v9, v7 :: v_dual_mov_b32 v10, v8
	v_dual_mov_b32 v5, v7 :: v_dual_mov_b32 v6, v8
.LBB6_56:
	s_wait_alu 0xfffe
	s_or_b32 exec_lo, exec_lo, s38
	s_delay_alu instid0(VALU_DEP_2)
	v_mov_b32_dpp v7, v9 row_shr:2 row_mask:0xf bank_mask:0xf
	v_mov_b32_dpp v8, v10 row_shr:2 row_mask:0xf bank_mask:0xf
	s_mov_b32 s38, exec_lo
	v_cmpx_lt_u32_e32 1, v71
	s_cbranch_execz .LBB6_60
; %bb.57:
	s_delay_alu instid0(VALU_DEP_2) | instskip(SKIP_3) | instid1(VALU_DEP_3)
	v_max_num_f64_e32 v[9:10], v[7:8], v[7:8]
	v_max_num_f64_e32 v[72:73], v[5:6], v[5:6]
	v_cmp_u_f64_e32 vcc_lo, v[7:8], v[7:8]
	v_cmp_u_f64_e64 s16, v[5:6], v[5:6]
	v_min_num_f64_e32 v[74:75], v[9:10], v[72:73]
	v_max_num_f64_e32 v[9:10], v[9:10], v[72:73]
	s_wait_alu 0xfffd
	s_delay_alu instid0(VALU_DEP_2) | instskip(NEXT) | instid1(VALU_DEP_2)
	v_dual_cndmask_b32 v72, v75, v8 :: v_dual_cndmask_b32 v73, v74, v7
	v_dual_cndmask_b32 v74, v10, v8 :: v_dual_cndmask_b32 v75, v9, v7
	s_wait_alu 0xf1ff
	s_delay_alu instid0(VALU_DEP_2) | instskip(NEXT) | instid1(VALU_DEP_3)
	v_cndmask_b32_e64 v10, v72, v6, s16
	v_cndmask_b32_e64 v9, v73, v5, s16
	s_delay_alu instid0(VALU_DEP_3) | instskip(SKIP_1) | instid1(VALU_DEP_3)
	v_cndmask_b32_e64 v6, v74, v6, s16
	v_cndmask_b32_e64 v5, v75, v5, s16
	v_cmp_class_f64_e64 s16, v[9:10], 0x1f8
	s_delay_alu instid0(VALU_DEP_2)
	v_cmp_neq_f64_e32 vcc_lo, v[9:10], v[5:6]
	s_or_b32 s16, vcc_lo, s16
	s_wait_alu 0xfffe
	s_and_saveexec_b32 s39, s16
	s_cbranch_execz .LBB6_59
; %bb.58:
	v_add_f64_e64 v[7:8], v[9:10], -v[5:6]
	s_mov_b32 s16, 0x652b82fe
	s_mov_b32 s17, 0x3ff71547
	;; [unrolled: 1-line block ×10, first 2 shown]
	s_wait_alu 0xfffe
	s_delay_alu instid0(VALU_DEP_1) | instskip(SKIP_3) | instid1(VALU_DEP_2)
	v_mul_f64_e32 v[9:10], s[16:17], v[7:8]
	s_mov_b32 s16, 0xfca7ab0c
	s_mov_b32 s17, 0x3e928af3
	v_cmp_nlt_f64_e32 vcc_lo, 0x40900000, v[7:8]
	v_rndne_f64_e32 v[9:10], v[9:10]
	s_delay_alu instid0(VALU_DEP_1) | instskip(SKIP_2) | instid1(VALU_DEP_2)
	v_fma_f64 v[72:73], v[9:10], s[18:19], v[7:8]
	v_cvt_i32_f64_e32 v76, v[9:10]
	s_mov_b32 s19, 0x3fe62e42
	v_fma_f64 v[72:73], v[9:10], s[36:37], v[72:73]
	s_mov_b32 s37, 0x3c7abc9e
	s_wait_alu 0xfffe
	s_delay_alu instid0(VALU_DEP_1)
	v_fma_f64 v[74:75], v[72:73], s[40:41], s[16:17]
	s_mov_b32 s16, 0x623fde64
	s_mov_b32 s17, 0x3ec71dee
	;; [unrolled: 1-line block ×4, first 2 shown]
	s_wait_alu 0xfffe
	s_delay_alu instid0(VALU_DEP_1) | instskip(SKIP_3) | instid1(VALU_DEP_1)
	v_fma_f64 v[74:75], v[72:73], v[74:75], s[16:17]
	s_mov_b32 s16, 0x7c89e6b0
	s_mov_b32 s17, 0x3efa0199
	s_wait_alu 0xfffe
	v_fma_f64 v[74:75], v[72:73], v[74:75], s[16:17]
	s_mov_b32 s16, 0x14761f6e
	s_mov_b32 s17, 0x3f2a01a0
	s_wait_alu 0xfffe
	s_delay_alu instid0(VALU_DEP_1) | instskip(SKIP_3) | instid1(VALU_DEP_1)
	v_fma_f64 v[74:75], v[72:73], v[74:75], s[16:17]
	s_mov_b32 s16, 0x1852b7b0
	s_mov_b32 s17, 0x3f56c16c
	s_wait_alu 0xfffe
	v_fma_f64 v[74:75], v[72:73], v[74:75], s[16:17]
	s_mov_b32 s16, 0x11122322
	s_mov_b32 s17, 0x3f811111
	s_wait_alu 0xfffe
	s_delay_alu instid0(VALU_DEP_1) | instskip(SKIP_3) | instid1(VALU_DEP_1)
	v_fma_f64 v[74:75], v[72:73], v[74:75], s[16:17]
	s_mov_b32 s16, 0x555502a1
	s_mov_b32 s17, 0x3fa55555
	s_wait_alu 0xfffe
	v_fma_f64 v[74:75], v[72:73], v[74:75], s[16:17]
	s_mov_b32 s16, 0x55555511
	s_mov_b32 s17, 0x3fc55555
	s_wait_alu 0xfffe
	s_delay_alu instid0(VALU_DEP_1) | instskip(SKIP_3) | instid1(VALU_DEP_1)
	v_fma_f64 v[74:75], v[72:73], v[74:75], s[16:17]
	s_mov_b32 s16, 11
	s_mov_b32 s17, 0x3fe00000
	s_wait_alu 0xfffe
	v_fma_f64 v[74:75], v[72:73], v[74:75], s[16:17]
	v_cmp_ngt_f64_e64 s16, 0xc090cc00, v[7:8]
	s_mov_b32 s17, 0x3fe55555
	v_fma_f64 v[74:75], v[72:73], v[74:75], 1.0
	s_delay_alu instid0(VALU_DEP_1) | instskip(NEXT) | instid1(VALU_DEP_1)
	v_fma_f64 v[9:10], v[72:73], v[74:75], 1.0
	v_ldexp_f64 v[9:10], v[9:10], v76
	s_wait_alu 0xfffd
	s_delay_alu instid0(VALU_DEP_1) | instskip(SKIP_2) | instid1(VALU_DEP_2)
	v_cndmask_b32_e32 v10, 0x7ff00000, v10, vcc_lo
	s_and_b32 vcc_lo, s16, vcc_lo
	s_wait_alu 0xfffe
	v_cndmask_b32_e32 v7, 0, v9, vcc_lo
	s_delay_alu instid0(VALU_DEP_2) | instskip(SKIP_1) | instid1(VALU_DEP_1)
	v_cndmask_b32_e64 v8, 0, v10, s16
	s_mov_b32 s16, 0x55555555
	v_add_f64_e32 v[9:10], 1.0, v[7:8]
	s_delay_alu instid0(VALU_DEP_1) | instskip(SKIP_3) | instid1(VALU_DEP_3)
	v_frexp_mant_f64_e32 v[72:73], v[9:10]
	v_frexp_exp_i32_f64_e32 v76, v[9:10]
	v_add_f64_e32 v[74:75], -1.0, v[9:10]
	s_wait_alu 0xfffe
	v_cmp_gt_f64_e32 vcc_lo, s[16:17], v[72:73]
	s_mov_b32 s16, 0x55555780
	s_delay_alu instid0(VALU_DEP_2) | instskip(SKIP_3) | instid1(VALU_DEP_3)
	v_add_f64_e64 v[72:73], v[74:75], -v[9:10]
	v_add_f64_e64 v[74:75], v[7:8], -v[74:75]
	s_wait_alu 0xfffd
	v_subrev_co_ci_u32_e64 v82, null, 0, v76, vcc_lo
	v_add_f64_e32 v[72:73], 1.0, v[72:73]
	v_cmp_nge_f64_e32 vcc_lo, -1.0, v[7:8]
	s_delay_alu instid0(VALU_DEP_3) | instskip(NEXT) | instid1(VALU_DEP_1)
	v_sub_nc_u32_e32 v78, 0, v82
	v_ldexp_f64 v[9:10], v[9:10], v78
	s_delay_alu instid0(VALU_DEP_4) | instskip(NEXT) | instid1(VALU_DEP_2)
	v_add_f64_e32 v[72:73], v[74:75], v[72:73]
	v_add_f64_e32 v[76:77], 1.0, v[9:10]
	v_add_f64_e32 v[102:103], -1.0, v[9:10]
	s_delay_alu instid0(VALU_DEP_3) | instskip(NEXT) | instid1(VALU_DEP_3)
	v_ldexp_f64 v[72:73], v[72:73], v78
	v_add_f64_e32 v[74:75], -1.0, v[76:77]
	s_delay_alu instid0(VALU_DEP_3) | instskip(NEXT) | instid1(VALU_DEP_2)
	v_add_f64_e32 v[104:105], 1.0, v[102:103]
	v_add_f64_e64 v[74:75], v[9:10], -v[74:75]
	s_delay_alu instid0(VALU_DEP_2) | instskip(NEXT) | instid1(VALU_DEP_2)
	v_add_f64_e64 v[9:10], v[9:10], -v[104:105]
	v_add_f64_e32 v[74:75], v[72:73], v[74:75]
	s_delay_alu instid0(VALU_DEP_2) | instskip(NEXT) | instid1(VALU_DEP_2)
	v_add_f64_e32 v[9:10], v[72:73], v[9:10]
	v_add_f64_e32 v[78:79], v[76:77], v[74:75]
	s_delay_alu instid0(VALU_DEP_2) | instskip(NEXT) | instid1(VALU_DEP_2)
	v_add_f64_e32 v[104:105], v[102:103], v[9:10]
	v_rcp_f64_e32 v[80:81], v[78:79]
	v_add_f64_e64 v[76:77], v[78:79], -v[76:77]
	s_delay_alu instid0(VALU_DEP_2) | instskip(NEXT) | instid1(VALU_DEP_2)
	v_add_f64_e64 v[102:103], v[104:105], -v[102:103]
	v_add_f64_e64 v[74:75], v[74:75], -v[76:77]
	s_delay_alu instid0(TRANS32_DEP_1) | instskip(NEXT) | instid1(VALU_DEP_3)
	v_fma_f64 v[106:107], -v[78:79], v[80:81], 1.0
	v_add_f64_e64 v[9:10], v[9:10], -v[102:103]
	s_delay_alu instid0(VALU_DEP_2) | instskip(NEXT) | instid1(VALU_DEP_1)
	v_fma_f64 v[80:81], v[106:107], v[80:81], v[80:81]
	v_fma_f64 v[72:73], -v[78:79], v[80:81], 1.0
	s_delay_alu instid0(VALU_DEP_1) | instskip(NEXT) | instid1(VALU_DEP_1)
	v_fma_f64 v[72:73], v[72:73], v[80:81], v[80:81]
	v_mul_f64_e32 v[80:81], v[104:105], v[72:73]
	s_delay_alu instid0(VALU_DEP_1) | instskip(NEXT) | instid1(VALU_DEP_1)
	v_mul_f64_e32 v[106:107], v[78:79], v[80:81]
	v_fma_f64 v[76:77], v[80:81], v[78:79], -v[106:107]
	s_delay_alu instid0(VALU_DEP_1) | instskip(NEXT) | instid1(VALU_DEP_1)
	v_fma_f64 v[76:77], v[80:81], v[74:75], v[76:77]
	v_add_f64_e32 v[108:109], v[106:107], v[76:77]
	s_delay_alu instid0(VALU_DEP_1) | instskip(SKIP_1) | instid1(VALU_DEP_2)
	v_add_f64_e64 v[110:111], v[104:105], -v[108:109]
	v_add_f64_e64 v[102:103], v[108:109], -v[106:107]
	;; [unrolled: 1-line block ×3, first 2 shown]
	s_delay_alu instid0(VALU_DEP_2) | instskip(NEXT) | instid1(VALU_DEP_2)
	v_add_f64_e64 v[76:77], v[102:103], -v[76:77]
	v_add_f64_e64 v[104:105], v[104:105], -v[108:109]
	s_delay_alu instid0(VALU_DEP_1) | instskip(NEXT) | instid1(VALU_DEP_1)
	v_add_f64_e32 v[9:10], v[9:10], v[104:105]
	v_add_f64_e32 v[9:10], v[76:77], v[9:10]
	s_delay_alu instid0(VALU_DEP_1) | instskip(NEXT) | instid1(VALU_DEP_1)
	v_add_f64_e32 v[76:77], v[110:111], v[9:10]
	v_mul_f64_e32 v[102:103], v[72:73], v[76:77]
	v_add_f64_e64 v[108:109], v[110:111], -v[76:77]
	s_delay_alu instid0(VALU_DEP_2) | instskip(NEXT) | instid1(VALU_DEP_2)
	v_mul_f64_e32 v[104:105], v[78:79], v[102:103]
	v_add_f64_e32 v[9:10], v[9:10], v[108:109]
	s_delay_alu instid0(VALU_DEP_2) | instskip(NEXT) | instid1(VALU_DEP_1)
	v_fma_f64 v[78:79], v[102:103], v[78:79], -v[104:105]
	v_fma_f64 v[74:75], v[102:103], v[74:75], v[78:79]
	s_delay_alu instid0(VALU_DEP_1) | instskip(NEXT) | instid1(VALU_DEP_1)
	v_add_f64_e32 v[78:79], v[104:105], v[74:75]
	v_add_f64_e64 v[106:107], v[76:77], -v[78:79]
	v_add_f64_e64 v[104:105], v[78:79], -v[104:105]
	s_delay_alu instid0(VALU_DEP_2) | instskip(NEXT) | instid1(VALU_DEP_2)
	v_add_f64_e64 v[76:77], v[76:77], -v[106:107]
	v_add_f64_e64 v[74:75], v[104:105], -v[74:75]
	s_delay_alu instid0(VALU_DEP_2) | instskip(NEXT) | instid1(VALU_DEP_1)
	v_add_f64_e64 v[76:77], v[76:77], -v[78:79]
	v_add_f64_e32 v[9:10], v[9:10], v[76:77]
	v_add_f64_e32 v[76:77], v[80:81], v[102:103]
	s_delay_alu instid0(VALU_DEP_2) | instskip(NEXT) | instid1(VALU_DEP_2)
	v_add_f64_e32 v[9:10], v[74:75], v[9:10]
	v_add_f64_e64 v[74:75], v[76:77], -v[80:81]
	s_delay_alu instid0(VALU_DEP_2) | instskip(NEXT) | instid1(VALU_DEP_2)
	v_add_f64_e32 v[9:10], v[106:107], v[9:10]
	v_add_f64_e64 v[74:75], v[102:103], -v[74:75]
	s_delay_alu instid0(VALU_DEP_2) | instskip(NEXT) | instid1(VALU_DEP_1)
	v_mul_f64_e32 v[9:10], v[72:73], v[9:10]
	v_add_f64_e32 v[9:10], v[74:75], v[9:10]
	s_delay_alu instid0(VALU_DEP_1) | instskip(NEXT) | instid1(VALU_DEP_1)
	v_add_f64_e32 v[72:73], v[76:77], v[9:10]
	v_mul_f64_e32 v[74:75], v[72:73], v[72:73]
	s_delay_alu instid0(VALU_DEP_1) | instskip(SKIP_4) | instid1(VALU_DEP_2)
	v_fma_f64 v[78:79], v[74:75], s[42:43], s[40:41]
	s_mov_b32 s40, 0xd7f4df2e
	s_mov_b32 s41, 0x3fc7474d
	v_mul_f64_e32 v[80:81], v[72:73], v[74:75]
	s_wait_alu 0xfffe
	v_fma_f64 v[78:79], v[74:75], v[78:79], s[40:41]
	s_mov_b32 s40, 0x16291751
	s_mov_b32 s41, 0x3fcc71c0
	s_wait_alu 0xfffe
	s_delay_alu instid0(VALU_DEP_1) | instskip(SKIP_3) | instid1(VALU_DEP_1)
	v_fma_f64 v[78:79], v[74:75], v[78:79], s[40:41]
	s_mov_b32 s40, 0x9b27acf1
	s_mov_b32 s41, 0x3fd24924
	s_wait_alu 0xfffe
	v_fma_f64 v[78:79], v[74:75], v[78:79], s[40:41]
	s_mov_b32 s40, 0x998ef7b6
	s_mov_b32 s41, 0x3fd99999
	s_wait_alu 0xfffe
	s_delay_alu instid0(VALU_DEP_1) | instskip(NEXT) | instid1(VALU_DEP_1)
	v_fma_f64 v[78:79], v[74:75], v[78:79], s[40:41]
	v_fma_f64 v[74:75], v[74:75], v[78:79], s[16:17]
	v_ldexp_f64 v[78:79], v[72:73], 1
	v_add_f64_e64 v[72:73], v[72:73], -v[76:77]
	v_cmp_neq_f64_e64 s16, 0x7ff00000, v[7:8]
	v_cmp_ngt_f64_e64 s17, -1.0, v[7:8]
	v_mul_f64_e32 v[74:75], v[80:81], v[74:75]
	v_cvt_f64_i32_e32 v[80:81], v82
	v_add_f64_e64 v[9:10], v[9:10], -v[72:73]
	s_and_b32 vcc_lo, vcc_lo, s16
	s_delay_alu instid0(VALU_DEP_3) | instskip(NEXT) | instid1(VALU_DEP_3)
	v_add_f64_e32 v[76:77], v[78:79], v[74:75]
	v_mul_f64_e32 v[102:103], s[18:19], v[80:81]
	s_delay_alu instid0(VALU_DEP_3) | instskip(NEXT) | instid1(VALU_DEP_3)
	v_ldexp_f64 v[9:10], v[9:10], 1
	v_add_f64_e64 v[72:73], v[76:77], -v[78:79]
	s_delay_alu instid0(VALU_DEP_3) | instskip(NEXT) | instid1(VALU_DEP_2)
	v_fma_f64 v[78:79], v[80:81], s[18:19], -v[102:103]
	v_add_f64_e64 v[72:73], v[74:75], -v[72:73]
	s_delay_alu instid0(VALU_DEP_2) | instskip(NEXT) | instid1(VALU_DEP_2)
	v_fma_f64 v[74:75], v[80:81], s[36:37], v[78:79]
	v_add_f64_e32 v[9:10], v[9:10], v[72:73]
	s_delay_alu instid0(VALU_DEP_2) | instskip(NEXT) | instid1(VALU_DEP_2)
	v_add_f64_e32 v[72:73], v[102:103], v[74:75]
	v_add_f64_e32 v[78:79], v[76:77], v[9:10]
	s_delay_alu instid0(VALU_DEP_2) | instskip(NEXT) | instid1(VALU_DEP_2)
	v_add_f64_e64 v[102:103], v[72:73], -v[102:103]
	v_add_f64_e32 v[80:81], v[72:73], v[78:79]
	v_add_f64_e64 v[76:77], v[78:79], -v[76:77]
	s_delay_alu instid0(VALU_DEP_3) | instskip(NEXT) | instid1(VALU_DEP_3)
	v_add_f64_e64 v[74:75], v[74:75], -v[102:103]
	v_add_f64_e64 v[104:105], v[80:81], -v[72:73]
	s_delay_alu instid0(VALU_DEP_3) | instskip(NEXT) | instid1(VALU_DEP_2)
	v_add_f64_e64 v[9:10], v[9:10], -v[76:77]
	v_add_f64_e64 v[106:107], v[80:81], -v[104:105]
	;; [unrolled: 1-line block ×3, first 2 shown]
	s_delay_alu instid0(VALU_DEP_3) | instskip(NEXT) | instid1(VALU_DEP_3)
	v_add_f64_e32 v[78:79], v[74:75], v[9:10]
	v_add_f64_e64 v[72:73], v[72:73], -v[106:107]
	s_delay_alu instid0(VALU_DEP_1) | instskip(NEXT) | instid1(VALU_DEP_3)
	v_add_f64_e32 v[72:73], v[76:77], v[72:73]
	v_add_f64_e64 v[76:77], v[78:79], -v[74:75]
	s_delay_alu instid0(VALU_DEP_2) | instskip(NEXT) | instid1(VALU_DEP_2)
	v_add_f64_e32 v[72:73], v[78:79], v[72:73]
	v_add_f64_e64 v[78:79], v[78:79], -v[76:77]
	v_add_f64_e64 v[9:10], v[9:10], -v[76:77]
	s_delay_alu instid0(VALU_DEP_3) | instskip(NEXT) | instid1(VALU_DEP_3)
	v_add_f64_e32 v[102:103], v[80:81], v[72:73]
	v_add_f64_e64 v[74:75], v[74:75], -v[78:79]
	s_delay_alu instid0(VALU_DEP_2) | instskip(NEXT) | instid1(VALU_DEP_2)
	v_add_f64_e64 v[76:77], v[102:103], -v[80:81]
	v_add_f64_e32 v[9:10], v[9:10], v[74:75]
	s_delay_alu instid0(VALU_DEP_2) | instskip(NEXT) | instid1(VALU_DEP_1)
	v_add_f64_e64 v[72:73], v[72:73], -v[76:77]
	v_add_f64_e32 v[9:10], v[9:10], v[72:73]
	s_delay_alu instid0(VALU_DEP_1) | instskip(SKIP_1) | instid1(VALU_DEP_1)
	v_add_f64_e32 v[9:10], v[102:103], v[9:10]
	s_wait_alu 0xfffe
	v_cndmask_b32_e32 v9, 0, v9, vcc_lo
	v_cmp_neq_f64_e32 vcc_lo, -1.0, v[7:8]
	s_delay_alu instid0(VALU_DEP_3) | instskip(NEXT) | instid1(VALU_DEP_1)
	v_cndmask_b32_e64 v10, 0x7ff00000, v10, s16
	v_cndmask_b32_e64 v10, 0x7ff80000, v10, s17
	s_wait_alu 0xfffd
	s_delay_alu instid0(VALU_DEP_1) | instskip(NEXT) | instid1(VALU_DEP_1)
	v_cndmask_b32_e32 v10, 0xfff00000, v10, vcc_lo
	v_add_f64_e32 v[7:8], v[5:6], v[9:10]
.LBB6_59:
	s_wait_alu 0xfffe
	s_or_b32 exec_lo, exec_lo, s39
	s_delay_alu instid0(VALU_DEP_1)
	v_dual_mov_b32 v5, v7 :: v_dual_mov_b32 v6, v8
	v_dual_mov_b32 v9, v7 :: v_dual_mov_b32 v10, v8
.LBB6_60:
	s_wait_alu 0xfffe
	s_or_b32 exec_lo, exec_lo, s38
	s_delay_alu instid0(VALU_DEP_1) | instskip(NEXT) | instid1(VALU_DEP_2)
	v_mov_b32_dpp v7, v9 row_shr:4 row_mask:0xf bank_mask:0xf
	v_mov_b32_dpp v8, v10 row_shr:4 row_mask:0xf bank_mask:0xf
	s_mov_b32 s38, exec_lo
	v_cmpx_lt_u32_e32 3, v71
	s_cbranch_execz .LBB6_64
; %bb.61:
	s_delay_alu instid0(VALU_DEP_2) | instskip(SKIP_3) | instid1(VALU_DEP_3)
	v_max_num_f64_e32 v[9:10], v[7:8], v[7:8]
	v_max_num_f64_e32 v[72:73], v[5:6], v[5:6]
	v_cmp_u_f64_e32 vcc_lo, v[7:8], v[7:8]
	v_cmp_u_f64_e64 s16, v[5:6], v[5:6]
	v_min_num_f64_e32 v[74:75], v[9:10], v[72:73]
	v_max_num_f64_e32 v[9:10], v[9:10], v[72:73]
	s_wait_alu 0xfffd
	s_delay_alu instid0(VALU_DEP_2) | instskip(NEXT) | instid1(VALU_DEP_2)
	v_dual_cndmask_b32 v72, v75, v8 :: v_dual_cndmask_b32 v73, v74, v7
	v_dual_cndmask_b32 v74, v10, v8 :: v_dual_cndmask_b32 v75, v9, v7
	s_wait_alu 0xf1ff
	s_delay_alu instid0(VALU_DEP_2) | instskip(NEXT) | instid1(VALU_DEP_3)
	v_cndmask_b32_e64 v10, v72, v6, s16
	v_cndmask_b32_e64 v9, v73, v5, s16
	s_delay_alu instid0(VALU_DEP_3) | instskip(SKIP_1) | instid1(VALU_DEP_3)
	v_cndmask_b32_e64 v6, v74, v6, s16
	v_cndmask_b32_e64 v5, v75, v5, s16
	v_cmp_class_f64_e64 s16, v[9:10], 0x1f8
	s_delay_alu instid0(VALU_DEP_2)
	v_cmp_neq_f64_e32 vcc_lo, v[9:10], v[5:6]
	s_or_b32 s16, vcc_lo, s16
	s_wait_alu 0xfffe
	s_and_saveexec_b32 s39, s16
	s_cbranch_execz .LBB6_63
; %bb.62:
	v_add_f64_e64 v[7:8], v[9:10], -v[5:6]
	s_mov_b32 s16, 0x652b82fe
	s_mov_b32 s17, 0x3ff71547
	s_mov_b32 s19, 0xbfe62e42
	s_mov_b32 s18, 0xfefa39ef
	s_mov_b32 s37, 0xbc7abc9e
	s_mov_b32 s36, 0x3b39803f
	s_mov_b32 s40, 0x6a5dcb37
	s_mov_b32 s41, 0x3e5ade15
	s_mov_b32 s42, 0xbf559e2b
	s_mov_b32 s43, 0x3fc3ab76
	s_wait_alu 0xfffe
	s_delay_alu instid0(VALU_DEP_1) | instskip(SKIP_3) | instid1(VALU_DEP_2)
	v_mul_f64_e32 v[9:10], s[16:17], v[7:8]
	s_mov_b32 s16, 0xfca7ab0c
	s_mov_b32 s17, 0x3e928af3
	v_cmp_nlt_f64_e32 vcc_lo, 0x40900000, v[7:8]
	v_rndne_f64_e32 v[9:10], v[9:10]
	s_delay_alu instid0(VALU_DEP_1) | instskip(SKIP_2) | instid1(VALU_DEP_2)
	v_fma_f64 v[72:73], v[9:10], s[18:19], v[7:8]
	v_cvt_i32_f64_e32 v76, v[9:10]
	s_mov_b32 s19, 0x3fe62e42
	v_fma_f64 v[72:73], v[9:10], s[36:37], v[72:73]
	s_mov_b32 s37, 0x3c7abc9e
	s_wait_alu 0xfffe
	s_delay_alu instid0(VALU_DEP_1)
	v_fma_f64 v[74:75], v[72:73], s[40:41], s[16:17]
	s_mov_b32 s16, 0x623fde64
	s_mov_b32 s17, 0x3ec71dee
	;; [unrolled: 1-line block ×4, first 2 shown]
	s_wait_alu 0xfffe
	s_delay_alu instid0(VALU_DEP_1) | instskip(SKIP_3) | instid1(VALU_DEP_1)
	v_fma_f64 v[74:75], v[72:73], v[74:75], s[16:17]
	s_mov_b32 s16, 0x7c89e6b0
	s_mov_b32 s17, 0x3efa0199
	s_wait_alu 0xfffe
	v_fma_f64 v[74:75], v[72:73], v[74:75], s[16:17]
	s_mov_b32 s16, 0x14761f6e
	s_mov_b32 s17, 0x3f2a01a0
	s_wait_alu 0xfffe
	s_delay_alu instid0(VALU_DEP_1) | instskip(SKIP_3) | instid1(VALU_DEP_1)
	v_fma_f64 v[74:75], v[72:73], v[74:75], s[16:17]
	s_mov_b32 s16, 0x1852b7b0
	s_mov_b32 s17, 0x3f56c16c
	s_wait_alu 0xfffe
	v_fma_f64 v[74:75], v[72:73], v[74:75], s[16:17]
	s_mov_b32 s16, 0x11122322
	s_mov_b32 s17, 0x3f811111
	;; [unrolled: 9-line block ×3, first 2 shown]
	s_wait_alu 0xfffe
	s_delay_alu instid0(VALU_DEP_1) | instskip(SKIP_3) | instid1(VALU_DEP_1)
	v_fma_f64 v[74:75], v[72:73], v[74:75], s[16:17]
	s_mov_b32 s16, 11
	s_mov_b32 s17, 0x3fe00000
	s_wait_alu 0xfffe
	v_fma_f64 v[74:75], v[72:73], v[74:75], s[16:17]
	v_cmp_ngt_f64_e64 s16, 0xc090cc00, v[7:8]
	s_mov_b32 s17, 0x3fe55555
	v_fma_f64 v[74:75], v[72:73], v[74:75], 1.0
	s_delay_alu instid0(VALU_DEP_1) | instskip(NEXT) | instid1(VALU_DEP_1)
	v_fma_f64 v[9:10], v[72:73], v[74:75], 1.0
	v_ldexp_f64 v[9:10], v[9:10], v76
	s_wait_alu 0xfffd
	s_delay_alu instid0(VALU_DEP_1) | instskip(SKIP_2) | instid1(VALU_DEP_2)
	v_cndmask_b32_e32 v10, 0x7ff00000, v10, vcc_lo
	s_and_b32 vcc_lo, s16, vcc_lo
	s_wait_alu 0xfffe
	v_cndmask_b32_e32 v7, 0, v9, vcc_lo
	s_delay_alu instid0(VALU_DEP_2) | instskip(SKIP_1) | instid1(VALU_DEP_1)
	v_cndmask_b32_e64 v8, 0, v10, s16
	s_mov_b32 s16, 0x55555555
	v_add_f64_e32 v[9:10], 1.0, v[7:8]
	s_delay_alu instid0(VALU_DEP_1) | instskip(SKIP_3) | instid1(VALU_DEP_3)
	v_frexp_mant_f64_e32 v[72:73], v[9:10]
	v_frexp_exp_i32_f64_e32 v76, v[9:10]
	v_add_f64_e32 v[74:75], -1.0, v[9:10]
	s_wait_alu 0xfffe
	v_cmp_gt_f64_e32 vcc_lo, s[16:17], v[72:73]
	s_mov_b32 s16, 0x55555780
	s_delay_alu instid0(VALU_DEP_2) | instskip(SKIP_3) | instid1(VALU_DEP_3)
	v_add_f64_e64 v[72:73], v[74:75], -v[9:10]
	v_add_f64_e64 v[74:75], v[7:8], -v[74:75]
	s_wait_alu 0xfffd
	v_subrev_co_ci_u32_e64 v82, null, 0, v76, vcc_lo
	v_add_f64_e32 v[72:73], 1.0, v[72:73]
	v_cmp_nge_f64_e32 vcc_lo, -1.0, v[7:8]
	s_delay_alu instid0(VALU_DEP_3) | instskip(NEXT) | instid1(VALU_DEP_1)
	v_sub_nc_u32_e32 v78, 0, v82
	v_ldexp_f64 v[9:10], v[9:10], v78
	s_delay_alu instid0(VALU_DEP_4) | instskip(NEXT) | instid1(VALU_DEP_2)
	v_add_f64_e32 v[72:73], v[74:75], v[72:73]
	v_add_f64_e32 v[76:77], 1.0, v[9:10]
	v_add_f64_e32 v[102:103], -1.0, v[9:10]
	s_delay_alu instid0(VALU_DEP_3) | instskip(NEXT) | instid1(VALU_DEP_3)
	v_ldexp_f64 v[72:73], v[72:73], v78
	v_add_f64_e32 v[74:75], -1.0, v[76:77]
	s_delay_alu instid0(VALU_DEP_3) | instskip(NEXT) | instid1(VALU_DEP_2)
	v_add_f64_e32 v[104:105], 1.0, v[102:103]
	v_add_f64_e64 v[74:75], v[9:10], -v[74:75]
	s_delay_alu instid0(VALU_DEP_2) | instskip(NEXT) | instid1(VALU_DEP_2)
	v_add_f64_e64 v[9:10], v[9:10], -v[104:105]
	v_add_f64_e32 v[74:75], v[72:73], v[74:75]
	s_delay_alu instid0(VALU_DEP_2) | instskip(NEXT) | instid1(VALU_DEP_2)
	v_add_f64_e32 v[9:10], v[72:73], v[9:10]
	v_add_f64_e32 v[78:79], v[76:77], v[74:75]
	s_delay_alu instid0(VALU_DEP_2) | instskip(NEXT) | instid1(VALU_DEP_2)
	v_add_f64_e32 v[104:105], v[102:103], v[9:10]
	v_rcp_f64_e32 v[80:81], v[78:79]
	v_add_f64_e64 v[76:77], v[78:79], -v[76:77]
	s_delay_alu instid0(VALU_DEP_2) | instskip(NEXT) | instid1(VALU_DEP_2)
	v_add_f64_e64 v[102:103], v[104:105], -v[102:103]
	v_add_f64_e64 v[74:75], v[74:75], -v[76:77]
	s_delay_alu instid0(TRANS32_DEP_1) | instskip(NEXT) | instid1(VALU_DEP_3)
	v_fma_f64 v[106:107], -v[78:79], v[80:81], 1.0
	v_add_f64_e64 v[9:10], v[9:10], -v[102:103]
	s_delay_alu instid0(VALU_DEP_2) | instskip(NEXT) | instid1(VALU_DEP_1)
	v_fma_f64 v[80:81], v[106:107], v[80:81], v[80:81]
	v_fma_f64 v[72:73], -v[78:79], v[80:81], 1.0
	s_delay_alu instid0(VALU_DEP_1) | instskip(NEXT) | instid1(VALU_DEP_1)
	v_fma_f64 v[72:73], v[72:73], v[80:81], v[80:81]
	v_mul_f64_e32 v[80:81], v[104:105], v[72:73]
	s_delay_alu instid0(VALU_DEP_1) | instskip(NEXT) | instid1(VALU_DEP_1)
	v_mul_f64_e32 v[106:107], v[78:79], v[80:81]
	v_fma_f64 v[76:77], v[80:81], v[78:79], -v[106:107]
	s_delay_alu instid0(VALU_DEP_1) | instskip(NEXT) | instid1(VALU_DEP_1)
	v_fma_f64 v[76:77], v[80:81], v[74:75], v[76:77]
	v_add_f64_e32 v[108:109], v[106:107], v[76:77]
	s_delay_alu instid0(VALU_DEP_1) | instskip(SKIP_1) | instid1(VALU_DEP_2)
	v_add_f64_e64 v[110:111], v[104:105], -v[108:109]
	v_add_f64_e64 v[102:103], v[108:109], -v[106:107]
	;; [unrolled: 1-line block ×3, first 2 shown]
	s_delay_alu instid0(VALU_DEP_2) | instskip(NEXT) | instid1(VALU_DEP_2)
	v_add_f64_e64 v[76:77], v[102:103], -v[76:77]
	v_add_f64_e64 v[104:105], v[104:105], -v[108:109]
	s_delay_alu instid0(VALU_DEP_1) | instskip(NEXT) | instid1(VALU_DEP_1)
	v_add_f64_e32 v[9:10], v[9:10], v[104:105]
	v_add_f64_e32 v[9:10], v[76:77], v[9:10]
	s_delay_alu instid0(VALU_DEP_1) | instskip(NEXT) | instid1(VALU_DEP_1)
	v_add_f64_e32 v[76:77], v[110:111], v[9:10]
	v_mul_f64_e32 v[102:103], v[72:73], v[76:77]
	v_add_f64_e64 v[108:109], v[110:111], -v[76:77]
	s_delay_alu instid0(VALU_DEP_2) | instskip(NEXT) | instid1(VALU_DEP_2)
	v_mul_f64_e32 v[104:105], v[78:79], v[102:103]
	v_add_f64_e32 v[9:10], v[9:10], v[108:109]
	s_delay_alu instid0(VALU_DEP_2) | instskip(NEXT) | instid1(VALU_DEP_1)
	v_fma_f64 v[78:79], v[102:103], v[78:79], -v[104:105]
	v_fma_f64 v[74:75], v[102:103], v[74:75], v[78:79]
	s_delay_alu instid0(VALU_DEP_1) | instskip(NEXT) | instid1(VALU_DEP_1)
	v_add_f64_e32 v[78:79], v[104:105], v[74:75]
	v_add_f64_e64 v[106:107], v[76:77], -v[78:79]
	v_add_f64_e64 v[104:105], v[78:79], -v[104:105]
	s_delay_alu instid0(VALU_DEP_2) | instskip(NEXT) | instid1(VALU_DEP_2)
	v_add_f64_e64 v[76:77], v[76:77], -v[106:107]
	v_add_f64_e64 v[74:75], v[104:105], -v[74:75]
	s_delay_alu instid0(VALU_DEP_2) | instskip(NEXT) | instid1(VALU_DEP_1)
	v_add_f64_e64 v[76:77], v[76:77], -v[78:79]
	v_add_f64_e32 v[9:10], v[9:10], v[76:77]
	v_add_f64_e32 v[76:77], v[80:81], v[102:103]
	s_delay_alu instid0(VALU_DEP_2) | instskip(NEXT) | instid1(VALU_DEP_2)
	v_add_f64_e32 v[9:10], v[74:75], v[9:10]
	v_add_f64_e64 v[74:75], v[76:77], -v[80:81]
	s_delay_alu instid0(VALU_DEP_2) | instskip(NEXT) | instid1(VALU_DEP_2)
	v_add_f64_e32 v[9:10], v[106:107], v[9:10]
	v_add_f64_e64 v[74:75], v[102:103], -v[74:75]
	s_delay_alu instid0(VALU_DEP_2) | instskip(NEXT) | instid1(VALU_DEP_1)
	v_mul_f64_e32 v[9:10], v[72:73], v[9:10]
	v_add_f64_e32 v[9:10], v[74:75], v[9:10]
	s_delay_alu instid0(VALU_DEP_1) | instskip(NEXT) | instid1(VALU_DEP_1)
	v_add_f64_e32 v[72:73], v[76:77], v[9:10]
	v_mul_f64_e32 v[74:75], v[72:73], v[72:73]
	s_delay_alu instid0(VALU_DEP_1) | instskip(SKIP_4) | instid1(VALU_DEP_2)
	v_fma_f64 v[78:79], v[74:75], s[42:43], s[40:41]
	s_mov_b32 s40, 0xd7f4df2e
	s_mov_b32 s41, 0x3fc7474d
	v_mul_f64_e32 v[80:81], v[72:73], v[74:75]
	s_wait_alu 0xfffe
	v_fma_f64 v[78:79], v[74:75], v[78:79], s[40:41]
	s_mov_b32 s40, 0x16291751
	s_mov_b32 s41, 0x3fcc71c0
	s_wait_alu 0xfffe
	s_delay_alu instid0(VALU_DEP_1) | instskip(SKIP_3) | instid1(VALU_DEP_1)
	v_fma_f64 v[78:79], v[74:75], v[78:79], s[40:41]
	s_mov_b32 s40, 0x9b27acf1
	s_mov_b32 s41, 0x3fd24924
	s_wait_alu 0xfffe
	v_fma_f64 v[78:79], v[74:75], v[78:79], s[40:41]
	s_mov_b32 s40, 0x998ef7b6
	s_mov_b32 s41, 0x3fd99999
	s_wait_alu 0xfffe
	s_delay_alu instid0(VALU_DEP_1) | instskip(NEXT) | instid1(VALU_DEP_1)
	v_fma_f64 v[78:79], v[74:75], v[78:79], s[40:41]
	v_fma_f64 v[74:75], v[74:75], v[78:79], s[16:17]
	v_ldexp_f64 v[78:79], v[72:73], 1
	v_add_f64_e64 v[72:73], v[72:73], -v[76:77]
	v_cmp_neq_f64_e64 s16, 0x7ff00000, v[7:8]
	v_cmp_ngt_f64_e64 s17, -1.0, v[7:8]
	v_mul_f64_e32 v[74:75], v[80:81], v[74:75]
	v_cvt_f64_i32_e32 v[80:81], v82
	v_add_f64_e64 v[9:10], v[9:10], -v[72:73]
	s_and_b32 vcc_lo, vcc_lo, s16
	s_delay_alu instid0(VALU_DEP_3) | instskip(NEXT) | instid1(VALU_DEP_3)
	v_add_f64_e32 v[76:77], v[78:79], v[74:75]
	v_mul_f64_e32 v[102:103], s[18:19], v[80:81]
	s_delay_alu instid0(VALU_DEP_3) | instskip(NEXT) | instid1(VALU_DEP_3)
	v_ldexp_f64 v[9:10], v[9:10], 1
	v_add_f64_e64 v[72:73], v[76:77], -v[78:79]
	s_delay_alu instid0(VALU_DEP_3) | instskip(NEXT) | instid1(VALU_DEP_2)
	v_fma_f64 v[78:79], v[80:81], s[18:19], -v[102:103]
	v_add_f64_e64 v[72:73], v[74:75], -v[72:73]
	s_delay_alu instid0(VALU_DEP_2) | instskip(NEXT) | instid1(VALU_DEP_2)
	v_fma_f64 v[74:75], v[80:81], s[36:37], v[78:79]
	v_add_f64_e32 v[9:10], v[9:10], v[72:73]
	s_delay_alu instid0(VALU_DEP_2) | instskip(NEXT) | instid1(VALU_DEP_2)
	v_add_f64_e32 v[72:73], v[102:103], v[74:75]
	v_add_f64_e32 v[78:79], v[76:77], v[9:10]
	s_delay_alu instid0(VALU_DEP_2) | instskip(NEXT) | instid1(VALU_DEP_2)
	v_add_f64_e64 v[102:103], v[72:73], -v[102:103]
	v_add_f64_e32 v[80:81], v[72:73], v[78:79]
	v_add_f64_e64 v[76:77], v[78:79], -v[76:77]
	s_delay_alu instid0(VALU_DEP_3) | instskip(NEXT) | instid1(VALU_DEP_3)
	v_add_f64_e64 v[74:75], v[74:75], -v[102:103]
	v_add_f64_e64 v[104:105], v[80:81], -v[72:73]
	s_delay_alu instid0(VALU_DEP_3) | instskip(NEXT) | instid1(VALU_DEP_2)
	v_add_f64_e64 v[9:10], v[9:10], -v[76:77]
	v_add_f64_e64 v[106:107], v[80:81], -v[104:105]
	;; [unrolled: 1-line block ×3, first 2 shown]
	s_delay_alu instid0(VALU_DEP_3) | instskip(NEXT) | instid1(VALU_DEP_3)
	v_add_f64_e32 v[78:79], v[74:75], v[9:10]
	v_add_f64_e64 v[72:73], v[72:73], -v[106:107]
	s_delay_alu instid0(VALU_DEP_1) | instskip(NEXT) | instid1(VALU_DEP_3)
	v_add_f64_e32 v[72:73], v[76:77], v[72:73]
	v_add_f64_e64 v[76:77], v[78:79], -v[74:75]
	s_delay_alu instid0(VALU_DEP_2) | instskip(NEXT) | instid1(VALU_DEP_2)
	v_add_f64_e32 v[72:73], v[78:79], v[72:73]
	v_add_f64_e64 v[78:79], v[78:79], -v[76:77]
	v_add_f64_e64 v[9:10], v[9:10], -v[76:77]
	s_delay_alu instid0(VALU_DEP_3) | instskip(NEXT) | instid1(VALU_DEP_3)
	v_add_f64_e32 v[102:103], v[80:81], v[72:73]
	v_add_f64_e64 v[74:75], v[74:75], -v[78:79]
	s_delay_alu instid0(VALU_DEP_2) | instskip(NEXT) | instid1(VALU_DEP_2)
	v_add_f64_e64 v[76:77], v[102:103], -v[80:81]
	v_add_f64_e32 v[9:10], v[9:10], v[74:75]
	s_delay_alu instid0(VALU_DEP_2) | instskip(NEXT) | instid1(VALU_DEP_1)
	v_add_f64_e64 v[72:73], v[72:73], -v[76:77]
	v_add_f64_e32 v[9:10], v[9:10], v[72:73]
	s_delay_alu instid0(VALU_DEP_1) | instskip(SKIP_1) | instid1(VALU_DEP_1)
	v_add_f64_e32 v[9:10], v[102:103], v[9:10]
	s_wait_alu 0xfffe
	v_cndmask_b32_e32 v9, 0, v9, vcc_lo
	v_cmp_neq_f64_e32 vcc_lo, -1.0, v[7:8]
	s_delay_alu instid0(VALU_DEP_3) | instskip(NEXT) | instid1(VALU_DEP_1)
	v_cndmask_b32_e64 v10, 0x7ff00000, v10, s16
	v_cndmask_b32_e64 v10, 0x7ff80000, v10, s17
	s_wait_alu 0xfffd
	s_delay_alu instid0(VALU_DEP_1) | instskip(NEXT) | instid1(VALU_DEP_1)
	v_cndmask_b32_e32 v10, 0xfff00000, v10, vcc_lo
	v_add_f64_e32 v[7:8], v[5:6], v[9:10]
.LBB6_63:
	s_wait_alu 0xfffe
	s_or_b32 exec_lo, exec_lo, s39
	s_delay_alu instid0(VALU_DEP_1)
	v_dual_mov_b32 v5, v7 :: v_dual_mov_b32 v6, v8
	v_dual_mov_b32 v9, v7 :: v_dual_mov_b32 v10, v8
.LBB6_64:
	s_wait_alu 0xfffe
	s_or_b32 exec_lo, exec_lo, s38
	s_delay_alu instid0(VALU_DEP_1) | instskip(NEXT) | instid1(VALU_DEP_2)
	v_mov_b32_dpp v7, v9 row_shr:8 row_mask:0xf bank_mask:0xf
	v_mov_b32_dpp v8, v10 row_shr:8 row_mask:0xf bank_mask:0xf
	s_mov_b32 s38, exec_lo
	v_cmpx_lt_u32_e32 7, v71
	s_cbranch_execz .LBB6_68
; %bb.65:
	s_delay_alu instid0(VALU_DEP_2) | instskip(SKIP_3) | instid1(VALU_DEP_3)
	v_max_num_f64_e32 v[9:10], v[7:8], v[7:8]
	v_max_num_f64_e32 v[71:72], v[5:6], v[5:6]
	v_cmp_u_f64_e32 vcc_lo, v[7:8], v[7:8]
	v_cmp_u_f64_e64 s16, v[5:6], v[5:6]
	v_min_num_f64_e32 v[73:74], v[9:10], v[71:72]
	v_max_num_f64_e32 v[9:10], v[9:10], v[71:72]
	s_wait_alu 0xfffd
	s_delay_alu instid0(VALU_DEP_2) | instskip(NEXT) | instid1(VALU_DEP_2)
	v_dual_cndmask_b32 v71, v74, v8 :: v_dual_cndmask_b32 v72, v73, v7
	v_dual_cndmask_b32 v73, v10, v8 :: v_dual_cndmask_b32 v74, v9, v7
	s_wait_alu 0xf1ff
	s_delay_alu instid0(VALU_DEP_2) | instskip(NEXT) | instid1(VALU_DEP_3)
	v_cndmask_b32_e64 v10, v71, v6, s16
	v_cndmask_b32_e64 v9, v72, v5, s16
	s_delay_alu instid0(VALU_DEP_3) | instskip(SKIP_1) | instid1(VALU_DEP_3)
	v_cndmask_b32_e64 v6, v73, v6, s16
	v_cndmask_b32_e64 v5, v74, v5, s16
	v_cmp_class_f64_e64 s16, v[9:10], 0x1f8
	s_delay_alu instid0(VALU_DEP_2)
	v_cmp_neq_f64_e32 vcc_lo, v[9:10], v[5:6]
	s_or_b32 s16, vcc_lo, s16
	s_wait_alu 0xfffe
	s_and_saveexec_b32 s39, s16
	s_cbranch_execz .LBB6_67
; %bb.66:
	v_add_f64_e64 v[7:8], v[9:10], -v[5:6]
	s_mov_b32 s16, 0x652b82fe
	s_mov_b32 s17, 0x3ff71547
	;; [unrolled: 1-line block ×10, first 2 shown]
	s_wait_alu 0xfffe
	s_delay_alu instid0(VALU_DEP_1) | instskip(SKIP_3) | instid1(VALU_DEP_2)
	v_mul_f64_e32 v[9:10], s[16:17], v[7:8]
	s_mov_b32 s16, 0xfca7ab0c
	s_mov_b32 s17, 0x3e928af3
	v_cmp_nlt_f64_e32 vcc_lo, 0x40900000, v[7:8]
	v_rndne_f64_e32 v[9:10], v[9:10]
	s_delay_alu instid0(VALU_DEP_1) | instskip(SKIP_2) | instid1(VALU_DEP_2)
	v_fma_f64 v[71:72], v[9:10], s[18:19], v[7:8]
	v_cvt_i32_f64_e32 v75, v[9:10]
	s_mov_b32 s19, 0x3fe62e42
	v_fma_f64 v[71:72], v[9:10], s[36:37], v[71:72]
	s_mov_b32 s37, 0x3c7abc9e
	s_wait_alu 0xfffe
	s_delay_alu instid0(VALU_DEP_1)
	v_fma_f64 v[73:74], v[71:72], s[40:41], s[16:17]
	s_mov_b32 s16, 0x623fde64
	s_mov_b32 s17, 0x3ec71dee
	;; [unrolled: 1-line block ×4, first 2 shown]
	s_wait_alu 0xfffe
	s_delay_alu instid0(VALU_DEP_1) | instskip(SKIP_3) | instid1(VALU_DEP_1)
	v_fma_f64 v[73:74], v[71:72], v[73:74], s[16:17]
	s_mov_b32 s16, 0x7c89e6b0
	s_mov_b32 s17, 0x3efa0199
	s_wait_alu 0xfffe
	v_fma_f64 v[73:74], v[71:72], v[73:74], s[16:17]
	s_mov_b32 s16, 0x14761f6e
	s_mov_b32 s17, 0x3f2a01a0
	s_wait_alu 0xfffe
	s_delay_alu instid0(VALU_DEP_1) | instskip(SKIP_3) | instid1(VALU_DEP_1)
	v_fma_f64 v[73:74], v[71:72], v[73:74], s[16:17]
	s_mov_b32 s16, 0x1852b7b0
	s_mov_b32 s17, 0x3f56c16c
	s_wait_alu 0xfffe
	v_fma_f64 v[73:74], v[71:72], v[73:74], s[16:17]
	s_mov_b32 s16, 0x11122322
	s_mov_b32 s17, 0x3f811111
	;; [unrolled: 9-line block ×3, first 2 shown]
	s_wait_alu 0xfffe
	s_delay_alu instid0(VALU_DEP_1) | instskip(SKIP_3) | instid1(VALU_DEP_1)
	v_fma_f64 v[73:74], v[71:72], v[73:74], s[16:17]
	s_mov_b32 s16, 11
	s_mov_b32 s17, 0x3fe00000
	s_wait_alu 0xfffe
	v_fma_f64 v[73:74], v[71:72], v[73:74], s[16:17]
	v_cmp_ngt_f64_e64 s16, 0xc090cc00, v[7:8]
	s_mov_b32 s17, 0x3fe55555
	v_fma_f64 v[73:74], v[71:72], v[73:74], 1.0
	s_delay_alu instid0(VALU_DEP_1) | instskip(NEXT) | instid1(VALU_DEP_1)
	v_fma_f64 v[9:10], v[71:72], v[73:74], 1.0
	v_ldexp_f64 v[9:10], v[9:10], v75
	s_wait_alu 0xfffd
	s_delay_alu instid0(VALU_DEP_1) | instskip(SKIP_2) | instid1(VALU_DEP_2)
	v_cndmask_b32_e32 v10, 0x7ff00000, v10, vcc_lo
	s_and_b32 vcc_lo, s16, vcc_lo
	s_wait_alu 0xfffe
	v_cndmask_b32_e32 v7, 0, v9, vcc_lo
	s_delay_alu instid0(VALU_DEP_2) | instskip(SKIP_1) | instid1(VALU_DEP_1)
	v_cndmask_b32_e64 v8, 0, v10, s16
	s_mov_b32 s16, 0x55555555
	v_add_f64_e32 v[9:10], 1.0, v[7:8]
	s_delay_alu instid0(VALU_DEP_1) | instskip(SKIP_3) | instid1(VALU_DEP_3)
	v_frexp_mant_f64_e32 v[71:72], v[9:10]
	v_frexp_exp_i32_f64_e32 v75, v[9:10]
	v_add_f64_e32 v[73:74], -1.0, v[9:10]
	s_wait_alu 0xfffe
	v_cmp_gt_f64_e32 vcc_lo, s[16:17], v[71:72]
	s_mov_b32 s16, 0x55555780
	s_delay_alu instid0(VALU_DEP_2) | instskip(SKIP_3) | instid1(VALU_DEP_3)
	v_add_f64_e64 v[71:72], v[73:74], -v[9:10]
	v_add_f64_e64 v[73:74], v[7:8], -v[73:74]
	s_wait_alu 0xfffd
	v_subrev_co_ci_u32_e64 v110, null, 0, v75, vcc_lo
	v_add_f64_e32 v[71:72], 1.0, v[71:72]
	v_cmp_nge_f64_e32 vcc_lo, -1.0, v[7:8]
	s_delay_alu instid0(VALU_DEP_3) | instskip(NEXT) | instid1(VALU_DEP_1)
	v_sub_nc_u32_e32 v77, 0, v110
	v_ldexp_f64 v[9:10], v[9:10], v77
	s_delay_alu instid0(VALU_DEP_4) | instskip(NEXT) | instid1(VALU_DEP_2)
	v_add_f64_e32 v[71:72], v[73:74], v[71:72]
	v_add_f64_e32 v[75:76], 1.0, v[9:10]
	v_add_f64_e32 v[81:82], -1.0, v[9:10]
	s_delay_alu instid0(VALU_DEP_3) | instskip(NEXT) | instid1(VALU_DEP_3)
	v_ldexp_f64 v[71:72], v[71:72], v77
	v_add_f64_e32 v[73:74], -1.0, v[75:76]
	s_delay_alu instid0(VALU_DEP_3) | instskip(NEXT) | instid1(VALU_DEP_2)
	v_add_f64_e32 v[102:103], 1.0, v[81:82]
	v_add_f64_e64 v[73:74], v[9:10], -v[73:74]
	s_delay_alu instid0(VALU_DEP_2) | instskip(NEXT) | instid1(VALU_DEP_2)
	v_add_f64_e64 v[9:10], v[9:10], -v[102:103]
	v_add_f64_e32 v[73:74], v[71:72], v[73:74]
	s_delay_alu instid0(VALU_DEP_2) | instskip(NEXT) | instid1(VALU_DEP_2)
	v_add_f64_e32 v[9:10], v[71:72], v[9:10]
	v_add_f64_e32 v[77:78], v[75:76], v[73:74]
	s_delay_alu instid0(VALU_DEP_2) | instskip(NEXT) | instid1(VALU_DEP_2)
	v_add_f64_e32 v[102:103], v[81:82], v[9:10]
	v_rcp_f64_e32 v[79:80], v[77:78]
	v_add_f64_e64 v[75:76], v[77:78], -v[75:76]
	s_delay_alu instid0(VALU_DEP_2) | instskip(NEXT) | instid1(VALU_DEP_2)
	v_add_f64_e64 v[81:82], v[102:103], -v[81:82]
	v_add_f64_e64 v[73:74], v[73:74], -v[75:76]
	s_delay_alu instid0(TRANS32_DEP_1) | instskip(NEXT) | instid1(VALU_DEP_3)
	v_fma_f64 v[104:105], -v[77:78], v[79:80], 1.0
	v_add_f64_e64 v[9:10], v[9:10], -v[81:82]
	s_delay_alu instid0(VALU_DEP_2) | instskip(NEXT) | instid1(VALU_DEP_1)
	v_fma_f64 v[79:80], v[104:105], v[79:80], v[79:80]
	v_fma_f64 v[71:72], -v[77:78], v[79:80], 1.0
	s_delay_alu instid0(VALU_DEP_1) | instskip(NEXT) | instid1(VALU_DEP_1)
	v_fma_f64 v[71:72], v[71:72], v[79:80], v[79:80]
	v_mul_f64_e32 v[79:80], v[102:103], v[71:72]
	s_delay_alu instid0(VALU_DEP_1) | instskip(NEXT) | instid1(VALU_DEP_1)
	v_mul_f64_e32 v[104:105], v[77:78], v[79:80]
	v_fma_f64 v[75:76], v[79:80], v[77:78], -v[104:105]
	s_delay_alu instid0(VALU_DEP_1) | instskip(NEXT) | instid1(VALU_DEP_1)
	v_fma_f64 v[75:76], v[79:80], v[73:74], v[75:76]
	v_add_f64_e32 v[106:107], v[104:105], v[75:76]
	s_delay_alu instid0(VALU_DEP_1) | instskip(SKIP_1) | instid1(VALU_DEP_2)
	v_add_f64_e64 v[108:109], v[102:103], -v[106:107]
	v_add_f64_e64 v[81:82], v[106:107], -v[104:105]
	;; [unrolled: 1-line block ×3, first 2 shown]
	s_delay_alu instid0(VALU_DEP_2) | instskip(NEXT) | instid1(VALU_DEP_2)
	v_add_f64_e64 v[75:76], v[81:82], -v[75:76]
	v_add_f64_e64 v[102:103], v[102:103], -v[106:107]
	s_delay_alu instid0(VALU_DEP_1) | instskip(NEXT) | instid1(VALU_DEP_1)
	v_add_f64_e32 v[9:10], v[9:10], v[102:103]
	v_add_f64_e32 v[9:10], v[75:76], v[9:10]
	s_delay_alu instid0(VALU_DEP_1) | instskip(NEXT) | instid1(VALU_DEP_1)
	v_add_f64_e32 v[75:76], v[108:109], v[9:10]
	v_mul_f64_e32 v[81:82], v[71:72], v[75:76]
	v_add_f64_e64 v[106:107], v[108:109], -v[75:76]
	s_delay_alu instid0(VALU_DEP_2) | instskip(NEXT) | instid1(VALU_DEP_2)
	v_mul_f64_e32 v[102:103], v[77:78], v[81:82]
	v_add_f64_e32 v[9:10], v[9:10], v[106:107]
	s_delay_alu instid0(VALU_DEP_2) | instskip(NEXT) | instid1(VALU_DEP_1)
	v_fma_f64 v[77:78], v[81:82], v[77:78], -v[102:103]
	v_fma_f64 v[73:74], v[81:82], v[73:74], v[77:78]
	s_delay_alu instid0(VALU_DEP_1) | instskip(NEXT) | instid1(VALU_DEP_1)
	v_add_f64_e32 v[77:78], v[102:103], v[73:74]
	v_add_f64_e64 v[104:105], v[75:76], -v[77:78]
	v_add_f64_e64 v[102:103], v[77:78], -v[102:103]
	s_delay_alu instid0(VALU_DEP_2) | instskip(NEXT) | instid1(VALU_DEP_2)
	v_add_f64_e64 v[75:76], v[75:76], -v[104:105]
	v_add_f64_e64 v[73:74], v[102:103], -v[73:74]
	s_delay_alu instid0(VALU_DEP_2) | instskip(NEXT) | instid1(VALU_DEP_1)
	v_add_f64_e64 v[75:76], v[75:76], -v[77:78]
	v_add_f64_e32 v[9:10], v[9:10], v[75:76]
	v_add_f64_e32 v[75:76], v[79:80], v[81:82]
	s_delay_alu instid0(VALU_DEP_2) | instskip(NEXT) | instid1(VALU_DEP_2)
	v_add_f64_e32 v[9:10], v[73:74], v[9:10]
	v_add_f64_e64 v[73:74], v[75:76], -v[79:80]
	s_delay_alu instid0(VALU_DEP_2) | instskip(NEXT) | instid1(VALU_DEP_2)
	v_add_f64_e32 v[9:10], v[104:105], v[9:10]
	v_add_f64_e64 v[73:74], v[81:82], -v[73:74]
	s_delay_alu instid0(VALU_DEP_2) | instskip(NEXT) | instid1(VALU_DEP_1)
	v_mul_f64_e32 v[9:10], v[71:72], v[9:10]
	v_add_f64_e32 v[9:10], v[73:74], v[9:10]
	s_delay_alu instid0(VALU_DEP_1) | instskip(NEXT) | instid1(VALU_DEP_1)
	v_add_f64_e32 v[71:72], v[75:76], v[9:10]
	v_mul_f64_e32 v[73:74], v[71:72], v[71:72]
	s_delay_alu instid0(VALU_DEP_1) | instskip(SKIP_4) | instid1(VALU_DEP_2)
	v_fma_f64 v[77:78], v[73:74], s[42:43], s[40:41]
	s_mov_b32 s40, 0xd7f4df2e
	s_mov_b32 s41, 0x3fc7474d
	v_mul_f64_e32 v[79:80], v[71:72], v[73:74]
	s_wait_alu 0xfffe
	v_fma_f64 v[77:78], v[73:74], v[77:78], s[40:41]
	s_mov_b32 s40, 0x16291751
	s_mov_b32 s41, 0x3fcc71c0
	s_wait_alu 0xfffe
	s_delay_alu instid0(VALU_DEP_1) | instskip(SKIP_3) | instid1(VALU_DEP_1)
	v_fma_f64 v[77:78], v[73:74], v[77:78], s[40:41]
	s_mov_b32 s40, 0x9b27acf1
	s_mov_b32 s41, 0x3fd24924
	s_wait_alu 0xfffe
	v_fma_f64 v[77:78], v[73:74], v[77:78], s[40:41]
	s_mov_b32 s40, 0x998ef7b6
	s_mov_b32 s41, 0x3fd99999
	s_wait_alu 0xfffe
	s_delay_alu instid0(VALU_DEP_1) | instskip(NEXT) | instid1(VALU_DEP_1)
	v_fma_f64 v[77:78], v[73:74], v[77:78], s[40:41]
	v_fma_f64 v[73:74], v[73:74], v[77:78], s[16:17]
	v_ldexp_f64 v[77:78], v[71:72], 1
	v_add_f64_e64 v[71:72], v[71:72], -v[75:76]
	v_cmp_neq_f64_e64 s16, 0x7ff00000, v[7:8]
	v_cmp_ngt_f64_e64 s17, -1.0, v[7:8]
	v_mul_f64_e32 v[73:74], v[79:80], v[73:74]
	v_cvt_f64_i32_e32 v[79:80], v110
	v_add_f64_e64 v[9:10], v[9:10], -v[71:72]
	s_and_b32 vcc_lo, vcc_lo, s16
	s_delay_alu instid0(VALU_DEP_3) | instskip(NEXT) | instid1(VALU_DEP_3)
	v_add_f64_e32 v[75:76], v[77:78], v[73:74]
	v_mul_f64_e32 v[81:82], s[18:19], v[79:80]
	s_delay_alu instid0(VALU_DEP_3) | instskip(NEXT) | instid1(VALU_DEP_3)
	v_ldexp_f64 v[9:10], v[9:10], 1
	v_add_f64_e64 v[71:72], v[75:76], -v[77:78]
	s_delay_alu instid0(VALU_DEP_3) | instskip(NEXT) | instid1(VALU_DEP_2)
	v_fma_f64 v[77:78], v[79:80], s[18:19], -v[81:82]
	v_add_f64_e64 v[71:72], v[73:74], -v[71:72]
	s_delay_alu instid0(VALU_DEP_2) | instskip(NEXT) | instid1(VALU_DEP_2)
	v_fma_f64 v[73:74], v[79:80], s[36:37], v[77:78]
	v_add_f64_e32 v[9:10], v[9:10], v[71:72]
	s_delay_alu instid0(VALU_DEP_2) | instskip(NEXT) | instid1(VALU_DEP_2)
	v_add_f64_e32 v[71:72], v[81:82], v[73:74]
	v_add_f64_e32 v[77:78], v[75:76], v[9:10]
	s_delay_alu instid0(VALU_DEP_2) | instskip(NEXT) | instid1(VALU_DEP_2)
	v_add_f64_e64 v[81:82], v[71:72], -v[81:82]
	v_add_f64_e32 v[79:80], v[71:72], v[77:78]
	v_add_f64_e64 v[75:76], v[77:78], -v[75:76]
	s_delay_alu instid0(VALU_DEP_3) | instskip(NEXT) | instid1(VALU_DEP_3)
	v_add_f64_e64 v[73:74], v[73:74], -v[81:82]
	v_add_f64_e64 v[102:103], v[79:80], -v[71:72]
	s_delay_alu instid0(VALU_DEP_3) | instskip(NEXT) | instid1(VALU_DEP_2)
	v_add_f64_e64 v[9:10], v[9:10], -v[75:76]
	v_add_f64_e64 v[104:105], v[79:80], -v[102:103]
	;; [unrolled: 1-line block ×3, first 2 shown]
	s_delay_alu instid0(VALU_DEP_3) | instskip(NEXT) | instid1(VALU_DEP_3)
	v_add_f64_e32 v[77:78], v[73:74], v[9:10]
	v_add_f64_e64 v[71:72], v[71:72], -v[104:105]
	s_delay_alu instid0(VALU_DEP_1) | instskip(NEXT) | instid1(VALU_DEP_3)
	v_add_f64_e32 v[71:72], v[75:76], v[71:72]
	v_add_f64_e64 v[75:76], v[77:78], -v[73:74]
	s_delay_alu instid0(VALU_DEP_2) | instskip(NEXT) | instid1(VALU_DEP_2)
	v_add_f64_e32 v[71:72], v[77:78], v[71:72]
	v_add_f64_e64 v[77:78], v[77:78], -v[75:76]
	v_add_f64_e64 v[9:10], v[9:10], -v[75:76]
	s_delay_alu instid0(VALU_DEP_3) | instskip(NEXT) | instid1(VALU_DEP_3)
	v_add_f64_e32 v[81:82], v[79:80], v[71:72]
	v_add_f64_e64 v[73:74], v[73:74], -v[77:78]
	s_delay_alu instid0(VALU_DEP_2) | instskip(NEXT) | instid1(VALU_DEP_2)
	v_add_f64_e64 v[75:76], v[81:82], -v[79:80]
	v_add_f64_e32 v[9:10], v[9:10], v[73:74]
	s_delay_alu instid0(VALU_DEP_2) | instskip(NEXT) | instid1(VALU_DEP_1)
	v_add_f64_e64 v[71:72], v[71:72], -v[75:76]
	v_add_f64_e32 v[9:10], v[9:10], v[71:72]
	s_delay_alu instid0(VALU_DEP_1) | instskip(SKIP_1) | instid1(VALU_DEP_1)
	v_add_f64_e32 v[9:10], v[81:82], v[9:10]
	s_wait_alu 0xfffe
	v_cndmask_b32_e32 v9, 0, v9, vcc_lo
	v_cmp_neq_f64_e32 vcc_lo, -1.0, v[7:8]
	s_delay_alu instid0(VALU_DEP_3) | instskip(NEXT) | instid1(VALU_DEP_1)
	v_cndmask_b32_e64 v10, 0x7ff00000, v10, s16
	v_cndmask_b32_e64 v10, 0x7ff80000, v10, s17
	s_wait_alu 0xfffd
	s_delay_alu instid0(VALU_DEP_1) | instskip(NEXT) | instid1(VALU_DEP_1)
	v_cndmask_b32_e32 v10, 0xfff00000, v10, vcc_lo
	v_add_f64_e32 v[7:8], v[5:6], v[9:10]
.LBB6_67:
	s_wait_alu 0xfffe
	s_or_b32 exec_lo, exec_lo, s39
	s_delay_alu instid0(VALU_DEP_1)
	v_dual_mov_b32 v9, v7 :: v_dual_mov_b32 v10, v8
	v_dual_mov_b32 v5, v7 :: v_dual_mov_b32 v6, v8
.LBB6_68:
	s_wait_alu 0xfffe
	s_or_b32 exec_lo, exec_lo, s38
	ds_swizzle_b32 v7, v9 offset:swizzle(BROADCAST,32,15)
	ds_swizzle_b32 v8, v10 offset:swizzle(BROADCAST,32,15)
	v_and_b32_e32 v9, 16, v101
	s_mov_b32 s38, exec_lo
	s_delay_alu instid0(VALU_DEP_1)
	v_cmpx_ne_u32_e32 0, v9
	s_cbranch_execz .LBB6_72
; %bb.69:
	s_wait_dscnt 0x0
	v_max_num_f64_e32 v[9:10], v[7:8], v[7:8]
	v_max_num_f64_e32 v[71:72], v[5:6], v[5:6]
	v_cmp_u_f64_e32 vcc_lo, v[7:8], v[7:8]
	v_cmp_u_f64_e64 s16, v[5:6], v[5:6]
	s_delay_alu instid0(VALU_DEP_3) | instskip(SKIP_2) | instid1(VALU_DEP_2)
	v_min_num_f64_e32 v[73:74], v[9:10], v[71:72]
	v_max_num_f64_e32 v[9:10], v[9:10], v[71:72]
	s_wait_alu 0xfffd
	v_dual_cndmask_b32 v71, v74, v8 :: v_dual_cndmask_b32 v72, v73, v7
	s_delay_alu instid0(VALU_DEP_2) | instskip(SKIP_1) | instid1(VALU_DEP_2)
	v_dual_cndmask_b32 v73, v10, v8 :: v_dual_cndmask_b32 v74, v9, v7
	s_wait_alu 0xf1ff
	v_cndmask_b32_e64 v10, v71, v6, s16
	s_delay_alu instid0(VALU_DEP_3) | instskip(NEXT) | instid1(VALU_DEP_3)
	v_cndmask_b32_e64 v9, v72, v5, s16
	v_cndmask_b32_e64 v6, v73, v6, s16
	;; [unrolled: 1-line block ×3, first 2 shown]
	s_delay_alu instid0(VALU_DEP_3) | instskip(NEXT) | instid1(VALU_DEP_2)
	v_cmp_class_f64_e64 s16, v[9:10], 0x1f8
	v_cmp_neq_f64_e32 vcc_lo, v[9:10], v[5:6]
	s_or_b32 s16, vcc_lo, s16
	s_wait_alu 0xfffe
	s_and_saveexec_b32 s39, s16
	s_cbranch_execz .LBB6_71
; %bb.70:
	v_add_f64_e64 v[7:8], v[9:10], -v[5:6]
	s_mov_b32 s16, 0x652b82fe
	s_mov_b32 s17, 0x3ff71547
	;; [unrolled: 1-line block ×10, first 2 shown]
	s_wait_alu 0xfffe
	s_delay_alu instid0(VALU_DEP_1) | instskip(SKIP_3) | instid1(VALU_DEP_2)
	v_mul_f64_e32 v[9:10], s[16:17], v[7:8]
	s_mov_b32 s16, 0xfca7ab0c
	s_mov_b32 s17, 0x3e928af3
	v_cmp_nlt_f64_e32 vcc_lo, 0x40900000, v[7:8]
	v_rndne_f64_e32 v[9:10], v[9:10]
	s_delay_alu instid0(VALU_DEP_1) | instskip(SKIP_2) | instid1(VALU_DEP_2)
	v_fma_f64 v[71:72], v[9:10], s[18:19], v[7:8]
	v_cvt_i32_f64_e32 v75, v[9:10]
	s_mov_b32 s19, 0x3fe62e42
	v_fma_f64 v[71:72], v[9:10], s[36:37], v[71:72]
	s_mov_b32 s37, 0x3c7abc9e
	s_wait_alu 0xfffe
	s_delay_alu instid0(VALU_DEP_1)
	v_fma_f64 v[73:74], v[71:72], s[40:41], s[16:17]
	s_mov_b32 s16, 0x623fde64
	s_mov_b32 s17, 0x3ec71dee
	s_mov_b32 s40, 0x6b47b09a
	s_mov_b32 s41, 0x3fc38538
	s_wait_alu 0xfffe
	s_delay_alu instid0(VALU_DEP_1) | instskip(SKIP_3) | instid1(VALU_DEP_1)
	v_fma_f64 v[73:74], v[71:72], v[73:74], s[16:17]
	s_mov_b32 s16, 0x7c89e6b0
	s_mov_b32 s17, 0x3efa0199
	s_wait_alu 0xfffe
	v_fma_f64 v[73:74], v[71:72], v[73:74], s[16:17]
	s_mov_b32 s16, 0x14761f6e
	s_mov_b32 s17, 0x3f2a01a0
	s_wait_alu 0xfffe
	s_delay_alu instid0(VALU_DEP_1) | instskip(SKIP_3) | instid1(VALU_DEP_1)
	v_fma_f64 v[73:74], v[71:72], v[73:74], s[16:17]
	s_mov_b32 s16, 0x1852b7b0
	s_mov_b32 s17, 0x3f56c16c
	s_wait_alu 0xfffe
	v_fma_f64 v[73:74], v[71:72], v[73:74], s[16:17]
	s_mov_b32 s16, 0x11122322
	s_mov_b32 s17, 0x3f811111
	;; [unrolled: 9-line block ×3, first 2 shown]
	s_wait_alu 0xfffe
	s_delay_alu instid0(VALU_DEP_1) | instskip(SKIP_3) | instid1(VALU_DEP_1)
	v_fma_f64 v[73:74], v[71:72], v[73:74], s[16:17]
	s_mov_b32 s16, 11
	s_mov_b32 s17, 0x3fe00000
	s_wait_alu 0xfffe
	v_fma_f64 v[73:74], v[71:72], v[73:74], s[16:17]
	v_cmp_ngt_f64_e64 s16, 0xc090cc00, v[7:8]
	s_mov_b32 s17, 0x3fe55555
	v_fma_f64 v[73:74], v[71:72], v[73:74], 1.0
	s_delay_alu instid0(VALU_DEP_1) | instskip(NEXT) | instid1(VALU_DEP_1)
	v_fma_f64 v[9:10], v[71:72], v[73:74], 1.0
	v_ldexp_f64 v[9:10], v[9:10], v75
	s_wait_alu 0xfffd
	s_delay_alu instid0(VALU_DEP_1) | instskip(SKIP_2) | instid1(VALU_DEP_2)
	v_cndmask_b32_e32 v10, 0x7ff00000, v10, vcc_lo
	s_and_b32 vcc_lo, s16, vcc_lo
	s_wait_alu 0xfffe
	v_cndmask_b32_e32 v7, 0, v9, vcc_lo
	s_delay_alu instid0(VALU_DEP_2) | instskip(SKIP_1) | instid1(VALU_DEP_1)
	v_cndmask_b32_e64 v8, 0, v10, s16
	s_mov_b32 s16, 0x55555555
	v_add_f64_e32 v[9:10], 1.0, v[7:8]
	s_delay_alu instid0(VALU_DEP_1) | instskip(SKIP_3) | instid1(VALU_DEP_3)
	v_frexp_mant_f64_e32 v[71:72], v[9:10]
	v_frexp_exp_i32_f64_e32 v75, v[9:10]
	v_add_f64_e32 v[73:74], -1.0, v[9:10]
	s_wait_alu 0xfffe
	v_cmp_gt_f64_e32 vcc_lo, s[16:17], v[71:72]
	s_mov_b32 s16, 0x55555780
	s_delay_alu instid0(VALU_DEP_2) | instskip(SKIP_3) | instid1(VALU_DEP_3)
	v_add_f64_e64 v[71:72], v[73:74], -v[9:10]
	v_add_f64_e64 v[73:74], v[7:8], -v[73:74]
	s_wait_alu 0xfffd
	v_subrev_co_ci_u32_e64 v110, null, 0, v75, vcc_lo
	v_add_f64_e32 v[71:72], 1.0, v[71:72]
	v_cmp_nge_f64_e32 vcc_lo, -1.0, v[7:8]
	s_delay_alu instid0(VALU_DEP_3) | instskip(NEXT) | instid1(VALU_DEP_1)
	v_sub_nc_u32_e32 v77, 0, v110
	v_ldexp_f64 v[9:10], v[9:10], v77
	s_delay_alu instid0(VALU_DEP_4) | instskip(NEXT) | instid1(VALU_DEP_2)
	v_add_f64_e32 v[71:72], v[73:74], v[71:72]
	v_add_f64_e32 v[75:76], 1.0, v[9:10]
	v_add_f64_e32 v[81:82], -1.0, v[9:10]
	s_delay_alu instid0(VALU_DEP_3) | instskip(NEXT) | instid1(VALU_DEP_3)
	v_ldexp_f64 v[71:72], v[71:72], v77
	v_add_f64_e32 v[73:74], -1.0, v[75:76]
	s_delay_alu instid0(VALU_DEP_3) | instskip(NEXT) | instid1(VALU_DEP_2)
	v_add_f64_e32 v[102:103], 1.0, v[81:82]
	v_add_f64_e64 v[73:74], v[9:10], -v[73:74]
	s_delay_alu instid0(VALU_DEP_2) | instskip(NEXT) | instid1(VALU_DEP_2)
	v_add_f64_e64 v[9:10], v[9:10], -v[102:103]
	v_add_f64_e32 v[73:74], v[71:72], v[73:74]
	s_delay_alu instid0(VALU_DEP_2) | instskip(NEXT) | instid1(VALU_DEP_2)
	v_add_f64_e32 v[9:10], v[71:72], v[9:10]
	v_add_f64_e32 v[77:78], v[75:76], v[73:74]
	s_delay_alu instid0(VALU_DEP_2) | instskip(NEXT) | instid1(VALU_DEP_2)
	v_add_f64_e32 v[102:103], v[81:82], v[9:10]
	v_rcp_f64_e32 v[79:80], v[77:78]
	v_add_f64_e64 v[75:76], v[77:78], -v[75:76]
	s_delay_alu instid0(VALU_DEP_2) | instskip(NEXT) | instid1(VALU_DEP_2)
	v_add_f64_e64 v[81:82], v[102:103], -v[81:82]
	v_add_f64_e64 v[73:74], v[73:74], -v[75:76]
	s_delay_alu instid0(TRANS32_DEP_1) | instskip(NEXT) | instid1(VALU_DEP_3)
	v_fma_f64 v[104:105], -v[77:78], v[79:80], 1.0
	v_add_f64_e64 v[9:10], v[9:10], -v[81:82]
	s_delay_alu instid0(VALU_DEP_2) | instskip(NEXT) | instid1(VALU_DEP_1)
	v_fma_f64 v[79:80], v[104:105], v[79:80], v[79:80]
	v_fma_f64 v[71:72], -v[77:78], v[79:80], 1.0
	s_delay_alu instid0(VALU_DEP_1) | instskip(NEXT) | instid1(VALU_DEP_1)
	v_fma_f64 v[71:72], v[71:72], v[79:80], v[79:80]
	v_mul_f64_e32 v[79:80], v[102:103], v[71:72]
	s_delay_alu instid0(VALU_DEP_1) | instskip(NEXT) | instid1(VALU_DEP_1)
	v_mul_f64_e32 v[104:105], v[77:78], v[79:80]
	v_fma_f64 v[75:76], v[79:80], v[77:78], -v[104:105]
	s_delay_alu instid0(VALU_DEP_1) | instskip(NEXT) | instid1(VALU_DEP_1)
	v_fma_f64 v[75:76], v[79:80], v[73:74], v[75:76]
	v_add_f64_e32 v[106:107], v[104:105], v[75:76]
	s_delay_alu instid0(VALU_DEP_1) | instskip(SKIP_1) | instid1(VALU_DEP_2)
	v_add_f64_e64 v[108:109], v[102:103], -v[106:107]
	v_add_f64_e64 v[81:82], v[106:107], -v[104:105]
	;; [unrolled: 1-line block ×3, first 2 shown]
	s_delay_alu instid0(VALU_DEP_2) | instskip(NEXT) | instid1(VALU_DEP_2)
	v_add_f64_e64 v[75:76], v[81:82], -v[75:76]
	v_add_f64_e64 v[102:103], v[102:103], -v[106:107]
	s_delay_alu instid0(VALU_DEP_1) | instskip(NEXT) | instid1(VALU_DEP_1)
	v_add_f64_e32 v[9:10], v[9:10], v[102:103]
	v_add_f64_e32 v[9:10], v[75:76], v[9:10]
	s_delay_alu instid0(VALU_DEP_1) | instskip(NEXT) | instid1(VALU_DEP_1)
	v_add_f64_e32 v[75:76], v[108:109], v[9:10]
	v_mul_f64_e32 v[81:82], v[71:72], v[75:76]
	v_add_f64_e64 v[106:107], v[108:109], -v[75:76]
	s_delay_alu instid0(VALU_DEP_2) | instskip(NEXT) | instid1(VALU_DEP_2)
	v_mul_f64_e32 v[102:103], v[77:78], v[81:82]
	v_add_f64_e32 v[9:10], v[9:10], v[106:107]
	s_delay_alu instid0(VALU_DEP_2) | instskip(NEXT) | instid1(VALU_DEP_1)
	v_fma_f64 v[77:78], v[81:82], v[77:78], -v[102:103]
	v_fma_f64 v[73:74], v[81:82], v[73:74], v[77:78]
	s_delay_alu instid0(VALU_DEP_1) | instskip(NEXT) | instid1(VALU_DEP_1)
	v_add_f64_e32 v[77:78], v[102:103], v[73:74]
	v_add_f64_e64 v[104:105], v[75:76], -v[77:78]
	v_add_f64_e64 v[102:103], v[77:78], -v[102:103]
	s_delay_alu instid0(VALU_DEP_2) | instskip(NEXT) | instid1(VALU_DEP_2)
	v_add_f64_e64 v[75:76], v[75:76], -v[104:105]
	v_add_f64_e64 v[73:74], v[102:103], -v[73:74]
	s_delay_alu instid0(VALU_DEP_2) | instskip(NEXT) | instid1(VALU_DEP_1)
	v_add_f64_e64 v[75:76], v[75:76], -v[77:78]
	v_add_f64_e32 v[9:10], v[9:10], v[75:76]
	v_add_f64_e32 v[75:76], v[79:80], v[81:82]
	s_delay_alu instid0(VALU_DEP_2) | instskip(NEXT) | instid1(VALU_DEP_2)
	v_add_f64_e32 v[9:10], v[73:74], v[9:10]
	v_add_f64_e64 v[73:74], v[75:76], -v[79:80]
	s_delay_alu instid0(VALU_DEP_2) | instskip(NEXT) | instid1(VALU_DEP_2)
	v_add_f64_e32 v[9:10], v[104:105], v[9:10]
	v_add_f64_e64 v[73:74], v[81:82], -v[73:74]
	s_delay_alu instid0(VALU_DEP_2) | instskip(NEXT) | instid1(VALU_DEP_1)
	v_mul_f64_e32 v[9:10], v[71:72], v[9:10]
	v_add_f64_e32 v[9:10], v[73:74], v[9:10]
	s_delay_alu instid0(VALU_DEP_1) | instskip(NEXT) | instid1(VALU_DEP_1)
	v_add_f64_e32 v[71:72], v[75:76], v[9:10]
	v_mul_f64_e32 v[73:74], v[71:72], v[71:72]
	s_delay_alu instid0(VALU_DEP_1) | instskip(SKIP_4) | instid1(VALU_DEP_2)
	v_fma_f64 v[77:78], v[73:74], s[42:43], s[40:41]
	s_mov_b32 s40, 0xd7f4df2e
	s_mov_b32 s41, 0x3fc7474d
	v_mul_f64_e32 v[79:80], v[71:72], v[73:74]
	s_wait_alu 0xfffe
	v_fma_f64 v[77:78], v[73:74], v[77:78], s[40:41]
	s_mov_b32 s40, 0x16291751
	s_mov_b32 s41, 0x3fcc71c0
	s_wait_alu 0xfffe
	s_delay_alu instid0(VALU_DEP_1) | instskip(SKIP_3) | instid1(VALU_DEP_1)
	v_fma_f64 v[77:78], v[73:74], v[77:78], s[40:41]
	s_mov_b32 s40, 0x9b27acf1
	s_mov_b32 s41, 0x3fd24924
	s_wait_alu 0xfffe
	v_fma_f64 v[77:78], v[73:74], v[77:78], s[40:41]
	s_mov_b32 s40, 0x998ef7b6
	s_mov_b32 s41, 0x3fd99999
	s_wait_alu 0xfffe
	s_delay_alu instid0(VALU_DEP_1) | instskip(NEXT) | instid1(VALU_DEP_1)
	v_fma_f64 v[77:78], v[73:74], v[77:78], s[40:41]
	v_fma_f64 v[73:74], v[73:74], v[77:78], s[16:17]
	v_ldexp_f64 v[77:78], v[71:72], 1
	v_add_f64_e64 v[71:72], v[71:72], -v[75:76]
	v_cmp_neq_f64_e64 s16, 0x7ff00000, v[7:8]
	v_cmp_ngt_f64_e64 s17, -1.0, v[7:8]
	v_mul_f64_e32 v[73:74], v[79:80], v[73:74]
	v_cvt_f64_i32_e32 v[79:80], v110
	v_add_f64_e64 v[9:10], v[9:10], -v[71:72]
	s_and_b32 vcc_lo, vcc_lo, s16
	s_delay_alu instid0(VALU_DEP_3) | instskip(NEXT) | instid1(VALU_DEP_3)
	v_add_f64_e32 v[75:76], v[77:78], v[73:74]
	v_mul_f64_e32 v[81:82], s[18:19], v[79:80]
	s_delay_alu instid0(VALU_DEP_3) | instskip(NEXT) | instid1(VALU_DEP_3)
	v_ldexp_f64 v[9:10], v[9:10], 1
	v_add_f64_e64 v[71:72], v[75:76], -v[77:78]
	s_delay_alu instid0(VALU_DEP_3) | instskip(NEXT) | instid1(VALU_DEP_2)
	v_fma_f64 v[77:78], v[79:80], s[18:19], -v[81:82]
	v_add_f64_e64 v[71:72], v[73:74], -v[71:72]
	s_delay_alu instid0(VALU_DEP_2) | instskip(NEXT) | instid1(VALU_DEP_2)
	v_fma_f64 v[73:74], v[79:80], s[36:37], v[77:78]
	v_add_f64_e32 v[9:10], v[9:10], v[71:72]
	s_delay_alu instid0(VALU_DEP_2) | instskip(NEXT) | instid1(VALU_DEP_2)
	v_add_f64_e32 v[71:72], v[81:82], v[73:74]
	v_add_f64_e32 v[77:78], v[75:76], v[9:10]
	s_delay_alu instid0(VALU_DEP_2) | instskip(NEXT) | instid1(VALU_DEP_2)
	v_add_f64_e64 v[81:82], v[71:72], -v[81:82]
	v_add_f64_e32 v[79:80], v[71:72], v[77:78]
	v_add_f64_e64 v[75:76], v[77:78], -v[75:76]
	s_delay_alu instid0(VALU_DEP_3) | instskip(NEXT) | instid1(VALU_DEP_3)
	v_add_f64_e64 v[73:74], v[73:74], -v[81:82]
	v_add_f64_e64 v[102:103], v[79:80], -v[71:72]
	s_delay_alu instid0(VALU_DEP_3) | instskip(NEXT) | instid1(VALU_DEP_2)
	v_add_f64_e64 v[9:10], v[9:10], -v[75:76]
	v_add_f64_e64 v[104:105], v[79:80], -v[102:103]
	v_add_f64_e64 v[75:76], v[77:78], -v[102:103]
	s_delay_alu instid0(VALU_DEP_3) | instskip(NEXT) | instid1(VALU_DEP_3)
	v_add_f64_e32 v[77:78], v[73:74], v[9:10]
	v_add_f64_e64 v[71:72], v[71:72], -v[104:105]
	s_delay_alu instid0(VALU_DEP_1) | instskip(NEXT) | instid1(VALU_DEP_3)
	v_add_f64_e32 v[71:72], v[75:76], v[71:72]
	v_add_f64_e64 v[75:76], v[77:78], -v[73:74]
	s_delay_alu instid0(VALU_DEP_2) | instskip(NEXT) | instid1(VALU_DEP_2)
	v_add_f64_e32 v[71:72], v[77:78], v[71:72]
	v_add_f64_e64 v[77:78], v[77:78], -v[75:76]
	v_add_f64_e64 v[9:10], v[9:10], -v[75:76]
	s_delay_alu instid0(VALU_DEP_3) | instskip(NEXT) | instid1(VALU_DEP_3)
	v_add_f64_e32 v[81:82], v[79:80], v[71:72]
	v_add_f64_e64 v[73:74], v[73:74], -v[77:78]
	s_delay_alu instid0(VALU_DEP_2) | instskip(NEXT) | instid1(VALU_DEP_2)
	v_add_f64_e64 v[75:76], v[81:82], -v[79:80]
	v_add_f64_e32 v[9:10], v[9:10], v[73:74]
	s_delay_alu instid0(VALU_DEP_2) | instskip(NEXT) | instid1(VALU_DEP_1)
	v_add_f64_e64 v[71:72], v[71:72], -v[75:76]
	v_add_f64_e32 v[9:10], v[9:10], v[71:72]
	s_delay_alu instid0(VALU_DEP_1) | instskip(SKIP_1) | instid1(VALU_DEP_1)
	v_add_f64_e32 v[9:10], v[81:82], v[9:10]
	s_wait_alu 0xfffe
	v_cndmask_b32_e32 v9, 0, v9, vcc_lo
	v_cmp_neq_f64_e32 vcc_lo, -1.0, v[7:8]
	s_delay_alu instid0(VALU_DEP_3) | instskip(NEXT) | instid1(VALU_DEP_1)
	v_cndmask_b32_e64 v10, 0x7ff00000, v10, s16
	v_cndmask_b32_e64 v10, 0x7ff80000, v10, s17
	s_wait_alu 0xfffd
	s_delay_alu instid0(VALU_DEP_1) | instskip(NEXT) | instid1(VALU_DEP_1)
	v_cndmask_b32_e32 v10, 0xfff00000, v10, vcc_lo
	v_add_f64_e32 v[7:8], v[5:6], v[9:10]
.LBB6_71:
	s_wait_alu 0xfffe
	s_or_b32 exec_lo, exec_lo, s39
	s_delay_alu instid0(VALU_DEP_1)
	v_dual_mov_b32 v5, v7 :: v_dual_mov_b32 v6, v8
.LBB6_72:
	s_wait_alu 0xfffe
	s_or_b32 exec_lo, exec_lo, s38
	s_wait_dscnt 0x1
	v_or_b32_e32 v7, 31, v0
	v_lshrrev_b32_e32 v73, 5, v0
	s_mov_b32 s16, exec_lo
	s_delay_alu instid0(VALU_DEP_2)
	v_cmpx_eq_u32_e64 v0, v7
; %bb.73:
	s_delay_alu instid0(VALU_DEP_2)
	v_lshlrev_b32_e32 v7, 3, v73
	ds_store_b64 v7, v[5:6]
; %bb.74:
	s_wait_alu 0xfffe
	s_or_b32 exec_lo, exec_lo, s16
	s_delay_alu instid0(SALU_CYCLE_1)
	s_mov_b32 s38, exec_lo
	s_wait_loadcnt_dscnt 0x0
	s_barrier_signal -1
	s_barrier_wait -1
	global_inv scope:SCOPE_SE
	v_cmpx_gt_u32_e32 8, v0
	s_cbranch_execz .LBB6_88
; %bb.75:
	ds_load_b64 v[7:8], v98
	v_and_b32_e32 v74, 7, v101
	s_mov_b32 s39, exec_lo
	s_wait_dscnt 0x0
	v_mov_b32_dpp v9, v7 row_shr:1 row_mask:0xf bank_mask:0xf
	v_mov_b32_dpp v10, v8 row_shr:1 row_mask:0xf bank_mask:0xf
	v_dual_mov_b32 v71, v7 :: v_dual_mov_b32 v72, v8
	v_cmpx_ne_u32_e32 0, v74
	s_cbranch_execz .LBB6_79
; %bb.76:
	s_delay_alu instid0(VALU_DEP_3) | instskip(SKIP_3) | instid1(VALU_DEP_3)
	v_max_num_f64_e32 v[71:72], v[9:10], v[9:10]
	v_max_num_f64_e32 v[75:76], v[7:8], v[7:8]
	v_cmp_u_f64_e32 vcc_lo, v[9:10], v[9:10]
	v_cmp_u_f64_e64 s16, v[7:8], v[7:8]
	v_min_num_f64_e32 v[77:78], v[71:72], v[75:76]
	v_max_num_f64_e32 v[71:72], v[71:72], v[75:76]
	s_wait_alu 0xfffd
	s_delay_alu instid0(VALU_DEP_2) | instskip(NEXT) | instid1(VALU_DEP_2)
	v_dual_cndmask_b32 v75, v78, v10 :: v_dual_cndmask_b32 v76, v77, v9
	v_dual_cndmask_b32 v77, v72, v10 :: v_dual_cndmask_b32 v78, v71, v9
	s_wait_alu 0xf1ff
	s_delay_alu instid0(VALU_DEP_2) | instskip(NEXT) | instid1(VALU_DEP_3)
	v_cndmask_b32_e64 v72, v75, v8, s16
	v_cndmask_b32_e64 v71, v76, v7, s16
	s_delay_alu instid0(VALU_DEP_3) | instskip(SKIP_1) | instid1(VALU_DEP_3)
	v_cndmask_b32_e64 v8, v77, v8, s16
	v_cndmask_b32_e64 v7, v78, v7, s16
	v_cmp_class_f64_e64 s16, v[71:72], 0x1f8
	s_delay_alu instid0(VALU_DEP_2)
	v_cmp_neq_f64_e32 vcc_lo, v[71:72], v[7:8]
	s_or_b32 s16, vcc_lo, s16
	s_wait_alu 0xfffe
	s_and_saveexec_b32 s40, s16
	s_cbranch_execz .LBB6_78
; %bb.77:
	v_add_f64_e64 v[9:10], v[71:72], -v[7:8]
	s_mov_b32 s16, 0x652b82fe
	s_mov_b32 s17, 0x3ff71547
	;; [unrolled: 1-line block ×10, first 2 shown]
	s_wait_alu 0xfffe
	s_delay_alu instid0(VALU_DEP_1) | instskip(SKIP_3) | instid1(VALU_DEP_2)
	v_mul_f64_e32 v[71:72], s[16:17], v[9:10]
	s_mov_b32 s16, 0xfca7ab0c
	s_mov_b32 s17, 0x3e928af3
	v_cmp_nlt_f64_e32 vcc_lo, 0x40900000, v[9:10]
	v_rndne_f64_e32 v[71:72], v[71:72]
	s_delay_alu instid0(VALU_DEP_1) | instskip(SKIP_2) | instid1(VALU_DEP_2)
	v_fma_f64 v[75:76], v[71:72], s[18:19], v[9:10]
	v_cvt_i32_f64_e32 v79, v[71:72]
	s_mov_b32 s19, 0x3fe62e42
	v_fma_f64 v[75:76], v[71:72], s[36:37], v[75:76]
	s_mov_b32 s37, 0x3c7abc9e
	s_wait_alu 0xfffe
	s_delay_alu instid0(VALU_DEP_1)
	v_fma_f64 v[77:78], v[75:76], s[42:43], s[16:17]
	s_mov_b32 s16, 0x623fde64
	s_mov_b32 s17, 0x3ec71dee
	;; [unrolled: 1-line block ×4, first 2 shown]
	s_wait_alu 0xfffe
	s_delay_alu instid0(VALU_DEP_1) | instskip(SKIP_3) | instid1(VALU_DEP_1)
	v_fma_f64 v[77:78], v[75:76], v[77:78], s[16:17]
	s_mov_b32 s16, 0x7c89e6b0
	s_mov_b32 s17, 0x3efa0199
	s_wait_alu 0xfffe
	v_fma_f64 v[77:78], v[75:76], v[77:78], s[16:17]
	s_mov_b32 s16, 0x14761f6e
	s_mov_b32 s17, 0x3f2a01a0
	s_wait_alu 0xfffe
	s_delay_alu instid0(VALU_DEP_1) | instskip(SKIP_3) | instid1(VALU_DEP_1)
	v_fma_f64 v[77:78], v[75:76], v[77:78], s[16:17]
	s_mov_b32 s16, 0x1852b7b0
	s_mov_b32 s17, 0x3f56c16c
	s_wait_alu 0xfffe
	v_fma_f64 v[77:78], v[75:76], v[77:78], s[16:17]
	s_mov_b32 s16, 0x11122322
	s_mov_b32 s17, 0x3f811111
	;; [unrolled: 9-line block ×3, first 2 shown]
	s_wait_alu 0xfffe
	s_delay_alu instid0(VALU_DEP_1) | instskip(SKIP_3) | instid1(VALU_DEP_1)
	v_fma_f64 v[77:78], v[75:76], v[77:78], s[16:17]
	s_mov_b32 s16, 11
	s_mov_b32 s17, 0x3fe00000
	s_wait_alu 0xfffe
	v_fma_f64 v[77:78], v[75:76], v[77:78], s[16:17]
	v_cmp_ngt_f64_e64 s16, 0xc090cc00, v[9:10]
	s_mov_b32 s17, 0x3fe55555
	v_fma_f64 v[77:78], v[75:76], v[77:78], 1.0
	s_delay_alu instid0(VALU_DEP_1) | instskip(NEXT) | instid1(VALU_DEP_1)
	v_fma_f64 v[71:72], v[75:76], v[77:78], 1.0
	v_ldexp_f64 v[71:72], v[71:72], v79
	s_wait_alu 0xfffd
	s_delay_alu instid0(VALU_DEP_1) | instskip(SKIP_2) | instid1(VALU_DEP_2)
	v_cndmask_b32_e32 v72, 0x7ff00000, v72, vcc_lo
	s_and_b32 vcc_lo, s16, vcc_lo
	s_wait_alu 0xfffe
	v_cndmask_b32_e32 v9, 0, v71, vcc_lo
	s_delay_alu instid0(VALU_DEP_2) | instskip(SKIP_1) | instid1(VALU_DEP_1)
	v_cndmask_b32_e64 v10, 0, v72, s16
	s_mov_b32 s16, 0x55555555
	v_add_f64_e32 v[71:72], 1.0, v[9:10]
	s_delay_alu instid0(VALU_DEP_1) | instskip(SKIP_3) | instid1(VALU_DEP_3)
	v_frexp_mant_f64_e32 v[75:76], v[71:72]
	v_frexp_exp_i32_f64_e32 v79, v[71:72]
	v_add_f64_e32 v[77:78], -1.0, v[71:72]
	s_wait_alu 0xfffe
	v_cmp_gt_f64_e32 vcc_lo, s[16:17], v[75:76]
	s_mov_b32 s16, 0x55555780
	s_delay_alu instid0(VALU_DEP_2) | instskip(SKIP_3) | instid1(VALU_DEP_3)
	v_add_f64_e64 v[75:76], v[77:78], -v[71:72]
	v_add_f64_e64 v[77:78], v[9:10], -v[77:78]
	s_wait_alu 0xfffd
	v_subrev_co_ci_u32_e64 v114, null, 0, v79, vcc_lo
	v_add_f64_e32 v[75:76], 1.0, v[75:76]
	v_cmp_nge_f64_e32 vcc_lo, -1.0, v[9:10]
	s_delay_alu instid0(VALU_DEP_3) | instskip(NEXT) | instid1(VALU_DEP_1)
	v_sub_nc_u32_e32 v81, 0, v114
	v_ldexp_f64 v[71:72], v[71:72], v81
	s_delay_alu instid0(VALU_DEP_4) | instskip(NEXT) | instid1(VALU_DEP_2)
	v_add_f64_e32 v[75:76], v[77:78], v[75:76]
	v_add_f64_e32 v[79:80], 1.0, v[71:72]
	v_add_f64_e32 v[104:105], -1.0, v[71:72]
	s_delay_alu instid0(VALU_DEP_3) | instskip(NEXT) | instid1(VALU_DEP_3)
	v_ldexp_f64 v[75:76], v[75:76], v81
	v_add_f64_e32 v[77:78], -1.0, v[79:80]
	s_delay_alu instid0(VALU_DEP_3) | instskip(NEXT) | instid1(VALU_DEP_2)
	v_add_f64_e32 v[106:107], 1.0, v[104:105]
	v_add_f64_e64 v[77:78], v[71:72], -v[77:78]
	s_delay_alu instid0(VALU_DEP_2) | instskip(NEXT) | instid1(VALU_DEP_2)
	v_add_f64_e64 v[71:72], v[71:72], -v[106:107]
	v_add_f64_e32 v[77:78], v[75:76], v[77:78]
	s_delay_alu instid0(VALU_DEP_2) | instskip(NEXT) | instid1(VALU_DEP_2)
	v_add_f64_e32 v[71:72], v[75:76], v[71:72]
	v_add_f64_e32 v[81:82], v[79:80], v[77:78]
	s_delay_alu instid0(VALU_DEP_2) | instskip(NEXT) | instid1(VALU_DEP_2)
	v_add_f64_e32 v[106:107], v[104:105], v[71:72]
	v_rcp_f64_e32 v[102:103], v[81:82]
	v_add_f64_e64 v[79:80], v[81:82], -v[79:80]
	s_delay_alu instid0(VALU_DEP_2) | instskip(NEXT) | instid1(VALU_DEP_2)
	v_add_f64_e64 v[104:105], v[106:107], -v[104:105]
	v_add_f64_e64 v[77:78], v[77:78], -v[79:80]
	s_delay_alu instid0(TRANS32_DEP_1) | instskip(NEXT) | instid1(VALU_DEP_3)
	v_fma_f64 v[108:109], -v[81:82], v[102:103], 1.0
	v_add_f64_e64 v[71:72], v[71:72], -v[104:105]
	s_delay_alu instid0(VALU_DEP_2) | instskip(NEXT) | instid1(VALU_DEP_1)
	v_fma_f64 v[102:103], v[108:109], v[102:103], v[102:103]
	v_fma_f64 v[75:76], -v[81:82], v[102:103], 1.0
	s_delay_alu instid0(VALU_DEP_1) | instskip(NEXT) | instid1(VALU_DEP_1)
	v_fma_f64 v[75:76], v[75:76], v[102:103], v[102:103]
	v_mul_f64_e32 v[102:103], v[106:107], v[75:76]
	s_delay_alu instid0(VALU_DEP_1) | instskip(NEXT) | instid1(VALU_DEP_1)
	v_mul_f64_e32 v[108:109], v[81:82], v[102:103]
	v_fma_f64 v[79:80], v[102:103], v[81:82], -v[108:109]
	s_delay_alu instid0(VALU_DEP_1) | instskip(NEXT) | instid1(VALU_DEP_1)
	v_fma_f64 v[79:80], v[102:103], v[77:78], v[79:80]
	v_add_f64_e32 v[110:111], v[108:109], v[79:80]
	s_delay_alu instid0(VALU_DEP_1) | instskip(SKIP_1) | instid1(VALU_DEP_2)
	v_add_f64_e64 v[112:113], v[106:107], -v[110:111]
	v_add_f64_e64 v[104:105], v[110:111], -v[108:109]
	;; [unrolled: 1-line block ×3, first 2 shown]
	s_delay_alu instid0(VALU_DEP_2) | instskip(NEXT) | instid1(VALU_DEP_2)
	v_add_f64_e64 v[79:80], v[104:105], -v[79:80]
	v_add_f64_e64 v[106:107], v[106:107], -v[110:111]
	s_delay_alu instid0(VALU_DEP_1) | instskip(NEXT) | instid1(VALU_DEP_1)
	v_add_f64_e32 v[71:72], v[71:72], v[106:107]
	v_add_f64_e32 v[71:72], v[79:80], v[71:72]
	s_delay_alu instid0(VALU_DEP_1) | instskip(NEXT) | instid1(VALU_DEP_1)
	v_add_f64_e32 v[79:80], v[112:113], v[71:72]
	v_mul_f64_e32 v[104:105], v[75:76], v[79:80]
	v_add_f64_e64 v[110:111], v[112:113], -v[79:80]
	s_delay_alu instid0(VALU_DEP_2) | instskip(NEXT) | instid1(VALU_DEP_2)
	v_mul_f64_e32 v[106:107], v[81:82], v[104:105]
	v_add_f64_e32 v[71:72], v[71:72], v[110:111]
	s_delay_alu instid0(VALU_DEP_2) | instskip(NEXT) | instid1(VALU_DEP_1)
	v_fma_f64 v[81:82], v[104:105], v[81:82], -v[106:107]
	v_fma_f64 v[77:78], v[104:105], v[77:78], v[81:82]
	s_delay_alu instid0(VALU_DEP_1) | instskip(NEXT) | instid1(VALU_DEP_1)
	v_add_f64_e32 v[81:82], v[106:107], v[77:78]
	v_add_f64_e64 v[108:109], v[79:80], -v[81:82]
	v_add_f64_e64 v[106:107], v[81:82], -v[106:107]
	s_delay_alu instid0(VALU_DEP_2) | instskip(NEXT) | instid1(VALU_DEP_2)
	v_add_f64_e64 v[79:80], v[79:80], -v[108:109]
	v_add_f64_e64 v[77:78], v[106:107], -v[77:78]
	s_delay_alu instid0(VALU_DEP_2) | instskip(NEXT) | instid1(VALU_DEP_1)
	v_add_f64_e64 v[79:80], v[79:80], -v[81:82]
	v_add_f64_e32 v[71:72], v[71:72], v[79:80]
	v_add_f64_e32 v[79:80], v[102:103], v[104:105]
	s_delay_alu instid0(VALU_DEP_2) | instskip(NEXT) | instid1(VALU_DEP_2)
	v_add_f64_e32 v[71:72], v[77:78], v[71:72]
	v_add_f64_e64 v[77:78], v[79:80], -v[102:103]
	s_delay_alu instid0(VALU_DEP_2) | instskip(NEXT) | instid1(VALU_DEP_2)
	v_add_f64_e32 v[71:72], v[108:109], v[71:72]
	v_add_f64_e64 v[77:78], v[104:105], -v[77:78]
	s_delay_alu instid0(VALU_DEP_2) | instskip(NEXT) | instid1(VALU_DEP_1)
	v_mul_f64_e32 v[71:72], v[75:76], v[71:72]
	v_add_f64_e32 v[71:72], v[77:78], v[71:72]
	s_delay_alu instid0(VALU_DEP_1) | instskip(NEXT) | instid1(VALU_DEP_1)
	v_add_f64_e32 v[75:76], v[79:80], v[71:72]
	v_mul_f64_e32 v[77:78], v[75:76], v[75:76]
	s_delay_alu instid0(VALU_DEP_1) | instskip(SKIP_4) | instid1(VALU_DEP_2)
	v_fma_f64 v[81:82], v[77:78], s[44:45], s[42:43]
	s_mov_b32 s42, 0xd7f4df2e
	s_mov_b32 s43, 0x3fc7474d
	v_mul_f64_e32 v[102:103], v[75:76], v[77:78]
	s_wait_alu 0xfffe
	v_fma_f64 v[81:82], v[77:78], v[81:82], s[42:43]
	s_mov_b32 s42, 0x16291751
	s_mov_b32 s43, 0x3fcc71c0
	s_wait_alu 0xfffe
	s_delay_alu instid0(VALU_DEP_1) | instskip(SKIP_3) | instid1(VALU_DEP_1)
	v_fma_f64 v[81:82], v[77:78], v[81:82], s[42:43]
	s_mov_b32 s42, 0x9b27acf1
	s_mov_b32 s43, 0x3fd24924
	s_wait_alu 0xfffe
	v_fma_f64 v[81:82], v[77:78], v[81:82], s[42:43]
	s_mov_b32 s42, 0x998ef7b6
	s_mov_b32 s43, 0x3fd99999
	s_wait_alu 0xfffe
	s_delay_alu instid0(VALU_DEP_1) | instskip(NEXT) | instid1(VALU_DEP_1)
	v_fma_f64 v[81:82], v[77:78], v[81:82], s[42:43]
	v_fma_f64 v[77:78], v[77:78], v[81:82], s[16:17]
	v_ldexp_f64 v[81:82], v[75:76], 1
	v_add_f64_e64 v[75:76], v[75:76], -v[79:80]
	v_cmp_neq_f64_e64 s16, 0x7ff00000, v[9:10]
	v_cmp_ngt_f64_e64 s17, -1.0, v[9:10]
	v_mul_f64_e32 v[77:78], v[102:103], v[77:78]
	v_cvt_f64_i32_e32 v[102:103], v114
	v_add_f64_e64 v[71:72], v[71:72], -v[75:76]
	s_and_b32 vcc_lo, vcc_lo, s16
	s_delay_alu instid0(VALU_DEP_3) | instskip(NEXT) | instid1(VALU_DEP_3)
	v_add_f64_e32 v[79:80], v[81:82], v[77:78]
	v_mul_f64_e32 v[104:105], s[18:19], v[102:103]
	s_delay_alu instid0(VALU_DEP_3) | instskip(NEXT) | instid1(VALU_DEP_3)
	v_ldexp_f64 v[71:72], v[71:72], 1
	v_add_f64_e64 v[75:76], v[79:80], -v[81:82]
	s_delay_alu instid0(VALU_DEP_3) | instskip(NEXT) | instid1(VALU_DEP_2)
	v_fma_f64 v[81:82], v[102:103], s[18:19], -v[104:105]
	v_add_f64_e64 v[75:76], v[77:78], -v[75:76]
	s_delay_alu instid0(VALU_DEP_2) | instskip(NEXT) | instid1(VALU_DEP_2)
	v_fma_f64 v[77:78], v[102:103], s[36:37], v[81:82]
	v_add_f64_e32 v[71:72], v[71:72], v[75:76]
	s_delay_alu instid0(VALU_DEP_2) | instskip(NEXT) | instid1(VALU_DEP_2)
	v_add_f64_e32 v[75:76], v[104:105], v[77:78]
	v_add_f64_e32 v[81:82], v[79:80], v[71:72]
	s_delay_alu instid0(VALU_DEP_2) | instskip(NEXT) | instid1(VALU_DEP_2)
	v_add_f64_e64 v[104:105], v[75:76], -v[104:105]
	v_add_f64_e32 v[102:103], v[75:76], v[81:82]
	v_add_f64_e64 v[79:80], v[81:82], -v[79:80]
	s_delay_alu instid0(VALU_DEP_3) | instskip(NEXT) | instid1(VALU_DEP_3)
	v_add_f64_e64 v[77:78], v[77:78], -v[104:105]
	v_add_f64_e64 v[106:107], v[102:103], -v[75:76]
	s_delay_alu instid0(VALU_DEP_3) | instskip(NEXT) | instid1(VALU_DEP_2)
	v_add_f64_e64 v[71:72], v[71:72], -v[79:80]
	v_add_f64_e64 v[108:109], v[102:103], -v[106:107]
	;; [unrolled: 1-line block ×3, first 2 shown]
	s_delay_alu instid0(VALU_DEP_3) | instskip(NEXT) | instid1(VALU_DEP_3)
	v_add_f64_e32 v[81:82], v[77:78], v[71:72]
	v_add_f64_e64 v[75:76], v[75:76], -v[108:109]
	s_delay_alu instid0(VALU_DEP_1) | instskip(NEXT) | instid1(VALU_DEP_3)
	v_add_f64_e32 v[75:76], v[79:80], v[75:76]
	v_add_f64_e64 v[79:80], v[81:82], -v[77:78]
	s_delay_alu instid0(VALU_DEP_2) | instskip(NEXT) | instid1(VALU_DEP_2)
	v_add_f64_e32 v[75:76], v[81:82], v[75:76]
	v_add_f64_e64 v[81:82], v[81:82], -v[79:80]
	v_add_f64_e64 v[71:72], v[71:72], -v[79:80]
	s_delay_alu instid0(VALU_DEP_3) | instskip(NEXT) | instid1(VALU_DEP_3)
	v_add_f64_e32 v[104:105], v[102:103], v[75:76]
	v_add_f64_e64 v[77:78], v[77:78], -v[81:82]
	s_delay_alu instid0(VALU_DEP_2) | instskip(NEXT) | instid1(VALU_DEP_2)
	v_add_f64_e64 v[79:80], v[104:105], -v[102:103]
	v_add_f64_e32 v[71:72], v[71:72], v[77:78]
	s_delay_alu instid0(VALU_DEP_2) | instskip(NEXT) | instid1(VALU_DEP_1)
	v_add_f64_e64 v[75:76], v[75:76], -v[79:80]
	v_add_f64_e32 v[71:72], v[71:72], v[75:76]
	s_delay_alu instid0(VALU_DEP_1) | instskip(SKIP_1) | instid1(VALU_DEP_1)
	v_add_f64_e32 v[71:72], v[104:105], v[71:72]
	s_wait_alu 0xfffe
	v_cndmask_b32_e32 v71, 0, v71, vcc_lo
	v_cmp_neq_f64_e32 vcc_lo, -1.0, v[9:10]
	s_delay_alu instid0(VALU_DEP_3) | instskip(NEXT) | instid1(VALU_DEP_1)
	v_cndmask_b32_e64 v72, 0x7ff00000, v72, s16
	v_cndmask_b32_e64 v72, 0x7ff80000, v72, s17
	s_wait_alu 0xfffd
	s_delay_alu instid0(VALU_DEP_1) | instskip(NEXT) | instid1(VALU_DEP_1)
	v_cndmask_b32_e32 v72, 0xfff00000, v72, vcc_lo
	v_add_f64_e32 v[9:10], v[7:8], v[71:72]
.LBB6_78:
	s_wait_alu 0xfffe
	s_or_b32 exec_lo, exec_lo, s40
	s_delay_alu instid0(VALU_DEP_1)
	v_dual_mov_b32 v71, v9 :: v_dual_mov_b32 v72, v10
	v_dual_mov_b32 v7, v9 :: v_dual_mov_b32 v8, v10
.LBB6_79:
	s_wait_alu 0xfffe
	s_or_b32 exec_lo, exec_lo, s39
	s_delay_alu instid0(VALU_DEP_2)
	v_mov_b32_dpp v9, v71 row_shr:2 row_mask:0xf bank_mask:0xf
	v_mov_b32_dpp v10, v72 row_shr:2 row_mask:0xf bank_mask:0xf
	s_mov_b32 s39, exec_lo
	v_cmpx_lt_u32_e32 1, v74
	s_cbranch_execz .LBB6_83
; %bb.80:
	s_delay_alu instid0(VALU_DEP_2) | instskip(SKIP_3) | instid1(VALU_DEP_3)
	v_max_num_f64_e32 v[71:72], v[9:10], v[9:10]
	v_max_num_f64_e32 v[75:76], v[7:8], v[7:8]
	v_cmp_u_f64_e32 vcc_lo, v[9:10], v[9:10]
	v_cmp_u_f64_e64 s16, v[7:8], v[7:8]
	v_min_num_f64_e32 v[77:78], v[71:72], v[75:76]
	v_max_num_f64_e32 v[71:72], v[71:72], v[75:76]
	s_wait_alu 0xfffd
	s_delay_alu instid0(VALU_DEP_2) | instskip(NEXT) | instid1(VALU_DEP_2)
	v_dual_cndmask_b32 v75, v78, v10 :: v_dual_cndmask_b32 v76, v77, v9
	v_dual_cndmask_b32 v77, v72, v10 :: v_dual_cndmask_b32 v78, v71, v9
	s_wait_alu 0xf1ff
	s_delay_alu instid0(VALU_DEP_2) | instskip(NEXT) | instid1(VALU_DEP_3)
	v_cndmask_b32_e64 v72, v75, v8, s16
	v_cndmask_b32_e64 v71, v76, v7, s16
	s_delay_alu instid0(VALU_DEP_3) | instskip(SKIP_1) | instid1(VALU_DEP_3)
	v_cndmask_b32_e64 v8, v77, v8, s16
	v_cndmask_b32_e64 v7, v78, v7, s16
	v_cmp_class_f64_e64 s16, v[71:72], 0x1f8
	s_delay_alu instid0(VALU_DEP_2)
	v_cmp_neq_f64_e32 vcc_lo, v[71:72], v[7:8]
	s_or_b32 s16, vcc_lo, s16
	s_wait_alu 0xfffe
	s_and_saveexec_b32 s40, s16
	s_cbranch_execz .LBB6_82
; %bb.81:
	v_add_f64_e64 v[9:10], v[71:72], -v[7:8]
	s_mov_b32 s16, 0x652b82fe
	s_mov_b32 s17, 0x3ff71547
	s_mov_b32 s19, 0xbfe62e42
	s_mov_b32 s18, 0xfefa39ef
	s_mov_b32 s37, 0xbc7abc9e
	s_mov_b32 s36, 0x3b39803f
	s_mov_b32 s42, 0x6a5dcb37
	s_mov_b32 s43, 0x3e5ade15
	s_mov_b32 s44, 0xbf559e2b
	s_mov_b32 s45, 0x3fc3ab76
	s_wait_alu 0xfffe
	s_delay_alu instid0(VALU_DEP_1) | instskip(SKIP_3) | instid1(VALU_DEP_2)
	v_mul_f64_e32 v[71:72], s[16:17], v[9:10]
	s_mov_b32 s16, 0xfca7ab0c
	s_mov_b32 s17, 0x3e928af3
	v_cmp_nlt_f64_e32 vcc_lo, 0x40900000, v[9:10]
	v_rndne_f64_e32 v[71:72], v[71:72]
	s_delay_alu instid0(VALU_DEP_1) | instskip(SKIP_2) | instid1(VALU_DEP_2)
	v_fma_f64 v[75:76], v[71:72], s[18:19], v[9:10]
	v_cvt_i32_f64_e32 v79, v[71:72]
	s_mov_b32 s19, 0x3fe62e42
	v_fma_f64 v[75:76], v[71:72], s[36:37], v[75:76]
	s_mov_b32 s37, 0x3c7abc9e
	s_wait_alu 0xfffe
	s_delay_alu instid0(VALU_DEP_1)
	v_fma_f64 v[77:78], v[75:76], s[42:43], s[16:17]
	s_mov_b32 s16, 0x623fde64
	s_mov_b32 s17, 0x3ec71dee
	;; [unrolled: 1-line block ×4, first 2 shown]
	s_wait_alu 0xfffe
	s_delay_alu instid0(VALU_DEP_1) | instskip(SKIP_3) | instid1(VALU_DEP_1)
	v_fma_f64 v[77:78], v[75:76], v[77:78], s[16:17]
	s_mov_b32 s16, 0x7c89e6b0
	s_mov_b32 s17, 0x3efa0199
	s_wait_alu 0xfffe
	v_fma_f64 v[77:78], v[75:76], v[77:78], s[16:17]
	s_mov_b32 s16, 0x14761f6e
	s_mov_b32 s17, 0x3f2a01a0
	s_wait_alu 0xfffe
	s_delay_alu instid0(VALU_DEP_1) | instskip(SKIP_3) | instid1(VALU_DEP_1)
	v_fma_f64 v[77:78], v[75:76], v[77:78], s[16:17]
	s_mov_b32 s16, 0x1852b7b0
	s_mov_b32 s17, 0x3f56c16c
	s_wait_alu 0xfffe
	v_fma_f64 v[77:78], v[75:76], v[77:78], s[16:17]
	s_mov_b32 s16, 0x11122322
	s_mov_b32 s17, 0x3f811111
	;; [unrolled: 9-line block ×3, first 2 shown]
	s_wait_alu 0xfffe
	s_delay_alu instid0(VALU_DEP_1) | instskip(SKIP_3) | instid1(VALU_DEP_1)
	v_fma_f64 v[77:78], v[75:76], v[77:78], s[16:17]
	s_mov_b32 s16, 11
	s_mov_b32 s17, 0x3fe00000
	s_wait_alu 0xfffe
	v_fma_f64 v[77:78], v[75:76], v[77:78], s[16:17]
	v_cmp_ngt_f64_e64 s16, 0xc090cc00, v[9:10]
	s_mov_b32 s17, 0x3fe55555
	v_fma_f64 v[77:78], v[75:76], v[77:78], 1.0
	s_delay_alu instid0(VALU_DEP_1) | instskip(NEXT) | instid1(VALU_DEP_1)
	v_fma_f64 v[71:72], v[75:76], v[77:78], 1.0
	v_ldexp_f64 v[71:72], v[71:72], v79
	s_wait_alu 0xfffd
	s_delay_alu instid0(VALU_DEP_1) | instskip(SKIP_2) | instid1(VALU_DEP_2)
	v_cndmask_b32_e32 v72, 0x7ff00000, v72, vcc_lo
	s_and_b32 vcc_lo, s16, vcc_lo
	s_wait_alu 0xfffe
	v_cndmask_b32_e32 v9, 0, v71, vcc_lo
	s_delay_alu instid0(VALU_DEP_2) | instskip(SKIP_1) | instid1(VALU_DEP_1)
	v_cndmask_b32_e64 v10, 0, v72, s16
	s_mov_b32 s16, 0x55555555
	v_add_f64_e32 v[71:72], 1.0, v[9:10]
	s_delay_alu instid0(VALU_DEP_1) | instskip(SKIP_3) | instid1(VALU_DEP_3)
	v_frexp_mant_f64_e32 v[75:76], v[71:72]
	v_frexp_exp_i32_f64_e32 v79, v[71:72]
	v_add_f64_e32 v[77:78], -1.0, v[71:72]
	s_wait_alu 0xfffe
	v_cmp_gt_f64_e32 vcc_lo, s[16:17], v[75:76]
	s_mov_b32 s16, 0x55555780
	s_delay_alu instid0(VALU_DEP_2) | instskip(SKIP_3) | instid1(VALU_DEP_3)
	v_add_f64_e64 v[75:76], v[77:78], -v[71:72]
	v_add_f64_e64 v[77:78], v[9:10], -v[77:78]
	s_wait_alu 0xfffd
	v_subrev_co_ci_u32_e64 v114, null, 0, v79, vcc_lo
	v_add_f64_e32 v[75:76], 1.0, v[75:76]
	v_cmp_nge_f64_e32 vcc_lo, -1.0, v[9:10]
	s_delay_alu instid0(VALU_DEP_3) | instskip(NEXT) | instid1(VALU_DEP_1)
	v_sub_nc_u32_e32 v81, 0, v114
	v_ldexp_f64 v[71:72], v[71:72], v81
	s_delay_alu instid0(VALU_DEP_4) | instskip(NEXT) | instid1(VALU_DEP_2)
	v_add_f64_e32 v[75:76], v[77:78], v[75:76]
	v_add_f64_e32 v[79:80], 1.0, v[71:72]
	v_add_f64_e32 v[104:105], -1.0, v[71:72]
	s_delay_alu instid0(VALU_DEP_3) | instskip(NEXT) | instid1(VALU_DEP_3)
	v_ldexp_f64 v[75:76], v[75:76], v81
	v_add_f64_e32 v[77:78], -1.0, v[79:80]
	s_delay_alu instid0(VALU_DEP_3) | instskip(NEXT) | instid1(VALU_DEP_2)
	v_add_f64_e32 v[106:107], 1.0, v[104:105]
	v_add_f64_e64 v[77:78], v[71:72], -v[77:78]
	s_delay_alu instid0(VALU_DEP_2) | instskip(NEXT) | instid1(VALU_DEP_2)
	v_add_f64_e64 v[71:72], v[71:72], -v[106:107]
	v_add_f64_e32 v[77:78], v[75:76], v[77:78]
	s_delay_alu instid0(VALU_DEP_2) | instskip(NEXT) | instid1(VALU_DEP_2)
	v_add_f64_e32 v[71:72], v[75:76], v[71:72]
	v_add_f64_e32 v[81:82], v[79:80], v[77:78]
	s_delay_alu instid0(VALU_DEP_2) | instskip(NEXT) | instid1(VALU_DEP_2)
	v_add_f64_e32 v[106:107], v[104:105], v[71:72]
	v_rcp_f64_e32 v[102:103], v[81:82]
	v_add_f64_e64 v[79:80], v[81:82], -v[79:80]
	s_delay_alu instid0(VALU_DEP_2) | instskip(NEXT) | instid1(VALU_DEP_2)
	v_add_f64_e64 v[104:105], v[106:107], -v[104:105]
	v_add_f64_e64 v[77:78], v[77:78], -v[79:80]
	s_delay_alu instid0(TRANS32_DEP_1) | instskip(NEXT) | instid1(VALU_DEP_3)
	v_fma_f64 v[108:109], -v[81:82], v[102:103], 1.0
	v_add_f64_e64 v[71:72], v[71:72], -v[104:105]
	s_delay_alu instid0(VALU_DEP_2) | instskip(NEXT) | instid1(VALU_DEP_1)
	v_fma_f64 v[102:103], v[108:109], v[102:103], v[102:103]
	v_fma_f64 v[75:76], -v[81:82], v[102:103], 1.0
	s_delay_alu instid0(VALU_DEP_1) | instskip(NEXT) | instid1(VALU_DEP_1)
	v_fma_f64 v[75:76], v[75:76], v[102:103], v[102:103]
	v_mul_f64_e32 v[102:103], v[106:107], v[75:76]
	s_delay_alu instid0(VALU_DEP_1) | instskip(NEXT) | instid1(VALU_DEP_1)
	v_mul_f64_e32 v[108:109], v[81:82], v[102:103]
	v_fma_f64 v[79:80], v[102:103], v[81:82], -v[108:109]
	s_delay_alu instid0(VALU_DEP_1) | instskip(NEXT) | instid1(VALU_DEP_1)
	v_fma_f64 v[79:80], v[102:103], v[77:78], v[79:80]
	v_add_f64_e32 v[110:111], v[108:109], v[79:80]
	s_delay_alu instid0(VALU_DEP_1) | instskip(SKIP_1) | instid1(VALU_DEP_2)
	v_add_f64_e64 v[112:113], v[106:107], -v[110:111]
	v_add_f64_e64 v[104:105], v[110:111], -v[108:109]
	;; [unrolled: 1-line block ×3, first 2 shown]
	s_delay_alu instid0(VALU_DEP_2) | instskip(NEXT) | instid1(VALU_DEP_2)
	v_add_f64_e64 v[79:80], v[104:105], -v[79:80]
	v_add_f64_e64 v[106:107], v[106:107], -v[110:111]
	s_delay_alu instid0(VALU_DEP_1) | instskip(NEXT) | instid1(VALU_DEP_1)
	v_add_f64_e32 v[71:72], v[71:72], v[106:107]
	v_add_f64_e32 v[71:72], v[79:80], v[71:72]
	s_delay_alu instid0(VALU_DEP_1) | instskip(NEXT) | instid1(VALU_DEP_1)
	v_add_f64_e32 v[79:80], v[112:113], v[71:72]
	v_mul_f64_e32 v[104:105], v[75:76], v[79:80]
	v_add_f64_e64 v[110:111], v[112:113], -v[79:80]
	s_delay_alu instid0(VALU_DEP_2) | instskip(NEXT) | instid1(VALU_DEP_2)
	v_mul_f64_e32 v[106:107], v[81:82], v[104:105]
	v_add_f64_e32 v[71:72], v[71:72], v[110:111]
	s_delay_alu instid0(VALU_DEP_2) | instskip(NEXT) | instid1(VALU_DEP_1)
	v_fma_f64 v[81:82], v[104:105], v[81:82], -v[106:107]
	v_fma_f64 v[77:78], v[104:105], v[77:78], v[81:82]
	s_delay_alu instid0(VALU_DEP_1) | instskip(NEXT) | instid1(VALU_DEP_1)
	v_add_f64_e32 v[81:82], v[106:107], v[77:78]
	v_add_f64_e64 v[108:109], v[79:80], -v[81:82]
	v_add_f64_e64 v[106:107], v[81:82], -v[106:107]
	s_delay_alu instid0(VALU_DEP_2) | instskip(NEXT) | instid1(VALU_DEP_2)
	v_add_f64_e64 v[79:80], v[79:80], -v[108:109]
	v_add_f64_e64 v[77:78], v[106:107], -v[77:78]
	s_delay_alu instid0(VALU_DEP_2) | instskip(NEXT) | instid1(VALU_DEP_1)
	v_add_f64_e64 v[79:80], v[79:80], -v[81:82]
	v_add_f64_e32 v[71:72], v[71:72], v[79:80]
	v_add_f64_e32 v[79:80], v[102:103], v[104:105]
	s_delay_alu instid0(VALU_DEP_2) | instskip(NEXT) | instid1(VALU_DEP_2)
	v_add_f64_e32 v[71:72], v[77:78], v[71:72]
	v_add_f64_e64 v[77:78], v[79:80], -v[102:103]
	s_delay_alu instid0(VALU_DEP_2) | instskip(NEXT) | instid1(VALU_DEP_2)
	v_add_f64_e32 v[71:72], v[108:109], v[71:72]
	v_add_f64_e64 v[77:78], v[104:105], -v[77:78]
	s_delay_alu instid0(VALU_DEP_2) | instskip(NEXT) | instid1(VALU_DEP_1)
	v_mul_f64_e32 v[71:72], v[75:76], v[71:72]
	v_add_f64_e32 v[71:72], v[77:78], v[71:72]
	s_delay_alu instid0(VALU_DEP_1) | instskip(NEXT) | instid1(VALU_DEP_1)
	v_add_f64_e32 v[75:76], v[79:80], v[71:72]
	v_mul_f64_e32 v[77:78], v[75:76], v[75:76]
	s_delay_alu instid0(VALU_DEP_1) | instskip(SKIP_4) | instid1(VALU_DEP_2)
	v_fma_f64 v[81:82], v[77:78], s[44:45], s[42:43]
	s_mov_b32 s42, 0xd7f4df2e
	s_mov_b32 s43, 0x3fc7474d
	v_mul_f64_e32 v[102:103], v[75:76], v[77:78]
	s_wait_alu 0xfffe
	v_fma_f64 v[81:82], v[77:78], v[81:82], s[42:43]
	s_mov_b32 s42, 0x16291751
	s_mov_b32 s43, 0x3fcc71c0
	s_wait_alu 0xfffe
	s_delay_alu instid0(VALU_DEP_1) | instskip(SKIP_3) | instid1(VALU_DEP_1)
	v_fma_f64 v[81:82], v[77:78], v[81:82], s[42:43]
	s_mov_b32 s42, 0x9b27acf1
	s_mov_b32 s43, 0x3fd24924
	s_wait_alu 0xfffe
	v_fma_f64 v[81:82], v[77:78], v[81:82], s[42:43]
	s_mov_b32 s42, 0x998ef7b6
	s_mov_b32 s43, 0x3fd99999
	s_wait_alu 0xfffe
	s_delay_alu instid0(VALU_DEP_1) | instskip(NEXT) | instid1(VALU_DEP_1)
	v_fma_f64 v[81:82], v[77:78], v[81:82], s[42:43]
	v_fma_f64 v[77:78], v[77:78], v[81:82], s[16:17]
	v_ldexp_f64 v[81:82], v[75:76], 1
	v_add_f64_e64 v[75:76], v[75:76], -v[79:80]
	v_cmp_neq_f64_e64 s16, 0x7ff00000, v[9:10]
	v_cmp_ngt_f64_e64 s17, -1.0, v[9:10]
	v_mul_f64_e32 v[77:78], v[102:103], v[77:78]
	v_cvt_f64_i32_e32 v[102:103], v114
	v_add_f64_e64 v[71:72], v[71:72], -v[75:76]
	s_and_b32 vcc_lo, vcc_lo, s16
	s_delay_alu instid0(VALU_DEP_3) | instskip(NEXT) | instid1(VALU_DEP_3)
	v_add_f64_e32 v[79:80], v[81:82], v[77:78]
	v_mul_f64_e32 v[104:105], s[18:19], v[102:103]
	s_delay_alu instid0(VALU_DEP_3) | instskip(NEXT) | instid1(VALU_DEP_3)
	v_ldexp_f64 v[71:72], v[71:72], 1
	v_add_f64_e64 v[75:76], v[79:80], -v[81:82]
	s_delay_alu instid0(VALU_DEP_3) | instskip(NEXT) | instid1(VALU_DEP_2)
	v_fma_f64 v[81:82], v[102:103], s[18:19], -v[104:105]
	v_add_f64_e64 v[75:76], v[77:78], -v[75:76]
	s_delay_alu instid0(VALU_DEP_2) | instskip(NEXT) | instid1(VALU_DEP_2)
	v_fma_f64 v[77:78], v[102:103], s[36:37], v[81:82]
	v_add_f64_e32 v[71:72], v[71:72], v[75:76]
	s_delay_alu instid0(VALU_DEP_2) | instskip(NEXT) | instid1(VALU_DEP_2)
	v_add_f64_e32 v[75:76], v[104:105], v[77:78]
	v_add_f64_e32 v[81:82], v[79:80], v[71:72]
	s_delay_alu instid0(VALU_DEP_2) | instskip(NEXT) | instid1(VALU_DEP_2)
	v_add_f64_e64 v[104:105], v[75:76], -v[104:105]
	v_add_f64_e32 v[102:103], v[75:76], v[81:82]
	v_add_f64_e64 v[79:80], v[81:82], -v[79:80]
	s_delay_alu instid0(VALU_DEP_3) | instskip(NEXT) | instid1(VALU_DEP_3)
	v_add_f64_e64 v[77:78], v[77:78], -v[104:105]
	v_add_f64_e64 v[106:107], v[102:103], -v[75:76]
	s_delay_alu instid0(VALU_DEP_3) | instskip(NEXT) | instid1(VALU_DEP_2)
	v_add_f64_e64 v[71:72], v[71:72], -v[79:80]
	v_add_f64_e64 v[108:109], v[102:103], -v[106:107]
	;; [unrolled: 1-line block ×3, first 2 shown]
	s_delay_alu instid0(VALU_DEP_3) | instskip(NEXT) | instid1(VALU_DEP_3)
	v_add_f64_e32 v[81:82], v[77:78], v[71:72]
	v_add_f64_e64 v[75:76], v[75:76], -v[108:109]
	s_delay_alu instid0(VALU_DEP_1) | instskip(NEXT) | instid1(VALU_DEP_3)
	v_add_f64_e32 v[75:76], v[79:80], v[75:76]
	v_add_f64_e64 v[79:80], v[81:82], -v[77:78]
	s_delay_alu instid0(VALU_DEP_2) | instskip(NEXT) | instid1(VALU_DEP_2)
	v_add_f64_e32 v[75:76], v[81:82], v[75:76]
	v_add_f64_e64 v[81:82], v[81:82], -v[79:80]
	v_add_f64_e64 v[71:72], v[71:72], -v[79:80]
	s_delay_alu instid0(VALU_DEP_3) | instskip(NEXT) | instid1(VALU_DEP_3)
	v_add_f64_e32 v[104:105], v[102:103], v[75:76]
	v_add_f64_e64 v[77:78], v[77:78], -v[81:82]
	s_delay_alu instid0(VALU_DEP_2) | instskip(NEXT) | instid1(VALU_DEP_2)
	v_add_f64_e64 v[79:80], v[104:105], -v[102:103]
	v_add_f64_e32 v[71:72], v[71:72], v[77:78]
	s_delay_alu instid0(VALU_DEP_2) | instskip(NEXT) | instid1(VALU_DEP_1)
	v_add_f64_e64 v[75:76], v[75:76], -v[79:80]
	v_add_f64_e32 v[71:72], v[71:72], v[75:76]
	s_delay_alu instid0(VALU_DEP_1) | instskip(SKIP_1) | instid1(VALU_DEP_1)
	v_add_f64_e32 v[71:72], v[104:105], v[71:72]
	s_wait_alu 0xfffe
	v_cndmask_b32_e32 v71, 0, v71, vcc_lo
	v_cmp_neq_f64_e32 vcc_lo, -1.0, v[9:10]
	s_delay_alu instid0(VALU_DEP_3) | instskip(NEXT) | instid1(VALU_DEP_1)
	v_cndmask_b32_e64 v72, 0x7ff00000, v72, s16
	v_cndmask_b32_e64 v72, 0x7ff80000, v72, s17
	s_wait_alu 0xfffd
	s_delay_alu instid0(VALU_DEP_1) | instskip(NEXT) | instid1(VALU_DEP_1)
	v_cndmask_b32_e32 v72, 0xfff00000, v72, vcc_lo
	v_add_f64_e32 v[9:10], v[7:8], v[71:72]
.LBB6_82:
	s_wait_alu 0xfffe
	s_or_b32 exec_lo, exec_lo, s40
	s_delay_alu instid0(VALU_DEP_1)
	v_dual_mov_b32 v71, v9 :: v_dual_mov_b32 v72, v10
	v_dual_mov_b32 v7, v9 :: v_dual_mov_b32 v8, v10
.LBB6_83:
	s_wait_alu 0xfffe
	s_or_b32 exec_lo, exec_lo, s39
	s_delay_alu instid0(VALU_DEP_2)
	v_mov_b32_dpp v9, v71 row_shr:4 row_mask:0xf bank_mask:0xf
	v_mov_b32_dpp v10, v72 row_shr:4 row_mask:0xf bank_mask:0xf
	s_mov_b32 s39, exec_lo
	v_cmpx_lt_u32_e32 3, v74
	s_cbranch_execz .LBB6_87
; %bb.84:
	s_delay_alu instid0(VALU_DEP_2) | instskip(SKIP_3) | instid1(VALU_DEP_3)
	v_max_num_f64_e32 v[71:72], v[9:10], v[9:10]
	v_max_num_f64_e32 v[74:75], v[7:8], v[7:8]
	v_cmp_u_f64_e32 vcc_lo, v[9:10], v[9:10]
	v_cmp_u_f64_e64 s16, v[7:8], v[7:8]
	v_min_num_f64_e32 v[76:77], v[71:72], v[74:75]
	v_max_num_f64_e32 v[71:72], v[71:72], v[74:75]
	s_wait_alu 0xfffd
	s_delay_alu instid0(VALU_DEP_2) | instskip(NEXT) | instid1(VALU_DEP_2)
	v_dual_cndmask_b32 v74, v77, v10 :: v_dual_cndmask_b32 v75, v76, v9
	v_dual_cndmask_b32 v76, v72, v10 :: v_dual_cndmask_b32 v77, v71, v9
	s_wait_alu 0xf1ff
	s_delay_alu instid0(VALU_DEP_2) | instskip(NEXT) | instid1(VALU_DEP_3)
	v_cndmask_b32_e64 v72, v74, v8, s16
	v_cndmask_b32_e64 v71, v75, v7, s16
	s_delay_alu instid0(VALU_DEP_3) | instskip(SKIP_1) | instid1(VALU_DEP_3)
	v_cndmask_b32_e64 v8, v76, v8, s16
	v_cndmask_b32_e64 v7, v77, v7, s16
	v_cmp_class_f64_e64 s16, v[71:72], 0x1f8
	s_delay_alu instid0(VALU_DEP_2)
	v_cmp_neq_f64_e32 vcc_lo, v[71:72], v[7:8]
	s_or_b32 s16, vcc_lo, s16
	s_wait_alu 0xfffe
	s_and_saveexec_b32 s40, s16
	s_cbranch_execz .LBB6_86
; %bb.85:
	v_add_f64_e64 v[9:10], v[71:72], -v[7:8]
	s_mov_b32 s16, 0x652b82fe
	s_mov_b32 s17, 0x3ff71547
	;; [unrolled: 1-line block ×10, first 2 shown]
	s_wait_alu 0xfffe
	s_delay_alu instid0(VALU_DEP_1) | instskip(SKIP_3) | instid1(VALU_DEP_2)
	v_mul_f64_e32 v[71:72], s[16:17], v[9:10]
	s_mov_b32 s16, 0xfca7ab0c
	s_mov_b32 s17, 0x3e928af3
	v_cmp_nlt_f64_e32 vcc_lo, 0x40900000, v[9:10]
	v_rndne_f64_e32 v[71:72], v[71:72]
	s_delay_alu instid0(VALU_DEP_1) | instskip(SKIP_2) | instid1(VALU_DEP_2)
	v_fma_f64 v[74:75], v[71:72], s[18:19], v[9:10]
	v_cvt_i32_f64_e32 v78, v[71:72]
	s_mov_b32 s19, 0x3fe62e42
	v_fma_f64 v[74:75], v[71:72], s[36:37], v[74:75]
	s_mov_b32 s37, 0x3c7abc9e
	s_wait_alu 0xfffe
	s_delay_alu instid0(VALU_DEP_1)
	v_fma_f64 v[76:77], v[74:75], s[42:43], s[16:17]
	s_mov_b32 s16, 0x623fde64
	s_mov_b32 s17, 0x3ec71dee
	;; [unrolled: 1-line block ×4, first 2 shown]
	s_wait_alu 0xfffe
	s_delay_alu instid0(VALU_DEP_1) | instskip(SKIP_3) | instid1(VALU_DEP_1)
	v_fma_f64 v[76:77], v[74:75], v[76:77], s[16:17]
	s_mov_b32 s16, 0x7c89e6b0
	s_mov_b32 s17, 0x3efa0199
	s_wait_alu 0xfffe
	v_fma_f64 v[76:77], v[74:75], v[76:77], s[16:17]
	s_mov_b32 s16, 0x14761f6e
	s_mov_b32 s17, 0x3f2a01a0
	s_wait_alu 0xfffe
	s_delay_alu instid0(VALU_DEP_1) | instskip(SKIP_3) | instid1(VALU_DEP_1)
	v_fma_f64 v[76:77], v[74:75], v[76:77], s[16:17]
	s_mov_b32 s16, 0x1852b7b0
	s_mov_b32 s17, 0x3f56c16c
	s_wait_alu 0xfffe
	v_fma_f64 v[76:77], v[74:75], v[76:77], s[16:17]
	s_mov_b32 s16, 0x11122322
	s_mov_b32 s17, 0x3f811111
	s_wait_alu 0xfffe
	s_delay_alu instid0(VALU_DEP_1) | instskip(SKIP_3) | instid1(VALU_DEP_1)
	v_fma_f64 v[76:77], v[74:75], v[76:77], s[16:17]
	s_mov_b32 s16, 0x555502a1
	s_mov_b32 s17, 0x3fa55555
	s_wait_alu 0xfffe
	v_fma_f64 v[76:77], v[74:75], v[76:77], s[16:17]
	s_mov_b32 s16, 0x55555511
	s_mov_b32 s17, 0x3fc55555
	s_wait_alu 0xfffe
	s_delay_alu instid0(VALU_DEP_1) | instskip(SKIP_3) | instid1(VALU_DEP_1)
	v_fma_f64 v[76:77], v[74:75], v[76:77], s[16:17]
	s_mov_b32 s16, 11
	s_mov_b32 s17, 0x3fe00000
	s_wait_alu 0xfffe
	v_fma_f64 v[76:77], v[74:75], v[76:77], s[16:17]
	v_cmp_ngt_f64_e64 s16, 0xc090cc00, v[9:10]
	s_mov_b32 s17, 0x3fe55555
	v_fma_f64 v[76:77], v[74:75], v[76:77], 1.0
	s_delay_alu instid0(VALU_DEP_1) | instskip(NEXT) | instid1(VALU_DEP_1)
	v_fma_f64 v[71:72], v[74:75], v[76:77], 1.0
	v_ldexp_f64 v[71:72], v[71:72], v78
	s_wait_alu 0xfffd
	s_delay_alu instid0(VALU_DEP_1) | instskip(SKIP_2) | instid1(VALU_DEP_2)
	v_cndmask_b32_e32 v72, 0x7ff00000, v72, vcc_lo
	s_and_b32 vcc_lo, s16, vcc_lo
	s_wait_alu 0xfffe
	v_cndmask_b32_e32 v9, 0, v71, vcc_lo
	s_delay_alu instid0(VALU_DEP_2) | instskip(SKIP_1) | instid1(VALU_DEP_1)
	v_cndmask_b32_e64 v10, 0, v72, s16
	s_mov_b32 s16, 0x55555555
	v_add_f64_e32 v[71:72], 1.0, v[9:10]
	s_delay_alu instid0(VALU_DEP_1) | instskip(SKIP_3) | instid1(VALU_DEP_3)
	v_frexp_mant_f64_e32 v[74:75], v[71:72]
	v_frexp_exp_i32_f64_e32 v78, v[71:72]
	v_add_f64_e32 v[76:77], -1.0, v[71:72]
	s_wait_alu 0xfffe
	v_cmp_gt_f64_e32 vcc_lo, s[16:17], v[74:75]
	s_mov_b32 s16, 0x55555780
	s_delay_alu instid0(VALU_DEP_2) | instskip(SKIP_3) | instid1(VALU_DEP_3)
	v_add_f64_e64 v[74:75], v[76:77], -v[71:72]
	v_add_f64_e64 v[76:77], v[9:10], -v[76:77]
	s_wait_alu 0xfffd
	v_subrev_co_ci_u32_e64 v82, null, 0, v78, vcc_lo
	v_add_f64_e32 v[74:75], 1.0, v[74:75]
	v_cmp_nge_f64_e32 vcc_lo, -1.0, v[9:10]
	s_delay_alu instid0(VALU_DEP_3) | instskip(NEXT) | instid1(VALU_DEP_1)
	v_sub_nc_u32_e32 v80, 0, v82
	v_ldexp_f64 v[71:72], v[71:72], v80
	s_delay_alu instid0(VALU_DEP_4) | instskip(NEXT) | instid1(VALU_DEP_2)
	v_add_f64_e32 v[74:75], v[76:77], v[74:75]
	v_add_f64_e32 v[78:79], 1.0, v[71:72]
	v_add_f64_e32 v[104:105], -1.0, v[71:72]
	s_delay_alu instid0(VALU_DEP_3) | instskip(NEXT) | instid1(VALU_DEP_3)
	v_ldexp_f64 v[74:75], v[74:75], v80
	v_add_f64_e32 v[76:77], -1.0, v[78:79]
	s_delay_alu instid0(VALU_DEP_3) | instskip(NEXT) | instid1(VALU_DEP_2)
	v_add_f64_e32 v[106:107], 1.0, v[104:105]
	v_add_f64_e64 v[76:77], v[71:72], -v[76:77]
	s_delay_alu instid0(VALU_DEP_2) | instskip(NEXT) | instid1(VALU_DEP_2)
	v_add_f64_e64 v[71:72], v[71:72], -v[106:107]
	v_add_f64_e32 v[76:77], v[74:75], v[76:77]
	s_delay_alu instid0(VALU_DEP_2) | instskip(NEXT) | instid1(VALU_DEP_2)
	v_add_f64_e32 v[71:72], v[74:75], v[71:72]
	v_add_f64_e32 v[80:81], v[78:79], v[76:77]
	s_delay_alu instid0(VALU_DEP_2) | instskip(NEXT) | instid1(VALU_DEP_2)
	v_add_f64_e32 v[106:107], v[104:105], v[71:72]
	v_rcp_f64_e32 v[102:103], v[80:81]
	v_add_f64_e64 v[78:79], v[80:81], -v[78:79]
	s_delay_alu instid0(VALU_DEP_2) | instskip(NEXT) | instid1(VALU_DEP_2)
	v_add_f64_e64 v[104:105], v[106:107], -v[104:105]
	v_add_f64_e64 v[76:77], v[76:77], -v[78:79]
	s_delay_alu instid0(TRANS32_DEP_1) | instskip(NEXT) | instid1(VALU_DEP_3)
	v_fma_f64 v[108:109], -v[80:81], v[102:103], 1.0
	v_add_f64_e64 v[71:72], v[71:72], -v[104:105]
	s_delay_alu instid0(VALU_DEP_2) | instskip(NEXT) | instid1(VALU_DEP_1)
	v_fma_f64 v[102:103], v[108:109], v[102:103], v[102:103]
	v_fma_f64 v[74:75], -v[80:81], v[102:103], 1.0
	s_delay_alu instid0(VALU_DEP_1) | instskip(NEXT) | instid1(VALU_DEP_1)
	v_fma_f64 v[74:75], v[74:75], v[102:103], v[102:103]
	v_mul_f64_e32 v[102:103], v[106:107], v[74:75]
	s_delay_alu instid0(VALU_DEP_1) | instskip(NEXT) | instid1(VALU_DEP_1)
	v_mul_f64_e32 v[108:109], v[80:81], v[102:103]
	v_fma_f64 v[78:79], v[102:103], v[80:81], -v[108:109]
	s_delay_alu instid0(VALU_DEP_1) | instskip(NEXT) | instid1(VALU_DEP_1)
	v_fma_f64 v[78:79], v[102:103], v[76:77], v[78:79]
	v_add_f64_e32 v[110:111], v[108:109], v[78:79]
	s_delay_alu instid0(VALU_DEP_1) | instskip(SKIP_1) | instid1(VALU_DEP_2)
	v_add_f64_e64 v[112:113], v[106:107], -v[110:111]
	v_add_f64_e64 v[104:105], v[110:111], -v[108:109]
	v_add_f64_e64 v[106:107], v[106:107], -v[112:113]
	s_delay_alu instid0(VALU_DEP_2) | instskip(NEXT) | instid1(VALU_DEP_2)
	v_add_f64_e64 v[78:79], v[104:105], -v[78:79]
	v_add_f64_e64 v[106:107], v[106:107], -v[110:111]
	s_delay_alu instid0(VALU_DEP_1) | instskip(NEXT) | instid1(VALU_DEP_1)
	v_add_f64_e32 v[71:72], v[71:72], v[106:107]
	v_add_f64_e32 v[71:72], v[78:79], v[71:72]
	s_delay_alu instid0(VALU_DEP_1) | instskip(NEXT) | instid1(VALU_DEP_1)
	v_add_f64_e32 v[78:79], v[112:113], v[71:72]
	v_mul_f64_e32 v[104:105], v[74:75], v[78:79]
	v_add_f64_e64 v[110:111], v[112:113], -v[78:79]
	s_delay_alu instid0(VALU_DEP_2) | instskip(NEXT) | instid1(VALU_DEP_2)
	v_mul_f64_e32 v[106:107], v[80:81], v[104:105]
	v_add_f64_e32 v[71:72], v[71:72], v[110:111]
	s_delay_alu instid0(VALU_DEP_2) | instskip(NEXT) | instid1(VALU_DEP_1)
	v_fma_f64 v[80:81], v[104:105], v[80:81], -v[106:107]
	v_fma_f64 v[76:77], v[104:105], v[76:77], v[80:81]
	s_delay_alu instid0(VALU_DEP_1) | instskip(NEXT) | instid1(VALU_DEP_1)
	v_add_f64_e32 v[80:81], v[106:107], v[76:77]
	v_add_f64_e64 v[108:109], v[78:79], -v[80:81]
	v_add_f64_e64 v[106:107], v[80:81], -v[106:107]
	s_delay_alu instid0(VALU_DEP_2) | instskip(NEXT) | instid1(VALU_DEP_2)
	v_add_f64_e64 v[78:79], v[78:79], -v[108:109]
	v_add_f64_e64 v[76:77], v[106:107], -v[76:77]
	s_delay_alu instid0(VALU_DEP_2) | instskip(NEXT) | instid1(VALU_DEP_1)
	v_add_f64_e64 v[78:79], v[78:79], -v[80:81]
	v_add_f64_e32 v[71:72], v[71:72], v[78:79]
	v_add_f64_e32 v[78:79], v[102:103], v[104:105]
	s_delay_alu instid0(VALU_DEP_2) | instskip(NEXT) | instid1(VALU_DEP_2)
	v_add_f64_e32 v[71:72], v[76:77], v[71:72]
	v_add_f64_e64 v[76:77], v[78:79], -v[102:103]
	s_delay_alu instid0(VALU_DEP_2) | instskip(NEXT) | instid1(VALU_DEP_2)
	v_add_f64_e32 v[71:72], v[108:109], v[71:72]
	v_add_f64_e64 v[76:77], v[104:105], -v[76:77]
	s_delay_alu instid0(VALU_DEP_2) | instskip(NEXT) | instid1(VALU_DEP_1)
	v_mul_f64_e32 v[71:72], v[74:75], v[71:72]
	v_add_f64_e32 v[71:72], v[76:77], v[71:72]
	s_delay_alu instid0(VALU_DEP_1) | instskip(NEXT) | instid1(VALU_DEP_1)
	v_add_f64_e32 v[74:75], v[78:79], v[71:72]
	v_mul_f64_e32 v[76:77], v[74:75], v[74:75]
	s_delay_alu instid0(VALU_DEP_1) | instskip(SKIP_4) | instid1(VALU_DEP_2)
	v_fma_f64 v[80:81], v[76:77], s[44:45], s[42:43]
	s_mov_b32 s42, 0xd7f4df2e
	s_mov_b32 s43, 0x3fc7474d
	v_mul_f64_e32 v[102:103], v[74:75], v[76:77]
	s_wait_alu 0xfffe
	v_fma_f64 v[80:81], v[76:77], v[80:81], s[42:43]
	s_mov_b32 s42, 0x16291751
	s_mov_b32 s43, 0x3fcc71c0
	s_wait_alu 0xfffe
	s_delay_alu instid0(VALU_DEP_1) | instskip(SKIP_3) | instid1(VALU_DEP_1)
	v_fma_f64 v[80:81], v[76:77], v[80:81], s[42:43]
	s_mov_b32 s42, 0x9b27acf1
	s_mov_b32 s43, 0x3fd24924
	s_wait_alu 0xfffe
	v_fma_f64 v[80:81], v[76:77], v[80:81], s[42:43]
	s_mov_b32 s42, 0x998ef7b6
	s_mov_b32 s43, 0x3fd99999
	s_wait_alu 0xfffe
	s_delay_alu instid0(VALU_DEP_1) | instskip(NEXT) | instid1(VALU_DEP_1)
	v_fma_f64 v[80:81], v[76:77], v[80:81], s[42:43]
	v_fma_f64 v[76:77], v[76:77], v[80:81], s[16:17]
	v_ldexp_f64 v[80:81], v[74:75], 1
	v_add_f64_e64 v[74:75], v[74:75], -v[78:79]
	v_cmp_neq_f64_e64 s16, 0x7ff00000, v[9:10]
	v_cmp_ngt_f64_e64 s17, -1.0, v[9:10]
	v_mul_f64_e32 v[76:77], v[102:103], v[76:77]
	v_cvt_f64_i32_e32 v[102:103], v82
	v_add_f64_e64 v[71:72], v[71:72], -v[74:75]
	s_and_b32 vcc_lo, vcc_lo, s16
	s_delay_alu instid0(VALU_DEP_3) | instskip(NEXT) | instid1(VALU_DEP_3)
	v_add_f64_e32 v[78:79], v[80:81], v[76:77]
	v_mul_f64_e32 v[104:105], s[18:19], v[102:103]
	s_delay_alu instid0(VALU_DEP_3) | instskip(NEXT) | instid1(VALU_DEP_3)
	v_ldexp_f64 v[71:72], v[71:72], 1
	v_add_f64_e64 v[74:75], v[78:79], -v[80:81]
	s_delay_alu instid0(VALU_DEP_3) | instskip(NEXT) | instid1(VALU_DEP_2)
	v_fma_f64 v[80:81], v[102:103], s[18:19], -v[104:105]
	v_add_f64_e64 v[74:75], v[76:77], -v[74:75]
	s_delay_alu instid0(VALU_DEP_2) | instskip(NEXT) | instid1(VALU_DEP_2)
	v_fma_f64 v[76:77], v[102:103], s[36:37], v[80:81]
	v_add_f64_e32 v[71:72], v[71:72], v[74:75]
	s_delay_alu instid0(VALU_DEP_2) | instskip(NEXT) | instid1(VALU_DEP_2)
	v_add_f64_e32 v[74:75], v[104:105], v[76:77]
	v_add_f64_e32 v[80:81], v[78:79], v[71:72]
	s_delay_alu instid0(VALU_DEP_2) | instskip(NEXT) | instid1(VALU_DEP_2)
	v_add_f64_e64 v[104:105], v[74:75], -v[104:105]
	v_add_f64_e32 v[102:103], v[74:75], v[80:81]
	v_add_f64_e64 v[78:79], v[80:81], -v[78:79]
	s_delay_alu instid0(VALU_DEP_3) | instskip(NEXT) | instid1(VALU_DEP_3)
	v_add_f64_e64 v[76:77], v[76:77], -v[104:105]
	v_add_f64_e64 v[106:107], v[102:103], -v[74:75]
	s_delay_alu instid0(VALU_DEP_3) | instskip(NEXT) | instid1(VALU_DEP_2)
	v_add_f64_e64 v[71:72], v[71:72], -v[78:79]
	v_add_f64_e64 v[108:109], v[102:103], -v[106:107]
	v_add_f64_e64 v[78:79], v[80:81], -v[106:107]
	s_delay_alu instid0(VALU_DEP_3) | instskip(NEXT) | instid1(VALU_DEP_3)
	v_add_f64_e32 v[80:81], v[76:77], v[71:72]
	v_add_f64_e64 v[74:75], v[74:75], -v[108:109]
	s_delay_alu instid0(VALU_DEP_1) | instskip(NEXT) | instid1(VALU_DEP_3)
	v_add_f64_e32 v[74:75], v[78:79], v[74:75]
	v_add_f64_e64 v[78:79], v[80:81], -v[76:77]
	s_delay_alu instid0(VALU_DEP_2) | instskip(NEXT) | instid1(VALU_DEP_2)
	v_add_f64_e32 v[74:75], v[80:81], v[74:75]
	v_add_f64_e64 v[80:81], v[80:81], -v[78:79]
	v_add_f64_e64 v[71:72], v[71:72], -v[78:79]
	s_delay_alu instid0(VALU_DEP_3) | instskip(NEXT) | instid1(VALU_DEP_3)
	v_add_f64_e32 v[104:105], v[102:103], v[74:75]
	v_add_f64_e64 v[76:77], v[76:77], -v[80:81]
	s_delay_alu instid0(VALU_DEP_2) | instskip(NEXT) | instid1(VALU_DEP_2)
	v_add_f64_e64 v[78:79], v[104:105], -v[102:103]
	v_add_f64_e32 v[71:72], v[71:72], v[76:77]
	s_delay_alu instid0(VALU_DEP_2) | instskip(NEXT) | instid1(VALU_DEP_1)
	v_add_f64_e64 v[74:75], v[74:75], -v[78:79]
	v_add_f64_e32 v[71:72], v[71:72], v[74:75]
	s_delay_alu instid0(VALU_DEP_1) | instskip(SKIP_1) | instid1(VALU_DEP_1)
	v_add_f64_e32 v[71:72], v[104:105], v[71:72]
	s_wait_alu 0xfffe
	v_cndmask_b32_e32 v71, 0, v71, vcc_lo
	v_cmp_neq_f64_e32 vcc_lo, -1.0, v[9:10]
	s_delay_alu instid0(VALU_DEP_3) | instskip(NEXT) | instid1(VALU_DEP_1)
	v_cndmask_b32_e64 v72, 0x7ff00000, v72, s16
	v_cndmask_b32_e64 v72, 0x7ff80000, v72, s17
	s_wait_alu 0xfffd
	s_delay_alu instid0(VALU_DEP_1) | instskip(NEXT) | instid1(VALU_DEP_1)
	v_cndmask_b32_e32 v72, 0xfff00000, v72, vcc_lo
	v_add_f64_e32 v[9:10], v[7:8], v[71:72]
.LBB6_86:
	s_wait_alu 0xfffe
	s_or_b32 exec_lo, exec_lo, s40
	s_delay_alu instid0(VALU_DEP_1)
	v_dual_mov_b32 v7, v9 :: v_dual_mov_b32 v8, v10
.LBB6_87:
	s_wait_alu 0xfffe
	s_or_b32 exec_lo, exec_lo, s39
	ds_store_b64 v98, v[7:8]
.LBB6_88:
	s_wait_alu 0xfffe
	s_or_b32 exec_lo, exec_lo, s38
	s_delay_alu instid0(SALU_CYCLE_1)
	s_mov_b32 s38, exec_lo
	v_cmp_gt_u32_e32 vcc_lo, 32, v0
	s_wait_loadcnt_dscnt 0x0
	s_barrier_signal -1
	s_barrier_wait -1
	global_inv scope:SCOPE_SE
                                        ; implicit-def: $vgpr71_vgpr72
	v_cmpx_lt_u32_e32 31, v0
	s_cbranch_execz .LBB6_92
; %bb.89:
	v_lshl_add_u32 v7, v73, 3, -8
	v_cmp_u_f64_e64 s17, v[5:6], v[5:6]
	ds_load_b64 v[71:72], v7
	v_max_num_f64_e32 v[7:8], v[5:6], v[5:6]
	s_wait_dscnt 0x0
	v_max_num_f64_e32 v[9:10], v[71:72], v[71:72]
	v_cmp_u_f64_e64 s16, v[71:72], v[71:72]
	s_delay_alu instid0(VALU_DEP_2) | instskip(SKIP_2) | instid1(VALU_DEP_2)
	v_min_num_f64_e32 v[73:74], v[9:10], v[7:8]
	v_max_num_f64_e32 v[7:8], v[9:10], v[7:8]
	s_wait_alu 0xf1ff
	v_cndmask_b32_e64 v9, v73, v71, s16
	s_delay_alu instid0(VALU_DEP_3) | instskip(NEXT) | instid1(VALU_DEP_3)
	v_cndmask_b32_e64 v10, v74, v72, s16
	v_cndmask_b32_e64 v8, v8, v72, s16
	s_delay_alu instid0(VALU_DEP_4) | instskip(NEXT) | instid1(VALU_DEP_4)
	v_cndmask_b32_e64 v7, v7, v71, s16
	v_cndmask_b32_e64 v9, v9, v5, s17
	s_delay_alu instid0(VALU_DEP_4) | instskip(NEXT) | instid1(VALU_DEP_4)
	v_cndmask_b32_e64 v10, v10, v6, s17
	v_cndmask_b32_e64 v8, v8, v6, s17
	s_delay_alu instid0(VALU_DEP_4) | instskip(SKIP_1) | instid1(VALU_DEP_4)
	v_cndmask_b32_e64 v7, v7, v5, s17
	v_dual_mov_b32 v5, v71 :: v_dual_mov_b32 v6, v72
	v_cmp_class_f64_e64 s17, v[9:10], 0x1f8
	s_delay_alu instid0(VALU_DEP_3)
	v_cmp_neq_f64_e64 s16, v[9:10], v[7:8]
	s_or_b32 s16, s16, s17
	s_wait_alu 0xfffe
	s_and_saveexec_b32 s39, s16
	s_cbranch_execz .LBB6_91
; %bb.90:
	v_add_f64_e64 v[5:6], v[9:10], -v[7:8]
	s_mov_b32 s16, 0x652b82fe
	s_mov_b32 s17, 0x3ff71547
	s_mov_b32 s19, 0xbfe62e42
	s_mov_b32 s18, 0xfefa39ef
	s_mov_b32 s37, 0xbc7abc9e
	s_mov_b32 s36, 0x3b39803f
	s_mov_b32 s40, 0x6a5dcb37
	s_mov_b32 s41, 0x3e5ade15
	s_mov_b32 s42, 0xbf559e2b
	s_mov_b32 s43, 0x3fc3ab76
	s_wait_alu 0xfffe
	s_delay_alu instid0(VALU_DEP_1) | instskip(SKIP_2) | instid1(VALU_DEP_1)
	v_mul_f64_e32 v[9:10], s[16:17], v[5:6]
	s_mov_b32 s16, 0xfca7ab0c
	s_mov_b32 s17, 0x3e928af3
	v_rndne_f64_e32 v[9:10], v[9:10]
	s_delay_alu instid0(VALU_DEP_1) | instskip(SKIP_2) | instid1(VALU_DEP_2)
	v_fma_f64 v[73:74], v[9:10], s[18:19], v[5:6]
	v_cvt_i32_f64_e32 v77, v[9:10]
	s_mov_b32 s19, 0x3fe62e42
	v_fma_f64 v[73:74], v[9:10], s[36:37], v[73:74]
	s_mov_b32 s37, 0x3c7abc9e
	s_wait_alu 0xfffe
	s_delay_alu instid0(VALU_DEP_1)
	v_fma_f64 v[75:76], v[73:74], s[40:41], s[16:17]
	s_mov_b32 s16, 0x623fde64
	s_mov_b32 s17, 0x3ec71dee
	;; [unrolled: 1-line block ×4, first 2 shown]
	s_wait_alu 0xfffe
	s_delay_alu instid0(VALU_DEP_1) | instskip(SKIP_3) | instid1(VALU_DEP_1)
	v_fma_f64 v[75:76], v[73:74], v[75:76], s[16:17]
	s_mov_b32 s16, 0x7c89e6b0
	s_mov_b32 s17, 0x3efa0199
	s_wait_alu 0xfffe
	v_fma_f64 v[75:76], v[73:74], v[75:76], s[16:17]
	s_mov_b32 s16, 0x14761f6e
	s_mov_b32 s17, 0x3f2a01a0
	s_wait_alu 0xfffe
	s_delay_alu instid0(VALU_DEP_1) | instskip(SKIP_3) | instid1(VALU_DEP_1)
	v_fma_f64 v[75:76], v[73:74], v[75:76], s[16:17]
	s_mov_b32 s16, 0x1852b7b0
	s_mov_b32 s17, 0x3f56c16c
	s_wait_alu 0xfffe
	v_fma_f64 v[75:76], v[73:74], v[75:76], s[16:17]
	s_mov_b32 s16, 0x11122322
	s_mov_b32 s17, 0x3f811111
	;; [unrolled: 9-line block ×3, first 2 shown]
	s_wait_alu 0xfffe
	s_delay_alu instid0(VALU_DEP_1) | instskip(SKIP_3) | instid1(VALU_DEP_1)
	v_fma_f64 v[75:76], v[73:74], v[75:76], s[16:17]
	s_mov_b32 s16, 11
	s_mov_b32 s17, 0x3fe00000
	s_wait_alu 0xfffe
	v_fma_f64 v[75:76], v[73:74], v[75:76], s[16:17]
	v_cmp_nlt_f64_e64 s16, 0x40900000, v[5:6]
	v_cmp_ngt_f64_e64 s17, 0xc090cc00, v[5:6]
	s_delay_alu instid0(VALU_DEP_3) | instskip(NEXT) | instid1(VALU_DEP_1)
	v_fma_f64 v[75:76], v[73:74], v[75:76], 1.0
	v_fma_f64 v[9:10], v[73:74], v[75:76], 1.0
	s_delay_alu instid0(VALU_DEP_1) | instskip(SKIP_1) | instid1(VALU_DEP_1)
	v_ldexp_f64 v[9:10], v[9:10], v77
	s_wait_alu 0xf1ff
	v_cndmask_b32_e64 v10, 0x7ff00000, v10, s16
	s_and_b32 s16, s17, s16
	s_wait_alu 0xfffe
	s_delay_alu instid0(VALU_DEP_2) | instskip(SKIP_3) | instid1(VALU_DEP_1)
	v_cndmask_b32_e64 v5, 0, v9, s16
	s_mov_b32 s16, 0x55555555
	v_cndmask_b32_e64 v6, 0, v10, s17
	s_mov_b32 s17, 0x3fe55555
	v_add_f64_e32 v[9:10], 1.0, v[5:6]
	s_delay_alu instid0(VALU_DEP_1) | instskip(SKIP_3) | instid1(VALU_DEP_3)
	v_frexp_mant_f64_e32 v[73:74], v[9:10]
	v_frexp_exp_i32_f64_e32 v77, v[9:10]
	v_add_f64_e32 v[75:76], -1.0, v[9:10]
	s_wait_alu 0xfffe
	v_cmp_gt_f64_e64 s16, s[16:17], v[73:74]
	s_delay_alu instid0(VALU_DEP_2) | instskip(SKIP_2) | instid1(VALU_DEP_3)
	v_add_f64_e64 v[73:74], v[75:76], -v[9:10]
	v_add_f64_e64 v[75:76], v[5:6], -v[75:76]
	s_wait_alu 0xf1ff
	v_subrev_co_ci_u32_e64 v112, null, 0, v77, s16
	s_delay_alu instid0(VALU_DEP_3) | instskip(SKIP_1) | instid1(VALU_DEP_2)
	v_add_f64_e32 v[73:74], 1.0, v[73:74]
	s_mov_b32 s16, 0x55555780
	v_sub_nc_u32_e32 v79, 0, v112
	s_delay_alu instid0(VALU_DEP_1) | instskip(NEXT) | instid1(VALU_DEP_3)
	v_ldexp_f64 v[9:10], v[9:10], v79
	v_add_f64_e32 v[73:74], v[75:76], v[73:74]
	s_delay_alu instid0(VALU_DEP_2) | instskip(SKIP_1) | instid1(VALU_DEP_3)
	v_add_f64_e32 v[77:78], 1.0, v[9:10]
	v_add_f64_e32 v[102:103], -1.0, v[9:10]
	v_ldexp_f64 v[73:74], v[73:74], v79
	s_delay_alu instid0(VALU_DEP_3) | instskip(NEXT) | instid1(VALU_DEP_3)
	v_add_f64_e32 v[75:76], -1.0, v[77:78]
	v_add_f64_e32 v[104:105], 1.0, v[102:103]
	s_delay_alu instid0(VALU_DEP_2) | instskip(NEXT) | instid1(VALU_DEP_2)
	v_add_f64_e64 v[75:76], v[9:10], -v[75:76]
	v_add_f64_e64 v[9:10], v[9:10], -v[104:105]
	s_delay_alu instid0(VALU_DEP_2) | instskip(NEXT) | instid1(VALU_DEP_2)
	v_add_f64_e32 v[75:76], v[73:74], v[75:76]
	v_add_f64_e32 v[9:10], v[73:74], v[9:10]
	s_delay_alu instid0(VALU_DEP_2) | instskip(NEXT) | instid1(VALU_DEP_2)
	v_add_f64_e32 v[79:80], v[77:78], v[75:76]
	v_add_f64_e32 v[104:105], v[102:103], v[9:10]
	s_delay_alu instid0(VALU_DEP_2) | instskip(SKIP_1) | instid1(VALU_DEP_2)
	v_rcp_f64_e32 v[81:82], v[79:80]
	v_add_f64_e64 v[77:78], v[79:80], -v[77:78]
	v_add_f64_e64 v[102:103], v[104:105], -v[102:103]
	s_delay_alu instid0(VALU_DEP_2) | instskip(NEXT) | instid1(TRANS32_DEP_1)
	v_add_f64_e64 v[75:76], v[75:76], -v[77:78]
	v_fma_f64 v[106:107], -v[79:80], v[81:82], 1.0
	s_delay_alu instid0(VALU_DEP_3) | instskip(NEXT) | instid1(VALU_DEP_2)
	v_add_f64_e64 v[9:10], v[9:10], -v[102:103]
	v_fma_f64 v[81:82], v[106:107], v[81:82], v[81:82]
	s_delay_alu instid0(VALU_DEP_1) | instskip(NEXT) | instid1(VALU_DEP_1)
	v_fma_f64 v[73:74], -v[79:80], v[81:82], 1.0
	v_fma_f64 v[73:74], v[73:74], v[81:82], v[81:82]
	s_delay_alu instid0(VALU_DEP_1) | instskip(NEXT) | instid1(VALU_DEP_1)
	v_mul_f64_e32 v[81:82], v[104:105], v[73:74]
	v_mul_f64_e32 v[106:107], v[79:80], v[81:82]
	s_delay_alu instid0(VALU_DEP_1) | instskip(NEXT) | instid1(VALU_DEP_1)
	v_fma_f64 v[77:78], v[81:82], v[79:80], -v[106:107]
	v_fma_f64 v[77:78], v[81:82], v[75:76], v[77:78]
	s_delay_alu instid0(VALU_DEP_1) | instskip(NEXT) | instid1(VALU_DEP_1)
	v_add_f64_e32 v[108:109], v[106:107], v[77:78]
	v_add_f64_e64 v[110:111], v[104:105], -v[108:109]
	v_add_f64_e64 v[102:103], v[108:109], -v[106:107]
	s_delay_alu instid0(VALU_DEP_2) | instskip(NEXT) | instid1(VALU_DEP_2)
	v_add_f64_e64 v[104:105], v[104:105], -v[110:111]
	v_add_f64_e64 v[77:78], v[102:103], -v[77:78]
	s_delay_alu instid0(VALU_DEP_2) | instskip(NEXT) | instid1(VALU_DEP_1)
	v_add_f64_e64 v[104:105], v[104:105], -v[108:109]
	v_add_f64_e32 v[9:10], v[9:10], v[104:105]
	s_delay_alu instid0(VALU_DEP_1) | instskip(NEXT) | instid1(VALU_DEP_1)
	v_add_f64_e32 v[9:10], v[77:78], v[9:10]
	v_add_f64_e32 v[77:78], v[110:111], v[9:10]
	s_delay_alu instid0(VALU_DEP_1) | instskip(SKIP_1) | instid1(VALU_DEP_2)
	v_mul_f64_e32 v[102:103], v[73:74], v[77:78]
	v_add_f64_e64 v[108:109], v[110:111], -v[77:78]
	v_mul_f64_e32 v[104:105], v[79:80], v[102:103]
	s_delay_alu instid0(VALU_DEP_2) | instskip(NEXT) | instid1(VALU_DEP_2)
	v_add_f64_e32 v[9:10], v[9:10], v[108:109]
	v_fma_f64 v[79:80], v[102:103], v[79:80], -v[104:105]
	s_delay_alu instid0(VALU_DEP_1) | instskip(NEXT) | instid1(VALU_DEP_1)
	v_fma_f64 v[75:76], v[102:103], v[75:76], v[79:80]
	v_add_f64_e32 v[79:80], v[104:105], v[75:76]
	s_delay_alu instid0(VALU_DEP_1) | instskip(SKIP_1) | instid1(VALU_DEP_2)
	v_add_f64_e64 v[106:107], v[77:78], -v[79:80]
	v_add_f64_e64 v[104:105], v[79:80], -v[104:105]
	;; [unrolled: 1-line block ×3, first 2 shown]
	s_delay_alu instid0(VALU_DEP_2) | instskip(NEXT) | instid1(VALU_DEP_2)
	v_add_f64_e64 v[75:76], v[104:105], -v[75:76]
	v_add_f64_e64 v[77:78], v[77:78], -v[79:80]
	s_delay_alu instid0(VALU_DEP_1) | instskip(SKIP_1) | instid1(VALU_DEP_2)
	v_add_f64_e32 v[9:10], v[9:10], v[77:78]
	v_add_f64_e32 v[77:78], v[81:82], v[102:103]
	;; [unrolled: 1-line block ×3, first 2 shown]
	s_delay_alu instid0(VALU_DEP_2) | instskip(NEXT) | instid1(VALU_DEP_2)
	v_add_f64_e64 v[75:76], v[77:78], -v[81:82]
	v_add_f64_e32 v[9:10], v[106:107], v[9:10]
	s_delay_alu instid0(VALU_DEP_2) | instskip(NEXT) | instid1(VALU_DEP_2)
	v_add_f64_e64 v[75:76], v[102:103], -v[75:76]
	v_mul_f64_e32 v[9:10], v[73:74], v[9:10]
	s_delay_alu instid0(VALU_DEP_1) | instskip(NEXT) | instid1(VALU_DEP_1)
	v_add_f64_e32 v[9:10], v[75:76], v[9:10]
	v_add_f64_e32 v[73:74], v[77:78], v[9:10]
	s_delay_alu instid0(VALU_DEP_1) | instskip(NEXT) | instid1(VALU_DEP_1)
	v_mul_f64_e32 v[75:76], v[73:74], v[73:74]
	v_fma_f64 v[79:80], v[75:76], s[42:43], s[40:41]
	s_mov_b32 s40, 0xd7f4df2e
	s_mov_b32 s41, 0x3fc7474d
	v_mul_f64_e32 v[81:82], v[73:74], v[75:76]
	s_wait_alu 0xfffe
	s_delay_alu instid0(VALU_DEP_2) | instskip(SKIP_3) | instid1(VALU_DEP_1)
	v_fma_f64 v[79:80], v[75:76], v[79:80], s[40:41]
	s_mov_b32 s40, 0x16291751
	s_mov_b32 s41, 0x3fcc71c0
	s_wait_alu 0xfffe
	v_fma_f64 v[79:80], v[75:76], v[79:80], s[40:41]
	s_mov_b32 s40, 0x9b27acf1
	s_mov_b32 s41, 0x3fd24924
	s_wait_alu 0xfffe
	s_delay_alu instid0(VALU_DEP_1) | instskip(SKIP_3) | instid1(VALU_DEP_1)
	v_fma_f64 v[79:80], v[75:76], v[79:80], s[40:41]
	s_mov_b32 s40, 0x998ef7b6
	s_mov_b32 s41, 0x3fd99999
	s_wait_alu 0xfffe
	v_fma_f64 v[79:80], v[75:76], v[79:80], s[40:41]
	s_delay_alu instid0(VALU_DEP_1)
	v_fma_f64 v[75:76], v[75:76], v[79:80], s[16:17]
	v_ldexp_f64 v[79:80], v[73:74], 1
	v_add_f64_e64 v[73:74], v[73:74], -v[77:78]
	v_cmp_nge_f64_e64 s16, -1.0, v[5:6]
	v_cmp_neq_f64_e64 s17, 0x7ff00000, v[5:6]
	v_mul_f64_e32 v[75:76], v[81:82], v[75:76]
	v_cvt_f64_i32_e32 v[81:82], v112
	v_add_f64_e64 v[9:10], v[9:10], -v[73:74]
	s_and_b32 s16, s16, s17
	s_delay_alu instid0(VALU_DEP_3) | instskip(NEXT) | instid1(VALU_DEP_3)
	v_add_f64_e32 v[77:78], v[79:80], v[75:76]
	v_mul_f64_e32 v[102:103], s[18:19], v[81:82]
	s_delay_alu instid0(VALU_DEP_3) | instskip(NEXT) | instid1(VALU_DEP_3)
	v_ldexp_f64 v[9:10], v[9:10], 1
	v_add_f64_e64 v[73:74], v[77:78], -v[79:80]
	s_delay_alu instid0(VALU_DEP_3) | instskip(SKIP_1) | instid1(VALU_DEP_3)
	v_fma_f64 v[79:80], v[81:82], s[18:19], -v[102:103]
	v_cmp_ngt_f64_e64 s18, -1.0, v[5:6]
	v_add_f64_e64 v[73:74], v[75:76], -v[73:74]
	s_delay_alu instid0(VALU_DEP_3) | instskip(NEXT) | instid1(VALU_DEP_2)
	v_fma_f64 v[75:76], v[81:82], s[36:37], v[79:80]
	v_add_f64_e32 v[9:10], v[9:10], v[73:74]
	s_delay_alu instid0(VALU_DEP_2) | instskip(NEXT) | instid1(VALU_DEP_2)
	v_add_f64_e32 v[73:74], v[102:103], v[75:76]
	v_add_f64_e32 v[79:80], v[77:78], v[9:10]
	s_delay_alu instid0(VALU_DEP_2) | instskip(NEXT) | instid1(VALU_DEP_2)
	v_add_f64_e64 v[102:103], v[73:74], -v[102:103]
	v_add_f64_e32 v[81:82], v[73:74], v[79:80]
	v_add_f64_e64 v[77:78], v[79:80], -v[77:78]
	s_delay_alu instid0(VALU_DEP_3) | instskip(NEXT) | instid1(VALU_DEP_3)
	v_add_f64_e64 v[75:76], v[75:76], -v[102:103]
	v_add_f64_e64 v[104:105], v[81:82], -v[73:74]
	s_delay_alu instid0(VALU_DEP_3) | instskip(NEXT) | instid1(VALU_DEP_2)
	v_add_f64_e64 v[9:10], v[9:10], -v[77:78]
	v_add_f64_e64 v[106:107], v[81:82], -v[104:105]
	;; [unrolled: 1-line block ×3, first 2 shown]
	s_delay_alu instid0(VALU_DEP_3) | instskip(NEXT) | instid1(VALU_DEP_3)
	v_add_f64_e32 v[79:80], v[75:76], v[9:10]
	v_add_f64_e64 v[73:74], v[73:74], -v[106:107]
	s_delay_alu instid0(VALU_DEP_1) | instskip(NEXT) | instid1(VALU_DEP_3)
	v_add_f64_e32 v[73:74], v[77:78], v[73:74]
	v_add_f64_e64 v[77:78], v[79:80], -v[75:76]
	s_delay_alu instid0(VALU_DEP_2) | instskip(NEXT) | instid1(VALU_DEP_2)
	v_add_f64_e32 v[73:74], v[79:80], v[73:74]
	v_add_f64_e64 v[79:80], v[79:80], -v[77:78]
	v_add_f64_e64 v[9:10], v[9:10], -v[77:78]
	s_delay_alu instid0(VALU_DEP_3) | instskip(NEXT) | instid1(VALU_DEP_3)
	v_add_f64_e32 v[102:103], v[81:82], v[73:74]
	v_add_f64_e64 v[75:76], v[75:76], -v[79:80]
	s_delay_alu instid0(VALU_DEP_2) | instskip(NEXT) | instid1(VALU_DEP_2)
	v_add_f64_e64 v[77:78], v[102:103], -v[81:82]
	v_add_f64_e32 v[9:10], v[9:10], v[75:76]
	s_delay_alu instid0(VALU_DEP_2) | instskip(NEXT) | instid1(VALU_DEP_1)
	v_add_f64_e64 v[73:74], v[73:74], -v[77:78]
	v_add_f64_e32 v[9:10], v[9:10], v[73:74]
	s_delay_alu instid0(VALU_DEP_1) | instskip(SKIP_1) | instid1(VALU_DEP_1)
	v_add_f64_e32 v[9:10], v[102:103], v[9:10]
	s_wait_alu 0xfffe
	v_cndmask_b32_e64 v9, 0, v9, s16
	v_cmp_neq_f64_e64 s16, -1.0, v[5:6]
	s_delay_alu instid0(VALU_DEP_3) | instskip(SKIP_1) | instid1(VALU_DEP_1)
	v_cndmask_b32_e64 v10, 0x7ff00000, v10, s17
	s_wait_alu 0xf1ff
	v_cndmask_b32_e64 v10, 0x7ff80000, v10, s18
	s_delay_alu instid0(VALU_DEP_1) | instskip(NEXT) | instid1(VALU_DEP_1)
	v_cndmask_b32_e64 v10, 0xfff00000, v10, s16
	v_add_f64_e32 v[5:6], v[7:8], v[9:10]
.LBB6_91:
	s_wait_alu 0xfffe
	s_or_b32 exec_lo, exec_lo, s39
.LBB6_92:
	s_wait_alu 0xfffe
	s_or_b32 exec_lo, exec_lo, s38
	v_sub_co_u32 v7, s16, v101, 1
	s_delay_alu instid0(VALU_DEP_1) | instskip(SKIP_1) | instid1(VALU_DEP_1)
	v_cmp_gt_i32_e64 s17, 0, v7
	s_wait_alu 0xf1ff
	v_cndmask_b32_e64 v7, v7, v101, s17
	s_delay_alu instid0(VALU_DEP_1)
	v_lshlrev_b32_e32 v7, 2, v7
	ds_bpermute_b32 v102, v7, v5
	ds_bpermute_b32 v103, v7, v6
	s_and_saveexec_b32 s84, vcc_lo
	s_cbranch_execz .LBB6_155
; %bb.93:
	v_mov_b32_e32 v8, 0
	ds_load_b64 v[5:6], v8 offset:56
	s_and_saveexec_b32 s17, s16
	s_cbranch_execz .LBB6_95
; %bb.94:
	s_add_co_i32 s18, ttmp9, 32
	s_mov_b32 s19, 0
	s_wait_alu 0xfffe
	s_lshl_b64 s[18:19], s[18:19], 4
	s_wait_kmcnt 0x0
	s_wait_alu 0xfffe
	s_add_nc_u64 s[18:19], s[70:71], s[18:19]
	v_mov_b32_e32 v7, 1
	s_wait_alu 0xfffe
	v_dual_mov_b32 v9, s18 :: v_dual_mov_b32 v10, s19
	s_wait_dscnt 0x0
	;;#ASMSTART
	global_store_b128 v[9:10], v[5:8] off scope:SCOPE_DEV	
s_wait_storecnt 0x0
	;;#ASMEND
.LBB6_95:
	s_wait_alu 0xfffe
	s_or_b32 exec_lo, exec_lo, s17
	v_xad_u32 v73, v101, -1, ttmp9
	s_mov_b32 s18, 0
	s_mov_b32 s17, exec_lo
	s_delay_alu instid0(VALU_DEP_1) | instskip(NEXT) | instid1(VALU_DEP_1)
	v_add_nc_u32_e32 v7, 32, v73
	v_lshlrev_b64_e32 v[7:8], 4, v[7:8]
	s_wait_kmcnt 0x0
	s_delay_alu instid0(VALU_DEP_1) | instskip(SKIP_1) | instid1(VALU_DEP_2)
	v_add_co_u32 v74, vcc_lo, s70, v7
	s_wait_alu 0xfffd
	v_add_co_ci_u32_e64 v75, null, s71, v8, vcc_lo
	;;#ASMSTART
	global_load_b128 v[7:10], v[74:75] off scope:SCOPE_DEV	
s_wait_loadcnt 0x0
	;;#ASMEND
	v_and_b32_e32 v10, 0xff, v9
	s_delay_alu instid0(VALU_DEP_1)
	v_cmpx_eq_u16_e32 0, v10
	s_cbranch_execz .LBB6_98
.LBB6_96:                               ; =>This Inner Loop Header: Depth=1
	;;#ASMSTART
	global_load_b128 v[7:10], v[74:75] off scope:SCOPE_DEV	
s_wait_loadcnt 0x0
	;;#ASMEND
	v_and_b32_e32 v10, 0xff, v9
	s_delay_alu instid0(VALU_DEP_1)
	v_cmp_ne_u16_e32 vcc_lo, 0, v10
	s_wait_alu 0xfffe
	s_or_b32 s18, vcc_lo, s18
	s_wait_alu 0xfffe
	s_and_not1_b32 exec_lo, exec_lo, s18
	s_cbranch_execnz .LBB6_96
; %bb.97:
	s_or_b32 exec_lo, exec_lo, s18
.LBB6_98:
	s_wait_alu 0xfffe
	s_or_b32 exec_lo, exec_lo, s17
	v_cmp_ne_u32_e32 vcc_lo, 31, v101
	v_and_b32_e32 v74, 0xff, v9
	v_dual_mov_b32 v78, v8 :: v_dual_mov_b32 v77, v7
	v_lshlrev_b32_e64 v105, v101, -1
	s_wait_alu 0xfffd
	v_add_co_ci_u32_e64 v10, null, 0, v101, vcc_lo
	v_cmp_eq_u16_e32 vcc_lo, 2, v74
	s_mov_b32 s40, exec_lo
	s_delay_alu instid0(VALU_DEP_2)
	v_lshlrev_b32_e32 v104, 2, v10
	s_wait_alu 0xfffd
	v_and_or_b32 v10, vcc_lo, v105, 0x80000000
	ds_bpermute_b32 v74, v104, v7
	ds_bpermute_b32 v75, v104, v8
	v_ctz_i32_b32_e32 v10, v10
	s_delay_alu instid0(VALU_DEP_1)
	v_cmpx_lt_u32_e64 v101, v10
	s_cbranch_execz .LBB6_102
; %bb.99:
	s_wait_dscnt 0x0
	v_max_num_f64_e32 v[76:77], v[74:75], v[74:75]
	v_max_num_f64_e32 v[78:79], v[7:8], v[7:8]
	v_cmp_u_f64_e32 vcc_lo, v[74:75], v[74:75]
	v_cmp_u_f64_e64 s17, v[7:8], v[7:8]
	s_delay_alu instid0(VALU_DEP_3) | instskip(SKIP_2) | instid1(VALU_DEP_2)
	v_min_num_f64_e32 v[80:81], v[76:77], v[78:79]
	v_max_num_f64_e32 v[76:77], v[76:77], v[78:79]
	s_wait_alu 0xfffd
	v_dual_cndmask_b32 v78, v81, v75 :: v_dual_cndmask_b32 v79, v80, v74
	s_delay_alu instid0(VALU_DEP_2) | instskip(SKIP_1) | instid1(VALU_DEP_2)
	v_dual_cndmask_b32 v80, v77, v75 :: v_dual_cndmask_b32 v81, v76, v74
	s_wait_alu 0xf1ff
	v_cndmask_b32_e64 v77, v78, v8, s17
	s_delay_alu instid0(VALU_DEP_3) | instskip(NEXT) | instid1(VALU_DEP_3)
	v_cndmask_b32_e64 v76, v79, v7, s17
	v_cndmask_b32_e64 v8, v80, v8, s17
	v_cndmask_b32_e64 v7, v81, v7, s17
	s_delay_alu instid0(VALU_DEP_3) | instskip(NEXT) | instid1(VALU_DEP_2)
	v_cmp_class_f64_e64 s17, v[76:77], 0x1f8
	v_cmp_neq_f64_e32 vcc_lo, v[76:77], v[7:8]
	s_or_b32 s17, vcc_lo, s17
	s_wait_alu 0xfffe
	s_and_saveexec_b32 s41, s17
	s_cbranch_execz .LBB6_101
; %bb.100:
	v_add_f64_e64 v[74:75], v[76:77], -v[7:8]
	s_mov_b32 s18, 0x652b82fe
	s_mov_b32 s19, 0x3ff71547
	;; [unrolled: 1-line block ×10, first 2 shown]
	s_wait_alu 0xfffe
	s_delay_alu instid0(VALU_DEP_1) | instskip(SKIP_4) | instid1(VALU_DEP_3)
	v_mul_f64_e32 v[76:77], s[18:19], v[74:75]
	s_mov_b32 s19, 0xbfe62e42
	s_mov_b32 s18, 0xfefa39ef
	v_cmp_nlt_f64_e32 vcc_lo, 0x40900000, v[74:75]
	v_cmp_ngt_f64_e64 s17, 0xc090cc00, v[74:75]
	v_rndne_f64_e32 v[76:77], v[76:77]
	s_wait_alu 0xfffe
	s_delay_alu instid0(VALU_DEP_1) | instskip(SKIP_2) | instid1(VALU_DEP_2)
	v_fma_f64 v[78:79], v[76:77], s[18:19], v[74:75]
	v_cvt_i32_f64_e32 v82, v[76:77]
	s_mov_b32 s19, 0x3fe62e42
	v_fma_f64 v[78:79], v[76:77], s[36:37], v[78:79]
	s_mov_b32 s37, 0x3c7abc9e
	s_delay_alu instid0(VALU_DEP_1)
	v_fma_f64 v[80:81], v[78:79], s[42:43], s[38:39]
	s_mov_b32 s38, 0x623fde64
	s_mov_b32 s39, 0x3ec71dee
	s_mov_b32 s42, 0x6b47b09a
	s_mov_b32 s43, 0x3fc38538
	s_wait_alu 0xfffe
	s_delay_alu instid0(VALU_DEP_1) | instskip(SKIP_3) | instid1(VALU_DEP_1)
	v_fma_f64 v[80:81], v[78:79], v[80:81], s[38:39]
	s_mov_b32 s38, 0x7c89e6b0
	s_mov_b32 s39, 0x3efa0199
	s_wait_alu 0xfffe
	v_fma_f64 v[80:81], v[78:79], v[80:81], s[38:39]
	s_mov_b32 s38, 0x14761f6e
	s_mov_b32 s39, 0x3f2a01a0
	s_wait_alu 0xfffe
	s_delay_alu instid0(VALU_DEP_1) | instskip(SKIP_3) | instid1(VALU_DEP_1)
	v_fma_f64 v[80:81], v[78:79], v[80:81], s[38:39]
	s_mov_b32 s38, 0x1852b7b0
	s_mov_b32 s39, 0x3f56c16c
	s_wait_alu 0xfffe
	v_fma_f64 v[80:81], v[78:79], v[80:81], s[38:39]
	s_mov_b32 s38, 0x11122322
	s_mov_b32 s39, 0x3f811111
	;; [unrolled: 9-line block ×4, first 2 shown]
	s_delay_alu instid0(VALU_DEP_1) | instskip(NEXT) | instid1(VALU_DEP_1)
	v_fma_f64 v[80:81], v[78:79], v[80:81], 1.0
	v_fma_f64 v[76:77], v[78:79], v[80:81], 1.0
	s_delay_alu instid0(VALU_DEP_1) | instskip(SKIP_1) | instid1(VALU_DEP_1)
	v_ldexp_f64 v[76:77], v[76:77], v82
	s_wait_alu 0xfffd
	v_cndmask_b32_e32 v77, 0x7ff00000, v77, vcc_lo
	s_and_b32 vcc_lo, s17, vcc_lo
	s_wait_alu 0xfffe
	s_delay_alu instid0(VALU_DEP_2) | instskip(NEXT) | instid1(VALU_DEP_2)
	v_cndmask_b32_e32 v74, 0, v76, vcc_lo
	v_cndmask_b32_e64 v75, 0, v77, s17
	s_delay_alu instid0(VALU_DEP_1) | instskip(SKIP_1) | instid1(VALU_DEP_2)
	v_add_f64_e32 v[76:77], 1.0, v[74:75]
	v_cmp_neq_f64_e64 s17, 0x7ff00000, v[74:75]
	v_frexp_mant_f64_e32 v[78:79], v[76:77]
	v_frexp_exp_i32_f64_e32 v82, v[76:77]
	v_add_f64_e32 v[80:81], -1.0, v[76:77]
	s_delay_alu instid0(VALU_DEP_3) | instskip(SKIP_1) | instid1(VALU_DEP_2)
	v_cmp_gt_f64_e32 vcc_lo, s[38:39], v[78:79]
	s_mov_b32 s38, 0x55555780
	v_add_f64_e64 v[78:79], v[80:81], -v[76:77]
	v_add_f64_e64 v[80:81], v[74:75], -v[80:81]
	s_wait_alu 0xfffd
	v_subrev_co_ci_u32_e64 v82, null, 0, v82, vcc_lo
	s_delay_alu instid0(VALU_DEP_3) | instskip(SKIP_1) | instid1(VALU_DEP_3)
	v_add_f64_e32 v[78:79], 1.0, v[78:79]
	v_cmp_nge_f64_e32 vcc_lo, -1.0, v[74:75]
	v_sub_nc_u32_e32 v108, 0, v82
	s_delay_alu instid0(VALU_DEP_1) | instskip(NEXT) | instid1(VALU_DEP_4)
	v_ldexp_f64 v[76:77], v[76:77], v108
	v_add_f64_e32 v[78:79], v[80:81], v[78:79]
	s_and_b32 vcc_lo, vcc_lo, s17
	s_delay_alu instid0(VALU_DEP_2) | instskip(SKIP_1) | instid1(VALU_DEP_3)
	v_add_f64_e32 v[106:107], 1.0, v[76:77]
	v_add_f64_e32 v[112:113], -1.0, v[76:77]
	v_ldexp_f64 v[78:79], v[78:79], v108
	s_delay_alu instid0(VALU_DEP_3) | instskip(NEXT) | instid1(VALU_DEP_3)
	v_add_f64_e32 v[80:81], -1.0, v[106:107]
	v_add_f64_e32 v[114:115], 1.0, v[112:113]
	s_delay_alu instid0(VALU_DEP_2) | instskip(NEXT) | instid1(VALU_DEP_2)
	v_add_f64_e64 v[80:81], v[76:77], -v[80:81]
	v_add_f64_e64 v[76:77], v[76:77], -v[114:115]
	s_delay_alu instid0(VALU_DEP_2) | instskip(NEXT) | instid1(VALU_DEP_2)
	v_add_f64_e32 v[80:81], v[78:79], v[80:81]
	v_add_f64_e32 v[76:77], v[78:79], v[76:77]
	s_delay_alu instid0(VALU_DEP_2) | instskip(NEXT) | instid1(VALU_DEP_2)
	v_add_f64_e32 v[108:109], v[106:107], v[80:81]
	v_add_f64_e32 v[114:115], v[112:113], v[76:77]
	s_delay_alu instid0(VALU_DEP_2) | instskip(SKIP_1) | instid1(VALU_DEP_2)
	v_rcp_f64_e32 v[110:111], v[108:109]
	v_add_f64_e64 v[106:107], v[108:109], -v[106:107]
	v_add_f64_e64 v[112:113], v[114:115], -v[112:113]
	s_delay_alu instid0(VALU_DEP_2) | instskip(NEXT) | instid1(TRANS32_DEP_1)
	v_add_f64_e64 v[80:81], v[80:81], -v[106:107]
	v_fma_f64 v[116:117], -v[108:109], v[110:111], 1.0
	s_delay_alu instid0(VALU_DEP_3) | instskip(NEXT) | instid1(VALU_DEP_2)
	v_add_f64_e64 v[76:77], v[76:77], -v[112:113]
	v_fma_f64 v[110:111], v[116:117], v[110:111], v[110:111]
	s_delay_alu instid0(VALU_DEP_1) | instskip(NEXT) | instid1(VALU_DEP_1)
	v_fma_f64 v[78:79], -v[108:109], v[110:111], 1.0
	v_fma_f64 v[78:79], v[78:79], v[110:111], v[110:111]
	s_delay_alu instid0(VALU_DEP_1) | instskip(NEXT) | instid1(VALU_DEP_1)
	v_mul_f64_e32 v[110:111], v[114:115], v[78:79]
	v_mul_f64_e32 v[116:117], v[108:109], v[110:111]
	s_delay_alu instid0(VALU_DEP_1) | instskip(NEXT) | instid1(VALU_DEP_1)
	v_fma_f64 v[106:107], v[110:111], v[108:109], -v[116:117]
	v_fma_f64 v[106:107], v[110:111], v[80:81], v[106:107]
	s_delay_alu instid0(VALU_DEP_1) | instskip(NEXT) | instid1(VALU_DEP_1)
	v_add_f64_e32 v[118:119], v[116:117], v[106:107]
	v_add_f64_e64 v[120:121], v[114:115], -v[118:119]
	v_add_f64_e64 v[112:113], v[118:119], -v[116:117]
	s_delay_alu instid0(VALU_DEP_2) | instskip(NEXT) | instid1(VALU_DEP_2)
	v_add_f64_e64 v[114:115], v[114:115], -v[120:121]
	v_add_f64_e64 v[106:107], v[112:113], -v[106:107]
	s_delay_alu instid0(VALU_DEP_2) | instskip(NEXT) | instid1(VALU_DEP_1)
	v_add_f64_e64 v[114:115], v[114:115], -v[118:119]
	v_add_f64_e32 v[76:77], v[76:77], v[114:115]
	s_delay_alu instid0(VALU_DEP_1) | instskip(NEXT) | instid1(VALU_DEP_1)
	v_add_f64_e32 v[76:77], v[106:107], v[76:77]
	v_add_f64_e32 v[106:107], v[120:121], v[76:77]
	s_delay_alu instid0(VALU_DEP_1) | instskip(SKIP_1) | instid1(VALU_DEP_2)
	v_mul_f64_e32 v[112:113], v[78:79], v[106:107]
	v_add_f64_e64 v[118:119], v[120:121], -v[106:107]
	v_mul_f64_e32 v[114:115], v[108:109], v[112:113]
	s_delay_alu instid0(VALU_DEP_2) | instskip(NEXT) | instid1(VALU_DEP_2)
	v_add_f64_e32 v[76:77], v[76:77], v[118:119]
	v_fma_f64 v[108:109], v[112:113], v[108:109], -v[114:115]
	s_delay_alu instid0(VALU_DEP_1) | instskip(NEXT) | instid1(VALU_DEP_1)
	v_fma_f64 v[80:81], v[112:113], v[80:81], v[108:109]
	v_add_f64_e32 v[108:109], v[114:115], v[80:81]
	s_delay_alu instid0(VALU_DEP_1) | instskip(SKIP_1) | instid1(VALU_DEP_2)
	v_add_f64_e64 v[116:117], v[106:107], -v[108:109]
	v_add_f64_e64 v[114:115], v[108:109], -v[114:115]
	;; [unrolled: 1-line block ×3, first 2 shown]
	s_delay_alu instid0(VALU_DEP_2) | instskip(NEXT) | instid1(VALU_DEP_2)
	v_add_f64_e64 v[80:81], v[114:115], -v[80:81]
	v_add_f64_e64 v[106:107], v[106:107], -v[108:109]
	s_delay_alu instid0(VALU_DEP_1) | instskip(SKIP_1) | instid1(VALU_DEP_2)
	v_add_f64_e32 v[76:77], v[76:77], v[106:107]
	v_add_f64_e32 v[106:107], v[110:111], v[112:113]
	;; [unrolled: 1-line block ×3, first 2 shown]
	s_delay_alu instid0(VALU_DEP_2) | instskip(NEXT) | instid1(VALU_DEP_2)
	v_add_f64_e64 v[80:81], v[106:107], -v[110:111]
	v_add_f64_e32 v[76:77], v[116:117], v[76:77]
	s_delay_alu instid0(VALU_DEP_2) | instskip(NEXT) | instid1(VALU_DEP_2)
	v_add_f64_e64 v[80:81], v[112:113], -v[80:81]
	v_mul_f64_e32 v[76:77], v[78:79], v[76:77]
	s_delay_alu instid0(VALU_DEP_1) | instskip(NEXT) | instid1(VALU_DEP_1)
	v_add_f64_e32 v[76:77], v[80:81], v[76:77]
	v_add_f64_e32 v[78:79], v[106:107], v[76:77]
	s_delay_alu instid0(VALU_DEP_1) | instskip(NEXT) | instid1(VALU_DEP_1)
	v_mul_f64_e32 v[80:81], v[78:79], v[78:79]
	v_fma_f64 v[108:109], v[80:81], s[44:45], s[42:43]
	s_mov_b32 s42, 0xd7f4df2e
	s_mov_b32 s43, 0x3fc7474d
	v_mul_f64_e32 v[110:111], v[78:79], v[80:81]
	s_wait_alu 0xfffe
	s_delay_alu instid0(VALU_DEP_2) | instskip(SKIP_3) | instid1(VALU_DEP_1)
	v_fma_f64 v[108:109], v[80:81], v[108:109], s[42:43]
	s_mov_b32 s42, 0x16291751
	s_mov_b32 s43, 0x3fcc71c0
	s_wait_alu 0xfffe
	v_fma_f64 v[108:109], v[80:81], v[108:109], s[42:43]
	s_mov_b32 s42, 0x9b27acf1
	s_mov_b32 s43, 0x3fd24924
	s_wait_alu 0xfffe
	s_delay_alu instid0(VALU_DEP_1) | instskip(SKIP_3) | instid1(VALU_DEP_1)
	v_fma_f64 v[108:109], v[80:81], v[108:109], s[42:43]
	s_mov_b32 s42, 0x998ef7b6
	s_mov_b32 s43, 0x3fd99999
	s_wait_alu 0xfffe
	v_fma_f64 v[108:109], v[80:81], v[108:109], s[42:43]
	s_delay_alu instid0(VALU_DEP_1) | instskip(SKIP_2) | instid1(VALU_DEP_3)
	v_fma_f64 v[80:81], v[80:81], v[108:109], s[38:39]
	v_ldexp_f64 v[108:109], v[78:79], 1
	v_add_f64_e64 v[78:79], v[78:79], -v[106:107]
	v_mul_f64_e32 v[80:81], v[110:111], v[80:81]
	v_cvt_f64_i32_e32 v[110:111], v82
	s_delay_alu instid0(VALU_DEP_3) | instskip(NEXT) | instid1(VALU_DEP_3)
	v_add_f64_e64 v[76:77], v[76:77], -v[78:79]
	v_add_f64_e32 v[106:107], v[108:109], v[80:81]
	s_delay_alu instid0(VALU_DEP_3) | instskip(NEXT) | instid1(VALU_DEP_3)
	v_mul_f64_e32 v[112:113], s[18:19], v[110:111]
	v_ldexp_f64 v[76:77], v[76:77], 1
	s_delay_alu instid0(VALU_DEP_3) | instskip(NEXT) | instid1(VALU_DEP_3)
	v_add_f64_e64 v[78:79], v[106:107], -v[108:109]
	v_fma_f64 v[108:109], v[110:111], s[18:19], -v[112:113]
	v_cmp_ngt_f64_e64 s18, -1.0, v[74:75]
	s_delay_alu instid0(VALU_DEP_3) | instskip(NEXT) | instid1(VALU_DEP_3)
	v_add_f64_e64 v[78:79], v[80:81], -v[78:79]
	v_fma_f64 v[80:81], v[110:111], s[36:37], v[108:109]
	s_delay_alu instid0(VALU_DEP_2) | instskip(NEXT) | instid1(VALU_DEP_2)
	v_add_f64_e32 v[76:77], v[76:77], v[78:79]
	v_add_f64_e32 v[78:79], v[112:113], v[80:81]
	s_delay_alu instid0(VALU_DEP_2) | instskip(NEXT) | instid1(VALU_DEP_2)
	v_add_f64_e32 v[108:109], v[106:107], v[76:77]
	v_add_f64_e64 v[112:113], v[78:79], -v[112:113]
	s_delay_alu instid0(VALU_DEP_2) | instskip(SKIP_1) | instid1(VALU_DEP_3)
	v_add_f64_e32 v[110:111], v[78:79], v[108:109]
	v_add_f64_e64 v[106:107], v[108:109], -v[106:107]
	v_add_f64_e64 v[80:81], v[80:81], -v[112:113]
	s_delay_alu instid0(VALU_DEP_3) | instskip(NEXT) | instid1(VALU_DEP_3)
	v_add_f64_e64 v[114:115], v[110:111], -v[78:79]
	v_add_f64_e64 v[76:77], v[76:77], -v[106:107]
	s_delay_alu instid0(VALU_DEP_2) | instskip(SKIP_1) | instid1(VALU_DEP_3)
	v_add_f64_e64 v[116:117], v[110:111], -v[114:115]
	v_add_f64_e64 v[106:107], v[108:109], -v[114:115]
	v_add_f64_e32 v[108:109], v[80:81], v[76:77]
	s_delay_alu instid0(VALU_DEP_3) | instskip(NEXT) | instid1(VALU_DEP_1)
	v_add_f64_e64 v[78:79], v[78:79], -v[116:117]
	v_add_f64_e32 v[78:79], v[106:107], v[78:79]
	s_delay_alu instid0(VALU_DEP_3) | instskip(NEXT) | instid1(VALU_DEP_2)
	v_add_f64_e64 v[106:107], v[108:109], -v[80:81]
	v_add_f64_e32 v[78:79], v[108:109], v[78:79]
	s_delay_alu instid0(VALU_DEP_2) | instskip(SKIP_1) | instid1(VALU_DEP_3)
	v_add_f64_e64 v[108:109], v[108:109], -v[106:107]
	v_add_f64_e64 v[76:77], v[76:77], -v[106:107]
	v_add_f64_e32 v[112:113], v[110:111], v[78:79]
	s_delay_alu instid0(VALU_DEP_3) | instskip(NEXT) | instid1(VALU_DEP_2)
	v_add_f64_e64 v[80:81], v[80:81], -v[108:109]
	v_add_f64_e64 v[106:107], v[112:113], -v[110:111]
	s_delay_alu instid0(VALU_DEP_2) | instskip(NEXT) | instid1(VALU_DEP_2)
	v_add_f64_e32 v[76:77], v[76:77], v[80:81]
	v_add_f64_e64 v[78:79], v[78:79], -v[106:107]
	s_delay_alu instid0(VALU_DEP_1) | instskip(NEXT) | instid1(VALU_DEP_1)
	v_add_f64_e32 v[76:77], v[76:77], v[78:79]
	v_add_f64_e32 v[76:77], v[112:113], v[76:77]
	s_delay_alu instid0(VALU_DEP_1) | instskip(SKIP_1) | instid1(VALU_DEP_3)
	v_cndmask_b32_e32 v76, 0, v76, vcc_lo
	v_cmp_neq_f64_e32 vcc_lo, -1.0, v[74:75]
	v_cndmask_b32_e64 v77, 0x7ff00000, v77, s17
	s_wait_alu 0xf1ff
	s_delay_alu instid0(VALU_DEP_1) | instskip(SKIP_1) | instid1(VALU_DEP_1)
	v_cndmask_b32_e64 v77, 0x7ff80000, v77, s18
	s_wait_alu 0xfffd
	v_cndmask_b32_e32 v77, 0xfff00000, v77, vcc_lo
	s_delay_alu instid0(VALU_DEP_1)
	v_add_f64_e32 v[74:75], v[7:8], v[76:77]
.LBB6_101:
	s_wait_alu 0xfffe
	s_or_b32 exec_lo, exec_lo, s41
	s_delay_alu instid0(VALU_DEP_1)
	v_dual_mov_b32 v7, v74 :: v_dual_mov_b32 v8, v75
	v_dual_mov_b32 v78, v75 :: v_dual_mov_b32 v77, v74
.LBB6_102:
	s_wait_alu 0xfffe
	s_or_b32 exec_lo, exec_lo, s40
	v_cmp_gt_u32_e32 vcc_lo, 30, v101
	v_add_nc_u32_e32 v107, 2, v101
	s_mov_b32 s40, exec_lo
	s_wait_dscnt 0x1
	s_wait_alu 0xfffd
	v_cndmask_b32_e64 v74, 0, 2, vcc_lo
	s_delay_alu instid0(VALU_DEP_1)
	v_add_lshl_u32 v106, v74, v101, 2
	ds_bpermute_b32 v74, v106, v7
	s_wait_dscnt 0x1
	ds_bpermute_b32 v75, v106, v8
	v_cmpx_le_u32_e64 v107, v10
	s_cbranch_execz .LBB6_106
; %bb.103:
	s_wait_dscnt 0x0
	v_max_num_f64_e32 v[7:8], v[74:75], v[74:75]
	v_max_num_f64_e32 v[79:80], v[77:78], v[77:78]
	v_cmp_u_f64_e32 vcc_lo, v[74:75], v[74:75]
	v_cmp_u_f64_e64 s17, v[77:78], v[77:78]
	s_delay_alu instid0(VALU_DEP_3) | instskip(SKIP_2) | instid1(VALU_DEP_2)
	v_min_num_f64_e32 v[81:82], v[7:8], v[79:80]
	v_max_num_f64_e32 v[7:8], v[7:8], v[79:80]
	s_wait_alu 0xfffd
	v_dual_cndmask_b32 v76, v82, v75 :: v_dual_cndmask_b32 v79, v81, v74
	s_delay_alu instid0(VALU_DEP_2) | instskip(SKIP_1) | instid1(VALU_DEP_2)
	v_dual_cndmask_b32 v8, v8, v75 :: v_dual_cndmask_b32 v7, v7, v74
	s_wait_alu 0xf1ff
	v_cndmask_b32_e64 v80, v76, v78, s17
	s_delay_alu instid0(VALU_DEP_3) | instskip(NEXT) | instid1(VALU_DEP_3)
	v_cndmask_b32_e64 v79, v79, v77, s17
	v_cndmask_b32_e64 v8, v8, v78, s17
	;; [unrolled: 1-line block ×3, first 2 shown]
	s_delay_alu instid0(VALU_DEP_3) | instskip(NEXT) | instid1(VALU_DEP_2)
	v_cmp_class_f64_e64 s17, v[79:80], 0x1f8
	v_cmp_neq_f64_e32 vcc_lo, v[79:80], v[7:8]
	s_or_b32 s17, vcc_lo, s17
	s_wait_alu 0xfffe
	s_and_saveexec_b32 s41, s17
	s_cbranch_execz .LBB6_105
; %bb.104:
	v_add_f64_e64 v[74:75], v[79:80], -v[7:8]
	s_mov_b32 s18, 0x652b82fe
	s_mov_b32 s19, 0x3ff71547
	s_mov_b32 s37, 0xbc7abc9e
	s_mov_b32 s36, 0x3b39803f
	s_mov_b32 s38, 0xfca7ab0c
	s_mov_b32 s42, 0x6a5dcb37
	s_mov_b32 s39, 0x3e928af3
	s_mov_b32 s43, 0x3e5ade15
	s_mov_b32 s44, 0xbf559e2b
	s_mov_b32 s45, 0x3fc3ab76
	s_wait_alu 0xfffe
	s_delay_alu instid0(VALU_DEP_1) | instskip(SKIP_4) | instid1(VALU_DEP_3)
	v_mul_f64_e32 v[76:77], s[18:19], v[74:75]
	s_mov_b32 s19, 0xbfe62e42
	s_mov_b32 s18, 0xfefa39ef
	v_cmp_nlt_f64_e32 vcc_lo, 0x40900000, v[74:75]
	v_cmp_ngt_f64_e64 s17, 0xc090cc00, v[74:75]
	v_rndne_f64_e32 v[76:77], v[76:77]
	s_wait_alu 0xfffe
	s_delay_alu instid0(VALU_DEP_1) | instskip(SKIP_2) | instid1(VALU_DEP_2)
	v_fma_f64 v[78:79], v[76:77], s[18:19], v[74:75]
	v_cvt_i32_f64_e32 v82, v[76:77]
	s_mov_b32 s19, 0x3fe62e42
	v_fma_f64 v[78:79], v[76:77], s[36:37], v[78:79]
	s_mov_b32 s37, 0x3c7abc9e
	s_delay_alu instid0(VALU_DEP_1)
	v_fma_f64 v[80:81], v[78:79], s[42:43], s[38:39]
	s_mov_b32 s38, 0x623fde64
	s_mov_b32 s39, 0x3ec71dee
	;; [unrolled: 1-line block ×4, first 2 shown]
	s_wait_alu 0xfffe
	s_delay_alu instid0(VALU_DEP_1) | instskip(SKIP_3) | instid1(VALU_DEP_1)
	v_fma_f64 v[80:81], v[78:79], v[80:81], s[38:39]
	s_mov_b32 s38, 0x7c89e6b0
	s_mov_b32 s39, 0x3efa0199
	s_wait_alu 0xfffe
	v_fma_f64 v[80:81], v[78:79], v[80:81], s[38:39]
	s_mov_b32 s38, 0x14761f6e
	s_mov_b32 s39, 0x3f2a01a0
	s_wait_alu 0xfffe
	s_delay_alu instid0(VALU_DEP_1) | instskip(SKIP_3) | instid1(VALU_DEP_1)
	v_fma_f64 v[80:81], v[78:79], v[80:81], s[38:39]
	s_mov_b32 s38, 0x1852b7b0
	s_mov_b32 s39, 0x3f56c16c
	s_wait_alu 0xfffe
	v_fma_f64 v[80:81], v[78:79], v[80:81], s[38:39]
	s_mov_b32 s38, 0x11122322
	s_mov_b32 s39, 0x3f811111
	;; [unrolled: 9-line block ×4, first 2 shown]
	s_delay_alu instid0(VALU_DEP_1) | instskip(NEXT) | instid1(VALU_DEP_1)
	v_fma_f64 v[80:81], v[78:79], v[80:81], 1.0
	v_fma_f64 v[76:77], v[78:79], v[80:81], 1.0
	s_delay_alu instid0(VALU_DEP_1) | instskip(SKIP_1) | instid1(VALU_DEP_1)
	v_ldexp_f64 v[76:77], v[76:77], v82
	s_wait_alu 0xfffd
	v_cndmask_b32_e32 v77, 0x7ff00000, v77, vcc_lo
	s_and_b32 vcc_lo, s17, vcc_lo
	s_wait_alu 0xfffe
	s_delay_alu instid0(VALU_DEP_2) | instskip(NEXT) | instid1(VALU_DEP_2)
	v_cndmask_b32_e32 v74, 0, v76, vcc_lo
	v_cndmask_b32_e64 v75, 0, v77, s17
	s_delay_alu instid0(VALU_DEP_1) | instskip(SKIP_1) | instid1(VALU_DEP_2)
	v_add_f64_e32 v[76:77], 1.0, v[74:75]
	v_cmp_neq_f64_e64 s17, 0x7ff00000, v[74:75]
	v_frexp_mant_f64_e32 v[78:79], v[76:77]
	v_frexp_exp_i32_f64_e32 v82, v[76:77]
	v_add_f64_e32 v[80:81], -1.0, v[76:77]
	s_delay_alu instid0(VALU_DEP_3) | instskip(SKIP_1) | instid1(VALU_DEP_2)
	v_cmp_gt_f64_e32 vcc_lo, s[38:39], v[78:79]
	s_mov_b32 s38, 0x55555780
	v_add_f64_e64 v[78:79], v[80:81], -v[76:77]
	v_add_f64_e64 v[80:81], v[74:75], -v[80:81]
	s_wait_alu 0xfffd
	v_subrev_co_ci_u32_e64 v82, null, 0, v82, vcc_lo
	s_delay_alu instid0(VALU_DEP_3) | instskip(SKIP_1) | instid1(VALU_DEP_3)
	v_add_f64_e32 v[78:79], 1.0, v[78:79]
	v_cmp_nge_f64_e32 vcc_lo, -1.0, v[74:75]
	v_sub_nc_u32_e32 v110, 0, v82
	s_delay_alu instid0(VALU_DEP_1) | instskip(NEXT) | instid1(VALU_DEP_4)
	v_ldexp_f64 v[76:77], v[76:77], v110
	v_add_f64_e32 v[78:79], v[80:81], v[78:79]
	s_and_b32 vcc_lo, vcc_lo, s17
	s_delay_alu instid0(VALU_DEP_2) | instskip(SKIP_1) | instid1(VALU_DEP_3)
	v_add_f64_e32 v[108:109], 1.0, v[76:77]
	v_add_f64_e32 v[114:115], -1.0, v[76:77]
	v_ldexp_f64 v[78:79], v[78:79], v110
	s_delay_alu instid0(VALU_DEP_3) | instskip(NEXT) | instid1(VALU_DEP_3)
	v_add_f64_e32 v[80:81], -1.0, v[108:109]
	v_add_f64_e32 v[116:117], 1.0, v[114:115]
	s_delay_alu instid0(VALU_DEP_2) | instskip(NEXT) | instid1(VALU_DEP_2)
	v_add_f64_e64 v[80:81], v[76:77], -v[80:81]
	v_add_f64_e64 v[76:77], v[76:77], -v[116:117]
	s_delay_alu instid0(VALU_DEP_2) | instskip(NEXT) | instid1(VALU_DEP_2)
	v_add_f64_e32 v[80:81], v[78:79], v[80:81]
	v_add_f64_e32 v[76:77], v[78:79], v[76:77]
	s_delay_alu instid0(VALU_DEP_2) | instskip(NEXT) | instid1(VALU_DEP_2)
	v_add_f64_e32 v[110:111], v[108:109], v[80:81]
	v_add_f64_e32 v[116:117], v[114:115], v[76:77]
	s_delay_alu instid0(VALU_DEP_2) | instskip(SKIP_1) | instid1(VALU_DEP_2)
	v_rcp_f64_e32 v[112:113], v[110:111]
	v_add_f64_e64 v[108:109], v[110:111], -v[108:109]
	v_add_f64_e64 v[114:115], v[116:117], -v[114:115]
	s_delay_alu instid0(VALU_DEP_2) | instskip(NEXT) | instid1(TRANS32_DEP_1)
	v_add_f64_e64 v[80:81], v[80:81], -v[108:109]
	v_fma_f64 v[118:119], -v[110:111], v[112:113], 1.0
	s_delay_alu instid0(VALU_DEP_3) | instskip(NEXT) | instid1(VALU_DEP_2)
	v_add_f64_e64 v[76:77], v[76:77], -v[114:115]
	v_fma_f64 v[112:113], v[118:119], v[112:113], v[112:113]
	s_delay_alu instid0(VALU_DEP_1) | instskip(NEXT) | instid1(VALU_DEP_1)
	v_fma_f64 v[78:79], -v[110:111], v[112:113], 1.0
	v_fma_f64 v[78:79], v[78:79], v[112:113], v[112:113]
	s_delay_alu instid0(VALU_DEP_1) | instskip(NEXT) | instid1(VALU_DEP_1)
	v_mul_f64_e32 v[112:113], v[116:117], v[78:79]
	v_mul_f64_e32 v[118:119], v[110:111], v[112:113]
	s_delay_alu instid0(VALU_DEP_1) | instskip(NEXT) | instid1(VALU_DEP_1)
	v_fma_f64 v[108:109], v[112:113], v[110:111], -v[118:119]
	v_fma_f64 v[108:109], v[112:113], v[80:81], v[108:109]
	s_delay_alu instid0(VALU_DEP_1) | instskip(NEXT) | instid1(VALU_DEP_1)
	v_add_f64_e32 v[120:121], v[118:119], v[108:109]
	v_add_f64_e64 v[122:123], v[116:117], -v[120:121]
	v_add_f64_e64 v[114:115], v[120:121], -v[118:119]
	s_delay_alu instid0(VALU_DEP_2) | instskip(NEXT) | instid1(VALU_DEP_2)
	v_add_f64_e64 v[116:117], v[116:117], -v[122:123]
	v_add_f64_e64 v[108:109], v[114:115], -v[108:109]
	s_delay_alu instid0(VALU_DEP_2) | instskip(NEXT) | instid1(VALU_DEP_1)
	v_add_f64_e64 v[116:117], v[116:117], -v[120:121]
	v_add_f64_e32 v[76:77], v[76:77], v[116:117]
	s_delay_alu instid0(VALU_DEP_1) | instskip(NEXT) | instid1(VALU_DEP_1)
	v_add_f64_e32 v[76:77], v[108:109], v[76:77]
	v_add_f64_e32 v[108:109], v[122:123], v[76:77]
	s_delay_alu instid0(VALU_DEP_1) | instskip(SKIP_1) | instid1(VALU_DEP_2)
	v_mul_f64_e32 v[114:115], v[78:79], v[108:109]
	v_add_f64_e64 v[120:121], v[122:123], -v[108:109]
	v_mul_f64_e32 v[116:117], v[110:111], v[114:115]
	s_delay_alu instid0(VALU_DEP_2) | instskip(NEXT) | instid1(VALU_DEP_2)
	v_add_f64_e32 v[76:77], v[76:77], v[120:121]
	v_fma_f64 v[110:111], v[114:115], v[110:111], -v[116:117]
	s_delay_alu instid0(VALU_DEP_1) | instskip(NEXT) | instid1(VALU_DEP_1)
	v_fma_f64 v[80:81], v[114:115], v[80:81], v[110:111]
	v_add_f64_e32 v[110:111], v[116:117], v[80:81]
	s_delay_alu instid0(VALU_DEP_1) | instskip(SKIP_1) | instid1(VALU_DEP_2)
	v_add_f64_e64 v[118:119], v[108:109], -v[110:111]
	v_add_f64_e64 v[116:117], v[110:111], -v[116:117]
	;; [unrolled: 1-line block ×3, first 2 shown]
	s_delay_alu instid0(VALU_DEP_2) | instskip(NEXT) | instid1(VALU_DEP_2)
	v_add_f64_e64 v[80:81], v[116:117], -v[80:81]
	v_add_f64_e64 v[108:109], v[108:109], -v[110:111]
	s_delay_alu instid0(VALU_DEP_1) | instskip(SKIP_1) | instid1(VALU_DEP_2)
	v_add_f64_e32 v[76:77], v[76:77], v[108:109]
	v_add_f64_e32 v[108:109], v[112:113], v[114:115]
	;; [unrolled: 1-line block ×3, first 2 shown]
	s_delay_alu instid0(VALU_DEP_2) | instskip(NEXT) | instid1(VALU_DEP_2)
	v_add_f64_e64 v[80:81], v[108:109], -v[112:113]
	v_add_f64_e32 v[76:77], v[118:119], v[76:77]
	s_delay_alu instid0(VALU_DEP_2) | instskip(NEXT) | instid1(VALU_DEP_2)
	v_add_f64_e64 v[80:81], v[114:115], -v[80:81]
	v_mul_f64_e32 v[76:77], v[78:79], v[76:77]
	s_delay_alu instid0(VALU_DEP_1) | instskip(NEXT) | instid1(VALU_DEP_1)
	v_add_f64_e32 v[76:77], v[80:81], v[76:77]
	v_add_f64_e32 v[78:79], v[108:109], v[76:77]
	s_delay_alu instid0(VALU_DEP_1) | instskip(NEXT) | instid1(VALU_DEP_1)
	v_mul_f64_e32 v[80:81], v[78:79], v[78:79]
	v_fma_f64 v[110:111], v[80:81], s[44:45], s[42:43]
	s_mov_b32 s42, 0xd7f4df2e
	s_mov_b32 s43, 0x3fc7474d
	v_mul_f64_e32 v[112:113], v[78:79], v[80:81]
	s_wait_alu 0xfffe
	s_delay_alu instid0(VALU_DEP_2) | instskip(SKIP_3) | instid1(VALU_DEP_1)
	v_fma_f64 v[110:111], v[80:81], v[110:111], s[42:43]
	s_mov_b32 s42, 0x16291751
	s_mov_b32 s43, 0x3fcc71c0
	s_wait_alu 0xfffe
	v_fma_f64 v[110:111], v[80:81], v[110:111], s[42:43]
	s_mov_b32 s42, 0x9b27acf1
	s_mov_b32 s43, 0x3fd24924
	s_wait_alu 0xfffe
	s_delay_alu instid0(VALU_DEP_1) | instskip(SKIP_3) | instid1(VALU_DEP_1)
	v_fma_f64 v[110:111], v[80:81], v[110:111], s[42:43]
	s_mov_b32 s42, 0x998ef7b6
	s_mov_b32 s43, 0x3fd99999
	s_wait_alu 0xfffe
	v_fma_f64 v[110:111], v[80:81], v[110:111], s[42:43]
	s_delay_alu instid0(VALU_DEP_1) | instskip(SKIP_2) | instid1(VALU_DEP_3)
	v_fma_f64 v[80:81], v[80:81], v[110:111], s[38:39]
	v_ldexp_f64 v[110:111], v[78:79], 1
	v_add_f64_e64 v[78:79], v[78:79], -v[108:109]
	v_mul_f64_e32 v[80:81], v[112:113], v[80:81]
	v_cvt_f64_i32_e32 v[112:113], v82
	s_delay_alu instid0(VALU_DEP_3) | instskip(NEXT) | instid1(VALU_DEP_3)
	v_add_f64_e64 v[76:77], v[76:77], -v[78:79]
	v_add_f64_e32 v[108:109], v[110:111], v[80:81]
	s_delay_alu instid0(VALU_DEP_3) | instskip(NEXT) | instid1(VALU_DEP_3)
	v_mul_f64_e32 v[114:115], s[18:19], v[112:113]
	v_ldexp_f64 v[76:77], v[76:77], 1
	s_delay_alu instid0(VALU_DEP_3) | instskip(NEXT) | instid1(VALU_DEP_3)
	v_add_f64_e64 v[78:79], v[108:109], -v[110:111]
	v_fma_f64 v[110:111], v[112:113], s[18:19], -v[114:115]
	v_cmp_ngt_f64_e64 s18, -1.0, v[74:75]
	s_delay_alu instid0(VALU_DEP_3) | instskip(NEXT) | instid1(VALU_DEP_3)
	v_add_f64_e64 v[78:79], v[80:81], -v[78:79]
	v_fma_f64 v[80:81], v[112:113], s[36:37], v[110:111]
	s_delay_alu instid0(VALU_DEP_2) | instskip(NEXT) | instid1(VALU_DEP_2)
	v_add_f64_e32 v[76:77], v[76:77], v[78:79]
	v_add_f64_e32 v[78:79], v[114:115], v[80:81]
	s_delay_alu instid0(VALU_DEP_2) | instskip(NEXT) | instid1(VALU_DEP_2)
	v_add_f64_e32 v[110:111], v[108:109], v[76:77]
	v_add_f64_e64 v[114:115], v[78:79], -v[114:115]
	s_delay_alu instid0(VALU_DEP_2) | instskip(SKIP_1) | instid1(VALU_DEP_3)
	v_add_f64_e32 v[112:113], v[78:79], v[110:111]
	v_add_f64_e64 v[108:109], v[110:111], -v[108:109]
	v_add_f64_e64 v[80:81], v[80:81], -v[114:115]
	s_delay_alu instid0(VALU_DEP_3) | instskip(NEXT) | instid1(VALU_DEP_3)
	v_add_f64_e64 v[116:117], v[112:113], -v[78:79]
	v_add_f64_e64 v[76:77], v[76:77], -v[108:109]
	s_delay_alu instid0(VALU_DEP_2) | instskip(SKIP_1) | instid1(VALU_DEP_3)
	v_add_f64_e64 v[118:119], v[112:113], -v[116:117]
	v_add_f64_e64 v[108:109], v[110:111], -v[116:117]
	v_add_f64_e32 v[110:111], v[80:81], v[76:77]
	s_delay_alu instid0(VALU_DEP_3) | instskip(NEXT) | instid1(VALU_DEP_1)
	v_add_f64_e64 v[78:79], v[78:79], -v[118:119]
	v_add_f64_e32 v[78:79], v[108:109], v[78:79]
	s_delay_alu instid0(VALU_DEP_3) | instskip(NEXT) | instid1(VALU_DEP_2)
	v_add_f64_e64 v[108:109], v[110:111], -v[80:81]
	v_add_f64_e32 v[78:79], v[110:111], v[78:79]
	s_delay_alu instid0(VALU_DEP_2) | instskip(SKIP_1) | instid1(VALU_DEP_3)
	v_add_f64_e64 v[110:111], v[110:111], -v[108:109]
	v_add_f64_e64 v[76:77], v[76:77], -v[108:109]
	v_add_f64_e32 v[114:115], v[112:113], v[78:79]
	s_delay_alu instid0(VALU_DEP_3) | instskip(NEXT) | instid1(VALU_DEP_2)
	v_add_f64_e64 v[80:81], v[80:81], -v[110:111]
	v_add_f64_e64 v[108:109], v[114:115], -v[112:113]
	s_delay_alu instid0(VALU_DEP_2) | instskip(NEXT) | instid1(VALU_DEP_2)
	v_add_f64_e32 v[76:77], v[76:77], v[80:81]
	v_add_f64_e64 v[78:79], v[78:79], -v[108:109]
	s_delay_alu instid0(VALU_DEP_1) | instskip(NEXT) | instid1(VALU_DEP_1)
	v_add_f64_e32 v[76:77], v[76:77], v[78:79]
	v_add_f64_e32 v[76:77], v[114:115], v[76:77]
	s_delay_alu instid0(VALU_DEP_1) | instskip(SKIP_1) | instid1(VALU_DEP_3)
	v_cndmask_b32_e32 v76, 0, v76, vcc_lo
	v_cmp_neq_f64_e32 vcc_lo, -1.0, v[74:75]
	v_cndmask_b32_e64 v77, 0x7ff00000, v77, s17
	s_wait_alu 0xf1ff
	s_delay_alu instid0(VALU_DEP_1) | instskip(SKIP_1) | instid1(VALU_DEP_1)
	v_cndmask_b32_e64 v77, 0x7ff80000, v77, s18
	s_wait_alu 0xfffd
	v_cndmask_b32_e32 v77, 0xfff00000, v77, vcc_lo
	s_delay_alu instid0(VALU_DEP_1)
	v_add_f64_e32 v[74:75], v[7:8], v[76:77]
.LBB6_105:
	s_wait_alu 0xfffe
	s_or_b32 exec_lo, exec_lo, s41
	s_delay_alu instid0(VALU_DEP_1)
	v_dual_mov_b32 v7, v74 :: v_dual_mov_b32 v8, v75
	v_dual_mov_b32 v78, v75 :: v_dual_mov_b32 v77, v74
.LBB6_106:
	s_wait_alu 0xfffe
	s_or_b32 exec_lo, exec_lo, s40
	v_cmp_gt_u32_e32 vcc_lo, 28, v101
	v_add_nc_u32_e32 v109, 4, v101
	s_mov_b32 s40, exec_lo
	s_wait_dscnt 0x1
	s_wait_alu 0xfffd
	v_cndmask_b32_e64 v74, 0, 4, vcc_lo
	s_delay_alu instid0(VALU_DEP_1)
	v_add_lshl_u32 v108, v74, v101, 2
	ds_bpermute_b32 v74, v108, v7
	s_wait_dscnt 0x1
	ds_bpermute_b32 v75, v108, v8
	v_cmpx_le_u32_e64 v109, v10
	s_cbranch_execz .LBB6_110
; %bb.107:
	s_wait_dscnt 0x0
	v_max_num_f64_e32 v[7:8], v[74:75], v[74:75]
	v_max_num_f64_e32 v[79:80], v[77:78], v[77:78]
	v_cmp_u_f64_e32 vcc_lo, v[74:75], v[74:75]
	v_cmp_u_f64_e64 s17, v[77:78], v[77:78]
	s_delay_alu instid0(VALU_DEP_3) | instskip(SKIP_2) | instid1(VALU_DEP_2)
	v_min_num_f64_e32 v[81:82], v[7:8], v[79:80]
	v_max_num_f64_e32 v[7:8], v[7:8], v[79:80]
	s_wait_alu 0xfffd
	v_dual_cndmask_b32 v76, v82, v75 :: v_dual_cndmask_b32 v79, v81, v74
	s_delay_alu instid0(VALU_DEP_2) | instskip(SKIP_1) | instid1(VALU_DEP_2)
	v_dual_cndmask_b32 v8, v8, v75 :: v_dual_cndmask_b32 v7, v7, v74
	s_wait_alu 0xf1ff
	v_cndmask_b32_e64 v80, v76, v78, s17
	s_delay_alu instid0(VALU_DEP_3) | instskip(NEXT) | instid1(VALU_DEP_3)
	v_cndmask_b32_e64 v79, v79, v77, s17
	v_cndmask_b32_e64 v8, v8, v78, s17
	;; [unrolled: 1-line block ×3, first 2 shown]
	s_delay_alu instid0(VALU_DEP_3) | instskip(NEXT) | instid1(VALU_DEP_2)
	v_cmp_class_f64_e64 s17, v[79:80], 0x1f8
	v_cmp_neq_f64_e32 vcc_lo, v[79:80], v[7:8]
	s_or_b32 s17, vcc_lo, s17
	s_wait_alu 0xfffe
	s_and_saveexec_b32 s41, s17
	s_cbranch_execz .LBB6_109
; %bb.108:
	v_add_f64_e64 v[74:75], v[79:80], -v[7:8]
	s_mov_b32 s18, 0x652b82fe
	s_mov_b32 s19, 0x3ff71547
	;; [unrolled: 1-line block ×10, first 2 shown]
	s_wait_alu 0xfffe
	s_delay_alu instid0(VALU_DEP_1) | instskip(SKIP_4) | instid1(VALU_DEP_3)
	v_mul_f64_e32 v[76:77], s[18:19], v[74:75]
	s_mov_b32 s19, 0xbfe62e42
	s_mov_b32 s18, 0xfefa39ef
	v_cmp_nlt_f64_e32 vcc_lo, 0x40900000, v[74:75]
	v_cmp_ngt_f64_e64 s17, 0xc090cc00, v[74:75]
	v_rndne_f64_e32 v[76:77], v[76:77]
	s_wait_alu 0xfffe
	s_delay_alu instid0(VALU_DEP_1) | instskip(SKIP_2) | instid1(VALU_DEP_2)
	v_fma_f64 v[78:79], v[76:77], s[18:19], v[74:75]
	v_cvt_i32_f64_e32 v82, v[76:77]
	s_mov_b32 s19, 0x3fe62e42
	v_fma_f64 v[78:79], v[76:77], s[36:37], v[78:79]
	s_mov_b32 s37, 0x3c7abc9e
	s_delay_alu instid0(VALU_DEP_1)
	v_fma_f64 v[80:81], v[78:79], s[42:43], s[38:39]
	s_mov_b32 s38, 0x623fde64
	s_mov_b32 s39, 0x3ec71dee
	;; [unrolled: 1-line block ×4, first 2 shown]
	s_wait_alu 0xfffe
	s_delay_alu instid0(VALU_DEP_1) | instskip(SKIP_3) | instid1(VALU_DEP_1)
	v_fma_f64 v[80:81], v[78:79], v[80:81], s[38:39]
	s_mov_b32 s38, 0x7c89e6b0
	s_mov_b32 s39, 0x3efa0199
	s_wait_alu 0xfffe
	v_fma_f64 v[80:81], v[78:79], v[80:81], s[38:39]
	s_mov_b32 s38, 0x14761f6e
	s_mov_b32 s39, 0x3f2a01a0
	s_wait_alu 0xfffe
	s_delay_alu instid0(VALU_DEP_1) | instskip(SKIP_3) | instid1(VALU_DEP_1)
	v_fma_f64 v[80:81], v[78:79], v[80:81], s[38:39]
	s_mov_b32 s38, 0x1852b7b0
	s_mov_b32 s39, 0x3f56c16c
	s_wait_alu 0xfffe
	v_fma_f64 v[80:81], v[78:79], v[80:81], s[38:39]
	s_mov_b32 s38, 0x11122322
	s_mov_b32 s39, 0x3f811111
	;; [unrolled: 9-line block ×4, first 2 shown]
	s_delay_alu instid0(VALU_DEP_1) | instskip(NEXT) | instid1(VALU_DEP_1)
	v_fma_f64 v[80:81], v[78:79], v[80:81], 1.0
	v_fma_f64 v[76:77], v[78:79], v[80:81], 1.0
	s_delay_alu instid0(VALU_DEP_1) | instskip(SKIP_1) | instid1(VALU_DEP_1)
	v_ldexp_f64 v[76:77], v[76:77], v82
	s_wait_alu 0xfffd
	v_cndmask_b32_e32 v77, 0x7ff00000, v77, vcc_lo
	s_and_b32 vcc_lo, s17, vcc_lo
	s_wait_alu 0xfffe
	s_delay_alu instid0(VALU_DEP_2) | instskip(NEXT) | instid1(VALU_DEP_2)
	v_cndmask_b32_e32 v74, 0, v76, vcc_lo
	v_cndmask_b32_e64 v75, 0, v77, s17
	s_delay_alu instid0(VALU_DEP_1) | instskip(SKIP_1) | instid1(VALU_DEP_2)
	v_add_f64_e32 v[76:77], 1.0, v[74:75]
	v_cmp_neq_f64_e64 s17, 0x7ff00000, v[74:75]
	v_frexp_mant_f64_e32 v[78:79], v[76:77]
	v_frexp_exp_i32_f64_e32 v82, v[76:77]
	v_add_f64_e32 v[80:81], -1.0, v[76:77]
	s_delay_alu instid0(VALU_DEP_3) | instskip(SKIP_1) | instid1(VALU_DEP_2)
	v_cmp_gt_f64_e32 vcc_lo, s[38:39], v[78:79]
	s_mov_b32 s38, 0x55555780
	v_add_f64_e64 v[78:79], v[80:81], -v[76:77]
	v_add_f64_e64 v[80:81], v[74:75], -v[80:81]
	s_wait_alu 0xfffd
	v_subrev_co_ci_u32_e64 v82, null, 0, v82, vcc_lo
	s_delay_alu instid0(VALU_DEP_3) | instskip(SKIP_1) | instid1(VALU_DEP_3)
	v_add_f64_e32 v[78:79], 1.0, v[78:79]
	v_cmp_nge_f64_e32 vcc_lo, -1.0, v[74:75]
	v_sub_nc_u32_e32 v112, 0, v82
	s_delay_alu instid0(VALU_DEP_1) | instskip(NEXT) | instid1(VALU_DEP_4)
	v_ldexp_f64 v[76:77], v[76:77], v112
	v_add_f64_e32 v[78:79], v[80:81], v[78:79]
	s_and_b32 vcc_lo, vcc_lo, s17
	s_delay_alu instid0(VALU_DEP_2) | instskip(SKIP_1) | instid1(VALU_DEP_3)
	v_add_f64_e32 v[110:111], 1.0, v[76:77]
	v_add_f64_e32 v[116:117], -1.0, v[76:77]
	v_ldexp_f64 v[78:79], v[78:79], v112
	s_delay_alu instid0(VALU_DEP_3) | instskip(NEXT) | instid1(VALU_DEP_3)
	v_add_f64_e32 v[80:81], -1.0, v[110:111]
	v_add_f64_e32 v[118:119], 1.0, v[116:117]
	s_delay_alu instid0(VALU_DEP_2) | instskip(NEXT) | instid1(VALU_DEP_2)
	v_add_f64_e64 v[80:81], v[76:77], -v[80:81]
	v_add_f64_e64 v[76:77], v[76:77], -v[118:119]
	s_delay_alu instid0(VALU_DEP_2) | instskip(NEXT) | instid1(VALU_DEP_2)
	v_add_f64_e32 v[80:81], v[78:79], v[80:81]
	v_add_f64_e32 v[76:77], v[78:79], v[76:77]
	s_delay_alu instid0(VALU_DEP_2) | instskip(NEXT) | instid1(VALU_DEP_2)
	v_add_f64_e32 v[112:113], v[110:111], v[80:81]
	v_add_f64_e32 v[118:119], v[116:117], v[76:77]
	s_delay_alu instid0(VALU_DEP_2) | instskip(SKIP_1) | instid1(VALU_DEP_2)
	v_rcp_f64_e32 v[114:115], v[112:113]
	v_add_f64_e64 v[110:111], v[112:113], -v[110:111]
	v_add_f64_e64 v[116:117], v[118:119], -v[116:117]
	s_delay_alu instid0(VALU_DEP_2) | instskip(NEXT) | instid1(TRANS32_DEP_1)
	v_add_f64_e64 v[80:81], v[80:81], -v[110:111]
	v_fma_f64 v[120:121], -v[112:113], v[114:115], 1.0
	s_delay_alu instid0(VALU_DEP_3) | instskip(NEXT) | instid1(VALU_DEP_2)
	v_add_f64_e64 v[76:77], v[76:77], -v[116:117]
	v_fma_f64 v[114:115], v[120:121], v[114:115], v[114:115]
	s_delay_alu instid0(VALU_DEP_1) | instskip(NEXT) | instid1(VALU_DEP_1)
	v_fma_f64 v[78:79], -v[112:113], v[114:115], 1.0
	v_fma_f64 v[78:79], v[78:79], v[114:115], v[114:115]
	s_delay_alu instid0(VALU_DEP_1) | instskip(NEXT) | instid1(VALU_DEP_1)
	v_mul_f64_e32 v[114:115], v[118:119], v[78:79]
	v_mul_f64_e32 v[120:121], v[112:113], v[114:115]
	s_delay_alu instid0(VALU_DEP_1) | instskip(NEXT) | instid1(VALU_DEP_1)
	v_fma_f64 v[110:111], v[114:115], v[112:113], -v[120:121]
	v_fma_f64 v[110:111], v[114:115], v[80:81], v[110:111]
	s_delay_alu instid0(VALU_DEP_1) | instskip(NEXT) | instid1(VALU_DEP_1)
	v_add_f64_e32 v[122:123], v[120:121], v[110:111]
	v_add_f64_e64 v[124:125], v[118:119], -v[122:123]
	v_add_f64_e64 v[116:117], v[122:123], -v[120:121]
	s_delay_alu instid0(VALU_DEP_2) | instskip(NEXT) | instid1(VALU_DEP_2)
	v_add_f64_e64 v[118:119], v[118:119], -v[124:125]
	v_add_f64_e64 v[110:111], v[116:117], -v[110:111]
	s_delay_alu instid0(VALU_DEP_2) | instskip(NEXT) | instid1(VALU_DEP_1)
	v_add_f64_e64 v[118:119], v[118:119], -v[122:123]
	v_add_f64_e32 v[76:77], v[76:77], v[118:119]
	s_delay_alu instid0(VALU_DEP_1) | instskip(NEXT) | instid1(VALU_DEP_1)
	v_add_f64_e32 v[76:77], v[110:111], v[76:77]
	v_add_f64_e32 v[110:111], v[124:125], v[76:77]
	s_delay_alu instid0(VALU_DEP_1) | instskip(SKIP_1) | instid1(VALU_DEP_2)
	v_mul_f64_e32 v[116:117], v[78:79], v[110:111]
	v_add_f64_e64 v[122:123], v[124:125], -v[110:111]
	v_mul_f64_e32 v[118:119], v[112:113], v[116:117]
	s_delay_alu instid0(VALU_DEP_2) | instskip(NEXT) | instid1(VALU_DEP_2)
	v_add_f64_e32 v[76:77], v[76:77], v[122:123]
	v_fma_f64 v[112:113], v[116:117], v[112:113], -v[118:119]
	s_delay_alu instid0(VALU_DEP_1) | instskip(NEXT) | instid1(VALU_DEP_1)
	v_fma_f64 v[80:81], v[116:117], v[80:81], v[112:113]
	v_add_f64_e32 v[112:113], v[118:119], v[80:81]
	s_delay_alu instid0(VALU_DEP_1) | instskip(SKIP_1) | instid1(VALU_DEP_2)
	v_add_f64_e64 v[120:121], v[110:111], -v[112:113]
	v_add_f64_e64 v[118:119], v[112:113], -v[118:119]
	v_add_f64_e64 v[110:111], v[110:111], -v[120:121]
	s_delay_alu instid0(VALU_DEP_2) | instskip(NEXT) | instid1(VALU_DEP_2)
	v_add_f64_e64 v[80:81], v[118:119], -v[80:81]
	v_add_f64_e64 v[110:111], v[110:111], -v[112:113]
	s_delay_alu instid0(VALU_DEP_1) | instskip(SKIP_1) | instid1(VALU_DEP_2)
	v_add_f64_e32 v[76:77], v[76:77], v[110:111]
	v_add_f64_e32 v[110:111], v[114:115], v[116:117]
	;; [unrolled: 1-line block ×3, first 2 shown]
	s_delay_alu instid0(VALU_DEP_2) | instskip(NEXT) | instid1(VALU_DEP_2)
	v_add_f64_e64 v[80:81], v[110:111], -v[114:115]
	v_add_f64_e32 v[76:77], v[120:121], v[76:77]
	s_delay_alu instid0(VALU_DEP_2) | instskip(NEXT) | instid1(VALU_DEP_2)
	v_add_f64_e64 v[80:81], v[116:117], -v[80:81]
	v_mul_f64_e32 v[76:77], v[78:79], v[76:77]
	s_delay_alu instid0(VALU_DEP_1) | instskip(NEXT) | instid1(VALU_DEP_1)
	v_add_f64_e32 v[76:77], v[80:81], v[76:77]
	v_add_f64_e32 v[78:79], v[110:111], v[76:77]
	s_delay_alu instid0(VALU_DEP_1) | instskip(NEXT) | instid1(VALU_DEP_1)
	v_mul_f64_e32 v[80:81], v[78:79], v[78:79]
	v_fma_f64 v[112:113], v[80:81], s[44:45], s[42:43]
	s_mov_b32 s42, 0xd7f4df2e
	s_mov_b32 s43, 0x3fc7474d
	v_mul_f64_e32 v[114:115], v[78:79], v[80:81]
	s_wait_alu 0xfffe
	s_delay_alu instid0(VALU_DEP_2) | instskip(SKIP_3) | instid1(VALU_DEP_1)
	v_fma_f64 v[112:113], v[80:81], v[112:113], s[42:43]
	s_mov_b32 s42, 0x16291751
	s_mov_b32 s43, 0x3fcc71c0
	s_wait_alu 0xfffe
	v_fma_f64 v[112:113], v[80:81], v[112:113], s[42:43]
	s_mov_b32 s42, 0x9b27acf1
	s_mov_b32 s43, 0x3fd24924
	s_wait_alu 0xfffe
	s_delay_alu instid0(VALU_DEP_1) | instskip(SKIP_3) | instid1(VALU_DEP_1)
	v_fma_f64 v[112:113], v[80:81], v[112:113], s[42:43]
	s_mov_b32 s42, 0x998ef7b6
	s_mov_b32 s43, 0x3fd99999
	s_wait_alu 0xfffe
	v_fma_f64 v[112:113], v[80:81], v[112:113], s[42:43]
	s_delay_alu instid0(VALU_DEP_1) | instskip(SKIP_2) | instid1(VALU_DEP_3)
	v_fma_f64 v[80:81], v[80:81], v[112:113], s[38:39]
	v_ldexp_f64 v[112:113], v[78:79], 1
	v_add_f64_e64 v[78:79], v[78:79], -v[110:111]
	v_mul_f64_e32 v[80:81], v[114:115], v[80:81]
	v_cvt_f64_i32_e32 v[114:115], v82
	s_delay_alu instid0(VALU_DEP_3) | instskip(NEXT) | instid1(VALU_DEP_3)
	v_add_f64_e64 v[76:77], v[76:77], -v[78:79]
	v_add_f64_e32 v[110:111], v[112:113], v[80:81]
	s_delay_alu instid0(VALU_DEP_3) | instskip(NEXT) | instid1(VALU_DEP_3)
	v_mul_f64_e32 v[116:117], s[18:19], v[114:115]
	v_ldexp_f64 v[76:77], v[76:77], 1
	s_delay_alu instid0(VALU_DEP_3) | instskip(NEXT) | instid1(VALU_DEP_3)
	v_add_f64_e64 v[78:79], v[110:111], -v[112:113]
	v_fma_f64 v[112:113], v[114:115], s[18:19], -v[116:117]
	v_cmp_ngt_f64_e64 s18, -1.0, v[74:75]
	s_delay_alu instid0(VALU_DEP_3) | instskip(NEXT) | instid1(VALU_DEP_3)
	v_add_f64_e64 v[78:79], v[80:81], -v[78:79]
	v_fma_f64 v[80:81], v[114:115], s[36:37], v[112:113]
	s_delay_alu instid0(VALU_DEP_2) | instskip(NEXT) | instid1(VALU_DEP_2)
	v_add_f64_e32 v[76:77], v[76:77], v[78:79]
	v_add_f64_e32 v[78:79], v[116:117], v[80:81]
	s_delay_alu instid0(VALU_DEP_2) | instskip(NEXT) | instid1(VALU_DEP_2)
	v_add_f64_e32 v[112:113], v[110:111], v[76:77]
	v_add_f64_e64 v[116:117], v[78:79], -v[116:117]
	s_delay_alu instid0(VALU_DEP_2) | instskip(SKIP_1) | instid1(VALU_DEP_3)
	v_add_f64_e32 v[114:115], v[78:79], v[112:113]
	v_add_f64_e64 v[110:111], v[112:113], -v[110:111]
	v_add_f64_e64 v[80:81], v[80:81], -v[116:117]
	s_delay_alu instid0(VALU_DEP_3) | instskip(NEXT) | instid1(VALU_DEP_3)
	v_add_f64_e64 v[118:119], v[114:115], -v[78:79]
	v_add_f64_e64 v[76:77], v[76:77], -v[110:111]
	s_delay_alu instid0(VALU_DEP_2) | instskip(SKIP_1) | instid1(VALU_DEP_3)
	v_add_f64_e64 v[120:121], v[114:115], -v[118:119]
	v_add_f64_e64 v[110:111], v[112:113], -v[118:119]
	v_add_f64_e32 v[112:113], v[80:81], v[76:77]
	s_delay_alu instid0(VALU_DEP_3) | instskip(NEXT) | instid1(VALU_DEP_1)
	v_add_f64_e64 v[78:79], v[78:79], -v[120:121]
	v_add_f64_e32 v[78:79], v[110:111], v[78:79]
	s_delay_alu instid0(VALU_DEP_3) | instskip(NEXT) | instid1(VALU_DEP_2)
	v_add_f64_e64 v[110:111], v[112:113], -v[80:81]
	v_add_f64_e32 v[78:79], v[112:113], v[78:79]
	s_delay_alu instid0(VALU_DEP_2) | instskip(SKIP_1) | instid1(VALU_DEP_3)
	v_add_f64_e64 v[112:113], v[112:113], -v[110:111]
	v_add_f64_e64 v[76:77], v[76:77], -v[110:111]
	v_add_f64_e32 v[116:117], v[114:115], v[78:79]
	s_delay_alu instid0(VALU_DEP_3) | instskip(NEXT) | instid1(VALU_DEP_2)
	v_add_f64_e64 v[80:81], v[80:81], -v[112:113]
	v_add_f64_e64 v[110:111], v[116:117], -v[114:115]
	s_delay_alu instid0(VALU_DEP_2) | instskip(NEXT) | instid1(VALU_DEP_2)
	v_add_f64_e32 v[76:77], v[76:77], v[80:81]
	v_add_f64_e64 v[78:79], v[78:79], -v[110:111]
	s_delay_alu instid0(VALU_DEP_1) | instskip(NEXT) | instid1(VALU_DEP_1)
	v_add_f64_e32 v[76:77], v[76:77], v[78:79]
	v_add_f64_e32 v[76:77], v[116:117], v[76:77]
	s_delay_alu instid0(VALU_DEP_1) | instskip(SKIP_1) | instid1(VALU_DEP_3)
	v_cndmask_b32_e32 v76, 0, v76, vcc_lo
	v_cmp_neq_f64_e32 vcc_lo, -1.0, v[74:75]
	v_cndmask_b32_e64 v77, 0x7ff00000, v77, s17
	s_wait_alu 0xf1ff
	s_delay_alu instid0(VALU_DEP_1) | instskip(SKIP_1) | instid1(VALU_DEP_1)
	v_cndmask_b32_e64 v77, 0x7ff80000, v77, s18
	s_wait_alu 0xfffd
	v_cndmask_b32_e32 v77, 0xfff00000, v77, vcc_lo
	s_delay_alu instid0(VALU_DEP_1)
	v_add_f64_e32 v[74:75], v[7:8], v[76:77]
.LBB6_109:
	s_wait_alu 0xfffe
	s_or_b32 exec_lo, exec_lo, s41
	s_delay_alu instid0(VALU_DEP_1)
	v_dual_mov_b32 v7, v74 :: v_dual_mov_b32 v8, v75
	v_dual_mov_b32 v78, v75 :: v_dual_mov_b32 v77, v74
.LBB6_110:
	s_wait_alu 0xfffe
	s_or_b32 exec_lo, exec_lo, s40
	v_cmp_gt_u32_e32 vcc_lo, 24, v101
	v_add_nc_u32_e32 v111, 8, v101
	s_mov_b32 s40, exec_lo
	s_wait_dscnt 0x1
	s_wait_alu 0xfffd
	v_cndmask_b32_e64 v74, 0, 8, vcc_lo
	s_delay_alu instid0(VALU_DEP_1)
	v_add_lshl_u32 v110, v74, v101, 2
	ds_bpermute_b32 v74, v110, v7
	s_wait_dscnt 0x1
	ds_bpermute_b32 v75, v110, v8
	v_cmpx_le_u32_e64 v111, v10
	s_cbranch_execz .LBB6_114
; %bb.111:
	s_wait_dscnt 0x0
	v_max_num_f64_e32 v[7:8], v[74:75], v[74:75]
	v_max_num_f64_e32 v[79:80], v[77:78], v[77:78]
	v_cmp_u_f64_e32 vcc_lo, v[74:75], v[74:75]
	v_cmp_u_f64_e64 s17, v[77:78], v[77:78]
	s_delay_alu instid0(VALU_DEP_3) | instskip(SKIP_2) | instid1(VALU_DEP_2)
	v_min_num_f64_e32 v[81:82], v[7:8], v[79:80]
	v_max_num_f64_e32 v[7:8], v[7:8], v[79:80]
	s_wait_alu 0xfffd
	v_dual_cndmask_b32 v76, v82, v75 :: v_dual_cndmask_b32 v79, v81, v74
	s_delay_alu instid0(VALU_DEP_2) | instskip(SKIP_1) | instid1(VALU_DEP_2)
	v_dual_cndmask_b32 v8, v8, v75 :: v_dual_cndmask_b32 v7, v7, v74
	s_wait_alu 0xf1ff
	v_cndmask_b32_e64 v80, v76, v78, s17
	s_delay_alu instid0(VALU_DEP_3) | instskip(NEXT) | instid1(VALU_DEP_3)
	v_cndmask_b32_e64 v79, v79, v77, s17
	v_cndmask_b32_e64 v8, v8, v78, s17
	;; [unrolled: 1-line block ×3, first 2 shown]
	s_delay_alu instid0(VALU_DEP_3) | instskip(NEXT) | instid1(VALU_DEP_2)
	v_cmp_class_f64_e64 s17, v[79:80], 0x1f8
	v_cmp_neq_f64_e32 vcc_lo, v[79:80], v[7:8]
	s_or_b32 s17, vcc_lo, s17
	s_wait_alu 0xfffe
	s_and_saveexec_b32 s41, s17
	s_cbranch_execz .LBB6_113
; %bb.112:
	v_add_f64_e64 v[74:75], v[79:80], -v[7:8]
	s_mov_b32 s18, 0x652b82fe
	s_mov_b32 s19, 0x3ff71547
	;; [unrolled: 1-line block ×10, first 2 shown]
	s_wait_alu 0xfffe
	s_delay_alu instid0(VALU_DEP_1) | instskip(SKIP_4) | instid1(VALU_DEP_3)
	v_mul_f64_e32 v[76:77], s[18:19], v[74:75]
	s_mov_b32 s19, 0xbfe62e42
	s_mov_b32 s18, 0xfefa39ef
	v_cmp_nlt_f64_e32 vcc_lo, 0x40900000, v[74:75]
	v_cmp_ngt_f64_e64 s17, 0xc090cc00, v[74:75]
	v_rndne_f64_e32 v[76:77], v[76:77]
	s_wait_alu 0xfffe
	s_delay_alu instid0(VALU_DEP_1) | instskip(SKIP_2) | instid1(VALU_DEP_2)
	v_fma_f64 v[78:79], v[76:77], s[18:19], v[74:75]
	v_cvt_i32_f64_e32 v82, v[76:77]
	s_mov_b32 s19, 0x3fe62e42
	v_fma_f64 v[78:79], v[76:77], s[36:37], v[78:79]
	s_mov_b32 s37, 0x3c7abc9e
	s_delay_alu instid0(VALU_DEP_1)
	v_fma_f64 v[80:81], v[78:79], s[42:43], s[38:39]
	s_mov_b32 s38, 0x623fde64
	s_mov_b32 s39, 0x3ec71dee
	;; [unrolled: 1-line block ×4, first 2 shown]
	s_wait_alu 0xfffe
	s_delay_alu instid0(VALU_DEP_1) | instskip(SKIP_3) | instid1(VALU_DEP_1)
	v_fma_f64 v[80:81], v[78:79], v[80:81], s[38:39]
	s_mov_b32 s38, 0x7c89e6b0
	s_mov_b32 s39, 0x3efa0199
	s_wait_alu 0xfffe
	v_fma_f64 v[80:81], v[78:79], v[80:81], s[38:39]
	s_mov_b32 s38, 0x14761f6e
	s_mov_b32 s39, 0x3f2a01a0
	s_wait_alu 0xfffe
	s_delay_alu instid0(VALU_DEP_1) | instskip(SKIP_3) | instid1(VALU_DEP_1)
	v_fma_f64 v[80:81], v[78:79], v[80:81], s[38:39]
	s_mov_b32 s38, 0x1852b7b0
	s_mov_b32 s39, 0x3f56c16c
	s_wait_alu 0xfffe
	v_fma_f64 v[80:81], v[78:79], v[80:81], s[38:39]
	s_mov_b32 s38, 0x11122322
	s_mov_b32 s39, 0x3f811111
	;; [unrolled: 9-line block ×4, first 2 shown]
	s_delay_alu instid0(VALU_DEP_1) | instskip(NEXT) | instid1(VALU_DEP_1)
	v_fma_f64 v[80:81], v[78:79], v[80:81], 1.0
	v_fma_f64 v[76:77], v[78:79], v[80:81], 1.0
	s_delay_alu instid0(VALU_DEP_1) | instskip(SKIP_1) | instid1(VALU_DEP_1)
	v_ldexp_f64 v[76:77], v[76:77], v82
	s_wait_alu 0xfffd
	v_cndmask_b32_e32 v77, 0x7ff00000, v77, vcc_lo
	s_and_b32 vcc_lo, s17, vcc_lo
	s_wait_alu 0xfffe
	s_delay_alu instid0(VALU_DEP_2) | instskip(NEXT) | instid1(VALU_DEP_2)
	v_cndmask_b32_e32 v74, 0, v76, vcc_lo
	v_cndmask_b32_e64 v75, 0, v77, s17
	s_delay_alu instid0(VALU_DEP_1) | instskip(SKIP_1) | instid1(VALU_DEP_2)
	v_add_f64_e32 v[76:77], 1.0, v[74:75]
	v_cmp_neq_f64_e64 s17, 0x7ff00000, v[74:75]
	v_frexp_mant_f64_e32 v[78:79], v[76:77]
	v_frexp_exp_i32_f64_e32 v82, v[76:77]
	v_add_f64_e32 v[80:81], -1.0, v[76:77]
	s_delay_alu instid0(VALU_DEP_3) | instskip(SKIP_1) | instid1(VALU_DEP_2)
	v_cmp_gt_f64_e32 vcc_lo, s[38:39], v[78:79]
	s_mov_b32 s38, 0x55555780
	v_add_f64_e64 v[78:79], v[80:81], -v[76:77]
	v_add_f64_e64 v[80:81], v[74:75], -v[80:81]
	s_wait_alu 0xfffd
	v_subrev_co_ci_u32_e64 v82, null, 0, v82, vcc_lo
	s_delay_alu instid0(VALU_DEP_3) | instskip(SKIP_1) | instid1(VALU_DEP_3)
	v_add_f64_e32 v[78:79], 1.0, v[78:79]
	v_cmp_nge_f64_e32 vcc_lo, -1.0, v[74:75]
	v_sub_nc_u32_e32 v114, 0, v82
	s_delay_alu instid0(VALU_DEP_1) | instskip(NEXT) | instid1(VALU_DEP_4)
	v_ldexp_f64 v[76:77], v[76:77], v114
	v_add_f64_e32 v[78:79], v[80:81], v[78:79]
	s_and_b32 vcc_lo, vcc_lo, s17
	s_delay_alu instid0(VALU_DEP_2) | instskip(SKIP_1) | instid1(VALU_DEP_3)
	v_add_f64_e32 v[112:113], 1.0, v[76:77]
	v_add_f64_e32 v[118:119], -1.0, v[76:77]
	v_ldexp_f64 v[78:79], v[78:79], v114
	s_delay_alu instid0(VALU_DEP_3) | instskip(NEXT) | instid1(VALU_DEP_3)
	v_add_f64_e32 v[80:81], -1.0, v[112:113]
	v_add_f64_e32 v[120:121], 1.0, v[118:119]
	s_delay_alu instid0(VALU_DEP_2) | instskip(NEXT) | instid1(VALU_DEP_2)
	v_add_f64_e64 v[80:81], v[76:77], -v[80:81]
	v_add_f64_e64 v[76:77], v[76:77], -v[120:121]
	s_delay_alu instid0(VALU_DEP_2) | instskip(NEXT) | instid1(VALU_DEP_2)
	v_add_f64_e32 v[80:81], v[78:79], v[80:81]
	v_add_f64_e32 v[76:77], v[78:79], v[76:77]
	s_delay_alu instid0(VALU_DEP_2) | instskip(NEXT) | instid1(VALU_DEP_2)
	v_add_f64_e32 v[114:115], v[112:113], v[80:81]
	v_add_f64_e32 v[120:121], v[118:119], v[76:77]
	s_delay_alu instid0(VALU_DEP_2) | instskip(SKIP_1) | instid1(VALU_DEP_2)
	v_rcp_f64_e32 v[116:117], v[114:115]
	v_add_f64_e64 v[112:113], v[114:115], -v[112:113]
	v_add_f64_e64 v[118:119], v[120:121], -v[118:119]
	s_delay_alu instid0(VALU_DEP_2) | instskip(NEXT) | instid1(TRANS32_DEP_1)
	v_add_f64_e64 v[80:81], v[80:81], -v[112:113]
	v_fma_f64 v[122:123], -v[114:115], v[116:117], 1.0
	s_delay_alu instid0(VALU_DEP_3) | instskip(NEXT) | instid1(VALU_DEP_2)
	v_add_f64_e64 v[76:77], v[76:77], -v[118:119]
	v_fma_f64 v[116:117], v[122:123], v[116:117], v[116:117]
	s_delay_alu instid0(VALU_DEP_1) | instskip(NEXT) | instid1(VALU_DEP_1)
	v_fma_f64 v[78:79], -v[114:115], v[116:117], 1.0
	v_fma_f64 v[78:79], v[78:79], v[116:117], v[116:117]
	s_delay_alu instid0(VALU_DEP_1) | instskip(NEXT) | instid1(VALU_DEP_1)
	v_mul_f64_e32 v[116:117], v[120:121], v[78:79]
	v_mul_f64_e32 v[122:123], v[114:115], v[116:117]
	s_delay_alu instid0(VALU_DEP_1) | instskip(NEXT) | instid1(VALU_DEP_1)
	v_fma_f64 v[112:113], v[116:117], v[114:115], -v[122:123]
	v_fma_f64 v[112:113], v[116:117], v[80:81], v[112:113]
	s_delay_alu instid0(VALU_DEP_1) | instskip(NEXT) | instid1(VALU_DEP_1)
	v_add_f64_e32 v[124:125], v[122:123], v[112:113]
	v_add_f64_e64 v[126:127], v[120:121], -v[124:125]
	v_add_f64_e64 v[118:119], v[124:125], -v[122:123]
	s_delay_alu instid0(VALU_DEP_2) | instskip(NEXT) | instid1(VALU_DEP_2)
	v_add_f64_e64 v[120:121], v[120:121], -v[126:127]
	v_add_f64_e64 v[112:113], v[118:119], -v[112:113]
	s_delay_alu instid0(VALU_DEP_2) | instskip(NEXT) | instid1(VALU_DEP_1)
	v_add_f64_e64 v[120:121], v[120:121], -v[124:125]
	v_add_f64_e32 v[76:77], v[76:77], v[120:121]
	s_delay_alu instid0(VALU_DEP_1) | instskip(NEXT) | instid1(VALU_DEP_1)
	v_add_f64_e32 v[76:77], v[112:113], v[76:77]
	v_add_f64_e32 v[112:113], v[126:127], v[76:77]
	s_delay_alu instid0(VALU_DEP_1) | instskip(SKIP_1) | instid1(VALU_DEP_2)
	v_mul_f64_e32 v[118:119], v[78:79], v[112:113]
	v_add_f64_e64 v[124:125], v[126:127], -v[112:113]
	v_mul_f64_e32 v[120:121], v[114:115], v[118:119]
	s_delay_alu instid0(VALU_DEP_2) | instskip(NEXT) | instid1(VALU_DEP_2)
	v_add_f64_e32 v[76:77], v[76:77], v[124:125]
	v_fma_f64 v[114:115], v[118:119], v[114:115], -v[120:121]
	s_delay_alu instid0(VALU_DEP_1) | instskip(NEXT) | instid1(VALU_DEP_1)
	v_fma_f64 v[80:81], v[118:119], v[80:81], v[114:115]
	v_add_f64_e32 v[114:115], v[120:121], v[80:81]
	s_delay_alu instid0(VALU_DEP_1) | instskip(SKIP_1) | instid1(VALU_DEP_2)
	v_add_f64_e64 v[122:123], v[112:113], -v[114:115]
	v_add_f64_e64 v[120:121], v[114:115], -v[120:121]
	;; [unrolled: 1-line block ×3, first 2 shown]
	s_delay_alu instid0(VALU_DEP_2) | instskip(NEXT) | instid1(VALU_DEP_2)
	v_add_f64_e64 v[80:81], v[120:121], -v[80:81]
	v_add_f64_e64 v[112:113], v[112:113], -v[114:115]
	s_delay_alu instid0(VALU_DEP_1) | instskip(SKIP_1) | instid1(VALU_DEP_2)
	v_add_f64_e32 v[76:77], v[76:77], v[112:113]
	v_add_f64_e32 v[112:113], v[116:117], v[118:119]
	;; [unrolled: 1-line block ×3, first 2 shown]
	s_delay_alu instid0(VALU_DEP_2) | instskip(NEXT) | instid1(VALU_DEP_2)
	v_add_f64_e64 v[80:81], v[112:113], -v[116:117]
	v_add_f64_e32 v[76:77], v[122:123], v[76:77]
	s_delay_alu instid0(VALU_DEP_2) | instskip(NEXT) | instid1(VALU_DEP_2)
	v_add_f64_e64 v[80:81], v[118:119], -v[80:81]
	v_mul_f64_e32 v[76:77], v[78:79], v[76:77]
	s_delay_alu instid0(VALU_DEP_1) | instskip(NEXT) | instid1(VALU_DEP_1)
	v_add_f64_e32 v[76:77], v[80:81], v[76:77]
	v_add_f64_e32 v[78:79], v[112:113], v[76:77]
	s_delay_alu instid0(VALU_DEP_1) | instskip(NEXT) | instid1(VALU_DEP_1)
	v_mul_f64_e32 v[80:81], v[78:79], v[78:79]
	v_fma_f64 v[114:115], v[80:81], s[44:45], s[42:43]
	s_mov_b32 s42, 0xd7f4df2e
	s_mov_b32 s43, 0x3fc7474d
	v_mul_f64_e32 v[116:117], v[78:79], v[80:81]
	s_wait_alu 0xfffe
	s_delay_alu instid0(VALU_DEP_2) | instskip(SKIP_3) | instid1(VALU_DEP_1)
	v_fma_f64 v[114:115], v[80:81], v[114:115], s[42:43]
	s_mov_b32 s42, 0x16291751
	s_mov_b32 s43, 0x3fcc71c0
	s_wait_alu 0xfffe
	v_fma_f64 v[114:115], v[80:81], v[114:115], s[42:43]
	s_mov_b32 s42, 0x9b27acf1
	s_mov_b32 s43, 0x3fd24924
	s_wait_alu 0xfffe
	s_delay_alu instid0(VALU_DEP_1) | instskip(SKIP_3) | instid1(VALU_DEP_1)
	v_fma_f64 v[114:115], v[80:81], v[114:115], s[42:43]
	s_mov_b32 s42, 0x998ef7b6
	s_mov_b32 s43, 0x3fd99999
	s_wait_alu 0xfffe
	v_fma_f64 v[114:115], v[80:81], v[114:115], s[42:43]
	s_delay_alu instid0(VALU_DEP_1) | instskip(SKIP_2) | instid1(VALU_DEP_3)
	v_fma_f64 v[80:81], v[80:81], v[114:115], s[38:39]
	v_ldexp_f64 v[114:115], v[78:79], 1
	v_add_f64_e64 v[78:79], v[78:79], -v[112:113]
	v_mul_f64_e32 v[80:81], v[116:117], v[80:81]
	v_cvt_f64_i32_e32 v[116:117], v82
	s_delay_alu instid0(VALU_DEP_3) | instskip(NEXT) | instid1(VALU_DEP_3)
	v_add_f64_e64 v[76:77], v[76:77], -v[78:79]
	v_add_f64_e32 v[112:113], v[114:115], v[80:81]
	s_delay_alu instid0(VALU_DEP_3) | instskip(NEXT) | instid1(VALU_DEP_3)
	v_mul_f64_e32 v[118:119], s[18:19], v[116:117]
	v_ldexp_f64 v[76:77], v[76:77], 1
	s_delay_alu instid0(VALU_DEP_3) | instskip(NEXT) | instid1(VALU_DEP_3)
	v_add_f64_e64 v[78:79], v[112:113], -v[114:115]
	v_fma_f64 v[114:115], v[116:117], s[18:19], -v[118:119]
	v_cmp_ngt_f64_e64 s18, -1.0, v[74:75]
	s_delay_alu instid0(VALU_DEP_3) | instskip(NEXT) | instid1(VALU_DEP_3)
	v_add_f64_e64 v[78:79], v[80:81], -v[78:79]
	v_fma_f64 v[80:81], v[116:117], s[36:37], v[114:115]
	s_delay_alu instid0(VALU_DEP_2) | instskip(NEXT) | instid1(VALU_DEP_2)
	v_add_f64_e32 v[76:77], v[76:77], v[78:79]
	v_add_f64_e32 v[78:79], v[118:119], v[80:81]
	s_delay_alu instid0(VALU_DEP_2) | instskip(NEXT) | instid1(VALU_DEP_2)
	v_add_f64_e32 v[114:115], v[112:113], v[76:77]
	v_add_f64_e64 v[118:119], v[78:79], -v[118:119]
	s_delay_alu instid0(VALU_DEP_2) | instskip(SKIP_1) | instid1(VALU_DEP_3)
	v_add_f64_e32 v[116:117], v[78:79], v[114:115]
	v_add_f64_e64 v[112:113], v[114:115], -v[112:113]
	v_add_f64_e64 v[80:81], v[80:81], -v[118:119]
	s_delay_alu instid0(VALU_DEP_3) | instskip(NEXT) | instid1(VALU_DEP_3)
	v_add_f64_e64 v[120:121], v[116:117], -v[78:79]
	v_add_f64_e64 v[76:77], v[76:77], -v[112:113]
	s_delay_alu instid0(VALU_DEP_2) | instskip(SKIP_1) | instid1(VALU_DEP_3)
	v_add_f64_e64 v[122:123], v[116:117], -v[120:121]
	v_add_f64_e64 v[112:113], v[114:115], -v[120:121]
	v_add_f64_e32 v[114:115], v[80:81], v[76:77]
	s_delay_alu instid0(VALU_DEP_3) | instskip(NEXT) | instid1(VALU_DEP_1)
	v_add_f64_e64 v[78:79], v[78:79], -v[122:123]
	v_add_f64_e32 v[78:79], v[112:113], v[78:79]
	s_delay_alu instid0(VALU_DEP_3) | instskip(NEXT) | instid1(VALU_DEP_2)
	v_add_f64_e64 v[112:113], v[114:115], -v[80:81]
	v_add_f64_e32 v[78:79], v[114:115], v[78:79]
	s_delay_alu instid0(VALU_DEP_2) | instskip(SKIP_1) | instid1(VALU_DEP_3)
	v_add_f64_e64 v[114:115], v[114:115], -v[112:113]
	v_add_f64_e64 v[76:77], v[76:77], -v[112:113]
	v_add_f64_e32 v[118:119], v[116:117], v[78:79]
	s_delay_alu instid0(VALU_DEP_3) | instskip(NEXT) | instid1(VALU_DEP_2)
	v_add_f64_e64 v[80:81], v[80:81], -v[114:115]
	v_add_f64_e64 v[112:113], v[118:119], -v[116:117]
	s_delay_alu instid0(VALU_DEP_2) | instskip(NEXT) | instid1(VALU_DEP_2)
	v_add_f64_e32 v[76:77], v[76:77], v[80:81]
	v_add_f64_e64 v[78:79], v[78:79], -v[112:113]
	s_delay_alu instid0(VALU_DEP_1) | instskip(NEXT) | instid1(VALU_DEP_1)
	v_add_f64_e32 v[76:77], v[76:77], v[78:79]
	v_add_f64_e32 v[76:77], v[118:119], v[76:77]
	s_delay_alu instid0(VALU_DEP_1) | instskip(SKIP_1) | instid1(VALU_DEP_3)
	v_cndmask_b32_e32 v76, 0, v76, vcc_lo
	v_cmp_neq_f64_e32 vcc_lo, -1.0, v[74:75]
	v_cndmask_b32_e64 v77, 0x7ff00000, v77, s17
	s_wait_alu 0xf1ff
	s_delay_alu instid0(VALU_DEP_1) | instskip(SKIP_1) | instid1(VALU_DEP_1)
	v_cndmask_b32_e64 v77, 0x7ff80000, v77, s18
	s_wait_alu 0xfffd
	v_cndmask_b32_e32 v77, 0xfff00000, v77, vcc_lo
	s_delay_alu instid0(VALU_DEP_1)
	v_add_f64_e32 v[74:75], v[7:8], v[76:77]
.LBB6_113:
	s_wait_alu 0xfffe
	s_or_b32 exec_lo, exec_lo, s41
	s_delay_alu instid0(VALU_DEP_1)
	v_dual_mov_b32 v7, v74 :: v_dual_mov_b32 v8, v75
	v_dual_mov_b32 v78, v75 :: v_dual_mov_b32 v77, v74
.LBB6_114:
	s_wait_alu 0xfffe
	s_or_b32 exec_lo, exec_lo, s40
	v_lshl_or_b32 v112, v101, 2, 64
	v_add_nc_u32_e32 v113, 16, v101
	s_mov_b32 s40, exec_lo
	s_wait_dscnt 0x1
	ds_bpermute_b32 v74, v112, v7
	s_wait_dscnt 0x1
	ds_bpermute_b32 v75, v112, v8
	v_cmpx_le_u32_e64 v113, v10
	s_cbranch_execz .LBB6_118
; %bb.115:
	s_wait_dscnt 0x0
	v_max_num_f64_e32 v[7:8], v[74:75], v[74:75]
	v_max_num_f64_e32 v[79:80], v[77:78], v[77:78]
	v_cmp_u_f64_e32 vcc_lo, v[74:75], v[74:75]
	v_cmp_u_f64_e64 s17, v[77:78], v[77:78]
	s_delay_alu instid0(VALU_DEP_3) | instskip(SKIP_2) | instid1(VALU_DEP_1)
	v_min_num_f64_e32 v[81:82], v[7:8], v[79:80]
	v_max_num_f64_e32 v[7:8], v[7:8], v[79:80]
	s_wait_alu 0xfffd
	v_dual_cndmask_b32 v10, v82, v75 :: v_dual_cndmask_b32 v7, v7, v74
	s_delay_alu instid0(VALU_DEP_3) | instskip(NEXT) | instid1(VALU_DEP_3)
	v_cndmask_b32_e32 v76, v81, v74, vcc_lo
	v_cndmask_b32_e32 v8, v8, v75, vcc_lo
	s_wait_alu 0xf1ff
	s_delay_alu instid0(VALU_DEP_3) | instskip(SKIP_3) | instid1(VALU_DEP_2)
	v_cndmask_b32_e64 v80, v10, v78, s17
	v_cndmask_b32_e64 v7, v7, v77, s17
	;; [unrolled: 1-line block ×4, first 2 shown]
	v_cmp_class_f64_e64 s17, v[79:80], 0x1f8
	s_delay_alu instid0(VALU_DEP_2)
	v_cmp_neq_f64_e32 vcc_lo, v[79:80], v[7:8]
	s_or_b32 s17, vcc_lo, s17
	s_wait_alu 0xfffe
	s_and_saveexec_b32 s41, s17
	s_cbranch_execz .LBB6_117
; %bb.116:
	v_add_f64_e64 v[74:75], v[79:80], -v[7:8]
	s_mov_b32 s18, 0x652b82fe
	s_mov_b32 s19, 0x3ff71547
	s_mov_b32 s37, 0xbc7abc9e
	s_mov_b32 s36, 0x3b39803f
	s_mov_b32 s38, 0xfca7ab0c
	s_mov_b32 s42, 0x6a5dcb37
	s_mov_b32 s39, 0x3e928af3
	s_mov_b32 s43, 0x3e5ade15
	s_mov_b32 s44, 0xbf559e2b
	s_mov_b32 s45, 0x3fc3ab76
	s_wait_alu 0xfffe
	s_delay_alu instid0(VALU_DEP_1) | instskip(SKIP_4) | instid1(VALU_DEP_3)
	v_mul_f64_e32 v[76:77], s[18:19], v[74:75]
	s_mov_b32 s19, 0xbfe62e42
	s_mov_b32 s18, 0xfefa39ef
	v_cmp_nlt_f64_e32 vcc_lo, 0x40900000, v[74:75]
	v_cmp_ngt_f64_e64 s17, 0xc090cc00, v[74:75]
	v_rndne_f64_e32 v[76:77], v[76:77]
	s_wait_alu 0xfffe
	s_delay_alu instid0(VALU_DEP_1) | instskip(SKIP_2) | instid1(VALU_DEP_2)
	v_fma_f64 v[78:79], v[76:77], s[18:19], v[74:75]
	v_cvt_i32_f64_e32 v10, v[76:77]
	s_mov_b32 s19, 0x3fe62e42
	v_fma_f64 v[78:79], v[76:77], s[36:37], v[78:79]
	s_mov_b32 s37, 0x3c7abc9e
	s_delay_alu instid0(VALU_DEP_1)
	v_fma_f64 v[80:81], v[78:79], s[42:43], s[38:39]
	s_mov_b32 s38, 0x623fde64
	s_mov_b32 s39, 0x3ec71dee
	;; [unrolled: 1-line block ×4, first 2 shown]
	s_wait_alu 0xfffe
	s_delay_alu instid0(VALU_DEP_1) | instskip(SKIP_3) | instid1(VALU_DEP_1)
	v_fma_f64 v[80:81], v[78:79], v[80:81], s[38:39]
	s_mov_b32 s38, 0x7c89e6b0
	s_mov_b32 s39, 0x3efa0199
	s_wait_alu 0xfffe
	v_fma_f64 v[80:81], v[78:79], v[80:81], s[38:39]
	s_mov_b32 s38, 0x14761f6e
	s_mov_b32 s39, 0x3f2a01a0
	s_wait_alu 0xfffe
	s_delay_alu instid0(VALU_DEP_1) | instskip(SKIP_3) | instid1(VALU_DEP_1)
	v_fma_f64 v[80:81], v[78:79], v[80:81], s[38:39]
	s_mov_b32 s38, 0x1852b7b0
	s_mov_b32 s39, 0x3f56c16c
	s_wait_alu 0xfffe
	v_fma_f64 v[80:81], v[78:79], v[80:81], s[38:39]
	s_mov_b32 s38, 0x11122322
	s_mov_b32 s39, 0x3f811111
	;; [unrolled: 9-line block ×4, first 2 shown]
	s_delay_alu instid0(VALU_DEP_1) | instskip(NEXT) | instid1(VALU_DEP_1)
	v_fma_f64 v[80:81], v[78:79], v[80:81], 1.0
	v_fma_f64 v[76:77], v[78:79], v[80:81], 1.0
	s_delay_alu instid0(VALU_DEP_1) | instskip(SKIP_1) | instid1(VALU_DEP_1)
	v_ldexp_f64 v[76:77], v[76:77], v10
	s_wait_alu 0xfffd
	v_cndmask_b32_e32 v10, 0x7ff00000, v77, vcc_lo
	s_and_b32 vcc_lo, s17, vcc_lo
	s_wait_alu 0xfffe
	s_delay_alu instid0(VALU_DEP_2) | instskip(NEXT) | instid1(VALU_DEP_2)
	v_cndmask_b32_e32 v74, 0, v76, vcc_lo
	v_cndmask_b32_e64 v75, 0, v10, s17
	s_delay_alu instid0(VALU_DEP_1) | instskip(SKIP_1) | instid1(VALU_DEP_2)
	v_add_f64_e32 v[76:77], 1.0, v[74:75]
	v_cmp_neq_f64_e64 s17, 0x7ff00000, v[74:75]
	v_frexp_mant_f64_e32 v[78:79], v[76:77]
	v_frexp_exp_i32_f64_e32 v10, v[76:77]
	v_add_f64_e32 v[80:81], -1.0, v[76:77]
	s_delay_alu instid0(VALU_DEP_3) | instskip(SKIP_1) | instid1(VALU_DEP_2)
	v_cmp_gt_f64_e32 vcc_lo, s[38:39], v[78:79]
	s_mov_b32 s38, 0x55555780
	v_add_f64_e64 v[78:79], v[80:81], -v[76:77]
	v_add_f64_e64 v[80:81], v[74:75], -v[80:81]
	s_wait_alu 0xfffd
	v_subrev_co_ci_u32_e64 v10, null, 0, v10, vcc_lo
	s_delay_alu instid0(VALU_DEP_3) | instskip(SKIP_1) | instid1(VALU_DEP_3)
	v_add_f64_e32 v[78:79], 1.0, v[78:79]
	v_cmp_nge_f64_e32 vcc_lo, -1.0, v[74:75]
	v_sub_nc_u32_e32 v82, 0, v10
	s_delay_alu instid0(VALU_DEP_1) | instskip(NEXT) | instid1(VALU_DEP_4)
	v_ldexp_f64 v[76:77], v[76:77], v82
	v_add_f64_e32 v[78:79], v[80:81], v[78:79]
	s_and_b32 vcc_lo, vcc_lo, s17
	s_delay_alu instid0(VALU_DEP_2) | instskip(SKIP_1) | instid1(VALU_DEP_3)
	v_add_f64_e32 v[114:115], 1.0, v[76:77]
	v_add_f64_e32 v[120:121], -1.0, v[76:77]
	v_ldexp_f64 v[78:79], v[78:79], v82
	s_delay_alu instid0(VALU_DEP_3) | instskip(NEXT) | instid1(VALU_DEP_3)
	v_add_f64_e32 v[80:81], -1.0, v[114:115]
	v_add_f64_e32 v[122:123], 1.0, v[120:121]
	s_delay_alu instid0(VALU_DEP_2) | instskip(NEXT) | instid1(VALU_DEP_2)
	v_add_f64_e64 v[80:81], v[76:77], -v[80:81]
	v_add_f64_e64 v[76:77], v[76:77], -v[122:123]
	s_delay_alu instid0(VALU_DEP_2) | instskip(NEXT) | instid1(VALU_DEP_2)
	v_add_f64_e32 v[80:81], v[78:79], v[80:81]
	v_add_f64_e32 v[76:77], v[78:79], v[76:77]
	s_delay_alu instid0(VALU_DEP_2) | instskip(NEXT) | instid1(VALU_DEP_2)
	v_add_f64_e32 v[116:117], v[114:115], v[80:81]
	v_add_f64_e32 v[122:123], v[120:121], v[76:77]
	s_delay_alu instid0(VALU_DEP_2) | instskip(SKIP_1) | instid1(VALU_DEP_2)
	v_rcp_f64_e32 v[118:119], v[116:117]
	v_add_f64_e64 v[114:115], v[116:117], -v[114:115]
	v_add_f64_e64 v[120:121], v[122:123], -v[120:121]
	s_delay_alu instid0(VALU_DEP_2) | instskip(NEXT) | instid1(TRANS32_DEP_1)
	v_add_f64_e64 v[80:81], v[80:81], -v[114:115]
	v_fma_f64 v[124:125], -v[116:117], v[118:119], 1.0
	s_delay_alu instid0(VALU_DEP_3) | instskip(NEXT) | instid1(VALU_DEP_2)
	v_add_f64_e64 v[76:77], v[76:77], -v[120:121]
	v_fma_f64 v[118:119], v[124:125], v[118:119], v[118:119]
	s_delay_alu instid0(VALU_DEP_1) | instskip(NEXT) | instid1(VALU_DEP_1)
	v_fma_f64 v[78:79], -v[116:117], v[118:119], 1.0
	v_fma_f64 v[78:79], v[78:79], v[118:119], v[118:119]
	s_delay_alu instid0(VALU_DEP_1) | instskip(NEXT) | instid1(VALU_DEP_1)
	v_mul_f64_e32 v[118:119], v[122:123], v[78:79]
	v_mul_f64_e32 v[124:125], v[116:117], v[118:119]
	s_delay_alu instid0(VALU_DEP_1) | instskip(NEXT) | instid1(VALU_DEP_1)
	v_fma_f64 v[114:115], v[118:119], v[116:117], -v[124:125]
	v_fma_f64 v[114:115], v[118:119], v[80:81], v[114:115]
	s_delay_alu instid0(VALU_DEP_1) | instskip(NEXT) | instid1(VALU_DEP_1)
	v_add_f64_e32 v[126:127], v[124:125], v[114:115]
	v_add_f64_e64 v[128:129], v[122:123], -v[126:127]
	v_add_f64_e64 v[120:121], v[126:127], -v[124:125]
	s_delay_alu instid0(VALU_DEP_2) | instskip(NEXT) | instid1(VALU_DEP_2)
	v_add_f64_e64 v[122:123], v[122:123], -v[128:129]
	v_add_f64_e64 v[114:115], v[120:121], -v[114:115]
	s_delay_alu instid0(VALU_DEP_2) | instskip(NEXT) | instid1(VALU_DEP_1)
	v_add_f64_e64 v[122:123], v[122:123], -v[126:127]
	v_add_f64_e32 v[76:77], v[76:77], v[122:123]
	s_delay_alu instid0(VALU_DEP_1) | instskip(NEXT) | instid1(VALU_DEP_1)
	v_add_f64_e32 v[76:77], v[114:115], v[76:77]
	v_add_f64_e32 v[114:115], v[128:129], v[76:77]
	s_delay_alu instid0(VALU_DEP_1) | instskip(SKIP_1) | instid1(VALU_DEP_2)
	v_mul_f64_e32 v[120:121], v[78:79], v[114:115]
	v_add_f64_e64 v[126:127], v[128:129], -v[114:115]
	v_mul_f64_e32 v[122:123], v[116:117], v[120:121]
	s_delay_alu instid0(VALU_DEP_2) | instskip(NEXT) | instid1(VALU_DEP_2)
	v_add_f64_e32 v[76:77], v[76:77], v[126:127]
	v_fma_f64 v[116:117], v[120:121], v[116:117], -v[122:123]
	s_delay_alu instid0(VALU_DEP_1) | instskip(NEXT) | instid1(VALU_DEP_1)
	v_fma_f64 v[80:81], v[120:121], v[80:81], v[116:117]
	v_add_f64_e32 v[116:117], v[122:123], v[80:81]
	s_delay_alu instid0(VALU_DEP_1) | instskip(SKIP_1) | instid1(VALU_DEP_2)
	v_add_f64_e64 v[124:125], v[114:115], -v[116:117]
	v_add_f64_e64 v[122:123], v[116:117], -v[122:123]
	;; [unrolled: 1-line block ×3, first 2 shown]
	s_delay_alu instid0(VALU_DEP_2) | instskip(NEXT) | instid1(VALU_DEP_2)
	v_add_f64_e64 v[80:81], v[122:123], -v[80:81]
	v_add_f64_e64 v[114:115], v[114:115], -v[116:117]
	s_delay_alu instid0(VALU_DEP_1) | instskip(SKIP_1) | instid1(VALU_DEP_2)
	v_add_f64_e32 v[76:77], v[76:77], v[114:115]
	v_add_f64_e32 v[114:115], v[118:119], v[120:121]
	;; [unrolled: 1-line block ×3, first 2 shown]
	s_delay_alu instid0(VALU_DEP_2) | instskip(NEXT) | instid1(VALU_DEP_2)
	v_add_f64_e64 v[80:81], v[114:115], -v[118:119]
	v_add_f64_e32 v[76:77], v[124:125], v[76:77]
	s_delay_alu instid0(VALU_DEP_2) | instskip(NEXT) | instid1(VALU_DEP_2)
	v_add_f64_e64 v[80:81], v[120:121], -v[80:81]
	v_mul_f64_e32 v[76:77], v[78:79], v[76:77]
	s_delay_alu instid0(VALU_DEP_1) | instskip(NEXT) | instid1(VALU_DEP_1)
	v_add_f64_e32 v[76:77], v[80:81], v[76:77]
	v_add_f64_e32 v[78:79], v[114:115], v[76:77]
	s_delay_alu instid0(VALU_DEP_1) | instskip(NEXT) | instid1(VALU_DEP_1)
	v_mul_f64_e32 v[80:81], v[78:79], v[78:79]
	v_fma_f64 v[116:117], v[80:81], s[44:45], s[42:43]
	s_mov_b32 s42, 0xd7f4df2e
	s_mov_b32 s43, 0x3fc7474d
	v_mul_f64_e32 v[118:119], v[78:79], v[80:81]
	s_wait_alu 0xfffe
	s_delay_alu instid0(VALU_DEP_2) | instskip(SKIP_3) | instid1(VALU_DEP_1)
	v_fma_f64 v[116:117], v[80:81], v[116:117], s[42:43]
	s_mov_b32 s42, 0x16291751
	s_mov_b32 s43, 0x3fcc71c0
	s_wait_alu 0xfffe
	v_fma_f64 v[116:117], v[80:81], v[116:117], s[42:43]
	s_mov_b32 s42, 0x9b27acf1
	s_mov_b32 s43, 0x3fd24924
	s_wait_alu 0xfffe
	s_delay_alu instid0(VALU_DEP_1) | instskip(SKIP_3) | instid1(VALU_DEP_1)
	v_fma_f64 v[116:117], v[80:81], v[116:117], s[42:43]
	s_mov_b32 s42, 0x998ef7b6
	s_mov_b32 s43, 0x3fd99999
	s_wait_alu 0xfffe
	v_fma_f64 v[116:117], v[80:81], v[116:117], s[42:43]
	s_delay_alu instid0(VALU_DEP_1) | instskip(SKIP_2) | instid1(VALU_DEP_3)
	v_fma_f64 v[80:81], v[80:81], v[116:117], s[38:39]
	v_ldexp_f64 v[116:117], v[78:79], 1
	v_add_f64_e64 v[78:79], v[78:79], -v[114:115]
	v_mul_f64_e32 v[80:81], v[118:119], v[80:81]
	v_cvt_f64_i32_e32 v[118:119], v10
	s_delay_alu instid0(VALU_DEP_3) | instskip(NEXT) | instid1(VALU_DEP_3)
	v_add_f64_e64 v[76:77], v[76:77], -v[78:79]
	v_add_f64_e32 v[114:115], v[116:117], v[80:81]
	s_delay_alu instid0(VALU_DEP_3) | instskip(NEXT) | instid1(VALU_DEP_3)
	v_mul_f64_e32 v[120:121], s[18:19], v[118:119]
	v_ldexp_f64 v[76:77], v[76:77], 1
	s_delay_alu instid0(VALU_DEP_3) | instskip(NEXT) | instid1(VALU_DEP_3)
	v_add_f64_e64 v[78:79], v[114:115], -v[116:117]
	v_fma_f64 v[116:117], v[118:119], s[18:19], -v[120:121]
	v_cmp_ngt_f64_e64 s18, -1.0, v[74:75]
	s_delay_alu instid0(VALU_DEP_3) | instskip(NEXT) | instid1(VALU_DEP_3)
	v_add_f64_e64 v[78:79], v[80:81], -v[78:79]
	v_fma_f64 v[80:81], v[118:119], s[36:37], v[116:117]
	s_delay_alu instid0(VALU_DEP_2) | instskip(NEXT) | instid1(VALU_DEP_2)
	v_add_f64_e32 v[76:77], v[76:77], v[78:79]
	v_add_f64_e32 v[78:79], v[120:121], v[80:81]
	s_delay_alu instid0(VALU_DEP_2) | instskip(NEXT) | instid1(VALU_DEP_2)
	v_add_f64_e32 v[116:117], v[114:115], v[76:77]
	v_add_f64_e64 v[120:121], v[78:79], -v[120:121]
	s_delay_alu instid0(VALU_DEP_2) | instskip(SKIP_1) | instid1(VALU_DEP_3)
	v_add_f64_e32 v[118:119], v[78:79], v[116:117]
	v_add_f64_e64 v[114:115], v[116:117], -v[114:115]
	v_add_f64_e64 v[80:81], v[80:81], -v[120:121]
	s_delay_alu instid0(VALU_DEP_3) | instskip(NEXT) | instid1(VALU_DEP_3)
	v_add_f64_e64 v[122:123], v[118:119], -v[78:79]
	v_add_f64_e64 v[76:77], v[76:77], -v[114:115]
	s_delay_alu instid0(VALU_DEP_2) | instskip(SKIP_1) | instid1(VALU_DEP_3)
	v_add_f64_e64 v[124:125], v[118:119], -v[122:123]
	v_add_f64_e64 v[114:115], v[116:117], -v[122:123]
	v_add_f64_e32 v[116:117], v[80:81], v[76:77]
	s_delay_alu instid0(VALU_DEP_3) | instskip(NEXT) | instid1(VALU_DEP_1)
	v_add_f64_e64 v[78:79], v[78:79], -v[124:125]
	v_add_f64_e32 v[78:79], v[114:115], v[78:79]
	s_delay_alu instid0(VALU_DEP_3) | instskip(NEXT) | instid1(VALU_DEP_2)
	v_add_f64_e64 v[114:115], v[116:117], -v[80:81]
	v_add_f64_e32 v[78:79], v[116:117], v[78:79]
	s_delay_alu instid0(VALU_DEP_2) | instskip(SKIP_1) | instid1(VALU_DEP_3)
	v_add_f64_e64 v[116:117], v[116:117], -v[114:115]
	v_add_f64_e64 v[76:77], v[76:77], -v[114:115]
	v_add_f64_e32 v[120:121], v[118:119], v[78:79]
	s_delay_alu instid0(VALU_DEP_3) | instskip(NEXT) | instid1(VALU_DEP_2)
	v_add_f64_e64 v[80:81], v[80:81], -v[116:117]
	v_add_f64_e64 v[114:115], v[120:121], -v[118:119]
	s_delay_alu instid0(VALU_DEP_2) | instskip(NEXT) | instid1(VALU_DEP_2)
	v_add_f64_e32 v[76:77], v[76:77], v[80:81]
	v_add_f64_e64 v[78:79], v[78:79], -v[114:115]
	s_delay_alu instid0(VALU_DEP_1) | instskip(NEXT) | instid1(VALU_DEP_1)
	v_add_f64_e32 v[76:77], v[76:77], v[78:79]
	v_add_f64_e32 v[76:77], v[120:121], v[76:77]
	s_delay_alu instid0(VALU_DEP_1) | instskip(SKIP_1) | instid1(VALU_DEP_3)
	v_cndmask_b32_e32 v76, 0, v76, vcc_lo
	v_cmp_neq_f64_e32 vcc_lo, -1.0, v[74:75]
	v_cndmask_b32_e64 v10, 0x7ff00000, v77, s17
	s_wait_alu 0xf1ff
	s_delay_alu instid0(VALU_DEP_1) | instskip(SKIP_1) | instid1(VALU_DEP_1)
	v_cndmask_b32_e64 v10, 0x7ff80000, v10, s18
	s_wait_alu 0xfffd
	v_cndmask_b32_e32 v77, 0xfff00000, v10, vcc_lo
	s_delay_alu instid0(VALU_DEP_1)
	v_add_f64_e32 v[74:75], v[7:8], v[76:77]
.LBB6_117:
	s_wait_alu 0xfffe
	s_or_b32 exec_lo, exec_lo, s41
	s_delay_alu instid0(VALU_DEP_1)
	v_dual_mov_b32 v78, v75 :: v_dual_mov_b32 v77, v74
.LBB6_118:
	s_wait_alu 0xfffe
	s_or_b32 exec_lo, exec_lo, s40
	s_wait_dscnt 0x1
	v_mov_b32_e32 v74, 0
	s_mov_b32 s36, 0x652b82fe
	s_mov_b32 s38, 0xfefa39ef
	;; [unrolled: 1-line block ×43, first 2 shown]
	s_branch .LBB6_121
.LBB6_119:                              ;   in Loop: Header=BB6_121 Depth=1
	s_or_b32 exec_lo, exec_lo, s85
	v_subrev_nc_u32_e32 v73, 32, v73
	s_mov_b32 s17, 0
.LBB6_120:                              ;   in Loop: Header=BB6_121 Depth=1
	s_wait_alu 0xfffe
	s_and_b32 vcc_lo, exec_lo, s17
	s_wait_alu 0xfffe
	s_cbranch_vccnz .LBB6_149
.LBB6_121:                              ; =>This Loop Header: Depth=1
                                        ;     Child Loop BB6_124 Depth 2
	v_and_b32_e32 v7, 0xff, v9
	s_wait_dscnt 0x0
	s_delay_alu instid0(VALU_DEP_3) | instskip(SKIP_1) | instid1(VALU_DEP_2)
	v_dual_mov_b32 v75, v77 :: v_dual_mov_b32 v76, v78
	s_mov_b32 s17, -1
                                        ; implicit-def: $vgpr77_vgpr78
                                        ; implicit-def: $vgpr9
	v_cmp_ne_u16_e32 vcc_lo, 2, v7
	s_cmp_lg_u32 vcc_lo, exec_lo
	s_cbranch_scc1 .LBB6_120
; %bb.122:                              ;   in Loop: Header=BB6_121 Depth=1
	v_lshlrev_b64_e32 v[7:8], 4, v[73:74]
	s_mov_b32 s17, exec_lo
	s_delay_alu instid0(VALU_DEP_1) | instskip(SKIP_1) | instid1(VALU_DEP_2)
	v_add_co_u32 v77, vcc_lo, s70, v7
	s_wait_alu 0xfffd
	v_add_co_ci_u32_e64 v78, null, s71, v8, vcc_lo
	;;#ASMSTART
	global_load_b128 v[7:10], v[77:78] off scope:SCOPE_DEV	
s_wait_loadcnt 0x0
	;;#ASMEND
	v_and_b32_e32 v10, 0xff, v9
	s_delay_alu instid0(VALU_DEP_1)
	v_cmpx_eq_u16_e32 0, v10
	s_cbranch_execz .LBB6_126
; %bb.123:                              ;   in Loop: Header=BB6_121 Depth=1
	s_mov_b32 s18, 0
.LBB6_124:                              ;   Parent Loop BB6_121 Depth=1
                                        ; =>  This Inner Loop Header: Depth=2
	;;#ASMSTART
	global_load_b128 v[7:10], v[77:78] off scope:SCOPE_DEV	
s_wait_loadcnt 0x0
	;;#ASMEND
	v_and_b32_e32 v10, 0xff, v9
	s_delay_alu instid0(VALU_DEP_1)
	v_cmp_ne_u16_e32 vcc_lo, 0, v10
	s_wait_alu 0xfffe
	s_or_b32 s18, vcc_lo, s18
	s_wait_alu 0xfffe
	s_and_not1_b32 exec_lo, exec_lo, s18
	s_cbranch_execnz .LBB6_124
; %bb.125:                              ;   in Loop: Header=BB6_121 Depth=1
	s_or_b32 exec_lo, exec_lo, s18
.LBB6_126:                              ;   in Loop: Header=BB6_121 Depth=1
	s_wait_alu 0xfffe
	s_or_b32 exec_lo, exec_lo, s17
	v_and_b32_e32 v10, 0xff, v9
	ds_bpermute_b32 v79, v104, v7
	ds_bpermute_b32 v80, v104, v8
	v_dual_mov_b32 v78, v8 :: v_dual_mov_b32 v77, v7
	v_cmp_eq_u16_e32 vcc_lo, 2, v10
	s_mov_b32 s85, exec_lo
	s_wait_alu 0xfffd
	v_and_or_b32 v10, vcc_lo, v105, 0x80000000
	s_delay_alu instid0(VALU_DEP_1) | instskip(NEXT) | instid1(VALU_DEP_1)
	v_ctz_i32_b32_e32 v10, v10
	v_cmpx_lt_u32_e64 v101, v10
	s_cbranch_execz .LBB6_130
; %bb.127:                              ;   in Loop: Header=BB6_121 Depth=1
	s_wait_dscnt 0x0
	v_max_num_f64_e32 v[77:78], v[79:80], v[79:80]
	v_max_num_f64_e32 v[81:82], v[7:8], v[7:8]
	v_cmp_u_f64_e32 vcc_lo, v[79:80], v[79:80]
	v_cmp_u_f64_e64 s17, v[7:8], v[7:8]
	s_delay_alu instid0(VALU_DEP_3) | instskip(SKIP_2) | instid1(VALU_DEP_2)
	v_min_num_f64_e32 v[114:115], v[77:78], v[81:82]
	v_max_num_f64_e32 v[77:78], v[77:78], v[81:82]
	s_wait_alu 0xfffd
	v_dual_cndmask_b32 v81, v115, v80 :: v_dual_cndmask_b32 v82, v114, v79
	s_delay_alu instid0(VALU_DEP_2) | instskip(SKIP_1) | instid1(VALU_DEP_2)
	v_dual_cndmask_b32 v114, v78, v80 :: v_dual_cndmask_b32 v115, v77, v79
	s_wait_alu 0xf1ff
	v_cndmask_b32_e64 v78, v81, v8, s17
	s_delay_alu instid0(VALU_DEP_3) | instskip(NEXT) | instid1(VALU_DEP_3)
	v_cndmask_b32_e64 v77, v82, v7, s17
	v_cndmask_b32_e64 v8, v114, v8, s17
	;; [unrolled: 1-line block ×3, first 2 shown]
	s_delay_alu instid0(VALU_DEP_3) | instskip(NEXT) | instid1(VALU_DEP_2)
	v_cmp_class_f64_e64 s17, v[77:78], 0x1f8
	v_cmp_neq_f64_e32 vcc_lo, v[77:78], v[7:8]
	s_or_b32 s17, vcc_lo, s17
	s_wait_alu 0xfffe
	s_and_saveexec_b32 s86, s17
	s_cbranch_execz .LBB6_129
; %bb.128:                              ;   in Loop: Header=BB6_121 Depth=1
	v_add_f64_e64 v[77:78], v[77:78], -v[7:8]
	s_mov_b32 s81, s63
	s_mov_b32 s18, s38
	;; [unrolled: 1-line block ×3, first 2 shown]
	s_delay_alu instid0(VALU_DEP_1) | instskip(SKIP_2) | instid1(VALU_DEP_3)
	v_mul_f64_e32 v[79:80], s[36:37], v[77:78]
	v_cmp_nlt_f64_e32 vcc_lo, 0x40900000, v[77:78]
	v_cmp_ngt_f64_e64 s17, 0xc090cc00, v[77:78]
	v_rndne_f64_e32 v[79:80], v[79:80]
	s_delay_alu instid0(VALU_DEP_1) | instskip(SKIP_1) | instid1(VALU_DEP_2)
	v_fma_f64 v[81:82], v[79:80], s[38:39], v[77:78]
	v_cvt_i32_f64_e32 v116, v[79:80]
	v_fma_f64 v[81:82], v[79:80], s[40:41], v[81:82]
	s_delay_alu instid0(VALU_DEP_1) | instskip(NEXT) | instid1(VALU_DEP_1)
	v_fma_f64 v[114:115], v[81:82], s[44:45], s[42:43]
	v_fma_f64 v[114:115], v[81:82], v[114:115], s[46:47]
	s_delay_alu instid0(VALU_DEP_1) | instskip(NEXT) | instid1(VALU_DEP_1)
	v_fma_f64 v[114:115], v[81:82], v[114:115], s[48:49]
	;; [unrolled: 3-line block ×5, first 2 shown]
	v_fma_f64 v[114:115], v[81:82], v[114:115], 1.0
	s_delay_alu instid0(VALU_DEP_1) | instskip(NEXT) | instid1(VALU_DEP_1)
	v_fma_f64 v[79:80], v[81:82], v[114:115], 1.0
	v_ldexp_f64 v[79:80], v[79:80], v116
	s_wait_alu 0xfffd
	s_delay_alu instid0(VALU_DEP_1) | instskip(SKIP_2) | instid1(VALU_DEP_2)
	v_cndmask_b32_e32 v80, 0x7ff00000, v80, vcc_lo
	s_and_b32 vcc_lo, s17, vcc_lo
	s_wait_alu 0xfffe
	v_cndmask_b32_e32 v77, 0, v79, vcc_lo
	s_delay_alu instid0(VALU_DEP_2) | instskip(NEXT) | instid1(VALU_DEP_1)
	v_cndmask_b32_e64 v78, 0, v80, s17
	v_add_f64_e32 v[79:80], 1.0, v[77:78]
	v_cmp_neq_f64_e64 s17, 0x7ff00000, v[77:78]
	s_delay_alu instid0(VALU_DEP_2) | instskip(SKIP_2) | instid1(VALU_DEP_3)
	v_frexp_mant_f64_e32 v[81:82], v[79:80]
	v_frexp_exp_i32_f64_e32 v116, v[79:80]
	v_add_f64_e32 v[114:115], -1.0, v[79:80]
	v_cmp_gt_f64_e32 vcc_lo, s[62:63], v[81:82]
	s_delay_alu instid0(VALU_DEP_2) | instskip(SKIP_3) | instid1(VALU_DEP_3)
	v_add_f64_e64 v[81:82], v[114:115], -v[79:80]
	v_add_f64_e64 v[114:115], v[77:78], -v[114:115]
	s_wait_alu 0xfffd
	v_subrev_co_ci_u32_e64 v132, null, 0, v116, vcc_lo
	v_add_f64_e32 v[81:82], 1.0, v[81:82]
	v_cmp_nge_f64_e32 vcc_lo, -1.0, v[77:78]
	s_delay_alu instid0(VALU_DEP_3) | instskip(NEXT) | instid1(VALU_DEP_1)
	v_sub_nc_u32_e32 v118, 0, v132
	v_ldexp_f64 v[79:80], v[79:80], v118
	s_delay_alu instid0(VALU_DEP_4) | instskip(SKIP_1) | instid1(VALU_DEP_2)
	v_add_f64_e32 v[81:82], v[114:115], v[81:82]
	s_and_b32 vcc_lo, vcc_lo, s17
	v_add_f64_e32 v[116:117], 1.0, v[79:80]
	v_add_f64_e32 v[122:123], -1.0, v[79:80]
	s_delay_alu instid0(VALU_DEP_3) | instskip(NEXT) | instid1(VALU_DEP_3)
	v_ldexp_f64 v[81:82], v[81:82], v118
	v_add_f64_e32 v[114:115], -1.0, v[116:117]
	s_delay_alu instid0(VALU_DEP_3) | instskip(NEXT) | instid1(VALU_DEP_2)
	v_add_f64_e32 v[124:125], 1.0, v[122:123]
	v_add_f64_e64 v[114:115], v[79:80], -v[114:115]
	s_delay_alu instid0(VALU_DEP_2) | instskip(NEXT) | instid1(VALU_DEP_2)
	v_add_f64_e64 v[79:80], v[79:80], -v[124:125]
	v_add_f64_e32 v[114:115], v[81:82], v[114:115]
	s_delay_alu instid0(VALU_DEP_2) | instskip(NEXT) | instid1(VALU_DEP_2)
	v_add_f64_e32 v[79:80], v[81:82], v[79:80]
	v_add_f64_e32 v[118:119], v[116:117], v[114:115]
	s_delay_alu instid0(VALU_DEP_2) | instskip(NEXT) | instid1(VALU_DEP_2)
	v_add_f64_e32 v[124:125], v[122:123], v[79:80]
	v_rcp_f64_e32 v[120:121], v[118:119]
	v_add_f64_e64 v[116:117], v[118:119], -v[116:117]
	s_delay_alu instid0(VALU_DEP_2) | instskip(NEXT) | instid1(VALU_DEP_2)
	v_add_f64_e64 v[122:123], v[124:125], -v[122:123]
	v_add_f64_e64 v[114:115], v[114:115], -v[116:117]
	s_delay_alu instid0(TRANS32_DEP_1) | instskip(NEXT) | instid1(VALU_DEP_3)
	v_fma_f64 v[126:127], -v[118:119], v[120:121], 1.0
	v_add_f64_e64 v[79:80], v[79:80], -v[122:123]
	s_delay_alu instid0(VALU_DEP_2) | instskip(NEXT) | instid1(VALU_DEP_1)
	v_fma_f64 v[120:121], v[126:127], v[120:121], v[120:121]
	v_fma_f64 v[81:82], -v[118:119], v[120:121], 1.0
	s_delay_alu instid0(VALU_DEP_1) | instskip(NEXT) | instid1(VALU_DEP_1)
	v_fma_f64 v[81:82], v[81:82], v[120:121], v[120:121]
	v_mul_f64_e32 v[120:121], v[124:125], v[81:82]
	s_delay_alu instid0(VALU_DEP_1) | instskip(NEXT) | instid1(VALU_DEP_1)
	v_mul_f64_e32 v[126:127], v[118:119], v[120:121]
	v_fma_f64 v[116:117], v[120:121], v[118:119], -v[126:127]
	s_delay_alu instid0(VALU_DEP_1) | instskip(NEXT) | instid1(VALU_DEP_1)
	v_fma_f64 v[116:117], v[120:121], v[114:115], v[116:117]
	v_add_f64_e32 v[128:129], v[126:127], v[116:117]
	s_delay_alu instid0(VALU_DEP_1) | instskip(SKIP_1) | instid1(VALU_DEP_2)
	v_add_f64_e64 v[130:131], v[124:125], -v[128:129]
	v_add_f64_e64 v[122:123], v[128:129], -v[126:127]
	;; [unrolled: 1-line block ×3, first 2 shown]
	s_delay_alu instid0(VALU_DEP_2) | instskip(NEXT) | instid1(VALU_DEP_2)
	v_add_f64_e64 v[116:117], v[122:123], -v[116:117]
	v_add_f64_e64 v[124:125], v[124:125], -v[128:129]
	s_delay_alu instid0(VALU_DEP_1) | instskip(NEXT) | instid1(VALU_DEP_1)
	v_add_f64_e32 v[79:80], v[79:80], v[124:125]
	v_add_f64_e32 v[79:80], v[116:117], v[79:80]
	s_delay_alu instid0(VALU_DEP_1) | instskip(NEXT) | instid1(VALU_DEP_1)
	v_add_f64_e32 v[116:117], v[130:131], v[79:80]
	v_mul_f64_e32 v[122:123], v[81:82], v[116:117]
	v_add_f64_e64 v[128:129], v[130:131], -v[116:117]
	s_delay_alu instid0(VALU_DEP_2) | instskip(NEXT) | instid1(VALU_DEP_2)
	v_mul_f64_e32 v[124:125], v[118:119], v[122:123]
	v_add_f64_e32 v[79:80], v[79:80], v[128:129]
	s_delay_alu instid0(VALU_DEP_2) | instskip(NEXT) | instid1(VALU_DEP_1)
	v_fma_f64 v[118:119], v[122:123], v[118:119], -v[124:125]
	v_fma_f64 v[114:115], v[122:123], v[114:115], v[118:119]
	s_delay_alu instid0(VALU_DEP_1) | instskip(NEXT) | instid1(VALU_DEP_1)
	v_add_f64_e32 v[118:119], v[124:125], v[114:115]
	v_add_f64_e64 v[126:127], v[116:117], -v[118:119]
	v_add_f64_e64 v[124:125], v[118:119], -v[124:125]
	s_delay_alu instid0(VALU_DEP_2) | instskip(NEXT) | instid1(VALU_DEP_2)
	v_add_f64_e64 v[116:117], v[116:117], -v[126:127]
	v_add_f64_e64 v[114:115], v[124:125], -v[114:115]
	s_delay_alu instid0(VALU_DEP_2) | instskip(NEXT) | instid1(VALU_DEP_1)
	v_add_f64_e64 v[116:117], v[116:117], -v[118:119]
	v_add_f64_e32 v[79:80], v[79:80], v[116:117]
	v_add_f64_e32 v[116:117], v[120:121], v[122:123]
	s_delay_alu instid0(VALU_DEP_2) | instskip(NEXT) | instid1(VALU_DEP_2)
	v_add_f64_e32 v[79:80], v[114:115], v[79:80]
	v_add_f64_e64 v[114:115], v[116:117], -v[120:121]
	s_delay_alu instid0(VALU_DEP_2) | instskip(NEXT) | instid1(VALU_DEP_2)
	v_add_f64_e32 v[79:80], v[126:127], v[79:80]
	v_add_f64_e64 v[114:115], v[122:123], -v[114:115]
	s_delay_alu instid0(VALU_DEP_2) | instskip(NEXT) | instid1(VALU_DEP_1)
	v_mul_f64_e32 v[79:80], v[81:82], v[79:80]
	v_add_f64_e32 v[79:80], v[114:115], v[79:80]
	s_delay_alu instid0(VALU_DEP_1) | instskip(NEXT) | instid1(VALU_DEP_1)
	v_add_f64_e32 v[81:82], v[116:117], v[79:80]
	v_mul_f64_e32 v[114:115], v[81:82], v[81:82]
	s_delay_alu instid0(VALU_DEP_1) | instskip(SKIP_1) | instid1(VALU_DEP_2)
	v_fma_f64 v[118:119], v[114:115], s[66:67], s[64:65]
	v_mul_f64_e32 v[120:121], v[81:82], v[114:115]
	v_fma_f64 v[118:119], v[114:115], v[118:119], s[72:73]
	s_delay_alu instid0(VALU_DEP_1) | instskip(NEXT) | instid1(VALU_DEP_1)
	v_fma_f64 v[118:119], v[114:115], v[118:119], s[74:75]
	v_fma_f64 v[118:119], v[114:115], v[118:119], s[76:77]
	s_delay_alu instid0(VALU_DEP_1) | instskip(NEXT) | instid1(VALU_DEP_1)
	v_fma_f64 v[118:119], v[114:115], v[118:119], s[78:79]
	v_fma_f64 v[114:115], v[114:115], v[118:119], s[80:81]
	v_ldexp_f64 v[118:119], v[81:82], 1
	v_add_f64_e64 v[81:82], v[81:82], -v[116:117]
	s_delay_alu instid0(VALU_DEP_3) | instskip(SKIP_1) | instid1(VALU_DEP_3)
	v_mul_f64_e32 v[114:115], v[120:121], v[114:115]
	v_cvt_f64_i32_e32 v[120:121], v132
	v_add_f64_e64 v[79:80], v[79:80], -v[81:82]
	s_delay_alu instid0(VALU_DEP_3) | instskip(NEXT) | instid1(VALU_DEP_3)
	v_add_f64_e32 v[116:117], v[118:119], v[114:115]
	v_mul_f64_e32 v[122:123], s[18:19], v[120:121]
	s_delay_alu instid0(VALU_DEP_3) | instskip(NEXT) | instid1(VALU_DEP_3)
	v_ldexp_f64 v[79:80], v[79:80], 1
	v_add_f64_e64 v[81:82], v[116:117], -v[118:119]
	s_delay_alu instid0(VALU_DEP_3) | instskip(SKIP_1) | instid1(VALU_DEP_3)
	v_fma_f64 v[118:119], v[120:121], s[18:19], -v[122:123]
	v_cmp_ngt_f64_e64 s18, -1.0, v[77:78]
	v_add_f64_e64 v[81:82], v[114:115], -v[81:82]
	s_delay_alu instid0(VALU_DEP_3) | instskip(NEXT) | instid1(VALU_DEP_2)
	v_fma_f64 v[114:115], v[120:121], s[82:83], v[118:119]
	v_add_f64_e32 v[79:80], v[79:80], v[81:82]
	s_delay_alu instid0(VALU_DEP_2) | instskip(NEXT) | instid1(VALU_DEP_2)
	v_add_f64_e32 v[81:82], v[122:123], v[114:115]
	v_add_f64_e32 v[118:119], v[116:117], v[79:80]
	s_delay_alu instid0(VALU_DEP_2) | instskip(NEXT) | instid1(VALU_DEP_2)
	v_add_f64_e64 v[122:123], v[81:82], -v[122:123]
	v_add_f64_e32 v[120:121], v[81:82], v[118:119]
	v_add_f64_e64 v[116:117], v[118:119], -v[116:117]
	s_delay_alu instid0(VALU_DEP_3) | instskip(NEXT) | instid1(VALU_DEP_3)
	v_add_f64_e64 v[114:115], v[114:115], -v[122:123]
	v_add_f64_e64 v[124:125], v[120:121], -v[81:82]
	s_delay_alu instid0(VALU_DEP_3) | instskip(NEXT) | instid1(VALU_DEP_2)
	v_add_f64_e64 v[79:80], v[79:80], -v[116:117]
	v_add_f64_e64 v[126:127], v[120:121], -v[124:125]
	;; [unrolled: 1-line block ×3, first 2 shown]
	s_delay_alu instid0(VALU_DEP_3) | instskip(NEXT) | instid1(VALU_DEP_3)
	v_add_f64_e32 v[118:119], v[114:115], v[79:80]
	v_add_f64_e64 v[81:82], v[81:82], -v[126:127]
	s_delay_alu instid0(VALU_DEP_1) | instskip(NEXT) | instid1(VALU_DEP_3)
	v_add_f64_e32 v[81:82], v[116:117], v[81:82]
	v_add_f64_e64 v[116:117], v[118:119], -v[114:115]
	s_delay_alu instid0(VALU_DEP_2) | instskip(NEXT) | instid1(VALU_DEP_2)
	v_add_f64_e32 v[81:82], v[118:119], v[81:82]
	v_add_f64_e64 v[118:119], v[118:119], -v[116:117]
	v_add_f64_e64 v[79:80], v[79:80], -v[116:117]
	s_delay_alu instid0(VALU_DEP_3) | instskip(NEXT) | instid1(VALU_DEP_3)
	v_add_f64_e32 v[122:123], v[120:121], v[81:82]
	v_add_f64_e64 v[114:115], v[114:115], -v[118:119]
	s_delay_alu instid0(VALU_DEP_2) | instskip(NEXT) | instid1(VALU_DEP_2)
	v_add_f64_e64 v[116:117], v[122:123], -v[120:121]
	v_add_f64_e32 v[79:80], v[79:80], v[114:115]
	s_delay_alu instid0(VALU_DEP_2) | instskip(NEXT) | instid1(VALU_DEP_1)
	v_add_f64_e64 v[81:82], v[81:82], -v[116:117]
	v_add_f64_e32 v[79:80], v[79:80], v[81:82]
	s_delay_alu instid0(VALU_DEP_1) | instskip(SKIP_1) | instid1(VALU_DEP_1)
	v_add_f64_e32 v[79:80], v[122:123], v[79:80]
	s_wait_alu 0xfffe
	v_cndmask_b32_e32 v79, 0, v79, vcc_lo
	v_cmp_neq_f64_e32 vcc_lo, -1.0, v[77:78]
	s_delay_alu instid0(VALU_DEP_3) | instskip(SKIP_1) | instid1(VALU_DEP_1)
	v_cndmask_b32_e64 v80, 0x7ff00000, v80, s17
	s_wait_alu 0xf1ff
	v_cndmask_b32_e64 v80, 0x7ff80000, v80, s18
	s_wait_alu 0xfffd
	s_delay_alu instid0(VALU_DEP_1) | instskip(NEXT) | instid1(VALU_DEP_1)
	v_cndmask_b32_e32 v80, 0xfff00000, v80, vcc_lo
	v_add_f64_e32 v[79:80], v[7:8], v[79:80]
.LBB6_129:                              ;   in Loop: Header=BB6_121 Depth=1
	s_or_b32 exec_lo, exec_lo, s86
	s_delay_alu instid0(VALU_DEP_1)
	v_dual_mov_b32 v7, v79 :: v_dual_mov_b32 v8, v80
	v_dual_mov_b32 v77, v79 :: v_dual_mov_b32 v78, v80
.LBB6_130:                              ;   in Loop: Header=BB6_121 Depth=1
	s_or_b32 exec_lo, exec_lo, s85
	s_wait_dscnt 0x1
	ds_bpermute_b32 v79, v106, v7
	s_wait_dscnt 0x1
	ds_bpermute_b32 v80, v106, v8
	s_mov_b32 s85, exec_lo
	v_cmpx_le_u32_e64 v107, v10
	s_cbranch_execz .LBB6_134
; %bb.131:                              ;   in Loop: Header=BB6_121 Depth=1
	s_wait_dscnt 0x0
	v_max_num_f64_e32 v[7:8], v[79:80], v[79:80]
	v_max_num_f64_e32 v[81:82], v[77:78], v[77:78]
	v_cmp_u_f64_e32 vcc_lo, v[79:80], v[79:80]
	v_cmp_u_f64_e64 s17, v[77:78], v[77:78]
	s_delay_alu instid0(VALU_DEP_3) | instskip(SKIP_2) | instid1(VALU_DEP_2)
	v_min_num_f64_e32 v[114:115], v[7:8], v[81:82]
	v_max_num_f64_e32 v[7:8], v[7:8], v[81:82]
	s_wait_alu 0xfffd
	v_dual_cndmask_b32 v81, v115, v80 :: v_dual_cndmask_b32 v114, v114, v79
	s_delay_alu instid0(VALU_DEP_2) | instskip(SKIP_1) | instid1(VALU_DEP_2)
	v_dual_cndmask_b32 v8, v8, v80 :: v_dual_cndmask_b32 v7, v7, v79
	s_wait_alu 0xf1ff
	v_cndmask_b32_e64 v82, v81, v78, s17
	s_delay_alu instid0(VALU_DEP_3) | instskip(NEXT) | instid1(VALU_DEP_3)
	v_cndmask_b32_e64 v81, v114, v77, s17
	v_cndmask_b32_e64 v8, v8, v78, s17
	;; [unrolled: 1-line block ×3, first 2 shown]
	s_delay_alu instid0(VALU_DEP_3) | instskip(NEXT) | instid1(VALU_DEP_2)
	v_cmp_class_f64_e64 s17, v[81:82], 0x1f8
	v_cmp_neq_f64_e32 vcc_lo, v[81:82], v[7:8]
	s_or_b32 s17, vcc_lo, s17
	s_wait_alu 0xfffe
	s_and_saveexec_b32 s86, s17
	s_cbranch_execz .LBB6_133
; %bb.132:                              ;   in Loop: Header=BB6_121 Depth=1
	v_add_f64_e64 v[77:78], v[81:82], -v[7:8]
	s_mov_b32 s81, s63
	s_mov_b32 s18, s38
	;; [unrolled: 1-line block ×3, first 2 shown]
	s_delay_alu instid0(VALU_DEP_1) | instskip(SKIP_2) | instid1(VALU_DEP_3)
	v_mul_f64_e32 v[79:80], s[36:37], v[77:78]
	v_cmp_nlt_f64_e32 vcc_lo, 0x40900000, v[77:78]
	v_cmp_ngt_f64_e64 s17, 0xc090cc00, v[77:78]
	v_rndne_f64_e32 v[79:80], v[79:80]
	s_delay_alu instid0(VALU_DEP_1) | instskip(SKIP_1) | instid1(VALU_DEP_2)
	v_fma_f64 v[81:82], v[79:80], s[38:39], v[77:78]
	v_cvt_i32_f64_e32 v116, v[79:80]
	v_fma_f64 v[81:82], v[79:80], s[40:41], v[81:82]
	s_delay_alu instid0(VALU_DEP_1) | instskip(NEXT) | instid1(VALU_DEP_1)
	v_fma_f64 v[114:115], v[81:82], s[44:45], s[42:43]
	v_fma_f64 v[114:115], v[81:82], v[114:115], s[46:47]
	s_delay_alu instid0(VALU_DEP_1) | instskip(NEXT) | instid1(VALU_DEP_1)
	v_fma_f64 v[114:115], v[81:82], v[114:115], s[48:49]
	;; [unrolled: 3-line block ×5, first 2 shown]
	v_fma_f64 v[114:115], v[81:82], v[114:115], 1.0
	s_delay_alu instid0(VALU_DEP_1) | instskip(NEXT) | instid1(VALU_DEP_1)
	v_fma_f64 v[79:80], v[81:82], v[114:115], 1.0
	v_ldexp_f64 v[79:80], v[79:80], v116
	s_wait_alu 0xfffd
	s_delay_alu instid0(VALU_DEP_1) | instskip(SKIP_2) | instid1(VALU_DEP_2)
	v_cndmask_b32_e32 v80, 0x7ff00000, v80, vcc_lo
	s_and_b32 vcc_lo, s17, vcc_lo
	s_wait_alu 0xfffe
	v_cndmask_b32_e32 v77, 0, v79, vcc_lo
	s_delay_alu instid0(VALU_DEP_2) | instskip(NEXT) | instid1(VALU_DEP_1)
	v_cndmask_b32_e64 v78, 0, v80, s17
	v_add_f64_e32 v[79:80], 1.0, v[77:78]
	v_cmp_neq_f64_e64 s17, 0x7ff00000, v[77:78]
	s_delay_alu instid0(VALU_DEP_2) | instskip(SKIP_2) | instid1(VALU_DEP_3)
	v_frexp_mant_f64_e32 v[81:82], v[79:80]
	v_frexp_exp_i32_f64_e32 v116, v[79:80]
	v_add_f64_e32 v[114:115], -1.0, v[79:80]
	v_cmp_gt_f64_e32 vcc_lo, s[62:63], v[81:82]
	s_delay_alu instid0(VALU_DEP_2) | instskip(SKIP_3) | instid1(VALU_DEP_3)
	v_add_f64_e64 v[81:82], v[114:115], -v[79:80]
	v_add_f64_e64 v[114:115], v[77:78], -v[114:115]
	s_wait_alu 0xfffd
	v_subrev_co_ci_u32_e64 v132, null, 0, v116, vcc_lo
	v_add_f64_e32 v[81:82], 1.0, v[81:82]
	v_cmp_nge_f64_e32 vcc_lo, -1.0, v[77:78]
	s_delay_alu instid0(VALU_DEP_3) | instskip(NEXT) | instid1(VALU_DEP_1)
	v_sub_nc_u32_e32 v118, 0, v132
	v_ldexp_f64 v[79:80], v[79:80], v118
	s_delay_alu instid0(VALU_DEP_4) | instskip(SKIP_1) | instid1(VALU_DEP_2)
	v_add_f64_e32 v[81:82], v[114:115], v[81:82]
	s_and_b32 vcc_lo, vcc_lo, s17
	v_add_f64_e32 v[116:117], 1.0, v[79:80]
	v_add_f64_e32 v[122:123], -1.0, v[79:80]
	s_delay_alu instid0(VALU_DEP_3) | instskip(NEXT) | instid1(VALU_DEP_3)
	v_ldexp_f64 v[81:82], v[81:82], v118
	v_add_f64_e32 v[114:115], -1.0, v[116:117]
	s_delay_alu instid0(VALU_DEP_3) | instskip(NEXT) | instid1(VALU_DEP_2)
	v_add_f64_e32 v[124:125], 1.0, v[122:123]
	v_add_f64_e64 v[114:115], v[79:80], -v[114:115]
	s_delay_alu instid0(VALU_DEP_2) | instskip(NEXT) | instid1(VALU_DEP_2)
	v_add_f64_e64 v[79:80], v[79:80], -v[124:125]
	v_add_f64_e32 v[114:115], v[81:82], v[114:115]
	s_delay_alu instid0(VALU_DEP_2) | instskip(NEXT) | instid1(VALU_DEP_2)
	v_add_f64_e32 v[79:80], v[81:82], v[79:80]
	v_add_f64_e32 v[118:119], v[116:117], v[114:115]
	s_delay_alu instid0(VALU_DEP_2) | instskip(NEXT) | instid1(VALU_DEP_2)
	v_add_f64_e32 v[124:125], v[122:123], v[79:80]
	v_rcp_f64_e32 v[120:121], v[118:119]
	v_add_f64_e64 v[116:117], v[118:119], -v[116:117]
	s_delay_alu instid0(VALU_DEP_2) | instskip(NEXT) | instid1(VALU_DEP_2)
	v_add_f64_e64 v[122:123], v[124:125], -v[122:123]
	v_add_f64_e64 v[114:115], v[114:115], -v[116:117]
	s_delay_alu instid0(TRANS32_DEP_1) | instskip(NEXT) | instid1(VALU_DEP_3)
	v_fma_f64 v[126:127], -v[118:119], v[120:121], 1.0
	v_add_f64_e64 v[79:80], v[79:80], -v[122:123]
	s_delay_alu instid0(VALU_DEP_2) | instskip(NEXT) | instid1(VALU_DEP_1)
	v_fma_f64 v[120:121], v[126:127], v[120:121], v[120:121]
	v_fma_f64 v[81:82], -v[118:119], v[120:121], 1.0
	s_delay_alu instid0(VALU_DEP_1) | instskip(NEXT) | instid1(VALU_DEP_1)
	v_fma_f64 v[81:82], v[81:82], v[120:121], v[120:121]
	v_mul_f64_e32 v[120:121], v[124:125], v[81:82]
	s_delay_alu instid0(VALU_DEP_1) | instskip(NEXT) | instid1(VALU_DEP_1)
	v_mul_f64_e32 v[126:127], v[118:119], v[120:121]
	v_fma_f64 v[116:117], v[120:121], v[118:119], -v[126:127]
	s_delay_alu instid0(VALU_DEP_1) | instskip(NEXT) | instid1(VALU_DEP_1)
	v_fma_f64 v[116:117], v[120:121], v[114:115], v[116:117]
	v_add_f64_e32 v[128:129], v[126:127], v[116:117]
	s_delay_alu instid0(VALU_DEP_1) | instskip(SKIP_1) | instid1(VALU_DEP_2)
	v_add_f64_e64 v[130:131], v[124:125], -v[128:129]
	v_add_f64_e64 v[122:123], v[128:129], -v[126:127]
	;; [unrolled: 1-line block ×3, first 2 shown]
	s_delay_alu instid0(VALU_DEP_2) | instskip(NEXT) | instid1(VALU_DEP_2)
	v_add_f64_e64 v[116:117], v[122:123], -v[116:117]
	v_add_f64_e64 v[124:125], v[124:125], -v[128:129]
	s_delay_alu instid0(VALU_DEP_1) | instskip(NEXT) | instid1(VALU_DEP_1)
	v_add_f64_e32 v[79:80], v[79:80], v[124:125]
	v_add_f64_e32 v[79:80], v[116:117], v[79:80]
	s_delay_alu instid0(VALU_DEP_1) | instskip(NEXT) | instid1(VALU_DEP_1)
	v_add_f64_e32 v[116:117], v[130:131], v[79:80]
	v_mul_f64_e32 v[122:123], v[81:82], v[116:117]
	v_add_f64_e64 v[128:129], v[130:131], -v[116:117]
	s_delay_alu instid0(VALU_DEP_2) | instskip(NEXT) | instid1(VALU_DEP_2)
	v_mul_f64_e32 v[124:125], v[118:119], v[122:123]
	v_add_f64_e32 v[79:80], v[79:80], v[128:129]
	s_delay_alu instid0(VALU_DEP_2) | instskip(NEXT) | instid1(VALU_DEP_1)
	v_fma_f64 v[118:119], v[122:123], v[118:119], -v[124:125]
	v_fma_f64 v[114:115], v[122:123], v[114:115], v[118:119]
	s_delay_alu instid0(VALU_DEP_1) | instskip(NEXT) | instid1(VALU_DEP_1)
	v_add_f64_e32 v[118:119], v[124:125], v[114:115]
	v_add_f64_e64 v[126:127], v[116:117], -v[118:119]
	v_add_f64_e64 v[124:125], v[118:119], -v[124:125]
	s_delay_alu instid0(VALU_DEP_2) | instskip(NEXT) | instid1(VALU_DEP_2)
	v_add_f64_e64 v[116:117], v[116:117], -v[126:127]
	v_add_f64_e64 v[114:115], v[124:125], -v[114:115]
	s_delay_alu instid0(VALU_DEP_2) | instskip(NEXT) | instid1(VALU_DEP_1)
	v_add_f64_e64 v[116:117], v[116:117], -v[118:119]
	v_add_f64_e32 v[79:80], v[79:80], v[116:117]
	v_add_f64_e32 v[116:117], v[120:121], v[122:123]
	s_delay_alu instid0(VALU_DEP_2) | instskip(NEXT) | instid1(VALU_DEP_2)
	v_add_f64_e32 v[79:80], v[114:115], v[79:80]
	v_add_f64_e64 v[114:115], v[116:117], -v[120:121]
	s_delay_alu instid0(VALU_DEP_2) | instskip(NEXT) | instid1(VALU_DEP_2)
	v_add_f64_e32 v[79:80], v[126:127], v[79:80]
	v_add_f64_e64 v[114:115], v[122:123], -v[114:115]
	s_delay_alu instid0(VALU_DEP_2) | instskip(NEXT) | instid1(VALU_DEP_1)
	v_mul_f64_e32 v[79:80], v[81:82], v[79:80]
	v_add_f64_e32 v[79:80], v[114:115], v[79:80]
	s_delay_alu instid0(VALU_DEP_1) | instskip(NEXT) | instid1(VALU_DEP_1)
	v_add_f64_e32 v[81:82], v[116:117], v[79:80]
	v_mul_f64_e32 v[114:115], v[81:82], v[81:82]
	s_delay_alu instid0(VALU_DEP_1) | instskip(SKIP_1) | instid1(VALU_DEP_2)
	v_fma_f64 v[118:119], v[114:115], s[66:67], s[64:65]
	v_mul_f64_e32 v[120:121], v[81:82], v[114:115]
	v_fma_f64 v[118:119], v[114:115], v[118:119], s[72:73]
	s_delay_alu instid0(VALU_DEP_1) | instskip(NEXT) | instid1(VALU_DEP_1)
	v_fma_f64 v[118:119], v[114:115], v[118:119], s[74:75]
	v_fma_f64 v[118:119], v[114:115], v[118:119], s[76:77]
	s_delay_alu instid0(VALU_DEP_1) | instskip(NEXT) | instid1(VALU_DEP_1)
	v_fma_f64 v[118:119], v[114:115], v[118:119], s[78:79]
	v_fma_f64 v[114:115], v[114:115], v[118:119], s[80:81]
	v_ldexp_f64 v[118:119], v[81:82], 1
	v_add_f64_e64 v[81:82], v[81:82], -v[116:117]
	s_delay_alu instid0(VALU_DEP_3) | instskip(SKIP_1) | instid1(VALU_DEP_3)
	v_mul_f64_e32 v[114:115], v[120:121], v[114:115]
	v_cvt_f64_i32_e32 v[120:121], v132
	v_add_f64_e64 v[79:80], v[79:80], -v[81:82]
	s_delay_alu instid0(VALU_DEP_3) | instskip(NEXT) | instid1(VALU_DEP_3)
	v_add_f64_e32 v[116:117], v[118:119], v[114:115]
	v_mul_f64_e32 v[122:123], s[18:19], v[120:121]
	s_delay_alu instid0(VALU_DEP_3) | instskip(NEXT) | instid1(VALU_DEP_3)
	v_ldexp_f64 v[79:80], v[79:80], 1
	v_add_f64_e64 v[81:82], v[116:117], -v[118:119]
	s_delay_alu instid0(VALU_DEP_3) | instskip(SKIP_1) | instid1(VALU_DEP_3)
	v_fma_f64 v[118:119], v[120:121], s[18:19], -v[122:123]
	v_cmp_ngt_f64_e64 s18, -1.0, v[77:78]
	v_add_f64_e64 v[81:82], v[114:115], -v[81:82]
	s_delay_alu instid0(VALU_DEP_3) | instskip(NEXT) | instid1(VALU_DEP_2)
	v_fma_f64 v[114:115], v[120:121], s[82:83], v[118:119]
	v_add_f64_e32 v[79:80], v[79:80], v[81:82]
	s_delay_alu instid0(VALU_DEP_2) | instskip(NEXT) | instid1(VALU_DEP_2)
	v_add_f64_e32 v[81:82], v[122:123], v[114:115]
	v_add_f64_e32 v[118:119], v[116:117], v[79:80]
	s_delay_alu instid0(VALU_DEP_2) | instskip(NEXT) | instid1(VALU_DEP_2)
	v_add_f64_e64 v[122:123], v[81:82], -v[122:123]
	v_add_f64_e32 v[120:121], v[81:82], v[118:119]
	v_add_f64_e64 v[116:117], v[118:119], -v[116:117]
	s_delay_alu instid0(VALU_DEP_3) | instskip(NEXT) | instid1(VALU_DEP_3)
	v_add_f64_e64 v[114:115], v[114:115], -v[122:123]
	v_add_f64_e64 v[124:125], v[120:121], -v[81:82]
	s_delay_alu instid0(VALU_DEP_3) | instskip(NEXT) | instid1(VALU_DEP_2)
	v_add_f64_e64 v[79:80], v[79:80], -v[116:117]
	v_add_f64_e64 v[126:127], v[120:121], -v[124:125]
	;; [unrolled: 1-line block ×3, first 2 shown]
	s_delay_alu instid0(VALU_DEP_3) | instskip(NEXT) | instid1(VALU_DEP_3)
	v_add_f64_e32 v[118:119], v[114:115], v[79:80]
	v_add_f64_e64 v[81:82], v[81:82], -v[126:127]
	s_delay_alu instid0(VALU_DEP_1) | instskip(NEXT) | instid1(VALU_DEP_3)
	v_add_f64_e32 v[81:82], v[116:117], v[81:82]
	v_add_f64_e64 v[116:117], v[118:119], -v[114:115]
	s_delay_alu instid0(VALU_DEP_2) | instskip(NEXT) | instid1(VALU_DEP_2)
	v_add_f64_e32 v[81:82], v[118:119], v[81:82]
	v_add_f64_e64 v[118:119], v[118:119], -v[116:117]
	v_add_f64_e64 v[79:80], v[79:80], -v[116:117]
	s_delay_alu instid0(VALU_DEP_3) | instskip(NEXT) | instid1(VALU_DEP_3)
	v_add_f64_e32 v[122:123], v[120:121], v[81:82]
	v_add_f64_e64 v[114:115], v[114:115], -v[118:119]
	s_delay_alu instid0(VALU_DEP_2) | instskip(NEXT) | instid1(VALU_DEP_2)
	v_add_f64_e64 v[116:117], v[122:123], -v[120:121]
	v_add_f64_e32 v[79:80], v[79:80], v[114:115]
	s_delay_alu instid0(VALU_DEP_2) | instskip(NEXT) | instid1(VALU_DEP_1)
	v_add_f64_e64 v[81:82], v[81:82], -v[116:117]
	v_add_f64_e32 v[79:80], v[79:80], v[81:82]
	s_delay_alu instid0(VALU_DEP_1) | instskip(SKIP_1) | instid1(VALU_DEP_1)
	v_add_f64_e32 v[79:80], v[122:123], v[79:80]
	s_wait_alu 0xfffe
	v_cndmask_b32_e32 v79, 0, v79, vcc_lo
	v_cmp_neq_f64_e32 vcc_lo, -1.0, v[77:78]
	s_delay_alu instid0(VALU_DEP_3) | instskip(SKIP_1) | instid1(VALU_DEP_1)
	v_cndmask_b32_e64 v80, 0x7ff00000, v80, s17
	s_wait_alu 0xf1ff
	v_cndmask_b32_e64 v80, 0x7ff80000, v80, s18
	s_wait_alu 0xfffd
	s_delay_alu instid0(VALU_DEP_1) | instskip(NEXT) | instid1(VALU_DEP_1)
	v_cndmask_b32_e32 v80, 0xfff00000, v80, vcc_lo
	v_add_f64_e32 v[79:80], v[7:8], v[79:80]
.LBB6_133:                              ;   in Loop: Header=BB6_121 Depth=1
	s_or_b32 exec_lo, exec_lo, s86
	s_delay_alu instid0(VALU_DEP_1)
	v_dual_mov_b32 v7, v79 :: v_dual_mov_b32 v8, v80
	v_dual_mov_b32 v77, v79 :: v_dual_mov_b32 v78, v80
.LBB6_134:                              ;   in Loop: Header=BB6_121 Depth=1
	s_or_b32 exec_lo, exec_lo, s85
	s_wait_dscnt 0x1
	ds_bpermute_b32 v79, v108, v7
	s_wait_dscnt 0x1
	ds_bpermute_b32 v80, v108, v8
	s_mov_b32 s85, exec_lo
	v_cmpx_le_u32_e64 v109, v10
	s_cbranch_execz .LBB6_138
; %bb.135:                              ;   in Loop: Header=BB6_121 Depth=1
	s_wait_dscnt 0x0
	v_max_num_f64_e32 v[7:8], v[79:80], v[79:80]
	v_max_num_f64_e32 v[81:82], v[77:78], v[77:78]
	v_cmp_u_f64_e32 vcc_lo, v[79:80], v[79:80]
	v_cmp_u_f64_e64 s17, v[77:78], v[77:78]
	s_delay_alu instid0(VALU_DEP_3) | instskip(SKIP_2) | instid1(VALU_DEP_2)
	v_min_num_f64_e32 v[114:115], v[7:8], v[81:82]
	v_max_num_f64_e32 v[7:8], v[7:8], v[81:82]
	s_wait_alu 0xfffd
	v_dual_cndmask_b32 v81, v115, v80 :: v_dual_cndmask_b32 v114, v114, v79
	s_delay_alu instid0(VALU_DEP_2) | instskip(SKIP_1) | instid1(VALU_DEP_2)
	v_dual_cndmask_b32 v8, v8, v80 :: v_dual_cndmask_b32 v7, v7, v79
	s_wait_alu 0xf1ff
	v_cndmask_b32_e64 v82, v81, v78, s17
	s_delay_alu instid0(VALU_DEP_3) | instskip(NEXT) | instid1(VALU_DEP_3)
	v_cndmask_b32_e64 v81, v114, v77, s17
	v_cndmask_b32_e64 v8, v8, v78, s17
	;; [unrolled: 1-line block ×3, first 2 shown]
	s_delay_alu instid0(VALU_DEP_3) | instskip(NEXT) | instid1(VALU_DEP_2)
	v_cmp_class_f64_e64 s17, v[81:82], 0x1f8
	v_cmp_neq_f64_e32 vcc_lo, v[81:82], v[7:8]
	s_or_b32 s17, vcc_lo, s17
	s_wait_alu 0xfffe
	s_and_saveexec_b32 s86, s17
	s_cbranch_execz .LBB6_137
; %bb.136:                              ;   in Loop: Header=BB6_121 Depth=1
	v_add_f64_e64 v[77:78], v[81:82], -v[7:8]
	s_mov_b32 s81, s63
	s_mov_b32 s18, s38
	;; [unrolled: 1-line block ×3, first 2 shown]
	s_delay_alu instid0(VALU_DEP_1) | instskip(SKIP_2) | instid1(VALU_DEP_3)
	v_mul_f64_e32 v[79:80], s[36:37], v[77:78]
	v_cmp_nlt_f64_e32 vcc_lo, 0x40900000, v[77:78]
	v_cmp_ngt_f64_e64 s17, 0xc090cc00, v[77:78]
	v_rndne_f64_e32 v[79:80], v[79:80]
	s_delay_alu instid0(VALU_DEP_1) | instskip(SKIP_1) | instid1(VALU_DEP_2)
	v_fma_f64 v[81:82], v[79:80], s[38:39], v[77:78]
	v_cvt_i32_f64_e32 v116, v[79:80]
	v_fma_f64 v[81:82], v[79:80], s[40:41], v[81:82]
	s_delay_alu instid0(VALU_DEP_1) | instskip(NEXT) | instid1(VALU_DEP_1)
	v_fma_f64 v[114:115], v[81:82], s[44:45], s[42:43]
	v_fma_f64 v[114:115], v[81:82], v[114:115], s[46:47]
	s_delay_alu instid0(VALU_DEP_1) | instskip(NEXT) | instid1(VALU_DEP_1)
	v_fma_f64 v[114:115], v[81:82], v[114:115], s[48:49]
	;; [unrolled: 3-line block ×5, first 2 shown]
	v_fma_f64 v[114:115], v[81:82], v[114:115], 1.0
	s_delay_alu instid0(VALU_DEP_1) | instskip(NEXT) | instid1(VALU_DEP_1)
	v_fma_f64 v[79:80], v[81:82], v[114:115], 1.0
	v_ldexp_f64 v[79:80], v[79:80], v116
	s_wait_alu 0xfffd
	s_delay_alu instid0(VALU_DEP_1) | instskip(SKIP_2) | instid1(VALU_DEP_2)
	v_cndmask_b32_e32 v80, 0x7ff00000, v80, vcc_lo
	s_and_b32 vcc_lo, s17, vcc_lo
	s_wait_alu 0xfffe
	v_cndmask_b32_e32 v77, 0, v79, vcc_lo
	s_delay_alu instid0(VALU_DEP_2) | instskip(NEXT) | instid1(VALU_DEP_1)
	v_cndmask_b32_e64 v78, 0, v80, s17
	v_add_f64_e32 v[79:80], 1.0, v[77:78]
	v_cmp_neq_f64_e64 s17, 0x7ff00000, v[77:78]
	s_delay_alu instid0(VALU_DEP_2) | instskip(SKIP_2) | instid1(VALU_DEP_3)
	v_frexp_mant_f64_e32 v[81:82], v[79:80]
	v_frexp_exp_i32_f64_e32 v116, v[79:80]
	v_add_f64_e32 v[114:115], -1.0, v[79:80]
	v_cmp_gt_f64_e32 vcc_lo, s[62:63], v[81:82]
	s_delay_alu instid0(VALU_DEP_2) | instskip(SKIP_3) | instid1(VALU_DEP_3)
	v_add_f64_e64 v[81:82], v[114:115], -v[79:80]
	v_add_f64_e64 v[114:115], v[77:78], -v[114:115]
	s_wait_alu 0xfffd
	v_subrev_co_ci_u32_e64 v132, null, 0, v116, vcc_lo
	v_add_f64_e32 v[81:82], 1.0, v[81:82]
	v_cmp_nge_f64_e32 vcc_lo, -1.0, v[77:78]
	s_delay_alu instid0(VALU_DEP_3) | instskip(NEXT) | instid1(VALU_DEP_1)
	v_sub_nc_u32_e32 v118, 0, v132
	v_ldexp_f64 v[79:80], v[79:80], v118
	s_delay_alu instid0(VALU_DEP_4) | instskip(SKIP_1) | instid1(VALU_DEP_2)
	v_add_f64_e32 v[81:82], v[114:115], v[81:82]
	s_and_b32 vcc_lo, vcc_lo, s17
	v_add_f64_e32 v[116:117], 1.0, v[79:80]
	v_add_f64_e32 v[122:123], -1.0, v[79:80]
	s_delay_alu instid0(VALU_DEP_3) | instskip(NEXT) | instid1(VALU_DEP_3)
	v_ldexp_f64 v[81:82], v[81:82], v118
	v_add_f64_e32 v[114:115], -1.0, v[116:117]
	s_delay_alu instid0(VALU_DEP_3) | instskip(NEXT) | instid1(VALU_DEP_2)
	v_add_f64_e32 v[124:125], 1.0, v[122:123]
	v_add_f64_e64 v[114:115], v[79:80], -v[114:115]
	s_delay_alu instid0(VALU_DEP_2) | instskip(NEXT) | instid1(VALU_DEP_2)
	v_add_f64_e64 v[79:80], v[79:80], -v[124:125]
	v_add_f64_e32 v[114:115], v[81:82], v[114:115]
	s_delay_alu instid0(VALU_DEP_2) | instskip(NEXT) | instid1(VALU_DEP_2)
	v_add_f64_e32 v[79:80], v[81:82], v[79:80]
	v_add_f64_e32 v[118:119], v[116:117], v[114:115]
	s_delay_alu instid0(VALU_DEP_2) | instskip(NEXT) | instid1(VALU_DEP_2)
	v_add_f64_e32 v[124:125], v[122:123], v[79:80]
	v_rcp_f64_e32 v[120:121], v[118:119]
	v_add_f64_e64 v[116:117], v[118:119], -v[116:117]
	s_delay_alu instid0(VALU_DEP_2) | instskip(NEXT) | instid1(VALU_DEP_2)
	v_add_f64_e64 v[122:123], v[124:125], -v[122:123]
	v_add_f64_e64 v[114:115], v[114:115], -v[116:117]
	s_delay_alu instid0(TRANS32_DEP_1) | instskip(NEXT) | instid1(VALU_DEP_3)
	v_fma_f64 v[126:127], -v[118:119], v[120:121], 1.0
	v_add_f64_e64 v[79:80], v[79:80], -v[122:123]
	s_delay_alu instid0(VALU_DEP_2) | instskip(NEXT) | instid1(VALU_DEP_1)
	v_fma_f64 v[120:121], v[126:127], v[120:121], v[120:121]
	v_fma_f64 v[81:82], -v[118:119], v[120:121], 1.0
	s_delay_alu instid0(VALU_DEP_1) | instskip(NEXT) | instid1(VALU_DEP_1)
	v_fma_f64 v[81:82], v[81:82], v[120:121], v[120:121]
	v_mul_f64_e32 v[120:121], v[124:125], v[81:82]
	s_delay_alu instid0(VALU_DEP_1) | instskip(NEXT) | instid1(VALU_DEP_1)
	v_mul_f64_e32 v[126:127], v[118:119], v[120:121]
	v_fma_f64 v[116:117], v[120:121], v[118:119], -v[126:127]
	s_delay_alu instid0(VALU_DEP_1) | instskip(NEXT) | instid1(VALU_DEP_1)
	v_fma_f64 v[116:117], v[120:121], v[114:115], v[116:117]
	v_add_f64_e32 v[128:129], v[126:127], v[116:117]
	s_delay_alu instid0(VALU_DEP_1) | instskip(SKIP_1) | instid1(VALU_DEP_2)
	v_add_f64_e64 v[130:131], v[124:125], -v[128:129]
	v_add_f64_e64 v[122:123], v[128:129], -v[126:127]
	;; [unrolled: 1-line block ×3, first 2 shown]
	s_delay_alu instid0(VALU_DEP_2) | instskip(NEXT) | instid1(VALU_DEP_2)
	v_add_f64_e64 v[116:117], v[122:123], -v[116:117]
	v_add_f64_e64 v[124:125], v[124:125], -v[128:129]
	s_delay_alu instid0(VALU_DEP_1) | instskip(NEXT) | instid1(VALU_DEP_1)
	v_add_f64_e32 v[79:80], v[79:80], v[124:125]
	v_add_f64_e32 v[79:80], v[116:117], v[79:80]
	s_delay_alu instid0(VALU_DEP_1) | instskip(NEXT) | instid1(VALU_DEP_1)
	v_add_f64_e32 v[116:117], v[130:131], v[79:80]
	v_mul_f64_e32 v[122:123], v[81:82], v[116:117]
	v_add_f64_e64 v[128:129], v[130:131], -v[116:117]
	s_delay_alu instid0(VALU_DEP_2) | instskip(NEXT) | instid1(VALU_DEP_2)
	v_mul_f64_e32 v[124:125], v[118:119], v[122:123]
	v_add_f64_e32 v[79:80], v[79:80], v[128:129]
	s_delay_alu instid0(VALU_DEP_2) | instskip(NEXT) | instid1(VALU_DEP_1)
	v_fma_f64 v[118:119], v[122:123], v[118:119], -v[124:125]
	v_fma_f64 v[114:115], v[122:123], v[114:115], v[118:119]
	s_delay_alu instid0(VALU_DEP_1) | instskip(NEXT) | instid1(VALU_DEP_1)
	v_add_f64_e32 v[118:119], v[124:125], v[114:115]
	v_add_f64_e64 v[126:127], v[116:117], -v[118:119]
	v_add_f64_e64 v[124:125], v[118:119], -v[124:125]
	s_delay_alu instid0(VALU_DEP_2) | instskip(NEXT) | instid1(VALU_DEP_2)
	v_add_f64_e64 v[116:117], v[116:117], -v[126:127]
	v_add_f64_e64 v[114:115], v[124:125], -v[114:115]
	s_delay_alu instid0(VALU_DEP_2) | instskip(NEXT) | instid1(VALU_DEP_1)
	v_add_f64_e64 v[116:117], v[116:117], -v[118:119]
	v_add_f64_e32 v[79:80], v[79:80], v[116:117]
	v_add_f64_e32 v[116:117], v[120:121], v[122:123]
	s_delay_alu instid0(VALU_DEP_2) | instskip(NEXT) | instid1(VALU_DEP_2)
	v_add_f64_e32 v[79:80], v[114:115], v[79:80]
	v_add_f64_e64 v[114:115], v[116:117], -v[120:121]
	s_delay_alu instid0(VALU_DEP_2) | instskip(NEXT) | instid1(VALU_DEP_2)
	v_add_f64_e32 v[79:80], v[126:127], v[79:80]
	v_add_f64_e64 v[114:115], v[122:123], -v[114:115]
	s_delay_alu instid0(VALU_DEP_2) | instskip(NEXT) | instid1(VALU_DEP_1)
	v_mul_f64_e32 v[79:80], v[81:82], v[79:80]
	v_add_f64_e32 v[79:80], v[114:115], v[79:80]
	s_delay_alu instid0(VALU_DEP_1) | instskip(NEXT) | instid1(VALU_DEP_1)
	v_add_f64_e32 v[81:82], v[116:117], v[79:80]
	v_mul_f64_e32 v[114:115], v[81:82], v[81:82]
	s_delay_alu instid0(VALU_DEP_1) | instskip(SKIP_1) | instid1(VALU_DEP_2)
	v_fma_f64 v[118:119], v[114:115], s[66:67], s[64:65]
	v_mul_f64_e32 v[120:121], v[81:82], v[114:115]
	v_fma_f64 v[118:119], v[114:115], v[118:119], s[72:73]
	s_delay_alu instid0(VALU_DEP_1) | instskip(NEXT) | instid1(VALU_DEP_1)
	v_fma_f64 v[118:119], v[114:115], v[118:119], s[74:75]
	v_fma_f64 v[118:119], v[114:115], v[118:119], s[76:77]
	s_delay_alu instid0(VALU_DEP_1) | instskip(NEXT) | instid1(VALU_DEP_1)
	v_fma_f64 v[118:119], v[114:115], v[118:119], s[78:79]
	v_fma_f64 v[114:115], v[114:115], v[118:119], s[80:81]
	v_ldexp_f64 v[118:119], v[81:82], 1
	v_add_f64_e64 v[81:82], v[81:82], -v[116:117]
	s_delay_alu instid0(VALU_DEP_3) | instskip(SKIP_1) | instid1(VALU_DEP_3)
	v_mul_f64_e32 v[114:115], v[120:121], v[114:115]
	v_cvt_f64_i32_e32 v[120:121], v132
	v_add_f64_e64 v[79:80], v[79:80], -v[81:82]
	s_delay_alu instid0(VALU_DEP_3) | instskip(NEXT) | instid1(VALU_DEP_3)
	v_add_f64_e32 v[116:117], v[118:119], v[114:115]
	v_mul_f64_e32 v[122:123], s[18:19], v[120:121]
	s_delay_alu instid0(VALU_DEP_3) | instskip(NEXT) | instid1(VALU_DEP_3)
	v_ldexp_f64 v[79:80], v[79:80], 1
	v_add_f64_e64 v[81:82], v[116:117], -v[118:119]
	s_delay_alu instid0(VALU_DEP_3) | instskip(SKIP_1) | instid1(VALU_DEP_3)
	v_fma_f64 v[118:119], v[120:121], s[18:19], -v[122:123]
	v_cmp_ngt_f64_e64 s18, -1.0, v[77:78]
	v_add_f64_e64 v[81:82], v[114:115], -v[81:82]
	s_delay_alu instid0(VALU_DEP_3) | instskip(NEXT) | instid1(VALU_DEP_2)
	v_fma_f64 v[114:115], v[120:121], s[82:83], v[118:119]
	v_add_f64_e32 v[79:80], v[79:80], v[81:82]
	s_delay_alu instid0(VALU_DEP_2) | instskip(NEXT) | instid1(VALU_DEP_2)
	v_add_f64_e32 v[81:82], v[122:123], v[114:115]
	v_add_f64_e32 v[118:119], v[116:117], v[79:80]
	s_delay_alu instid0(VALU_DEP_2) | instskip(NEXT) | instid1(VALU_DEP_2)
	v_add_f64_e64 v[122:123], v[81:82], -v[122:123]
	v_add_f64_e32 v[120:121], v[81:82], v[118:119]
	v_add_f64_e64 v[116:117], v[118:119], -v[116:117]
	s_delay_alu instid0(VALU_DEP_3) | instskip(NEXT) | instid1(VALU_DEP_3)
	v_add_f64_e64 v[114:115], v[114:115], -v[122:123]
	v_add_f64_e64 v[124:125], v[120:121], -v[81:82]
	s_delay_alu instid0(VALU_DEP_3) | instskip(NEXT) | instid1(VALU_DEP_2)
	v_add_f64_e64 v[79:80], v[79:80], -v[116:117]
	v_add_f64_e64 v[126:127], v[120:121], -v[124:125]
	;; [unrolled: 1-line block ×3, first 2 shown]
	s_delay_alu instid0(VALU_DEP_3) | instskip(NEXT) | instid1(VALU_DEP_3)
	v_add_f64_e32 v[118:119], v[114:115], v[79:80]
	v_add_f64_e64 v[81:82], v[81:82], -v[126:127]
	s_delay_alu instid0(VALU_DEP_1) | instskip(NEXT) | instid1(VALU_DEP_3)
	v_add_f64_e32 v[81:82], v[116:117], v[81:82]
	v_add_f64_e64 v[116:117], v[118:119], -v[114:115]
	s_delay_alu instid0(VALU_DEP_2) | instskip(NEXT) | instid1(VALU_DEP_2)
	v_add_f64_e32 v[81:82], v[118:119], v[81:82]
	v_add_f64_e64 v[118:119], v[118:119], -v[116:117]
	v_add_f64_e64 v[79:80], v[79:80], -v[116:117]
	s_delay_alu instid0(VALU_DEP_3) | instskip(NEXT) | instid1(VALU_DEP_3)
	v_add_f64_e32 v[122:123], v[120:121], v[81:82]
	v_add_f64_e64 v[114:115], v[114:115], -v[118:119]
	s_delay_alu instid0(VALU_DEP_2) | instskip(NEXT) | instid1(VALU_DEP_2)
	v_add_f64_e64 v[116:117], v[122:123], -v[120:121]
	v_add_f64_e32 v[79:80], v[79:80], v[114:115]
	s_delay_alu instid0(VALU_DEP_2) | instskip(NEXT) | instid1(VALU_DEP_1)
	v_add_f64_e64 v[81:82], v[81:82], -v[116:117]
	v_add_f64_e32 v[79:80], v[79:80], v[81:82]
	s_delay_alu instid0(VALU_DEP_1) | instskip(SKIP_1) | instid1(VALU_DEP_1)
	v_add_f64_e32 v[79:80], v[122:123], v[79:80]
	s_wait_alu 0xfffe
	v_cndmask_b32_e32 v79, 0, v79, vcc_lo
	v_cmp_neq_f64_e32 vcc_lo, -1.0, v[77:78]
	s_delay_alu instid0(VALU_DEP_3) | instskip(SKIP_1) | instid1(VALU_DEP_1)
	v_cndmask_b32_e64 v80, 0x7ff00000, v80, s17
	s_wait_alu 0xf1ff
	v_cndmask_b32_e64 v80, 0x7ff80000, v80, s18
	s_wait_alu 0xfffd
	s_delay_alu instid0(VALU_DEP_1) | instskip(NEXT) | instid1(VALU_DEP_1)
	v_cndmask_b32_e32 v80, 0xfff00000, v80, vcc_lo
	v_add_f64_e32 v[79:80], v[7:8], v[79:80]
.LBB6_137:                              ;   in Loop: Header=BB6_121 Depth=1
	s_or_b32 exec_lo, exec_lo, s86
	s_delay_alu instid0(VALU_DEP_1)
	v_dual_mov_b32 v7, v79 :: v_dual_mov_b32 v8, v80
	v_dual_mov_b32 v77, v79 :: v_dual_mov_b32 v78, v80
.LBB6_138:                              ;   in Loop: Header=BB6_121 Depth=1
	s_or_b32 exec_lo, exec_lo, s85
	s_wait_dscnt 0x1
	ds_bpermute_b32 v79, v110, v7
	s_wait_dscnt 0x1
	ds_bpermute_b32 v80, v110, v8
	s_mov_b32 s85, exec_lo
	v_cmpx_le_u32_e64 v111, v10
	s_cbranch_execz .LBB6_142
; %bb.139:                              ;   in Loop: Header=BB6_121 Depth=1
	s_wait_dscnt 0x0
	v_max_num_f64_e32 v[7:8], v[79:80], v[79:80]
	v_max_num_f64_e32 v[81:82], v[77:78], v[77:78]
	v_cmp_u_f64_e32 vcc_lo, v[79:80], v[79:80]
	v_cmp_u_f64_e64 s17, v[77:78], v[77:78]
	s_delay_alu instid0(VALU_DEP_3) | instskip(SKIP_2) | instid1(VALU_DEP_2)
	v_min_num_f64_e32 v[114:115], v[7:8], v[81:82]
	v_max_num_f64_e32 v[7:8], v[7:8], v[81:82]
	s_wait_alu 0xfffd
	v_dual_cndmask_b32 v81, v115, v80 :: v_dual_cndmask_b32 v114, v114, v79
	s_delay_alu instid0(VALU_DEP_2) | instskip(SKIP_1) | instid1(VALU_DEP_2)
	v_dual_cndmask_b32 v8, v8, v80 :: v_dual_cndmask_b32 v7, v7, v79
	s_wait_alu 0xf1ff
	v_cndmask_b32_e64 v82, v81, v78, s17
	s_delay_alu instid0(VALU_DEP_3) | instskip(NEXT) | instid1(VALU_DEP_3)
	v_cndmask_b32_e64 v81, v114, v77, s17
	v_cndmask_b32_e64 v8, v8, v78, s17
	;; [unrolled: 1-line block ×3, first 2 shown]
	s_delay_alu instid0(VALU_DEP_3) | instskip(NEXT) | instid1(VALU_DEP_2)
	v_cmp_class_f64_e64 s17, v[81:82], 0x1f8
	v_cmp_neq_f64_e32 vcc_lo, v[81:82], v[7:8]
	s_or_b32 s17, vcc_lo, s17
	s_wait_alu 0xfffe
	s_and_saveexec_b32 s86, s17
	s_cbranch_execz .LBB6_141
; %bb.140:                              ;   in Loop: Header=BB6_121 Depth=1
	v_add_f64_e64 v[77:78], v[81:82], -v[7:8]
	s_mov_b32 s81, s63
	s_mov_b32 s18, s38
	;; [unrolled: 1-line block ×3, first 2 shown]
	s_delay_alu instid0(VALU_DEP_1) | instskip(SKIP_2) | instid1(VALU_DEP_3)
	v_mul_f64_e32 v[79:80], s[36:37], v[77:78]
	v_cmp_nlt_f64_e32 vcc_lo, 0x40900000, v[77:78]
	v_cmp_ngt_f64_e64 s17, 0xc090cc00, v[77:78]
	v_rndne_f64_e32 v[79:80], v[79:80]
	s_delay_alu instid0(VALU_DEP_1) | instskip(SKIP_1) | instid1(VALU_DEP_2)
	v_fma_f64 v[81:82], v[79:80], s[38:39], v[77:78]
	v_cvt_i32_f64_e32 v116, v[79:80]
	v_fma_f64 v[81:82], v[79:80], s[40:41], v[81:82]
	s_delay_alu instid0(VALU_DEP_1) | instskip(NEXT) | instid1(VALU_DEP_1)
	v_fma_f64 v[114:115], v[81:82], s[44:45], s[42:43]
	v_fma_f64 v[114:115], v[81:82], v[114:115], s[46:47]
	s_delay_alu instid0(VALU_DEP_1) | instskip(NEXT) | instid1(VALU_DEP_1)
	v_fma_f64 v[114:115], v[81:82], v[114:115], s[48:49]
	v_fma_f64 v[114:115], v[81:82], v[114:115], s[50:51]
	s_delay_alu instid0(VALU_DEP_1) | instskip(NEXT) | instid1(VALU_DEP_1)
	v_fma_f64 v[114:115], v[81:82], v[114:115], s[52:53]
	v_fma_f64 v[114:115], v[81:82], v[114:115], s[54:55]
	s_delay_alu instid0(VALU_DEP_1) | instskip(NEXT) | instid1(VALU_DEP_1)
	v_fma_f64 v[114:115], v[81:82], v[114:115], s[56:57]
	v_fma_f64 v[114:115], v[81:82], v[114:115], s[58:59]
	s_delay_alu instid0(VALU_DEP_1) | instskip(NEXT) | instid1(VALU_DEP_1)
	v_fma_f64 v[114:115], v[81:82], v[114:115], s[60:61]
	v_fma_f64 v[114:115], v[81:82], v[114:115], 1.0
	s_delay_alu instid0(VALU_DEP_1) | instskip(NEXT) | instid1(VALU_DEP_1)
	v_fma_f64 v[79:80], v[81:82], v[114:115], 1.0
	v_ldexp_f64 v[79:80], v[79:80], v116
	s_wait_alu 0xfffd
	s_delay_alu instid0(VALU_DEP_1) | instskip(SKIP_2) | instid1(VALU_DEP_2)
	v_cndmask_b32_e32 v80, 0x7ff00000, v80, vcc_lo
	s_and_b32 vcc_lo, s17, vcc_lo
	s_wait_alu 0xfffe
	v_cndmask_b32_e32 v77, 0, v79, vcc_lo
	s_delay_alu instid0(VALU_DEP_2) | instskip(NEXT) | instid1(VALU_DEP_1)
	v_cndmask_b32_e64 v78, 0, v80, s17
	v_add_f64_e32 v[79:80], 1.0, v[77:78]
	v_cmp_neq_f64_e64 s17, 0x7ff00000, v[77:78]
	s_delay_alu instid0(VALU_DEP_2) | instskip(SKIP_2) | instid1(VALU_DEP_3)
	v_frexp_mant_f64_e32 v[81:82], v[79:80]
	v_frexp_exp_i32_f64_e32 v116, v[79:80]
	v_add_f64_e32 v[114:115], -1.0, v[79:80]
	v_cmp_gt_f64_e32 vcc_lo, s[62:63], v[81:82]
	s_delay_alu instid0(VALU_DEP_2) | instskip(SKIP_3) | instid1(VALU_DEP_3)
	v_add_f64_e64 v[81:82], v[114:115], -v[79:80]
	v_add_f64_e64 v[114:115], v[77:78], -v[114:115]
	s_wait_alu 0xfffd
	v_subrev_co_ci_u32_e64 v132, null, 0, v116, vcc_lo
	v_add_f64_e32 v[81:82], 1.0, v[81:82]
	v_cmp_nge_f64_e32 vcc_lo, -1.0, v[77:78]
	s_delay_alu instid0(VALU_DEP_3) | instskip(NEXT) | instid1(VALU_DEP_1)
	v_sub_nc_u32_e32 v118, 0, v132
	v_ldexp_f64 v[79:80], v[79:80], v118
	s_delay_alu instid0(VALU_DEP_4) | instskip(SKIP_1) | instid1(VALU_DEP_2)
	v_add_f64_e32 v[81:82], v[114:115], v[81:82]
	s_and_b32 vcc_lo, vcc_lo, s17
	v_add_f64_e32 v[116:117], 1.0, v[79:80]
	v_add_f64_e32 v[122:123], -1.0, v[79:80]
	s_delay_alu instid0(VALU_DEP_3) | instskip(NEXT) | instid1(VALU_DEP_3)
	v_ldexp_f64 v[81:82], v[81:82], v118
	v_add_f64_e32 v[114:115], -1.0, v[116:117]
	s_delay_alu instid0(VALU_DEP_3) | instskip(NEXT) | instid1(VALU_DEP_2)
	v_add_f64_e32 v[124:125], 1.0, v[122:123]
	v_add_f64_e64 v[114:115], v[79:80], -v[114:115]
	s_delay_alu instid0(VALU_DEP_2) | instskip(NEXT) | instid1(VALU_DEP_2)
	v_add_f64_e64 v[79:80], v[79:80], -v[124:125]
	v_add_f64_e32 v[114:115], v[81:82], v[114:115]
	s_delay_alu instid0(VALU_DEP_2) | instskip(NEXT) | instid1(VALU_DEP_2)
	v_add_f64_e32 v[79:80], v[81:82], v[79:80]
	v_add_f64_e32 v[118:119], v[116:117], v[114:115]
	s_delay_alu instid0(VALU_DEP_2) | instskip(NEXT) | instid1(VALU_DEP_2)
	v_add_f64_e32 v[124:125], v[122:123], v[79:80]
	v_rcp_f64_e32 v[120:121], v[118:119]
	v_add_f64_e64 v[116:117], v[118:119], -v[116:117]
	s_delay_alu instid0(VALU_DEP_2) | instskip(NEXT) | instid1(VALU_DEP_2)
	v_add_f64_e64 v[122:123], v[124:125], -v[122:123]
	v_add_f64_e64 v[114:115], v[114:115], -v[116:117]
	s_delay_alu instid0(TRANS32_DEP_1) | instskip(NEXT) | instid1(VALU_DEP_3)
	v_fma_f64 v[126:127], -v[118:119], v[120:121], 1.0
	v_add_f64_e64 v[79:80], v[79:80], -v[122:123]
	s_delay_alu instid0(VALU_DEP_2) | instskip(NEXT) | instid1(VALU_DEP_1)
	v_fma_f64 v[120:121], v[126:127], v[120:121], v[120:121]
	v_fma_f64 v[81:82], -v[118:119], v[120:121], 1.0
	s_delay_alu instid0(VALU_DEP_1) | instskip(NEXT) | instid1(VALU_DEP_1)
	v_fma_f64 v[81:82], v[81:82], v[120:121], v[120:121]
	v_mul_f64_e32 v[120:121], v[124:125], v[81:82]
	s_delay_alu instid0(VALU_DEP_1) | instskip(NEXT) | instid1(VALU_DEP_1)
	v_mul_f64_e32 v[126:127], v[118:119], v[120:121]
	v_fma_f64 v[116:117], v[120:121], v[118:119], -v[126:127]
	s_delay_alu instid0(VALU_DEP_1) | instskip(NEXT) | instid1(VALU_DEP_1)
	v_fma_f64 v[116:117], v[120:121], v[114:115], v[116:117]
	v_add_f64_e32 v[128:129], v[126:127], v[116:117]
	s_delay_alu instid0(VALU_DEP_1) | instskip(SKIP_1) | instid1(VALU_DEP_2)
	v_add_f64_e64 v[130:131], v[124:125], -v[128:129]
	v_add_f64_e64 v[122:123], v[128:129], -v[126:127]
	v_add_f64_e64 v[124:125], v[124:125], -v[130:131]
	s_delay_alu instid0(VALU_DEP_2) | instskip(NEXT) | instid1(VALU_DEP_2)
	v_add_f64_e64 v[116:117], v[122:123], -v[116:117]
	v_add_f64_e64 v[124:125], v[124:125], -v[128:129]
	s_delay_alu instid0(VALU_DEP_1) | instskip(NEXT) | instid1(VALU_DEP_1)
	v_add_f64_e32 v[79:80], v[79:80], v[124:125]
	v_add_f64_e32 v[79:80], v[116:117], v[79:80]
	s_delay_alu instid0(VALU_DEP_1) | instskip(NEXT) | instid1(VALU_DEP_1)
	v_add_f64_e32 v[116:117], v[130:131], v[79:80]
	v_mul_f64_e32 v[122:123], v[81:82], v[116:117]
	v_add_f64_e64 v[128:129], v[130:131], -v[116:117]
	s_delay_alu instid0(VALU_DEP_2) | instskip(NEXT) | instid1(VALU_DEP_2)
	v_mul_f64_e32 v[124:125], v[118:119], v[122:123]
	v_add_f64_e32 v[79:80], v[79:80], v[128:129]
	s_delay_alu instid0(VALU_DEP_2) | instskip(NEXT) | instid1(VALU_DEP_1)
	v_fma_f64 v[118:119], v[122:123], v[118:119], -v[124:125]
	v_fma_f64 v[114:115], v[122:123], v[114:115], v[118:119]
	s_delay_alu instid0(VALU_DEP_1) | instskip(NEXT) | instid1(VALU_DEP_1)
	v_add_f64_e32 v[118:119], v[124:125], v[114:115]
	v_add_f64_e64 v[126:127], v[116:117], -v[118:119]
	v_add_f64_e64 v[124:125], v[118:119], -v[124:125]
	s_delay_alu instid0(VALU_DEP_2) | instskip(NEXT) | instid1(VALU_DEP_2)
	v_add_f64_e64 v[116:117], v[116:117], -v[126:127]
	v_add_f64_e64 v[114:115], v[124:125], -v[114:115]
	s_delay_alu instid0(VALU_DEP_2) | instskip(NEXT) | instid1(VALU_DEP_1)
	v_add_f64_e64 v[116:117], v[116:117], -v[118:119]
	v_add_f64_e32 v[79:80], v[79:80], v[116:117]
	v_add_f64_e32 v[116:117], v[120:121], v[122:123]
	s_delay_alu instid0(VALU_DEP_2) | instskip(NEXT) | instid1(VALU_DEP_2)
	v_add_f64_e32 v[79:80], v[114:115], v[79:80]
	v_add_f64_e64 v[114:115], v[116:117], -v[120:121]
	s_delay_alu instid0(VALU_DEP_2) | instskip(NEXT) | instid1(VALU_DEP_2)
	v_add_f64_e32 v[79:80], v[126:127], v[79:80]
	v_add_f64_e64 v[114:115], v[122:123], -v[114:115]
	s_delay_alu instid0(VALU_DEP_2) | instskip(NEXT) | instid1(VALU_DEP_1)
	v_mul_f64_e32 v[79:80], v[81:82], v[79:80]
	v_add_f64_e32 v[79:80], v[114:115], v[79:80]
	s_delay_alu instid0(VALU_DEP_1) | instskip(NEXT) | instid1(VALU_DEP_1)
	v_add_f64_e32 v[81:82], v[116:117], v[79:80]
	v_mul_f64_e32 v[114:115], v[81:82], v[81:82]
	s_delay_alu instid0(VALU_DEP_1) | instskip(SKIP_1) | instid1(VALU_DEP_2)
	v_fma_f64 v[118:119], v[114:115], s[66:67], s[64:65]
	v_mul_f64_e32 v[120:121], v[81:82], v[114:115]
	v_fma_f64 v[118:119], v[114:115], v[118:119], s[72:73]
	s_delay_alu instid0(VALU_DEP_1) | instskip(NEXT) | instid1(VALU_DEP_1)
	v_fma_f64 v[118:119], v[114:115], v[118:119], s[74:75]
	v_fma_f64 v[118:119], v[114:115], v[118:119], s[76:77]
	s_delay_alu instid0(VALU_DEP_1) | instskip(NEXT) | instid1(VALU_DEP_1)
	v_fma_f64 v[118:119], v[114:115], v[118:119], s[78:79]
	v_fma_f64 v[114:115], v[114:115], v[118:119], s[80:81]
	v_ldexp_f64 v[118:119], v[81:82], 1
	v_add_f64_e64 v[81:82], v[81:82], -v[116:117]
	s_delay_alu instid0(VALU_DEP_3) | instskip(SKIP_1) | instid1(VALU_DEP_3)
	v_mul_f64_e32 v[114:115], v[120:121], v[114:115]
	v_cvt_f64_i32_e32 v[120:121], v132
	v_add_f64_e64 v[79:80], v[79:80], -v[81:82]
	s_delay_alu instid0(VALU_DEP_3) | instskip(NEXT) | instid1(VALU_DEP_3)
	v_add_f64_e32 v[116:117], v[118:119], v[114:115]
	v_mul_f64_e32 v[122:123], s[18:19], v[120:121]
	s_delay_alu instid0(VALU_DEP_3) | instskip(NEXT) | instid1(VALU_DEP_3)
	v_ldexp_f64 v[79:80], v[79:80], 1
	v_add_f64_e64 v[81:82], v[116:117], -v[118:119]
	s_delay_alu instid0(VALU_DEP_3) | instskip(SKIP_1) | instid1(VALU_DEP_3)
	v_fma_f64 v[118:119], v[120:121], s[18:19], -v[122:123]
	v_cmp_ngt_f64_e64 s18, -1.0, v[77:78]
	v_add_f64_e64 v[81:82], v[114:115], -v[81:82]
	s_delay_alu instid0(VALU_DEP_3) | instskip(NEXT) | instid1(VALU_DEP_2)
	v_fma_f64 v[114:115], v[120:121], s[82:83], v[118:119]
	v_add_f64_e32 v[79:80], v[79:80], v[81:82]
	s_delay_alu instid0(VALU_DEP_2) | instskip(NEXT) | instid1(VALU_DEP_2)
	v_add_f64_e32 v[81:82], v[122:123], v[114:115]
	v_add_f64_e32 v[118:119], v[116:117], v[79:80]
	s_delay_alu instid0(VALU_DEP_2) | instskip(NEXT) | instid1(VALU_DEP_2)
	v_add_f64_e64 v[122:123], v[81:82], -v[122:123]
	v_add_f64_e32 v[120:121], v[81:82], v[118:119]
	v_add_f64_e64 v[116:117], v[118:119], -v[116:117]
	s_delay_alu instid0(VALU_DEP_3) | instskip(NEXT) | instid1(VALU_DEP_3)
	v_add_f64_e64 v[114:115], v[114:115], -v[122:123]
	v_add_f64_e64 v[124:125], v[120:121], -v[81:82]
	s_delay_alu instid0(VALU_DEP_3) | instskip(NEXT) | instid1(VALU_DEP_2)
	v_add_f64_e64 v[79:80], v[79:80], -v[116:117]
	v_add_f64_e64 v[126:127], v[120:121], -v[124:125]
	v_add_f64_e64 v[116:117], v[118:119], -v[124:125]
	s_delay_alu instid0(VALU_DEP_3) | instskip(NEXT) | instid1(VALU_DEP_3)
	v_add_f64_e32 v[118:119], v[114:115], v[79:80]
	v_add_f64_e64 v[81:82], v[81:82], -v[126:127]
	s_delay_alu instid0(VALU_DEP_1) | instskip(NEXT) | instid1(VALU_DEP_3)
	v_add_f64_e32 v[81:82], v[116:117], v[81:82]
	v_add_f64_e64 v[116:117], v[118:119], -v[114:115]
	s_delay_alu instid0(VALU_DEP_2) | instskip(NEXT) | instid1(VALU_DEP_2)
	v_add_f64_e32 v[81:82], v[118:119], v[81:82]
	v_add_f64_e64 v[118:119], v[118:119], -v[116:117]
	v_add_f64_e64 v[79:80], v[79:80], -v[116:117]
	s_delay_alu instid0(VALU_DEP_3) | instskip(NEXT) | instid1(VALU_DEP_3)
	v_add_f64_e32 v[122:123], v[120:121], v[81:82]
	v_add_f64_e64 v[114:115], v[114:115], -v[118:119]
	s_delay_alu instid0(VALU_DEP_2) | instskip(NEXT) | instid1(VALU_DEP_2)
	v_add_f64_e64 v[116:117], v[122:123], -v[120:121]
	v_add_f64_e32 v[79:80], v[79:80], v[114:115]
	s_delay_alu instid0(VALU_DEP_2) | instskip(NEXT) | instid1(VALU_DEP_1)
	v_add_f64_e64 v[81:82], v[81:82], -v[116:117]
	v_add_f64_e32 v[79:80], v[79:80], v[81:82]
	s_delay_alu instid0(VALU_DEP_1) | instskip(SKIP_1) | instid1(VALU_DEP_1)
	v_add_f64_e32 v[79:80], v[122:123], v[79:80]
	s_wait_alu 0xfffe
	v_cndmask_b32_e32 v79, 0, v79, vcc_lo
	v_cmp_neq_f64_e32 vcc_lo, -1.0, v[77:78]
	s_delay_alu instid0(VALU_DEP_3) | instskip(SKIP_1) | instid1(VALU_DEP_1)
	v_cndmask_b32_e64 v80, 0x7ff00000, v80, s17
	s_wait_alu 0xf1ff
	v_cndmask_b32_e64 v80, 0x7ff80000, v80, s18
	s_wait_alu 0xfffd
	s_delay_alu instid0(VALU_DEP_1) | instskip(NEXT) | instid1(VALU_DEP_1)
	v_cndmask_b32_e32 v80, 0xfff00000, v80, vcc_lo
	v_add_f64_e32 v[79:80], v[7:8], v[79:80]
.LBB6_141:                              ;   in Loop: Header=BB6_121 Depth=1
	s_or_b32 exec_lo, exec_lo, s86
	s_delay_alu instid0(VALU_DEP_1)
	v_dual_mov_b32 v7, v79 :: v_dual_mov_b32 v8, v80
	v_dual_mov_b32 v77, v79 :: v_dual_mov_b32 v78, v80
.LBB6_142:                              ;   in Loop: Header=BB6_121 Depth=1
	s_or_b32 exec_lo, exec_lo, s85
	s_wait_dscnt 0x1
	ds_bpermute_b32 v79, v112, v7
	s_wait_dscnt 0x1
	ds_bpermute_b32 v80, v112, v8
	s_mov_b32 s85, exec_lo
	v_cmpx_le_u32_e64 v113, v10
	s_cbranch_execz .LBB6_146
; %bb.143:                              ;   in Loop: Header=BB6_121 Depth=1
	s_wait_dscnt 0x0
	v_max_num_f64_e32 v[7:8], v[79:80], v[79:80]
	v_max_num_f64_e32 v[81:82], v[77:78], v[77:78]
	v_cmp_u_f64_e32 vcc_lo, v[79:80], v[79:80]
	v_cmp_u_f64_e64 s17, v[77:78], v[77:78]
	s_delay_alu instid0(VALU_DEP_3) | instskip(SKIP_2) | instid1(VALU_DEP_2)
	v_min_num_f64_e32 v[114:115], v[7:8], v[81:82]
	v_max_num_f64_e32 v[7:8], v[7:8], v[81:82]
	s_wait_alu 0xfffd
	v_dual_cndmask_b32 v10, v115, v80 :: v_dual_cndmask_b32 v81, v114, v79
	s_delay_alu instid0(VALU_DEP_2) | instskip(SKIP_1) | instid1(VALU_DEP_2)
	v_dual_cndmask_b32 v8, v8, v80 :: v_dual_cndmask_b32 v7, v7, v79
	s_wait_alu 0xf1ff
	v_cndmask_b32_e64 v82, v10, v78, s17
	s_delay_alu instid0(VALU_DEP_3) | instskip(NEXT) | instid1(VALU_DEP_3)
	v_cndmask_b32_e64 v81, v81, v77, s17
	v_cndmask_b32_e64 v8, v8, v78, s17
	;; [unrolled: 1-line block ×3, first 2 shown]
	s_delay_alu instid0(VALU_DEP_3) | instskip(NEXT) | instid1(VALU_DEP_2)
	v_cmp_class_f64_e64 s17, v[81:82], 0x1f8
	v_cmp_neq_f64_e32 vcc_lo, v[81:82], v[7:8]
	s_or_b32 s17, vcc_lo, s17
	s_wait_alu 0xfffe
	s_and_saveexec_b32 s86, s17
	s_cbranch_execz .LBB6_145
; %bb.144:                              ;   in Loop: Header=BB6_121 Depth=1
	v_add_f64_e64 v[77:78], v[81:82], -v[7:8]
	s_mov_b32 s81, s63
	s_mov_b32 s18, s38
	;; [unrolled: 1-line block ×3, first 2 shown]
	s_delay_alu instid0(VALU_DEP_1) | instskip(SKIP_2) | instid1(VALU_DEP_3)
	v_mul_f64_e32 v[79:80], s[36:37], v[77:78]
	v_cmp_nlt_f64_e32 vcc_lo, 0x40900000, v[77:78]
	v_cmp_ngt_f64_e64 s17, 0xc090cc00, v[77:78]
	v_rndne_f64_e32 v[79:80], v[79:80]
	s_delay_alu instid0(VALU_DEP_1) | instskip(SKIP_1) | instid1(VALU_DEP_2)
	v_fma_f64 v[81:82], v[79:80], s[38:39], v[77:78]
	v_cvt_i32_f64_e32 v10, v[79:80]
	v_fma_f64 v[81:82], v[79:80], s[40:41], v[81:82]
	s_delay_alu instid0(VALU_DEP_1) | instskip(NEXT) | instid1(VALU_DEP_1)
	v_fma_f64 v[114:115], v[81:82], s[44:45], s[42:43]
	v_fma_f64 v[114:115], v[81:82], v[114:115], s[46:47]
	s_delay_alu instid0(VALU_DEP_1) | instskip(NEXT) | instid1(VALU_DEP_1)
	v_fma_f64 v[114:115], v[81:82], v[114:115], s[48:49]
	;; [unrolled: 3-line block ×5, first 2 shown]
	v_fma_f64 v[114:115], v[81:82], v[114:115], 1.0
	s_delay_alu instid0(VALU_DEP_1) | instskip(NEXT) | instid1(VALU_DEP_1)
	v_fma_f64 v[79:80], v[81:82], v[114:115], 1.0
	v_ldexp_f64 v[79:80], v[79:80], v10
	s_wait_alu 0xfffd
	s_delay_alu instid0(VALU_DEP_1) | instskip(SKIP_2) | instid1(VALU_DEP_2)
	v_cndmask_b32_e32 v10, 0x7ff00000, v80, vcc_lo
	s_and_b32 vcc_lo, s17, vcc_lo
	s_wait_alu 0xfffe
	v_cndmask_b32_e32 v77, 0, v79, vcc_lo
	s_delay_alu instid0(VALU_DEP_2) | instskip(NEXT) | instid1(VALU_DEP_1)
	v_cndmask_b32_e64 v78, 0, v10, s17
	v_add_f64_e32 v[79:80], 1.0, v[77:78]
	v_cmp_neq_f64_e64 s17, 0x7ff00000, v[77:78]
	s_delay_alu instid0(VALU_DEP_2) | instskip(SKIP_2) | instid1(VALU_DEP_3)
	v_frexp_mant_f64_e32 v[81:82], v[79:80]
	v_frexp_exp_i32_f64_e32 v10, v[79:80]
	v_add_f64_e32 v[114:115], -1.0, v[79:80]
	v_cmp_gt_f64_e32 vcc_lo, s[62:63], v[81:82]
	s_delay_alu instid0(VALU_DEP_2) | instskip(SKIP_3) | instid1(VALU_DEP_3)
	v_add_f64_e64 v[81:82], v[114:115], -v[79:80]
	v_add_f64_e64 v[114:115], v[77:78], -v[114:115]
	s_wait_alu 0xfffd
	v_subrev_co_ci_u32_e64 v10, null, 0, v10, vcc_lo
	v_add_f64_e32 v[81:82], 1.0, v[81:82]
	v_cmp_nge_f64_e32 vcc_lo, -1.0, v[77:78]
	s_delay_alu instid0(VALU_DEP_3) | instskip(NEXT) | instid1(VALU_DEP_1)
	v_sub_nc_u32_e32 v118, 0, v10
	v_ldexp_f64 v[79:80], v[79:80], v118
	s_delay_alu instid0(VALU_DEP_4) | instskip(SKIP_1) | instid1(VALU_DEP_2)
	v_add_f64_e32 v[81:82], v[114:115], v[81:82]
	s_and_b32 vcc_lo, vcc_lo, s17
	v_add_f64_e32 v[116:117], 1.0, v[79:80]
	v_add_f64_e32 v[122:123], -1.0, v[79:80]
	s_delay_alu instid0(VALU_DEP_3) | instskip(NEXT) | instid1(VALU_DEP_3)
	v_ldexp_f64 v[81:82], v[81:82], v118
	v_add_f64_e32 v[114:115], -1.0, v[116:117]
	s_delay_alu instid0(VALU_DEP_3) | instskip(NEXT) | instid1(VALU_DEP_2)
	v_add_f64_e32 v[124:125], 1.0, v[122:123]
	v_add_f64_e64 v[114:115], v[79:80], -v[114:115]
	s_delay_alu instid0(VALU_DEP_2) | instskip(NEXT) | instid1(VALU_DEP_2)
	v_add_f64_e64 v[79:80], v[79:80], -v[124:125]
	v_add_f64_e32 v[114:115], v[81:82], v[114:115]
	s_delay_alu instid0(VALU_DEP_2) | instskip(NEXT) | instid1(VALU_DEP_2)
	v_add_f64_e32 v[79:80], v[81:82], v[79:80]
	v_add_f64_e32 v[118:119], v[116:117], v[114:115]
	s_delay_alu instid0(VALU_DEP_2) | instskip(NEXT) | instid1(VALU_DEP_2)
	v_add_f64_e32 v[124:125], v[122:123], v[79:80]
	v_rcp_f64_e32 v[120:121], v[118:119]
	v_add_f64_e64 v[116:117], v[118:119], -v[116:117]
	s_delay_alu instid0(VALU_DEP_2) | instskip(NEXT) | instid1(VALU_DEP_2)
	v_add_f64_e64 v[122:123], v[124:125], -v[122:123]
	v_add_f64_e64 v[114:115], v[114:115], -v[116:117]
	s_delay_alu instid0(TRANS32_DEP_1) | instskip(NEXT) | instid1(VALU_DEP_3)
	v_fma_f64 v[126:127], -v[118:119], v[120:121], 1.0
	v_add_f64_e64 v[79:80], v[79:80], -v[122:123]
	s_delay_alu instid0(VALU_DEP_2) | instskip(NEXT) | instid1(VALU_DEP_1)
	v_fma_f64 v[120:121], v[126:127], v[120:121], v[120:121]
	v_fma_f64 v[81:82], -v[118:119], v[120:121], 1.0
	s_delay_alu instid0(VALU_DEP_1) | instskip(NEXT) | instid1(VALU_DEP_1)
	v_fma_f64 v[81:82], v[81:82], v[120:121], v[120:121]
	v_mul_f64_e32 v[120:121], v[124:125], v[81:82]
	s_delay_alu instid0(VALU_DEP_1) | instskip(NEXT) | instid1(VALU_DEP_1)
	v_mul_f64_e32 v[126:127], v[118:119], v[120:121]
	v_fma_f64 v[116:117], v[120:121], v[118:119], -v[126:127]
	s_delay_alu instid0(VALU_DEP_1) | instskip(NEXT) | instid1(VALU_DEP_1)
	v_fma_f64 v[116:117], v[120:121], v[114:115], v[116:117]
	v_add_f64_e32 v[128:129], v[126:127], v[116:117]
	s_delay_alu instid0(VALU_DEP_1) | instskip(SKIP_1) | instid1(VALU_DEP_2)
	v_add_f64_e64 v[130:131], v[124:125], -v[128:129]
	v_add_f64_e64 v[122:123], v[128:129], -v[126:127]
	;; [unrolled: 1-line block ×3, first 2 shown]
	s_delay_alu instid0(VALU_DEP_2) | instskip(NEXT) | instid1(VALU_DEP_2)
	v_add_f64_e64 v[116:117], v[122:123], -v[116:117]
	v_add_f64_e64 v[124:125], v[124:125], -v[128:129]
	s_delay_alu instid0(VALU_DEP_1) | instskip(NEXT) | instid1(VALU_DEP_1)
	v_add_f64_e32 v[79:80], v[79:80], v[124:125]
	v_add_f64_e32 v[79:80], v[116:117], v[79:80]
	s_delay_alu instid0(VALU_DEP_1) | instskip(NEXT) | instid1(VALU_DEP_1)
	v_add_f64_e32 v[116:117], v[130:131], v[79:80]
	v_mul_f64_e32 v[122:123], v[81:82], v[116:117]
	v_add_f64_e64 v[128:129], v[130:131], -v[116:117]
	s_delay_alu instid0(VALU_DEP_2) | instskip(NEXT) | instid1(VALU_DEP_2)
	v_mul_f64_e32 v[124:125], v[118:119], v[122:123]
	v_add_f64_e32 v[79:80], v[79:80], v[128:129]
	s_delay_alu instid0(VALU_DEP_2) | instskip(NEXT) | instid1(VALU_DEP_1)
	v_fma_f64 v[118:119], v[122:123], v[118:119], -v[124:125]
	v_fma_f64 v[114:115], v[122:123], v[114:115], v[118:119]
	s_delay_alu instid0(VALU_DEP_1) | instskip(NEXT) | instid1(VALU_DEP_1)
	v_add_f64_e32 v[118:119], v[124:125], v[114:115]
	v_add_f64_e64 v[126:127], v[116:117], -v[118:119]
	v_add_f64_e64 v[124:125], v[118:119], -v[124:125]
	s_delay_alu instid0(VALU_DEP_2) | instskip(NEXT) | instid1(VALU_DEP_2)
	v_add_f64_e64 v[116:117], v[116:117], -v[126:127]
	v_add_f64_e64 v[114:115], v[124:125], -v[114:115]
	s_delay_alu instid0(VALU_DEP_2) | instskip(NEXT) | instid1(VALU_DEP_1)
	v_add_f64_e64 v[116:117], v[116:117], -v[118:119]
	v_add_f64_e32 v[79:80], v[79:80], v[116:117]
	v_add_f64_e32 v[116:117], v[120:121], v[122:123]
	s_delay_alu instid0(VALU_DEP_2) | instskip(NEXT) | instid1(VALU_DEP_2)
	v_add_f64_e32 v[79:80], v[114:115], v[79:80]
	v_add_f64_e64 v[114:115], v[116:117], -v[120:121]
	s_delay_alu instid0(VALU_DEP_2) | instskip(NEXT) | instid1(VALU_DEP_2)
	v_add_f64_e32 v[79:80], v[126:127], v[79:80]
	v_add_f64_e64 v[114:115], v[122:123], -v[114:115]
	s_delay_alu instid0(VALU_DEP_2) | instskip(NEXT) | instid1(VALU_DEP_1)
	v_mul_f64_e32 v[79:80], v[81:82], v[79:80]
	v_add_f64_e32 v[79:80], v[114:115], v[79:80]
	s_delay_alu instid0(VALU_DEP_1) | instskip(NEXT) | instid1(VALU_DEP_1)
	v_add_f64_e32 v[81:82], v[116:117], v[79:80]
	v_mul_f64_e32 v[114:115], v[81:82], v[81:82]
	s_delay_alu instid0(VALU_DEP_1) | instskip(SKIP_1) | instid1(VALU_DEP_2)
	v_fma_f64 v[118:119], v[114:115], s[66:67], s[64:65]
	v_mul_f64_e32 v[120:121], v[81:82], v[114:115]
	v_fma_f64 v[118:119], v[114:115], v[118:119], s[72:73]
	s_delay_alu instid0(VALU_DEP_1) | instskip(NEXT) | instid1(VALU_DEP_1)
	v_fma_f64 v[118:119], v[114:115], v[118:119], s[74:75]
	v_fma_f64 v[118:119], v[114:115], v[118:119], s[76:77]
	s_delay_alu instid0(VALU_DEP_1) | instskip(NEXT) | instid1(VALU_DEP_1)
	v_fma_f64 v[118:119], v[114:115], v[118:119], s[78:79]
	v_fma_f64 v[114:115], v[114:115], v[118:119], s[80:81]
	v_ldexp_f64 v[118:119], v[81:82], 1
	v_add_f64_e64 v[81:82], v[81:82], -v[116:117]
	s_delay_alu instid0(VALU_DEP_3) | instskip(SKIP_1) | instid1(VALU_DEP_3)
	v_mul_f64_e32 v[114:115], v[120:121], v[114:115]
	v_cvt_f64_i32_e32 v[120:121], v10
	v_add_f64_e64 v[79:80], v[79:80], -v[81:82]
	s_delay_alu instid0(VALU_DEP_3) | instskip(NEXT) | instid1(VALU_DEP_3)
	v_add_f64_e32 v[116:117], v[118:119], v[114:115]
	v_mul_f64_e32 v[122:123], s[18:19], v[120:121]
	s_delay_alu instid0(VALU_DEP_3) | instskip(NEXT) | instid1(VALU_DEP_3)
	v_ldexp_f64 v[79:80], v[79:80], 1
	v_add_f64_e64 v[81:82], v[116:117], -v[118:119]
	s_delay_alu instid0(VALU_DEP_3) | instskip(SKIP_1) | instid1(VALU_DEP_3)
	v_fma_f64 v[118:119], v[120:121], s[18:19], -v[122:123]
	v_cmp_ngt_f64_e64 s18, -1.0, v[77:78]
	v_add_f64_e64 v[81:82], v[114:115], -v[81:82]
	s_delay_alu instid0(VALU_DEP_3) | instskip(NEXT) | instid1(VALU_DEP_2)
	v_fma_f64 v[114:115], v[120:121], s[82:83], v[118:119]
	v_add_f64_e32 v[79:80], v[79:80], v[81:82]
	s_delay_alu instid0(VALU_DEP_2) | instskip(NEXT) | instid1(VALU_DEP_2)
	v_add_f64_e32 v[81:82], v[122:123], v[114:115]
	v_add_f64_e32 v[118:119], v[116:117], v[79:80]
	s_delay_alu instid0(VALU_DEP_2) | instskip(NEXT) | instid1(VALU_DEP_2)
	v_add_f64_e64 v[122:123], v[81:82], -v[122:123]
	v_add_f64_e32 v[120:121], v[81:82], v[118:119]
	v_add_f64_e64 v[116:117], v[118:119], -v[116:117]
	s_delay_alu instid0(VALU_DEP_3) | instskip(NEXT) | instid1(VALU_DEP_3)
	v_add_f64_e64 v[114:115], v[114:115], -v[122:123]
	v_add_f64_e64 v[124:125], v[120:121], -v[81:82]
	s_delay_alu instid0(VALU_DEP_3) | instskip(NEXT) | instid1(VALU_DEP_2)
	v_add_f64_e64 v[79:80], v[79:80], -v[116:117]
	v_add_f64_e64 v[126:127], v[120:121], -v[124:125]
	;; [unrolled: 1-line block ×3, first 2 shown]
	s_delay_alu instid0(VALU_DEP_3) | instskip(NEXT) | instid1(VALU_DEP_3)
	v_add_f64_e32 v[118:119], v[114:115], v[79:80]
	v_add_f64_e64 v[81:82], v[81:82], -v[126:127]
	s_delay_alu instid0(VALU_DEP_1) | instskip(NEXT) | instid1(VALU_DEP_3)
	v_add_f64_e32 v[81:82], v[116:117], v[81:82]
	v_add_f64_e64 v[116:117], v[118:119], -v[114:115]
	s_delay_alu instid0(VALU_DEP_2) | instskip(NEXT) | instid1(VALU_DEP_2)
	v_add_f64_e32 v[81:82], v[118:119], v[81:82]
	v_add_f64_e64 v[118:119], v[118:119], -v[116:117]
	v_add_f64_e64 v[79:80], v[79:80], -v[116:117]
	s_delay_alu instid0(VALU_DEP_3) | instskip(NEXT) | instid1(VALU_DEP_3)
	v_add_f64_e32 v[122:123], v[120:121], v[81:82]
	v_add_f64_e64 v[114:115], v[114:115], -v[118:119]
	s_delay_alu instid0(VALU_DEP_2) | instskip(NEXT) | instid1(VALU_DEP_2)
	v_add_f64_e64 v[116:117], v[122:123], -v[120:121]
	v_add_f64_e32 v[79:80], v[79:80], v[114:115]
	s_delay_alu instid0(VALU_DEP_2) | instskip(NEXT) | instid1(VALU_DEP_1)
	v_add_f64_e64 v[81:82], v[81:82], -v[116:117]
	v_add_f64_e32 v[79:80], v[79:80], v[81:82]
	s_delay_alu instid0(VALU_DEP_1) | instskip(SKIP_1) | instid1(VALU_DEP_1)
	v_add_f64_e32 v[79:80], v[122:123], v[79:80]
	s_wait_alu 0xfffe
	v_cndmask_b32_e32 v79, 0, v79, vcc_lo
	v_cmp_neq_f64_e32 vcc_lo, -1.0, v[77:78]
	s_delay_alu instid0(VALU_DEP_3) | instskip(SKIP_1) | instid1(VALU_DEP_1)
	v_cndmask_b32_e64 v10, 0x7ff00000, v80, s17
	s_wait_alu 0xf1ff
	v_cndmask_b32_e64 v10, 0x7ff80000, v10, s18
	s_wait_alu 0xfffd
	s_delay_alu instid0(VALU_DEP_1) | instskip(NEXT) | instid1(VALU_DEP_1)
	v_cndmask_b32_e32 v80, 0xfff00000, v10, vcc_lo
	v_add_f64_e32 v[79:80], v[7:8], v[79:80]
.LBB6_145:                              ;   in Loop: Header=BB6_121 Depth=1
	s_or_b32 exec_lo, exec_lo, s86
	s_delay_alu instid0(VALU_DEP_1)
	v_dual_mov_b32 v77, v79 :: v_dual_mov_b32 v78, v80
.LBB6_146:                              ;   in Loop: Header=BB6_121 Depth=1
	s_or_b32 exec_lo, exec_lo, s85
	v_max_num_f64_e32 v[7:8], v[75:76], v[75:76]
	s_wait_dscnt 0x0
	s_delay_alu instid0(VALU_DEP_2) | instskip(SKIP_2) | instid1(VALU_DEP_3)
	v_max_num_f64_e32 v[79:80], v[77:78], v[77:78]
	v_cmp_u_f64_e32 vcc_lo, v[77:78], v[77:78]
	v_cmp_u_f64_e64 s17, v[75:76], v[75:76]
	v_min_num_f64_e32 v[81:82], v[79:80], v[7:8]
	v_max_num_f64_e32 v[7:8], v[79:80], v[7:8]
	s_wait_alu 0xfffd
	s_delay_alu instid0(VALU_DEP_2) | instskip(NEXT) | instid1(VALU_DEP_2)
	v_dual_cndmask_b32 v10, v81, v77 :: v_dual_cndmask_b32 v79, v82, v78
	v_dual_cndmask_b32 v8, v8, v78 :: v_dual_cndmask_b32 v7, v7, v77
	s_wait_alu 0xf1ff
	s_delay_alu instid0(VALU_DEP_2) | instskip(NEXT) | instid1(VALU_DEP_3)
	v_cndmask_b32_e64 v80, v79, v76, s17
	v_cndmask_b32_e64 v79, v10, v75, s17
	s_delay_alu instid0(VALU_DEP_3) | instskip(SKIP_1) | instid1(VALU_DEP_3)
	v_cndmask_b32_e64 v8, v8, v76, s17
	v_cndmask_b32_e64 v7, v7, v75, s17
	v_cmp_class_f64_e64 s17, v[79:80], 0x1f8
	s_delay_alu instid0(VALU_DEP_2)
	v_cmp_neq_f64_e32 vcc_lo, v[79:80], v[7:8]
	s_or_b32 s17, vcc_lo, s17
	s_wait_alu 0xfffe
	s_and_saveexec_b32 s18, s17
	s_wait_alu 0xfffe
	s_xor_b32 s85, exec_lo, s18
	s_cbranch_execz .LBB6_119
; %bb.147:                              ;   in Loop: Header=BB6_121 Depth=1
	v_add_f64_e64 v[77:78], v[79:80], -v[7:8]
	s_mov_b32 s81, s63
	s_mov_b32 s18, s38
	;; [unrolled: 1-line block ×3, first 2 shown]
	s_delay_alu instid0(VALU_DEP_1) | instskip(SKIP_2) | instid1(VALU_DEP_3)
	v_mul_f64_e32 v[79:80], s[36:37], v[77:78]
	v_cmp_nlt_f64_e32 vcc_lo, 0x40900000, v[77:78]
	v_cmp_ngt_f64_e64 s17, 0xc090cc00, v[77:78]
	v_rndne_f64_e32 v[79:80], v[79:80]
	s_delay_alu instid0(VALU_DEP_1) | instskip(SKIP_1) | instid1(VALU_DEP_2)
	v_fma_f64 v[81:82], v[79:80], s[38:39], v[77:78]
	v_cvt_i32_f64_e32 v10, v[79:80]
	v_fma_f64 v[81:82], v[79:80], s[40:41], v[81:82]
	s_delay_alu instid0(VALU_DEP_1) | instskip(NEXT) | instid1(VALU_DEP_1)
	v_fma_f64 v[114:115], v[81:82], s[44:45], s[42:43]
	v_fma_f64 v[114:115], v[81:82], v[114:115], s[46:47]
	s_delay_alu instid0(VALU_DEP_1) | instskip(NEXT) | instid1(VALU_DEP_1)
	v_fma_f64 v[114:115], v[81:82], v[114:115], s[48:49]
	;; [unrolled: 3-line block ×5, first 2 shown]
	v_fma_f64 v[114:115], v[81:82], v[114:115], 1.0
	s_delay_alu instid0(VALU_DEP_1) | instskip(NEXT) | instid1(VALU_DEP_1)
	v_fma_f64 v[79:80], v[81:82], v[114:115], 1.0
	v_ldexp_f64 v[79:80], v[79:80], v10
	s_wait_alu 0xfffd
	s_delay_alu instid0(VALU_DEP_1) | instskip(SKIP_2) | instid1(VALU_DEP_2)
	v_cndmask_b32_e32 v10, 0x7ff00000, v80, vcc_lo
	s_and_b32 vcc_lo, s17, vcc_lo
	s_wait_alu 0xfffe
	v_cndmask_b32_e32 v77, 0, v79, vcc_lo
	s_delay_alu instid0(VALU_DEP_2) | instskip(NEXT) | instid1(VALU_DEP_1)
	v_cndmask_b32_e64 v78, 0, v10, s17
	v_add_f64_e32 v[79:80], 1.0, v[77:78]
	v_cmp_neq_f64_e64 s17, 0x7ff00000, v[77:78]
	s_delay_alu instid0(VALU_DEP_2) | instskip(SKIP_2) | instid1(VALU_DEP_3)
	v_frexp_mant_f64_e32 v[81:82], v[79:80]
	v_frexp_exp_i32_f64_e32 v10, v[79:80]
	v_add_f64_e32 v[114:115], -1.0, v[79:80]
	v_cmp_gt_f64_e32 vcc_lo, s[62:63], v[81:82]
	s_delay_alu instid0(VALU_DEP_2) | instskip(SKIP_3) | instid1(VALU_DEP_3)
	v_add_f64_e64 v[81:82], v[114:115], -v[79:80]
	v_add_f64_e64 v[114:115], v[77:78], -v[114:115]
	s_wait_alu 0xfffd
	v_subrev_co_ci_u32_e64 v10, null, 0, v10, vcc_lo
	v_add_f64_e32 v[81:82], 1.0, v[81:82]
	v_cmp_nge_f64_e32 vcc_lo, -1.0, v[77:78]
	s_delay_alu instid0(VALU_DEP_3) | instskip(NEXT) | instid1(VALU_DEP_1)
	v_sub_nc_u32_e32 v118, 0, v10
	v_ldexp_f64 v[79:80], v[79:80], v118
	s_delay_alu instid0(VALU_DEP_4) | instskip(SKIP_1) | instid1(VALU_DEP_2)
	v_add_f64_e32 v[81:82], v[114:115], v[81:82]
	s_and_b32 vcc_lo, vcc_lo, s17
	v_add_f64_e32 v[116:117], 1.0, v[79:80]
	v_add_f64_e32 v[122:123], -1.0, v[79:80]
	s_delay_alu instid0(VALU_DEP_3) | instskip(NEXT) | instid1(VALU_DEP_3)
	v_ldexp_f64 v[81:82], v[81:82], v118
	v_add_f64_e32 v[114:115], -1.0, v[116:117]
	s_delay_alu instid0(VALU_DEP_3) | instskip(NEXT) | instid1(VALU_DEP_2)
	v_add_f64_e32 v[124:125], 1.0, v[122:123]
	v_add_f64_e64 v[114:115], v[79:80], -v[114:115]
	s_delay_alu instid0(VALU_DEP_2) | instskip(NEXT) | instid1(VALU_DEP_2)
	v_add_f64_e64 v[79:80], v[79:80], -v[124:125]
	v_add_f64_e32 v[114:115], v[81:82], v[114:115]
	s_delay_alu instid0(VALU_DEP_2) | instskip(NEXT) | instid1(VALU_DEP_2)
	v_add_f64_e32 v[79:80], v[81:82], v[79:80]
	v_add_f64_e32 v[118:119], v[116:117], v[114:115]
	s_delay_alu instid0(VALU_DEP_2) | instskip(NEXT) | instid1(VALU_DEP_2)
	v_add_f64_e32 v[124:125], v[122:123], v[79:80]
	v_rcp_f64_e32 v[120:121], v[118:119]
	v_add_f64_e64 v[116:117], v[118:119], -v[116:117]
	s_delay_alu instid0(VALU_DEP_2) | instskip(NEXT) | instid1(VALU_DEP_2)
	v_add_f64_e64 v[122:123], v[124:125], -v[122:123]
	v_add_f64_e64 v[114:115], v[114:115], -v[116:117]
	s_delay_alu instid0(TRANS32_DEP_1) | instskip(NEXT) | instid1(VALU_DEP_3)
	v_fma_f64 v[126:127], -v[118:119], v[120:121], 1.0
	v_add_f64_e64 v[79:80], v[79:80], -v[122:123]
	s_delay_alu instid0(VALU_DEP_2) | instskip(NEXT) | instid1(VALU_DEP_1)
	v_fma_f64 v[120:121], v[126:127], v[120:121], v[120:121]
	v_fma_f64 v[81:82], -v[118:119], v[120:121], 1.0
	s_delay_alu instid0(VALU_DEP_1) | instskip(NEXT) | instid1(VALU_DEP_1)
	v_fma_f64 v[81:82], v[81:82], v[120:121], v[120:121]
	v_mul_f64_e32 v[120:121], v[124:125], v[81:82]
	s_delay_alu instid0(VALU_DEP_1) | instskip(NEXT) | instid1(VALU_DEP_1)
	v_mul_f64_e32 v[126:127], v[118:119], v[120:121]
	v_fma_f64 v[116:117], v[120:121], v[118:119], -v[126:127]
	s_delay_alu instid0(VALU_DEP_1) | instskip(NEXT) | instid1(VALU_DEP_1)
	v_fma_f64 v[116:117], v[120:121], v[114:115], v[116:117]
	v_add_f64_e32 v[128:129], v[126:127], v[116:117]
	s_delay_alu instid0(VALU_DEP_1) | instskip(SKIP_1) | instid1(VALU_DEP_2)
	v_add_f64_e64 v[130:131], v[124:125], -v[128:129]
	v_add_f64_e64 v[122:123], v[128:129], -v[126:127]
	;; [unrolled: 1-line block ×3, first 2 shown]
	s_delay_alu instid0(VALU_DEP_2) | instskip(NEXT) | instid1(VALU_DEP_2)
	v_add_f64_e64 v[116:117], v[122:123], -v[116:117]
	v_add_f64_e64 v[124:125], v[124:125], -v[128:129]
	s_delay_alu instid0(VALU_DEP_1) | instskip(NEXT) | instid1(VALU_DEP_1)
	v_add_f64_e32 v[79:80], v[79:80], v[124:125]
	v_add_f64_e32 v[79:80], v[116:117], v[79:80]
	s_delay_alu instid0(VALU_DEP_1) | instskip(NEXT) | instid1(VALU_DEP_1)
	v_add_f64_e32 v[116:117], v[130:131], v[79:80]
	v_mul_f64_e32 v[122:123], v[81:82], v[116:117]
	v_add_f64_e64 v[128:129], v[130:131], -v[116:117]
	s_delay_alu instid0(VALU_DEP_2) | instskip(NEXT) | instid1(VALU_DEP_2)
	v_mul_f64_e32 v[124:125], v[118:119], v[122:123]
	v_add_f64_e32 v[79:80], v[79:80], v[128:129]
	s_delay_alu instid0(VALU_DEP_2) | instskip(NEXT) | instid1(VALU_DEP_1)
	v_fma_f64 v[118:119], v[122:123], v[118:119], -v[124:125]
	v_fma_f64 v[114:115], v[122:123], v[114:115], v[118:119]
	s_delay_alu instid0(VALU_DEP_1) | instskip(NEXT) | instid1(VALU_DEP_1)
	v_add_f64_e32 v[118:119], v[124:125], v[114:115]
	v_add_f64_e64 v[126:127], v[116:117], -v[118:119]
	v_add_f64_e64 v[124:125], v[118:119], -v[124:125]
	s_delay_alu instid0(VALU_DEP_2) | instskip(NEXT) | instid1(VALU_DEP_2)
	v_add_f64_e64 v[116:117], v[116:117], -v[126:127]
	v_add_f64_e64 v[114:115], v[124:125], -v[114:115]
	s_delay_alu instid0(VALU_DEP_2) | instskip(NEXT) | instid1(VALU_DEP_1)
	v_add_f64_e64 v[116:117], v[116:117], -v[118:119]
	v_add_f64_e32 v[79:80], v[79:80], v[116:117]
	v_add_f64_e32 v[116:117], v[120:121], v[122:123]
	s_delay_alu instid0(VALU_DEP_2) | instskip(NEXT) | instid1(VALU_DEP_2)
	v_add_f64_e32 v[79:80], v[114:115], v[79:80]
	v_add_f64_e64 v[114:115], v[116:117], -v[120:121]
	s_delay_alu instid0(VALU_DEP_2) | instskip(NEXT) | instid1(VALU_DEP_2)
	v_add_f64_e32 v[79:80], v[126:127], v[79:80]
	v_add_f64_e64 v[114:115], v[122:123], -v[114:115]
	s_delay_alu instid0(VALU_DEP_2) | instskip(NEXT) | instid1(VALU_DEP_1)
	v_mul_f64_e32 v[79:80], v[81:82], v[79:80]
	v_add_f64_e32 v[79:80], v[114:115], v[79:80]
	s_delay_alu instid0(VALU_DEP_1) | instskip(NEXT) | instid1(VALU_DEP_1)
	v_add_f64_e32 v[81:82], v[116:117], v[79:80]
	v_mul_f64_e32 v[114:115], v[81:82], v[81:82]
	s_delay_alu instid0(VALU_DEP_1) | instskip(SKIP_1) | instid1(VALU_DEP_2)
	v_fma_f64 v[118:119], v[114:115], s[66:67], s[64:65]
	v_mul_f64_e32 v[120:121], v[81:82], v[114:115]
	v_fma_f64 v[118:119], v[114:115], v[118:119], s[72:73]
	s_delay_alu instid0(VALU_DEP_1) | instskip(NEXT) | instid1(VALU_DEP_1)
	v_fma_f64 v[118:119], v[114:115], v[118:119], s[74:75]
	v_fma_f64 v[118:119], v[114:115], v[118:119], s[76:77]
	s_delay_alu instid0(VALU_DEP_1) | instskip(NEXT) | instid1(VALU_DEP_1)
	v_fma_f64 v[118:119], v[114:115], v[118:119], s[78:79]
	v_fma_f64 v[114:115], v[114:115], v[118:119], s[80:81]
	v_ldexp_f64 v[118:119], v[81:82], 1
	v_add_f64_e64 v[81:82], v[81:82], -v[116:117]
	s_delay_alu instid0(VALU_DEP_3) | instskip(SKIP_1) | instid1(VALU_DEP_3)
	v_mul_f64_e32 v[114:115], v[120:121], v[114:115]
	v_cvt_f64_i32_e32 v[120:121], v10
	v_add_f64_e64 v[79:80], v[79:80], -v[81:82]
	s_delay_alu instid0(VALU_DEP_3) | instskip(NEXT) | instid1(VALU_DEP_3)
	v_add_f64_e32 v[116:117], v[118:119], v[114:115]
	v_mul_f64_e32 v[122:123], s[18:19], v[120:121]
	s_delay_alu instid0(VALU_DEP_3) | instskip(NEXT) | instid1(VALU_DEP_3)
	v_ldexp_f64 v[79:80], v[79:80], 1
	v_add_f64_e64 v[81:82], v[116:117], -v[118:119]
	s_delay_alu instid0(VALU_DEP_3) | instskip(SKIP_1) | instid1(VALU_DEP_3)
	v_fma_f64 v[118:119], v[120:121], s[18:19], -v[122:123]
	v_cmp_ngt_f64_e64 s18, -1.0, v[77:78]
	v_add_f64_e64 v[81:82], v[114:115], -v[81:82]
	s_delay_alu instid0(VALU_DEP_3) | instskip(NEXT) | instid1(VALU_DEP_2)
	v_fma_f64 v[114:115], v[120:121], s[82:83], v[118:119]
	v_add_f64_e32 v[79:80], v[79:80], v[81:82]
	s_delay_alu instid0(VALU_DEP_2) | instskip(NEXT) | instid1(VALU_DEP_2)
	v_add_f64_e32 v[81:82], v[122:123], v[114:115]
	v_add_f64_e32 v[118:119], v[116:117], v[79:80]
	s_delay_alu instid0(VALU_DEP_2) | instskip(NEXT) | instid1(VALU_DEP_2)
	v_add_f64_e64 v[122:123], v[81:82], -v[122:123]
	v_add_f64_e32 v[120:121], v[81:82], v[118:119]
	v_add_f64_e64 v[116:117], v[118:119], -v[116:117]
	s_delay_alu instid0(VALU_DEP_3) | instskip(NEXT) | instid1(VALU_DEP_3)
	v_add_f64_e64 v[114:115], v[114:115], -v[122:123]
	v_add_f64_e64 v[124:125], v[120:121], -v[81:82]
	s_delay_alu instid0(VALU_DEP_3) | instskip(NEXT) | instid1(VALU_DEP_2)
	v_add_f64_e64 v[79:80], v[79:80], -v[116:117]
	v_add_f64_e64 v[126:127], v[120:121], -v[124:125]
	;; [unrolled: 1-line block ×3, first 2 shown]
	s_delay_alu instid0(VALU_DEP_3) | instskip(NEXT) | instid1(VALU_DEP_3)
	v_add_f64_e32 v[118:119], v[114:115], v[79:80]
	v_add_f64_e64 v[81:82], v[81:82], -v[126:127]
	s_delay_alu instid0(VALU_DEP_1) | instskip(NEXT) | instid1(VALU_DEP_3)
	v_add_f64_e32 v[81:82], v[116:117], v[81:82]
	v_add_f64_e64 v[116:117], v[118:119], -v[114:115]
	s_delay_alu instid0(VALU_DEP_2) | instskip(NEXT) | instid1(VALU_DEP_2)
	v_add_f64_e32 v[81:82], v[118:119], v[81:82]
	v_add_f64_e64 v[118:119], v[118:119], -v[116:117]
	v_add_f64_e64 v[79:80], v[79:80], -v[116:117]
	s_delay_alu instid0(VALU_DEP_3) | instskip(NEXT) | instid1(VALU_DEP_3)
	v_add_f64_e32 v[122:123], v[120:121], v[81:82]
	v_add_f64_e64 v[114:115], v[114:115], -v[118:119]
	s_delay_alu instid0(VALU_DEP_2) | instskip(NEXT) | instid1(VALU_DEP_2)
	v_add_f64_e64 v[116:117], v[122:123], -v[120:121]
	v_add_f64_e32 v[79:80], v[79:80], v[114:115]
	s_delay_alu instid0(VALU_DEP_2) | instskip(NEXT) | instid1(VALU_DEP_1)
	v_add_f64_e64 v[81:82], v[81:82], -v[116:117]
	v_add_f64_e32 v[79:80], v[79:80], v[81:82]
	s_delay_alu instid0(VALU_DEP_1) | instskip(SKIP_1) | instid1(VALU_DEP_1)
	v_add_f64_e32 v[79:80], v[122:123], v[79:80]
	s_wait_alu 0xfffe
	v_cndmask_b32_e32 v79, 0, v79, vcc_lo
	v_cmp_neq_f64_e32 vcc_lo, -1.0, v[77:78]
	s_delay_alu instid0(VALU_DEP_3) | instskip(SKIP_1) | instid1(VALU_DEP_1)
	v_cndmask_b32_e64 v10, 0x7ff00000, v80, s17
	s_wait_alu 0xf1ff
	v_cndmask_b32_e64 v10, 0x7ff80000, v10, s18
	s_wait_alu 0xfffd
	s_delay_alu instid0(VALU_DEP_1) | instskip(NEXT) | instid1(VALU_DEP_1)
	v_cndmask_b32_e32 v80, 0xfff00000, v10, vcc_lo
	v_add_f64_e32 v[77:78], v[7:8], v[79:80]
	s_branch .LBB6_119
.LBB6_148:
                                        ; implicit-def: $vgpr5_vgpr6_vgpr7_vgpr8_vgpr9_vgpr10_vgpr11_vgpr12_vgpr13_vgpr14_vgpr15_vgpr16_vgpr17_vgpr18_vgpr19_vgpr20_vgpr21_vgpr22_vgpr23_vgpr24_vgpr25_vgpr26_vgpr27_vgpr28_vgpr29_vgpr30_vgpr31_vgpr32_vgpr33_vgpr34_vgpr35_vgpr36
	s_cbranch_execnz .LBB6_192
	s_branch .LBB6_303
.LBB6_149:
	s_and_saveexec_b32 s40, s16
	s_cbranch_execz .LBB6_153
; %bb.150:
	v_max_num_f64_e32 v[7:8], v[5:6], v[5:6]
	v_max_num_f64_e32 v[9:10], v[75:76], v[75:76]
	v_cmp_u_f64_e32 vcc_lo, v[75:76], v[75:76]
	v_cmp_u_f64_e64 s17, v[5:6], v[5:6]
	s_delay_alu instid0(VALU_DEP_3) | instskip(SKIP_2) | instid1(VALU_DEP_2)
	v_min_num_f64_e32 v[73:74], v[9:10], v[7:8]
	v_max_num_f64_e32 v[7:8], v[9:10], v[7:8]
	s_wait_alu 0xfffd
	v_dual_cndmask_b32 v9, v73, v75 :: v_dual_cndmask_b32 v10, v74, v76
	s_delay_alu instid0(VALU_DEP_2) | instskip(SKIP_1) | instid1(VALU_DEP_2)
	v_dual_cndmask_b32 v8, v8, v76 :: v_dual_cndmask_b32 v7, v7, v75
	s_wait_alu 0xf1ff
	v_cndmask_b32_e64 v9, v9, v5, s17
	s_delay_alu instid0(VALU_DEP_3) | instskip(NEXT) | instid1(VALU_DEP_3)
	v_cndmask_b32_e64 v10, v10, v6, s17
	v_cndmask_b32_e64 v8, v8, v6, s17
	;; [unrolled: 1-line block ×3, first 2 shown]
	v_dual_mov_b32 v5, v75 :: v_dual_mov_b32 v6, v76
	s_delay_alu instid0(VALU_DEP_4) | instskip(NEXT) | instid1(VALU_DEP_3)
	v_cmp_class_f64_e64 s17, v[9:10], 0x1f8
	v_cmp_neq_f64_e32 vcc_lo, v[9:10], v[7:8]
	s_or_b32 s17, vcc_lo, s17
	s_wait_alu 0xfffe
	s_and_saveexec_b32 s41, s17
	s_cbranch_execz .LBB6_152
; %bb.151:
	v_add_f64_e64 v[5:6], v[9:10], -v[7:8]
	s_mov_b32 s18, 0x652b82fe
	s_mov_b32 s19, 0x3ff71547
	;; [unrolled: 1-line block ×10, first 2 shown]
	s_wait_alu 0xfffe
	s_delay_alu instid0(VALU_DEP_1) | instskip(SKIP_4) | instid1(VALU_DEP_3)
	v_mul_f64_e32 v[9:10], s[18:19], v[5:6]
	s_mov_b32 s19, 0xbfe62e42
	s_mov_b32 s18, 0xfefa39ef
	v_cmp_nlt_f64_e32 vcc_lo, 0x40900000, v[5:6]
	v_cmp_ngt_f64_e64 s17, 0xc090cc00, v[5:6]
	v_rndne_f64_e32 v[9:10], v[9:10]
	s_wait_alu 0xfffe
	s_delay_alu instid0(VALU_DEP_1) | instskip(SKIP_2) | instid1(VALU_DEP_2)
	v_fma_f64 v[73:74], v[9:10], s[18:19], v[5:6]
	v_cvt_i32_f64_e32 v79, v[9:10]
	s_mov_b32 s19, 0x3fe62e42
	v_fma_f64 v[73:74], v[9:10], s[36:37], v[73:74]
	s_mov_b32 s37, 0x3c7abc9e
	s_delay_alu instid0(VALU_DEP_1)
	v_fma_f64 v[77:78], v[73:74], s[42:43], s[38:39]
	s_mov_b32 s38, 0x623fde64
	s_mov_b32 s39, 0x3ec71dee
	;; [unrolled: 1-line block ×4, first 2 shown]
	s_wait_alu 0xfffe
	s_delay_alu instid0(VALU_DEP_1) | instskip(SKIP_3) | instid1(VALU_DEP_1)
	v_fma_f64 v[77:78], v[73:74], v[77:78], s[38:39]
	s_mov_b32 s38, 0x7c89e6b0
	s_mov_b32 s39, 0x3efa0199
	s_wait_alu 0xfffe
	v_fma_f64 v[77:78], v[73:74], v[77:78], s[38:39]
	s_mov_b32 s38, 0x14761f6e
	s_mov_b32 s39, 0x3f2a01a0
	s_wait_alu 0xfffe
	s_delay_alu instid0(VALU_DEP_1) | instskip(SKIP_3) | instid1(VALU_DEP_1)
	v_fma_f64 v[77:78], v[73:74], v[77:78], s[38:39]
	s_mov_b32 s38, 0x1852b7b0
	s_mov_b32 s39, 0x3f56c16c
	s_wait_alu 0xfffe
	v_fma_f64 v[77:78], v[73:74], v[77:78], s[38:39]
	s_mov_b32 s38, 0x11122322
	s_mov_b32 s39, 0x3f811111
	;; [unrolled: 9-line block ×4, first 2 shown]
	s_delay_alu instid0(VALU_DEP_1) | instskip(NEXT) | instid1(VALU_DEP_1)
	v_fma_f64 v[77:78], v[73:74], v[77:78], 1.0
	v_fma_f64 v[9:10], v[73:74], v[77:78], 1.0
	s_delay_alu instid0(VALU_DEP_1) | instskip(SKIP_1) | instid1(VALU_DEP_1)
	v_ldexp_f64 v[9:10], v[9:10], v79
	s_wait_alu 0xfffd
	v_cndmask_b32_e32 v10, 0x7ff00000, v10, vcc_lo
	s_and_b32 vcc_lo, s17, vcc_lo
	s_wait_alu 0xfffe
	s_delay_alu instid0(VALU_DEP_2) | instskip(NEXT) | instid1(VALU_DEP_2)
	v_cndmask_b32_e32 v5, 0, v9, vcc_lo
	v_cndmask_b32_e64 v6, 0, v10, s17
	s_delay_alu instid0(VALU_DEP_1) | instskip(SKIP_1) | instid1(VALU_DEP_2)
	v_add_f64_e32 v[9:10], 1.0, v[5:6]
	v_cmp_neq_f64_e64 s17, 0x7ff00000, v[5:6]
	v_frexp_mant_f64_e32 v[73:74], v[9:10]
	v_frexp_exp_i32_f64_e32 v79, v[9:10]
	v_add_f64_e32 v[77:78], -1.0, v[9:10]
	s_delay_alu instid0(VALU_DEP_3) | instskip(SKIP_1) | instid1(VALU_DEP_2)
	v_cmp_gt_f64_e32 vcc_lo, s[38:39], v[73:74]
	s_mov_b32 s38, 0x55555780
	v_add_f64_e64 v[73:74], v[77:78], -v[9:10]
	v_add_f64_e64 v[77:78], v[5:6], -v[77:78]
	s_wait_alu 0xfffd
	v_subrev_co_ci_u32_e64 v101, null, 0, v79, vcc_lo
	s_delay_alu instid0(VALU_DEP_3) | instskip(SKIP_1) | instid1(VALU_DEP_3)
	v_add_f64_e32 v[73:74], 1.0, v[73:74]
	v_cmp_nge_f64_e32 vcc_lo, -1.0, v[5:6]
	v_sub_nc_u32_e32 v81, 0, v101
	s_delay_alu instid0(VALU_DEP_1) | instskip(NEXT) | instid1(VALU_DEP_4)
	v_ldexp_f64 v[9:10], v[9:10], v81
	v_add_f64_e32 v[73:74], v[77:78], v[73:74]
	s_and_b32 vcc_lo, vcc_lo, s17
	s_delay_alu instid0(VALU_DEP_2) | instskip(SKIP_1) | instid1(VALU_DEP_3)
	v_add_f64_e32 v[79:80], 1.0, v[9:10]
	v_add_f64_e32 v[106:107], -1.0, v[9:10]
	v_ldexp_f64 v[73:74], v[73:74], v81
	s_delay_alu instid0(VALU_DEP_3) | instskip(NEXT) | instid1(VALU_DEP_3)
	v_add_f64_e32 v[77:78], -1.0, v[79:80]
	v_add_f64_e32 v[108:109], 1.0, v[106:107]
	s_delay_alu instid0(VALU_DEP_2) | instskip(NEXT) | instid1(VALU_DEP_2)
	v_add_f64_e64 v[77:78], v[9:10], -v[77:78]
	v_add_f64_e64 v[9:10], v[9:10], -v[108:109]
	s_delay_alu instid0(VALU_DEP_2) | instskip(NEXT) | instid1(VALU_DEP_2)
	v_add_f64_e32 v[77:78], v[73:74], v[77:78]
	v_add_f64_e32 v[9:10], v[73:74], v[9:10]
	s_delay_alu instid0(VALU_DEP_2) | instskip(NEXT) | instid1(VALU_DEP_2)
	v_add_f64_e32 v[81:82], v[79:80], v[77:78]
	v_add_f64_e32 v[108:109], v[106:107], v[9:10]
	s_delay_alu instid0(VALU_DEP_2) | instskip(SKIP_1) | instid1(VALU_DEP_2)
	v_rcp_f64_e32 v[104:105], v[81:82]
	v_add_f64_e64 v[79:80], v[81:82], -v[79:80]
	v_add_f64_e64 v[106:107], v[108:109], -v[106:107]
	s_delay_alu instid0(VALU_DEP_2) | instskip(NEXT) | instid1(TRANS32_DEP_1)
	v_add_f64_e64 v[77:78], v[77:78], -v[79:80]
	v_fma_f64 v[110:111], -v[81:82], v[104:105], 1.0
	s_delay_alu instid0(VALU_DEP_3) | instskip(NEXT) | instid1(VALU_DEP_2)
	v_add_f64_e64 v[9:10], v[9:10], -v[106:107]
	v_fma_f64 v[104:105], v[110:111], v[104:105], v[104:105]
	s_delay_alu instid0(VALU_DEP_1) | instskip(NEXT) | instid1(VALU_DEP_1)
	v_fma_f64 v[73:74], -v[81:82], v[104:105], 1.0
	v_fma_f64 v[73:74], v[73:74], v[104:105], v[104:105]
	s_delay_alu instid0(VALU_DEP_1) | instskip(NEXT) | instid1(VALU_DEP_1)
	v_mul_f64_e32 v[104:105], v[108:109], v[73:74]
	v_mul_f64_e32 v[110:111], v[81:82], v[104:105]
	s_delay_alu instid0(VALU_DEP_1) | instskip(NEXT) | instid1(VALU_DEP_1)
	v_fma_f64 v[79:80], v[104:105], v[81:82], -v[110:111]
	v_fma_f64 v[79:80], v[104:105], v[77:78], v[79:80]
	s_delay_alu instid0(VALU_DEP_1) | instskip(NEXT) | instid1(VALU_DEP_1)
	v_add_f64_e32 v[112:113], v[110:111], v[79:80]
	v_add_f64_e64 v[114:115], v[108:109], -v[112:113]
	v_add_f64_e64 v[106:107], v[112:113], -v[110:111]
	s_delay_alu instid0(VALU_DEP_2) | instskip(NEXT) | instid1(VALU_DEP_2)
	v_add_f64_e64 v[108:109], v[108:109], -v[114:115]
	v_add_f64_e64 v[79:80], v[106:107], -v[79:80]
	s_delay_alu instid0(VALU_DEP_2) | instskip(NEXT) | instid1(VALU_DEP_1)
	v_add_f64_e64 v[108:109], v[108:109], -v[112:113]
	v_add_f64_e32 v[9:10], v[9:10], v[108:109]
	s_delay_alu instid0(VALU_DEP_1) | instskip(NEXT) | instid1(VALU_DEP_1)
	v_add_f64_e32 v[9:10], v[79:80], v[9:10]
	v_add_f64_e32 v[79:80], v[114:115], v[9:10]
	s_delay_alu instid0(VALU_DEP_1) | instskip(SKIP_1) | instid1(VALU_DEP_2)
	v_mul_f64_e32 v[106:107], v[73:74], v[79:80]
	v_add_f64_e64 v[112:113], v[114:115], -v[79:80]
	v_mul_f64_e32 v[108:109], v[81:82], v[106:107]
	s_delay_alu instid0(VALU_DEP_2) | instskip(NEXT) | instid1(VALU_DEP_2)
	v_add_f64_e32 v[9:10], v[9:10], v[112:113]
	v_fma_f64 v[81:82], v[106:107], v[81:82], -v[108:109]
	s_delay_alu instid0(VALU_DEP_1) | instskip(NEXT) | instid1(VALU_DEP_1)
	v_fma_f64 v[77:78], v[106:107], v[77:78], v[81:82]
	v_add_f64_e32 v[81:82], v[108:109], v[77:78]
	s_delay_alu instid0(VALU_DEP_1) | instskip(SKIP_1) | instid1(VALU_DEP_2)
	v_add_f64_e64 v[110:111], v[79:80], -v[81:82]
	v_add_f64_e64 v[108:109], v[81:82], -v[108:109]
	;; [unrolled: 1-line block ×3, first 2 shown]
	s_delay_alu instid0(VALU_DEP_2) | instskip(NEXT) | instid1(VALU_DEP_2)
	v_add_f64_e64 v[77:78], v[108:109], -v[77:78]
	v_add_f64_e64 v[79:80], v[79:80], -v[81:82]
	s_delay_alu instid0(VALU_DEP_1) | instskip(SKIP_1) | instid1(VALU_DEP_2)
	v_add_f64_e32 v[9:10], v[9:10], v[79:80]
	v_add_f64_e32 v[79:80], v[104:105], v[106:107]
	;; [unrolled: 1-line block ×3, first 2 shown]
	s_delay_alu instid0(VALU_DEP_2) | instskip(NEXT) | instid1(VALU_DEP_2)
	v_add_f64_e64 v[77:78], v[79:80], -v[104:105]
	v_add_f64_e32 v[9:10], v[110:111], v[9:10]
	s_delay_alu instid0(VALU_DEP_2) | instskip(NEXT) | instid1(VALU_DEP_2)
	v_add_f64_e64 v[77:78], v[106:107], -v[77:78]
	v_mul_f64_e32 v[9:10], v[73:74], v[9:10]
	s_delay_alu instid0(VALU_DEP_1) | instskip(NEXT) | instid1(VALU_DEP_1)
	v_add_f64_e32 v[9:10], v[77:78], v[9:10]
	v_add_f64_e32 v[73:74], v[79:80], v[9:10]
	s_delay_alu instid0(VALU_DEP_1) | instskip(NEXT) | instid1(VALU_DEP_1)
	v_mul_f64_e32 v[77:78], v[73:74], v[73:74]
	v_fma_f64 v[81:82], v[77:78], s[44:45], s[42:43]
	s_mov_b32 s42, 0xd7f4df2e
	s_mov_b32 s43, 0x3fc7474d
	v_mul_f64_e32 v[104:105], v[73:74], v[77:78]
	s_wait_alu 0xfffe
	s_delay_alu instid0(VALU_DEP_2) | instskip(SKIP_3) | instid1(VALU_DEP_1)
	v_fma_f64 v[81:82], v[77:78], v[81:82], s[42:43]
	s_mov_b32 s42, 0x16291751
	s_mov_b32 s43, 0x3fcc71c0
	s_wait_alu 0xfffe
	v_fma_f64 v[81:82], v[77:78], v[81:82], s[42:43]
	s_mov_b32 s42, 0x9b27acf1
	s_mov_b32 s43, 0x3fd24924
	s_wait_alu 0xfffe
	s_delay_alu instid0(VALU_DEP_1) | instskip(SKIP_3) | instid1(VALU_DEP_1)
	v_fma_f64 v[81:82], v[77:78], v[81:82], s[42:43]
	s_mov_b32 s42, 0x998ef7b6
	s_mov_b32 s43, 0x3fd99999
	s_wait_alu 0xfffe
	v_fma_f64 v[81:82], v[77:78], v[81:82], s[42:43]
	s_delay_alu instid0(VALU_DEP_1) | instskip(SKIP_2) | instid1(VALU_DEP_3)
	v_fma_f64 v[77:78], v[77:78], v[81:82], s[38:39]
	v_ldexp_f64 v[81:82], v[73:74], 1
	v_add_f64_e64 v[73:74], v[73:74], -v[79:80]
	v_mul_f64_e32 v[77:78], v[104:105], v[77:78]
	v_cvt_f64_i32_e32 v[104:105], v101
	s_delay_alu instid0(VALU_DEP_3) | instskip(NEXT) | instid1(VALU_DEP_3)
	v_add_f64_e64 v[9:10], v[9:10], -v[73:74]
	v_add_f64_e32 v[79:80], v[81:82], v[77:78]
	s_delay_alu instid0(VALU_DEP_3) | instskip(NEXT) | instid1(VALU_DEP_3)
	v_mul_f64_e32 v[106:107], s[18:19], v[104:105]
	v_ldexp_f64 v[9:10], v[9:10], 1
	s_delay_alu instid0(VALU_DEP_3) | instskip(NEXT) | instid1(VALU_DEP_3)
	v_add_f64_e64 v[73:74], v[79:80], -v[81:82]
	v_fma_f64 v[81:82], v[104:105], s[18:19], -v[106:107]
	v_cmp_ngt_f64_e64 s18, -1.0, v[5:6]
	s_delay_alu instid0(VALU_DEP_3) | instskip(NEXT) | instid1(VALU_DEP_3)
	v_add_f64_e64 v[73:74], v[77:78], -v[73:74]
	v_fma_f64 v[77:78], v[104:105], s[36:37], v[81:82]
	s_delay_alu instid0(VALU_DEP_2) | instskip(NEXT) | instid1(VALU_DEP_2)
	v_add_f64_e32 v[9:10], v[9:10], v[73:74]
	v_add_f64_e32 v[73:74], v[106:107], v[77:78]
	s_delay_alu instid0(VALU_DEP_2) | instskip(NEXT) | instid1(VALU_DEP_2)
	v_add_f64_e32 v[81:82], v[79:80], v[9:10]
	v_add_f64_e64 v[106:107], v[73:74], -v[106:107]
	s_delay_alu instid0(VALU_DEP_2) | instskip(SKIP_1) | instid1(VALU_DEP_3)
	v_add_f64_e32 v[104:105], v[73:74], v[81:82]
	v_add_f64_e64 v[79:80], v[81:82], -v[79:80]
	v_add_f64_e64 v[77:78], v[77:78], -v[106:107]
	s_delay_alu instid0(VALU_DEP_3) | instskip(NEXT) | instid1(VALU_DEP_3)
	v_add_f64_e64 v[108:109], v[104:105], -v[73:74]
	v_add_f64_e64 v[9:10], v[9:10], -v[79:80]
	s_delay_alu instid0(VALU_DEP_2) | instskip(SKIP_1) | instid1(VALU_DEP_3)
	v_add_f64_e64 v[110:111], v[104:105], -v[108:109]
	v_add_f64_e64 v[79:80], v[81:82], -v[108:109]
	v_add_f64_e32 v[81:82], v[77:78], v[9:10]
	s_delay_alu instid0(VALU_DEP_3) | instskip(NEXT) | instid1(VALU_DEP_1)
	v_add_f64_e64 v[73:74], v[73:74], -v[110:111]
	v_add_f64_e32 v[73:74], v[79:80], v[73:74]
	s_delay_alu instid0(VALU_DEP_3) | instskip(NEXT) | instid1(VALU_DEP_2)
	v_add_f64_e64 v[79:80], v[81:82], -v[77:78]
	v_add_f64_e32 v[73:74], v[81:82], v[73:74]
	s_delay_alu instid0(VALU_DEP_2) | instskip(SKIP_1) | instid1(VALU_DEP_3)
	v_add_f64_e64 v[81:82], v[81:82], -v[79:80]
	v_add_f64_e64 v[9:10], v[9:10], -v[79:80]
	v_add_f64_e32 v[106:107], v[104:105], v[73:74]
	s_delay_alu instid0(VALU_DEP_3) | instskip(NEXT) | instid1(VALU_DEP_2)
	v_add_f64_e64 v[77:78], v[77:78], -v[81:82]
	v_add_f64_e64 v[79:80], v[106:107], -v[104:105]
	s_delay_alu instid0(VALU_DEP_2) | instskip(NEXT) | instid1(VALU_DEP_2)
	v_add_f64_e32 v[9:10], v[9:10], v[77:78]
	v_add_f64_e64 v[73:74], v[73:74], -v[79:80]
	s_delay_alu instid0(VALU_DEP_1) | instskip(NEXT) | instid1(VALU_DEP_1)
	v_add_f64_e32 v[9:10], v[9:10], v[73:74]
	v_add_f64_e32 v[9:10], v[106:107], v[9:10]
	s_delay_alu instid0(VALU_DEP_1) | instskip(SKIP_1) | instid1(VALU_DEP_3)
	v_cndmask_b32_e32 v9, 0, v9, vcc_lo
	v_cmp_neq_f64_e32 vcc_lo, -1.0, v[5:6]
	v_cndmask_b32_e64 v10, 0x7ff00000, v10, s17
	s_wait_alu 0xf1ff
	s_delay_alu instid0(VALU_DEP_1) | instskip(SKIP_1) | instid1(VALU_DEP_1)
	v_cndmask_b32_e64 v10, 0x7ff80000, v10, s18
	s_wait_alu 0xfffd
	v_cndmask_b32_e32 v10, 0xfff00000, v10, vcc_lo
	s_delay_alu instid0(VALU_DEP_1)
	v_add_f64_e32 v[5:6], v[7:8], v[9:10]
.LBB6_152:
	s_wait_alu 0xfffe
	s_or_b32 exec_lo, exec_lo, s41
	s_add_co_i32 s18, ttmp9, 32
	s_mov_b32 s19, 0
	v_dual_mov_b32 v7, 2 :: v_dual_mov_b32 v8, 0
	s_wait_alu 0xfffe
	s_lshl_b64 s[18:19], s[18:19], 4
	s_wait_alu 0xfffe
	s_add_nc_u64 s[18:19], s[70:71], s[18:19]
	s_wait_alu 0xfffe
	v_dual_mov_b32 v9, s18 :: v_dual_mov_b32 v10, s19
	;;#ASMSTART
	global_store_b128 v[9:10], v[5:8] off scope:SCOPE_DEV	
s_wait_storecnt 0x0
	;;#ASMEND
.LBB6_153:
	s_wait_alu 0xfffe
	s_or_b32 exec_lo, exec_lo, s40
	v_cmp_eq_u32_e32 vcc_lo, 0, v0
	s_and_b32 exec_lo, exec_lo, vcc_lo
; %bb.154:
	v_mov_b32_e32 v5, 0
	ds_store_b64 v5, v[75:76] offset:56
.LBB6_155:
	s_or_b32 exec_lo, exec_lo, s84
	v_dual_mov_b32 v5, 0 :: v_dual_mov_b32 v10, v2
	s_wait_loadcnt_dscnt 0x0
	s_barrier_signal -1
	s_barrier_wait -1
	global_inv scope:SCOPE_SE
	ds_load_b64 v[5:6], v5 offset:56
	v_mov_b32_e32 v9, v1
	s_mov_b32 s38, exec_lo
	v_cmpx_ne_u32_e32 0, v0
	s_cbranch_execz .LBB6_159
; %bb.156:
	v_cndmask_b32_e64 v9, v102, v71, s16
	v_cndmask_b32_e64 v10, v103, v72, s16
	s_delay_alu instid0(VALU_DEP_1) | instskip(SKIP_1) | instid1(VALU_DEP_2)
	v_max_num_f64_e32 v[7:8], v[9:10], v[9:10]
	v_cmp_u_f64_e32 vcc_lo, v[9:10], v[9:10]
	v_min_num_f64_e32 v[71:72], v[7:8], v[69:70]
	v_max_num_f64_e32 v[7:8], v[7:8], v[69:70]
	s_wait_alu 0xfffd
	s_delay_alu instid0(VALU_DEP_2) | instskip(NEXT) | instid1(VALU_DEP_2)
	v_dual_cndmask_b32 v69, v71, v9 :: v_dual_cndmask_b32 v70, v72, v10
	v_dual_cndmask_b32 v7, v7, v9 :: v_dual_cndmask_b32 v8, v8, v10
	s_delay_alu instid0(VALU_DEP_2) | instskip(NEXT) | instid1(VALU_DEP_3)
	v_cndmask_b32_e64 v69, v69, v1, s15
	v_cndmask_b32_e64 v70, v70, v2, s15
	s_delay_alu instid0(VALU_DEP_3) | instskip(NEXT) | instid1(VALU_DEP_4)
	v_cndmask_b32_e64 v7, v7, v1, s15
	v_cndmask_b32_e64 v8, v8, v2, s15
	s_delay_alu instid0(VALU_DEP_3) | instskip(NEXT) | instid1(VALU_DEP_2)
	v_cmp_class_f64_e64 s15, v[69:70], 0x1f8
	v_cmp_neq_f64_e32 vcc_lo, v[69:70], v[7:8]
	s_or_b32 s15, vcc_lo, s15
	s_wait_alu 0xfffe
	s_and_saveexec_b32 s39, s15
	s_cbranch_execz .LBB6_158
; %bb.157:
	v_add_f64_e64 v[9:10], v[69:70], -v[7:8]
	s_mov_b32 s16, 0x652b82fe
	s_mov_b32 s17, 0x3ff71547
	;; [unrolled: 1-line block ×10, first 2 shown]
	s_wait_alu 0xfffe
	s_delay_alu instid0(VALU_DEP_1) | instskip(SKIP_4) | instid1(VALU_DEP_3)
	v_mul_f64_e32 v[69:70], s[16:17], v[9:10]
	s_mov_b32 s17, 0xbfe62e42
	s_mov_b32 s16, 0xfefa39ef
	v_cmp_nlt_f64_e32 vcc_lo, 0x40900000, v[9:10]
	v_cmp_ngt_f64_e64 s15, 0xc090cc00, v[9:10]
	v_rndne_f64_e32 v[69:70], v[69:70]
	s_wait_alu 0xfffe
	s_delay_alu instid0(VALU_DEP_1) | instskip(SKIP_2) | instid1(VALU_DEP_2)
	v_fma_f64 v[71:72], v[69:70], s[16:17], v[9:10]
	v_cvt_i32_f64_e32 v75, v[69:70]
	s_mov_b32 s17, 0x3fe62e42
	v_fma_f64 v[71:72], v[69:70], s[18:19], v[71:72]
	s_mov_b32 s19, 0x3c7abc9e
	s_delay_alu instid0(VALU_DEP_1)
	v_fma_f64 v[73:74], v[71:72], s[40:41], s[36:37]
	s_mov_b32 s36, 0x623fde64
	s_mov_b32 s37, 0x3ec71dee
	;; [unrolled: 1-line block ×4, first 2 shown]
	s_wait_alu 0xfffe
	s_delay_alu instid0(VALU_DEP_1) | instskip(SKIP_3) | instid1(VALU_DEP_1)
	v_fma_f64 v[73:74], v[71:72], v[73:74], s[36:37]
	s_mov_b32 s36, 0x7c89e6b0
	s_mov_b32 s37, 0x3efa0199
	s_wait_alu 0xfffe
	v_fma_f64 v[73:74], v[71:72], v[73:74], s[36:37]
	s_mov_b32 s36, 0x14761f6e
	s_mov_b32 s37, 0x3f2a01a0
	s_wait_alu 0xfffe
	s_delay_alu instid0(VALU_DEP_1) | instskip(SKIP_3) | instid1(VALU_DEP_1)
	v_fma_f64 v[73:74], v[71:72], v[73:74], s[36:37]
	s_mov_b32 s36, 0x1852b7b0
	s_mov_b32 s37, 0x3f56c16c
	s_wait_alu 0xfffe
	v_fma_f64 v[73:74], v[71:72], v[73:74], s[36:37]
	s_mov_b32 s36, 0x11122322
	s_mov_b32 s37, 0x3f811111
	;; [unrolled: 9-line block ×4, first 2 shown]
	s_delay_alu instid0(VALU_DEP_1) | instskip(NEXT) | instid1(VALU_DEP_1)
	v_fma_f64 v[73:74], v[71:72], v[73:74], 1.0
	v_fma_f64 v[69:70], v[71:72], v[73:74], 1.0
	s_delay_alu instid0(VALU_DEP_1) | instskip(SKIP_1) | instid1(VALU_DEP_1)
	v_ldexp_f64 v[69:70], v[69:70], v75
	s_wait_alu 0xfffd
	v_cndmask_b32_e32 v70, 0x7ff00000, v70, vcc_lo
	s_and_b32 vcc_lo, s15, vcc_lo
	s_wait_alu 0xfffe
	s_delay_alu instid0(VALU_DEP_2) | instskip(NEXT) | instid1(VALU_DEP_2)
	v_cndmask_b32_e32 v9, 0, v69, vcc_lo
	v_cndmask_b32_e64 v10, 0, v70, s15
	s_delay_alu instid0(VALU_DEP_1) | instskip(SKIP_1) | instid1(VALU_DEP_2)
	v_add_f64_e32 v[69:70], 1.0, v[9:10]
	v_cmp_neq_f64_e64 s15, 0x7ff00000, v[9:10]
	v_frexp_mant_f64_e32 v[71:72], v[69:70]
	v_frexp_exp_i32_f64_e32 v75, v[69:70]
	v_add_f64_e32 v[73:74], -1.0, v[69:70]
	s_delay_alu instid0(VALU_DEP_3) | instskip(SKIP_1) | instid1(VALU_DEP_2)
	v_cmp_gt_f64_e32 vcc_lo, s[36:37], v[71:72]
	s_mov_b32 s36, 0x55555780
	v_add_f64_e64 v[71:72], v[73:74], -v[69:70]
	v_add_f64_e64 v[73:74], v[9:10], -v[73:74]
	s_wait_alu 0xfffd
	v_subrev_co_ci_u32_e64 v109, null, 0, v75, vcc_lo
	s_delay_alu instid0(VALU_DEP_3) | instskip(SKIP_1) | instid1(VALU_DEP_3)
	v_add_f64_e32 v[71:72], 1.0, v[71:72]
	v_cmp_nge_f64_e32 vcc_lo, -1.0, v[9:10]
	v_sub_nc_u32_e32 v77, 0, v109
	s_delay_alu instid0(VALU_DEP_1) | instskip(NEXT) | instid1(VALU_DEP_4)
	v_ldexp_f64 v[69:70], v[69:70], v77
	v_add_f64_e32 v[71:72], v[73:74], v[71:72]
	s_and_b32 vcc_lo, vcc_lo, s15
	s_delay_alu instid0(VALU_DEP_2) | instskip(SKIP_1) | instid1(VALU_DEP_3)
	v_add_f64_e32 v[75:76], 1.0, v[69:70]
	v_add_f64_e32 v[81:82], -1.0, v[69:70]
	v_ldexp_f64 v[71:72], v[71:72], v77
	s_delay_alu instid0(VALU_DEP_3) | instskip(NEXT) | instid1(VALU_DEP_3)
	v_add_f64_e32 v[73:74], -1.0, v[75:76]
	v_add_f64_e32 v[101:102], 1.0, v[81:82]
	s_delay_alu instid0(VALU_DEP_2) | instskip(NEXT) | instid1(VALU_DEP_2)
	v_add_f64_e64 v[73:74], v[69:70], -v[73:74]
	v_add_f64_e64 v[69:70], v[69:70], -v[101:102]
	s_delay_alu instid0(VALU_DEP_2) | instskip(NEXT) | instid1(VALU_DEP_2)
	v_add_f64_e32 v[73:74], v[71:72], v[73:74]
	v_add_f64_e32 v[69:70], v[71:72], v[69:70]
	s_delay_alu instid0(VALU_DEP_2) | instskip(NEXT) | instid1(VALU_DEP_2)
	v_add_f64_e32 v[77:78], v[75:76], v[73:74]
	v_add_f64_e32 v[101:102], v[81:82], v[69:70]
	s_delay_alu instid0(VALU_DEP_2) | instskip(SKIP_1) | instid1(VALU_DEP_2)
	v_rcp_f64_e32 v[79:80], v[77:78]
	v_add_f64_e64 v[75:76], v[77:78], -v[75:76]
	v_add_f64_e64 v[81:82], v[101:102], -v[81:82]
	s_delay_alu instid0(VALU_DEP_2) | instskip(NEXT) | instid1(TRANS32_DEP_1)
	v_add_f64_e64 v[73:74], v[73:74], -v[75:76]
	v_fma_f64 v[103:104], -v[77:78], v[79:80], 1.0
	s_delay_alu instid0(VALU_DEP_3) | instskip(NEXT) | instid1(VALU_DEP_2)
	v_add_f64_e64 v[69:70], v[69:70], -v[81:82]
	v_fma_f64 v[79:80], v[103:104], v[79:80], v[79:80]
	s_delay_alu instid0(VALU_DEP_1) | instskip(NEXT) | instid1(VALU_DEP_1)
	v_fma_f64 v[71:72], -v[77:78], v[79:80], 1.0
	v_fma_f64 v[71:72], v[71:72], v[79:80], v[79:80]
	s_delay_alu instid0(VALU_DEP_1) | instskip(NEXT) | instid1(VALU_DEP_1)
	v_mul_f64_e32 v[79:80], v[101:102], v[71:72]
	v_mul_f64_e32 v[103:104], v[77:78], v[79:80]
	s_delay_alu instid0(VALU_DEP_1) | instskip(NEXT) | instid1(VALU_DEP_1)
	v_fma_f64 v[75:76], v[79:80], v[77:78], -v[103:104]
	v_fma_f64 v[75:76], v[79:80], v[73:74], v[75:76]
	s_delay_alu instid0(VALU_DEP_1) | instskip(NEXT) | instid1(VALU_DEP_1)
	v_add_f64_e32 v[105:106], v[103:104], v[75:76]
	v_add_f64_e64 v[107:108], v[101:102], -v[105:106]
	v_add_f64_e64 v[81:82], v[105:106], -v[103:104]
	s_delay_alu instid0(VALU_DEP_2) | instskip(NEXT) | instid1(VALU_DEP_2)
	v_add_f64_e64 v[101:102], v[101:102], -v[107:108]
	v_add_f64_e64 v[75:76], v[81:82], -v[75:76]
	s_delay_alu instid0(VALU_DEP_2) | instskip(NEXT) | instid1(VALU_DEP_1)
	v_add_f64_e64 v[101:102], v[101:102], -v[105:106]
	v_add_f64_e32 v[69:70], v[69:70], v[101:102]
	s_delay_alu instid0(VALU_DEP_1) | instskip(NEXT) | instid1(VALU_DEP_1)
	v_add_f64_e32 v[69:70], v[75:76], v[69:70]
	v_add_f64_e32 v[75:76], v[107:108], v[69:70]
	s_delay_alu instid0(VALU_DEP_1) | instskip(SKIP_1) | instid1(VALU_DEP_2)
	v_mul_f64_e32 v[81:82], v[71:72], v[75:76]
	v_add_f64_e64 v[105:106], v[107:108], -v[75:76]
	v_mul_f64_e32 v[101:102], v[77:78], v[81:82]
	s_delay_alu instid0(VALU_DEP_2) | instskip(NEXT) | instid1(VALU_DEP_2)
	v_add_f64_e32 v[69:70], v[69:70], v[105:106]
	v_fma_f64 v[77:78], v[81:82], v[77:78], -v[101:102]
	s_delay_alu instid0(VALU_DEP_1) | instskip(NEXT) | instid1(VALU_DEP_1)
	v_fma_f64 v[73:74], v[81:82], v[73:74], v[77:78]
	v_add_f64_e32 v[77:78], v[101:102], v[73:74]
	s_delay_alu instid0(VALU_DEP_1) | instskip(SKIP_1) | instid1(VALU_DEP_2)
	v_add_f64_e64 v[103:104], v[75:76], -v[77:78]
	v_add_f64_e64 v[101:102], v[77:78], -v[101:102]
	;; [unrolled: 1-line block ×3, first 2 shown]
	s_delay_alu instid0(VALU_DEP_2) | instskip(NEXT) | instid1(VALU_DEP_2)
	v_add_f64_e64 v[73:74], v[101:102], -v[73:74]
	v_add_f64_e64 v[75:76], v[75:76], -v[77:78]
	s_delay_alu instid0(VALU_DEP_1) | instskip(SKIP_1) | instid1(VALU_DEP_2)
	v_add_f64_e32 v[69:70], v[69:70], v[75:76]
	v_add_f64_e32 v[75:76], v[79:80], v[81:82]
	v_add_f64_e32 v[69:70], v[73:74], v[69:70]
	s_delay_alu instid0(VALU_DEP_2) | instskip(NEXT) | instid1(VALU_DEP_2)
	v_add_f64_e64 v[73:74], v[75:76], -v[79:80]
	v_add_f64_e32 v[69:70], v[103:104], v[69:70]
	s_delay_alu instid0(VALU_DEP_2) | instskip(NEXT) | instid1(VALU_DEP_2)
	v_add_f64_e64 v[73:74], v[81:82], -v[73:74]
	v_mul_f64_e32 v[69:70], v[71:72], v[69:70]
	s_delay_alu instid0(VALU_DEP_1) | instskip(NEXT) | instid1(VALU_DEP_1)
	v_add_f64_e32 v[69:70], v[73:74], v[69:70]
	v_add_f64_e32 v[71:72], v[75:76], v[69:70]
	s_delay_alu instid0(VALU_DEP_1) | instskip(NEXT) | instid1(VALU_DEP_1)
	v_mul_f64_e32 v[73:74], v[71:72], v[71:72]
	v_fma_f64 v[77:78], v[73:74], s[42:43], s[40:41]
	s_mov_b32 s40, 0xd7f4df2e
	s_mov_b32 s41, 0x3fc7474d
	v_mul_f64_e32 v[79:80], v[71:72], v[73:74]
	s_wait_alu 0xfffe
	s_delay_alu instid0(VALU_DEP_2) | instskip(SKIP_3) | instid1(VALU_DEP_1)
	v_fma_f64 v[77:78], v[73:74], v[77:78], s[40:41]
	s_mov_b32 s40, 0x16291751
	s_mov_b32 s41, 0x3fcc71c0
	s_wait_alu 0xfffe
	v_fma_f64 v[77:78], v[73:74], v[77:78], s[40:41]
	s_mov_b32 s40, 0x9b27acf1
	s_mov_b32 s41, 0x3fd24924
	s_wait_alu 0xfffe
	s_delay_alu instid0(VALU_DEP_1) | instskip(SKIP_3) | instid1(VALU_DEP_1)
	v_fma_f64 v[77:78], v[73:74], v[77:78], s[40:41]
	s_mov_b32 s40, 0x998ef7b6
	s_mov_b32 s41, 0x3fd99999
	s_wait_alu 0xfffe
	v_fma_f64 v[77:78], v[73:74], v[77:78], s[40:41]
	s_delay_alu instid0(VALU_DEP_1) | instskip(SKIP_2) | instid1(VALU_DEP_3)
	v_fma_f64 v[73:74], v[73:74], v[77:78], s[36:37]
	v_ldexp_f64 v[77:78], v[71:72], 1
	v_add_f64_e64 v[71:72], v[71:72], -v[75:76]
	v_mul_f64_e32 v[73:74], v[79:80], v[73:74]
	v_cvt_f64_i32_e32 v[79:80], v109
	s_delay_alu instid0(VALU_DEP_3) | instskip(NEXT) | instid1(VALU_DEP_3)
	v_add_f64_e64 v[69:70], v[69:70], -v[71:72]
	v_add_f64_e32 v[75:76], v[77:78], v[73:74]
	s_delay_alu instid0(VALU_DEP_3) | instskip(NEXT) | instid1(VALU_DEP_3)
	v_mul_f64_e32 v[81:82], s[16:17], v[79:80]
	v_ldexp_f64 v[69:70], v[69:70], 1
	s_delay_alu instid0(VALU_DEP_3) | instskip(NEXT) | instid1(VALU_DEP_3)
	v_add_f64_e64 v[71:72], v[75:76], -v[77:78]
	v_fma_f64 v[77:78], v[79:80], s[16:17], -v[81:82]
	v_cmp_ngt_f64_e64 s16, -1.0, v[9:10]
	s_delay_alu instid0(VALU_DEP_3) | instskip(NEXT) | instid1(VALU_DEP_3)
	v_add_f64_e64 v[71:72], v[73:74], -v[71:72]
	v_fma_f64 v[73:74], v[79:80], s[18:19], v[77:78]
	s_delay_alu instid0(VALU_DEP_2) | instskip(NEXT) | instid1(VALU_DEP_2)
	v_add_f64_e32 v[69:70], v[69:70], v[71:72]
	v_add_f64_e32 v[71:72], v[81:82], v[73:74]
	s_delay_alu instid0(VALU_DEP_2) | instskip(NEXT) | instid1(VALU_DEP_2)
	v_add_f64_e32 v[77:78], v[75:76], v[69:70]
	v_add_f64_e64 v[81:82], v[71:72], -v[81:82]
	s_delay_alu instid0(VALU_DEP_2) | instskip(SKIP_1) | instid1(VALU_DEP_3)
	v_add_f64_e32 v[79:80], v[71:72], v[77:78]
	v_add_f64_e64 v[75:76], v[77:78], -v[75:76]
	v_add_f64_e64 v[73:74], v[73:74], -v[81:82]
	s_delay_alu instid0(VALU_DEP_3) | instskip(NEXT) | instid1(VALU_DEP_3)
	v_add_f64_e64 v[101:102], v[79:80], -v[71:72]
	v_add_f64_e64 v[69:70], v[69:70], -v[75:76]
	s_delay_alu instid0(VALU_DEP_2) | instskip(SKIP_1) | instid1(VALU_DEP_3)
	v_add_f64_e64 v[103:104], v[79:80], -v[101:102]
	v_add_f64_e64 v[75:76], v[77:78], -v[101:102]
	v_add_f64_e32 v[77:78], v[73:74], v[69:70]
	s_delay_alu instid0(VALU_DEP_3) | instskip(NEXT) | instid1(VALU_DEP_1)
	v_add_f64_e64 v[71:72], v[71:72], -v[103:104]
	v_add_f64_e32 v[71:72], v[75:76], v[71:72]
	s_delay_alu instid0(VALU_DEP_3) | instskip(NEXT) | instid1(VALU_DEP_2)
	v_add_f64_e64 v[75:76], v[77:78], -v[73:74]
	v_add_f64_e32 v[71:72], v[77:78], v[71:72]
	s_delay_alu instid0(VALU_DEP_2) | instskip(SKIP_1) | instid1(VALU_DEP_3)
	v_add_f64_e64 v[77:78], v[77:78], -v[75:76]
	v_add_f64_e64 v[69:70], v[69:70], -v[75:76]
	v_add_f64_e32 v[81:82], v[79:80], v[71:72]
	s_delay_alu instid0(VALU_DEP_3) | instskip(NEXT) | instid1(VALU_DEP_2)
	v_add_f64_e64 v[73:74], v[73:74], -v[77:78]
	v_add_f64_e64 v[75:76], v[81:82], -v[79:80]
	s_delay_alu instid0(VALU_DEP_2) | instskip(NEXT) | instid1(VALU_DEP_2)
	v_add_f64_e32 v[69:70], v[69:70], v[73:74]
	v_add_f64_e64 v[71:72], v[71:72], -v[75:76]
	s_delay_alu instid0(VALU_DEP_1) | instskip(NEXT) | instid1(VALU_DEP_1)
	v_add_f64_e32 v[69:70], v[69:70], v[71:72]
	v_add_f64_e32 v[69:70], v[81:82], v[69:70]
	s_delay_alu instid0(VALU_DEP_1) | instskip(SKIP_1) | instid1(VALU_DEP_3)
	v_cndmask_b32_e32 v69, 0, v69, vcc_lo
	v_cmp_neq_f64_e32 vcc_lo, -1.0, v[9:10]
	v_cndmask_b32_e64 v70, 0x7ff00000, v70, s15
	s_wait_alu 0xf1ff
	s_delay_alu instid0(VALU_DEP_1) | instskip(SKIP_1) | instid1(VALU_DEP_1)
	v_cndmask_b32_e64 v70, 0x7ff80000, v70, s16
	s_wait_alu 0xfffd
	v_cndmask_b32_e32 v70, 0xfff00000, v70, vcc_lo
	s_delay_alu instid0(VALU_DEP_1)
	v_add_f64_e32 v[9:10], v[7:8], v[69:70]
.LBB6_158:
	s_wait_alu 0xfffe
	s_or_b32 exec_lo, exec_lo, s39
.LBB6_159:
	s_wait_alu 0xfffe
	s_or_b32 exec_lo, exec_lo, s38
	s_delay_alu instid0(VALU_DEP_1) | instskip(SKIP_4) | instid1(VALU_DEP_3)
	v_max_num_f64_e32 v[7:8], v[9:10], v[9:10]
	s_wait_dscnt 0x0
	v_max_num_f64_e32 v[69:70], v[5:6], v[5:6]
	v_cmp_u_f64_e32 vcc_lo, v[5:6], v[5:6]
	v_cmp_u_f64_e64 s15, v[9:10], v[9:10]
	v_min_num_f64_e32 v[71:72], v[69:70], v[7:8]
	v_max_num_f64_e32 v[7:8], v[69:70], v[7:8]
	s_wait_alu 0xfffd
	s_delay_alu instid0(VALU_DEP_2) | instskip(NEXT) | instid1(VALU_DEP_2)
	v_dual_cndmask_b32 v69, v71, v5 :: v_dual_cndmask_b32 v70, v72, v6
	v_dual_cndmask_b32 v8, v8, v6 :: v_dual_cndmask_b32 v7, v7, v5
	s_wait_alu 0xf1ff
	s_delay_alu instid0(VALU_DEP_2) | instskip(NEXT) | instid1(VALU_DEP_3)
	v_cndmask_b32_e64 v69, v69, v9, s15
	v_cndmask_b32_e64 v70, v70, v10, s15
	s_delay_alu instid0(VALU_DEP_3) | instskip(SKIP_1) | instid1(VALU_DEP_3)
	v_cndmask_b32_e64 v8, v8, v10, s15
	v_cndmask_b32_e64 v7, v7, v9, s15
	v_cmp_class_f64_e64 s15, v[69:70], 0x1f8
	s_delay_alu instid0(VALU_DEP_2)
	v_cmp_neq_f64_e32 vcc_lo, v[69:70], v[7:8]
	s_or_b32 s15, vcc_lo, s15
	s_wait_alu 0xfffe
	s_and_saveexec_b32 s38, s15
	s_cbranch_execz .LBB6_161
; %bb.160:
	v_add_f64_e64 v[5:6], v[69:70], -v[7:8]
	s_mov_b32 s16, 0x652b82fe
	s_mov_b32 s17, 0x3ff71547
	;; [unrolled: 1-line block ×10, first 2 shown]
	s_wait_alu 0xfffe
	s_delay_alu instid0(VALU_DEP_1) | instskip(SKIP_4) | instid1(VALU_DEP_3)
	v_mul_f64_e32 v[9:10], s[16:17], v[5:6]
	s_mov_b32 s17, 0xbfe62e42
	s_mov_b32 s16, 0xfefa39ef
	v_cmp_nlt_f64_e32 vcc_lo, 0x40900000, v[5:6]
	v_cmp_ngt_f64_e64 s15, 0xc090cc00, v[5:6]
	v_rndne_f64_e32 v[9:10], v[9:10]
	s_wait_alu 0xfffe
	s_delay_alu instid0(VALU_DEP_1) | instskip(SKIP_2) | instid1(VALU_DEP_2)
	v_fma_f64 v[69:70], v[9:10], s[16:17], v[5:6]
	v_cvt_i32_f64_e32 v73, v[9:10]
	s_mov_b32 s17, 0x3fe62e42
	v_fma_f64 v[69:70], v[9:10], s[18:19], v[69:70]
	s_mov_b32 s19, 0x3c7abc9e
	s_delay_alu instid0(VALU_DEP_1)
	v_fma_f64 v[71:72], v[69:70], s[40:41], s[36:37]
	s_mov_b32 s36, 0x623fde64
	s_mov_b32 s37, 0x3ec71dee
	;; [unrolled: 1-line block ×4, first 2 shown]
	s_wait_alu 0xfffe
	s_delay_alu instid0(VALU_DEP_1) | instskip(SKIP_3) | instid1(VALU_DEP_1)
	v_fma_f64 v[71:72], v[69:70], v[71:72], s[36:37]
	s_mov_b32 s36, 0x7c89e6b0
	s_mov_b32 s37, 0x3efa0199
	s_wait_alu 0xfffe
	v_fma_f64 v[71:72], v[69:70], v[71:72], s[36:37]
	s_mov_b32 s36, 0x14761f6e
	s_mov_b32 s37, 0x3f2a01a0
	s_wait_alu 0xfffe
	s_delay_alu instid0(VALU_DEP_1) | instskip(SKIP_3) | instid1(VALU_DEP_1)
	v_fma_f64 v[71:72], v[69:70], v[71:72], s[36:37]
	s_mov_b32 s36, 0x1852b7b0
	s_mov_b32 s37, 0x3f56c16c
	s_wait_alu 0xfffe
	v_fma_f64 v[71:72], v[69:70], v[71:72], s[36:37]
	s_mov_b32 s36, 0x11122322
	s_mov_b32 s37, 0x3f811111
	s_wait_alu 0xfffe
	s_delay_alu instid0(VALU_DEP_1) | instskip(SKIP_3) | instid1(VALU_DEP_1)
	v_fma_f64 v[71:72], v[69:70], v[71:72], s[36:37]
	s_mov_b32 s36, 0x555502a1
	s_mov_b32 s37, 0x3fa55555
	s_wait_alu 0xfffe
	v_fma_f64 v[71:72], v[69:70], v[71:72], s[36:37]
	s_mov_b32 s36, 0x55555511
	s_mov_b32 s37, 0x3fc55555
	s_wait_alu 0xfffe
	s_delay_alu instid0(VALU_DEP_1) | instskip(SKIP_3) | instid1(VALU_DEP_1)
	v_fma_f64 v[71:72], v[69:70], v[71:72], s[36:37]
	s_mov_b32 s36, 11
	s_mov_b32 s37, 0x3fe00000
	s_wait_alu 0xfffe
	v_fma_f64 v[71:72], v[69:70], v[71:72], s[36:37]
	s_mov_b32 s37, 0x3fe55555
	s_mov_b32 s36, 0x55555555
	s_delay_alu instid0(VALU_DEP_1) | instskip(NEXT) | instid1(VALU_DEP_1)
	v_fma_f64 v[71:72], v[69:70], v[71:72], 1.0
	v_fma_f64 v[9:10], v[69:70], v[71:72], 1.0
	s_delay_alu instid0(VALU_DEP_1) | instskip(SKIP_1) | instid1(VALU_DEP_1)
	v_ldexp_f64 v[9:10], v[9:10], v73
	s_wait_alu 0xfffd
	v_cndmask_b32_e32 v10, 0x7ff00000, v10, vcc_lo
	s_and_b32 vcc_lo, s15, vcc_lo
	s_wait_alu 0xfffe
	s_delay_alu instid0(VALU_DEP_2) | instskip(NEXT) | instid1(VALU_DEP_2)
	v_cndmask_b32_e32 v5, 0, v9, vcc_lo
	v_cndmask_b32_e64 v6, 0, v10, s15
	s_delay_alu instid0(VALU_DEP_1) | instskip(SKIP_1) | instid1(VALU_DEP_2)
	v_add_f64_e32 v[9:10], 1.0, v[5:6]
	v_cmp_neq_f64_e64 s15, 0x7ff00000, v[5:6]
	v_frexp_mant_f64_e32 v[69:70], v[9:10]
	v_frexp_exp_i32_f64_e32 v73, v[9:10]
	v_add_f64_e32 v[71:72], -1.0, v[9:10]
	s_delay_alu instid0(VALU_DEP_3) | instskip(SKIP_1) | instid1(VALU_DEP_2)
	v_cmp_gt_f64_e32 vcc_lo, s[36:37], v[69:70]
	s_mov_b32 s36, 0x55555780
	v_add_f64_e64 v[69:70], v[71:72], -v[9:10]
	v_add_f64_e64 v[71:72], v[5:6], -v[71:72]
	s_wait_alu 0xfffd
	v_subrev_co_ci_u32_e64 v107, null, 0, v73, vcc_lo
	s_delay_alu instid0(VALU_DEP_3) | instskip(SKIP_1) | instid1(VALU_DEP_3)
	v_add_f64_e32 v[69:70], 1.0, v[69:70]
	v_cmp_nge_f64_e32 vcc_lo, -1.0, v[5:6]
	v_sub_nc_u32_e32 v75, 0, v107
	s_delay_alu instid0(VALU_DEP_1) | instskip(NEXT) | instid1(VALU_DEP_4)
	v_ldexp_f64 v[9:10], v[9:10], v75
	v_add_f64_e32 v[69:70], v[71:72], v[69:70]
	s_and_b32 vcc_lo, vcc_lo, s15
	s_delay_alu instid0(VALU_DEP_2) | instskip(SKIP_1) | instid1(VALU_DEP_3)
	v_add_f64_e32 v[73:74], 1.0, v[9:10]
	v_add_f64_e32 v[79:80], -1.0, v[9:10]
	v_ldexp_f64 v[69:70], v[69:70], v75
	s_delay_alu instid0(VALU_DEP_3) | instskip(NEXT) | instid1(VALU_DEP_3)
	v_add_f64_e32 v[71:72], -1.0, v[73:74]
	v_add_f64_e32 v[81:82], 1.0, v[79:80]
	s_delay_alu instid0(VALU_DEP_2) | instskip(NEXT) | instid1(VALU_DEP_2)
	v_add_f64_e64 v[71:72], v[9:10], -v[71:72]
	v_add_f64_e64 v[9:10], v[9:10], -v[81:82]
	s_delay_alu instid0(VALU_DEP_2) | instskip(NEXT) | instid1(VALU_DEP_2)
	v_add_f64_e32 v[71:72], v[69:70], v[71:72]
	v_add_f64_e32 v[9:10], v[69:70], v[9:10]
	s_delay_alu instid0(VALU_DEP_2) | instskip(NEXT) | instid1(VALU_DEP_2)
	v_add_f64_e32 v[75:76], v[73:74], v[71:72]
	v_add_f64_e32 v[81:82], v[79:80], v[9:10]
	s_delay_alu instid0(VALU_DEP_2) | instskip(SKIP_1) | instid1(VALU_DEP_2)
	v_rcp_f64_e32 v[77:78], v[75:76]
	v_add_f64_e64 v[73:74], v[75:76], -v[73:74]
	v_add_f64_e64 v[79:80], v[81:82], -v[79:80]
	s_delay_alu instid0(VALU_DEP_2) | instskip(NEXT) | instid1(TRANS32_DEP_1)
	v_add_f64_e64 v[71:72], v[71:72], -v[73:74]
	v_fma_f64 v[101:102], -v[75:76], v[77:78], 1.0
	s_delay_alu instid0(VALU_DEP_3) | instskip(NEXT) | instid1(VALU_DEP_2)
	v_add_f64_e64 v[9:10], v[9:10], -v[79:80]
	v_fma_f64 v[77:78], v[101:102], v[77:78], v[77:78]
	s_delay_alu instid0(VALU_DEP_1) | instskip(NEXT) | instid1(VALU_DEP_1)
	v_fma_f64 v[69:70], -v[75:76], v[77:78], 1.0
	v_fma_f64 v[69:70], v[69:70], v[77:78], v[77:78]
	s_delay_alu instid0(VALU_DEP_1) | instskip(NEXT) | instid1(VALU_DEP_1)
	v_mul_f64_e32 v[77:78], v[81:82], v[69:70]
	v_mul_f64_e32 v[101:102], v[75:76], v[77:78]
	s_delay_alu instid0(VALU_DEP_1) | instskip(NEXT) | instid1(VALU_DEP_1)
	v_fma_f64 v[73:74], v[77:78], v[75:76], -v[101:102]
	v_fma_f64 v[73:74], v[77:78], v[71:72], v[73:74]
	s_delay_alu instid0(VALU_DEP_1) | instskip(NEXT) | instid1(VALU_DEP_1)
	v_add_f64_e32 v[103:104], v[101:102], v[73:74]
	v_add_f64_e64 v[105:106], v[81:82], -v[103:104]
	v_add_f64_e64 v[79:80], v[103:104], -v[101:102]
	s_delay_alu instid0(VALU_DEP_2) | instskip(NEXT) | instid1(VALU_DEP_2)
	v_add_f64_e64 v[81:82], v[81:82], -v[105:106]
	v_add_f64_e64 v[73:74], v[79:80], -v[73:74]
	s_delay_alu instid0(VALU_DEP_2) | instskip(NEXT) | instid1(VALU_DEP_1)
	v_add_f64_e64 v[81:82], v[81:82], -v[103:104]
	v_add_f64_e32 v[9:10], v[9:10], v[81:82]
	s_delay_alu instid0(VALU_DEP_1) | instskip(NEXT) | instid1(VALU_DEP_1)
	v_add_f64_e32 v[9:10], v[73:74], v[9:10]
	v_add_f64_e32 v[73:74], v[105:106], v[9:10]
	s_delay_alu instid0(VALU_DEP_1) | instskip(SKIP_1) | instid1(VALU_DEP_2)
	v_mul_f64_e32 v[79:80], v[69:70], v[73:74]
	v_add_f64_e64 v[103:104], v[105:106], -v[73:74]
	v_mul_f64_e32 v[81:82], v[75:76], v[79:80]
	s_delay_alu instid0(VALU_DEP_2) | instskip(NEXT) | instid1(VALU_DEP_2)
	v_add_f64_e32 v[9:10], v[9:10], v[103:104]
	v_fma_f64 v[75:76], v[79:80], v[75:76], -v[81:82]
	s_delay_alu instid0(VALU_DEP_1) | instskip(NEXT) | instid1(VALU_DEP_1)
	v_fma_f64 v[71:72], v[79:80], v[71:72], v[75:76]
	v_add_f64_e32 v[75:76], v[81:82], v[71:72]
	s_delay_alu instid0(VALU_DEP_1) | instskip(SKIP_1) | instid1(VALU_DEP_2)
	v_add_f64_e64 v[101:102], v[73:74], -v[75:76]
	v_add_f64_e64 v[81:82], v[75:76], -v[81:82]
	;; [unrolled: 1-line block ×3, first 2 shown]
	s_delay_alu instid0(VALU_DEP_2) | instskip(NEXT) | instid1(VALU_DEP_2)
	v_add_f64_e64 v[71:72], v[81:82], -v[71:72]
	v_add_f64_e64 v[73:74], v[73:74], -v[75:76]
	s_delay_alu instid0(VALU_DEP_1) | instskip(SKIP_1) | instid1(VALU_DEP_2)
	v_add_f64_e32 v[9:10], v[9:10], v[73:74]
	v_add_f64_e32 v[73:74], v[77:78], v[79:80]
	;; [unrolled: 1-line block ×3, first 2 shown]
	s_delay_alu instid0(VALU_DEP_2) | instskip(NEXT) | instid1(VALU_DEP_2)
	v_add_f64_e64 v[71:72], v[73:74], -v[77:78]
	v_add_f64_e32 v[9:10], v[101:102], v[9:10]
	s_delay_alu instid0(VALU_DEP_2) | instskip(NEXT) | instid1(VALU_DEP_2)
	v_add_f64_e64 v[71:72], v[79:80], -v[71:72]
	v_mul_f64_e32 v[9:10], v[69:70], v[9:10]
	s_delay_alu instid0(VALU_DEP_1) | instskip(NEXT) | instid1(VALU_DEP_1)
	v_add_f64_e32 v[9:10], v[71:72], v[9:10]
	v_add_f64_e32 v[69:70], v[73:74], v[9:10]
	s_delay_alu instid0(VALU_DEP_1) | instskip(NEXT) | instid1(VALU_DEP_1)
	v_mul_f64_e32 v[71:72], v[69:70], v[69:70]
	v_fma_f64 v[75:76], v[71:72], s[42:43], s[40:41]
	s_mov_b32 s40, 0xd7f4df2e
	s_mov_b32 s41, 0x3fc7474d
	v_mul_f64_e32 v[77:78], v[69:70], v[71:72]
	s_wait_alu 0xfffe
	s_delay_alu instid0(VALU_DEP_2) | instskip(SKIP_3) | instid1(VALU_DEP_1)
	v_fma_f64 v[75:76], v[71:72], v[75:76], s[40:41]
	s_mov_b32 s40, 0x16291751
	s_mov_b32 s41, 0x3fcc71c0
	s_wait_alu 0xfffe
	v_fma_f64 v[75:76], v[71:72], v[75:76], s[40:41]
	s_mov_b32 s40, 0x9b27acf1
	s_mov_b32 s41, 0x3fd24924
	s_wait_alu 0xfffe
	s_delay_alu instid0(VALU_DEP_1) | instskip(SKIP_3) | instid1(VALU_DEP_1)
	v_fma_f64 v[75:76], v[71:72], v[75:76], s[40:41]
	s_mov_b32 s40, 0x998ef7b6
	s_mov_b32 s41, 0x3fd99999
	s_wait_alu 0xfffe
	v_fma_f64 v[75:76], v[71:72], v[75:76], s[40:41]
	s_delay_alu instid0(VALU_DEP_1) | instskip(SKIP_2) | instid1(VALU_DEP_3)
	v_fma_f64 v[71:72], v[71:72], v[75:76], s[36:37]
	v_ldexp_f64 v[75:76], v[69:70], 1
	v_add_f64_e64 v[69:70], v[69:70], -v[73:74]
	v_mul_f64_e32 v[71:72], v[77:78], v[71:72]
	v_cvt_f64_i32_e32 v[77:78], v107
	s_delay_alu instid0(VALU_DEP_3) | instskip(NEXT) | instid1(VALU_DEP_3)
	v_add_f64_e64 v[9:10], v[9:10], -v[69:70]
	v_add_f64_e32 v[73:74], v[75:76], v[71:72]
	s_delay_alu instid0(VALU_DEP_3) | instskip(NEXT) | instid1(VALU_DEP_3)
	v_mul_f64_e32 v[79:80], s[16:17], v[77:78]
	v_ldexp_f64 v[9:10], v[9:10], 1
	s_delay_alu instid0(VALU_DEP_3) | instskip(NEXT) | instid1(VALU_DEP_3)
	v_add_f64_e64 v[69:70], v[73:74], -v[75:76]
	v_fma_f64 v[75:76], v[77:78], s[16:17], -v[79:80]
	v_cmp_ngt_f64_e64 s16, -1.0, v[5:6]
	s_delay_alu instid0(VALU_DEP_3) | instskip(NEXT) | instid1(VALU_DEP_3)
	v_add_f64_e64 v[69:70], v[71:72], -v[69:70]
	v_fma_f64 v[71:72], v[77:78], s[18:19], v[75:76]
	s_delay_alu instid0(VALU_DEP_2) | instskip(NEXT) | instid1(VALU_DEP_2)
	v_add_f64_e32 v[9:10], v[9:10], v[69:70]
	v_add_f64_e32 v[69:70], v[79:80], v[71:72]
	s_delay_alu instid0(VALU_DEP_2) | instskip(NEXT) | instid1(VALU_DEP_2)
	v_add_f64_e32 v[75:76], v[73:74], v[9:10]
	v_add_f64_e64 v[79:80], v[69:70], -v[79:80]
	s_delay_alu instid0(VALU_DEP_2) | instskip(SKIP_1) | instid1(VALU_DEP_3)
	v_add_f64_e32 v[77:78], v[69:70], v[75:76]
	v_add_f64_e64 v[73:74], v[75:76], -v[73:74]
	v_add_f64_e64 v[71:72], v[71:72], -v[79:80]
	s_delay_alu instid0(VALU_DEP_3) | instskip(NEXT) | instid1(VALU_DEP_3)
	v_add_f64_e64 v[81:82], v[77:78], -v[69:70]
	v_add_f64_e64 v[9:10], v[9:10], -v[73:74]
	s_delay_alu instid0(VALU_DEP_2) | instskip(SKIP_1) | instid1(VALU_DEP_3)
	v_add_f64_e64 v[101:102], v[77:78], -v[81:82]
	v_add_f64_e64 v[73:74], v[75:76], -v[81:82]
	v_add_f64_e32 v[75:76], v[71:72], v[9:10]
	s_delay_alu instid0(VALU_DEP_3) | instskip(NEXT) | instid1(VALU_DEP_1)
	v_add_f64_e64 v[69:70], v[69:70], -v[101:102]
	v_add_f64_e32 v[69:70], v[73:74], v[69:70]
	s_delay_alu instid0(VALU_DEP_3) | instskip(NEXT) | instid1(VALU_DEP_2)
	v_add_f64_e64 v[73:74], v[75:76], -v[71:72]
	v_add_f64_e32 v[69:70], v[75:76], v[69:70]
	s_delay_alu instid0(VALU_DEP_2) | instskip(SKIP_1) | instid1(VALU_DEP_3)
	v_add_f64_e64 v[75:76], v[75:76], -v[73:74]
	v_add_f64_e64 v[9:10], v[9:10], -v[73:74]
	v_add_f64_e32 v[79:80], v[77:78], v[69:70]
	s_delay_alu instid0(VALU_DEP_3) | instskip(NEXT) | instid1(VALU_DEP_2)
	v_add_f64_e64 v[71:72], v[71:72], -v[75:76]
	v_add_f64_e64 v[73:74], v[79:80], -v[77:78]
	s_delay_alu instid0(VALU_DEP_2) | instskip(NEXT) | instid1(VALU_DEP_2)
	v_add_f64_e32 v[9:10], v[9:10], v[71:72]
	v_add_f64_e64 v[69:70], v[69:70], -v[73:74]
	s_delay_alu instid0(VALU_DEP_1) | instskip(NEXT) | instid1(VALU_DEP_1)
	v_add_f64_e32 v[9:10], v[9:10], v[69:70]
	v_add_f64_e32 v[9:10], v[79:80], v[9:10]
	s_delay_alu instid0(VALU_DEP_1) | instskip(SKIP_1) | instid1(VALU_DEP_3)
	v_cndmask_b32_e32 v9, 0, v9, vcc_lo
	v_cmp_neq_f64_e32 vcc_lo, -1.0, v[5:6]
	v_cndmask_b32_e64 v10, 0x7ff00000, v10, s15
	s_wait_alu 0xf1ff
	s_delay_alu instid0(VALU_DEP_1) | instskip(SKIP_1) | instid1(VALU_DEP_1)
	v_cndmask_b32_e64 v10, 0x7ff80000, v10, s16
	s_wait_alu 0xfffd
	v_cndmask_b32_e32 v10, 0xfff00000, v10, vcc_lo
	s_delay_alu instid0(VALU_DEP_1)
	v_add_f64_e32 v[5:6], v[7:8], v[9:10]
.LBB6_161:
	s_wait_alu 0xfffe
	s_or_b32 exec_lo, exec_lo, s38
	s_delay_alu instid0(VALU_DEP_1) | instskip(SKIP_1) | instid1(VALU_DEP_2)
	v_max_num_f64_e32 v[7:8], v[5:6], v[5:6]
	v_cmp_u_f64_e32 vcc_lo, v[5:6], v[5:6]
	v_min_num_f64_e32 v[9:10], v[7:8], v[65:66]
	v_max_num_f64_e32 v[7:8], v[7:8], v[65:66]
	s_wait_alu 0xfffd
	s_delay_alu instid0(VALU_DEP_2) | instskip(NEXT) | instid1(VALU_DEP_2)
	v_dual_cndmask_b32 v9, v9, v5 :: v_dual_cndmask_b32 v10, v10, v6
	v_dual_cndmask_b32 v8, v8, v6 :: v_dual_cndmask_b32 v7, v7, v5
	s_delay_alu instid0(VALU_DEP_2) | instskip(NEXT) | instid1(VALU_DEP_3)
	v_cndmask_b32_e64 v69, v9, v3, s0
	v_cndmask_b32_e64 v70, v10, v4, s0
	s_delay_alu instid0(VALU_DEP_3) | instskip(NEXT) | instid1(VALU_DEP_4)
	v_cndmask_b32_e64 v10, v8, v4, s0
	v_cndmask_b32_e64 v9, v7, v3, s0
	v_dual_mov_b32 v8, v6 :: v_dual_mov_b32 v7, v5
	s_delay_alu instid0(VALU_DEP_4) | instskip(NEXT) | instid1(VALU_DEP_3)
	v_cmp_class_f64_e64 s0, v[69:70], 0x1f8
	v_cmp_neq_f64_e32 vcc_lo, v[69:70], v[9:10]
	s_or_b32 s0, vcc_lo, s0
	s_wait_alu 0xfffe
	s_and_saveexec_b32 s38, s0
	s_cbranch_execz .LBB6_163
; %bb.162:
	v_add_f64_e64 v[7:8], v[69:70], -v[9:10]
	s_mov_b32 s16, 0x652b82fe
	s_mov_b32 s17, 0x3ff71547
	s_mov_b32 s19, 0xbc7abc9e
	s_mov_b32 s18, 0x3b39803f
	s_mov_b32 s36, 0xfca7ab0c
	s_mov_b32 s40, 0x6a5dcb37
	s_mov_b32 s37, 0x3e928af3
	s_mov_b32 s41, 0x3e5ade15
	s_mov_b32 s42, 0xbf559e2b
	s_mov_b32 s43, 0x3fc3ab76
	s_wait_alu 0xfffe
	s_delay_alu instid0(VALU_DEP_1) | instskip(SKIP_4) | instid1(VALU_DEP_3)
	v_mul_f64_e32 v[69:70], s[16:17], v[7:8]
	s_mov_b32 s17, 0xbfe62e42
	s_mov_b32 s16, 0xfefa39ef
	v_cmp_nlt_f64_e32 vcc_lo, 0x40900000, v[7:8]
	v_cmp_ngt_f64_e64 s0, 0xc090cc00, v[7:8]
	v_rndne_f64_e32 v[69:70], v[69:70]
	s_wait_alu 0xfffe
	s_delay_alu instid0(VALU_DEP_1) | instskip(SKIP_2) | instid1(VALU_DEP_2)
	v_fma_f64 v[71:72], v[69:70], s[16:17], v[7:8]
	v_cvt_i32_f64_e32 v75, v[69:70]
	s_mov_b32 s17, 0x3fe62e42
	v_fma_f64 v[71:72], v[69:70], s[18:19], v[71:72]
	s_mov_b32 s19, 0x3c7abc9e
	s_delay_alu instid0(VALU_DEP_1)
	v_fma_f64 v[73:74], v[71:72], s[40:41], s[36:37]
	s_mov_b32 s36, 0x623fde64
	s_mov_b32 s37, 0x3ec71dee
	;; [unrolled: 1-line block ×4, first 2 shown]
	s_wait_alu 0xfffe
	s_delay_alu instid0(VALU_DEP_1) | instskip(SKIP_3) | instid1(VALU_DEP_1)
	v_fma_f64 v[73:74], v[71:72], v[73:74], s[36:37]
	s_mov_b32 s36, 0x7c89e6b0
	s_mov_b32 s37, 0x3efa0199
	s_wait_alu 0xfffe
	v_fma_f64 v[73:74], v[71:72], v[73:74], s[36:37]
	s_mov_b32 s36, 0x14761f6e
	s_mov_b32 s37, 0x3f2a01a0
	s_wait_alu 0xfffe
	s_delay_alu instid0(VALU_DEP_1) | instskip(SKIP_3) | instid1(VALU_DEP_1)
	v_fma_f64 v[73:74], v[71:72], v[73:74], s[36:37]
	s_mov_b32 s36, 0x1852b7b0
	s_mov_b32 s37, 0x3f56c16c
	s_wait_alu 0xfffe
	v_fma_f64 v[73:74], v[71:72], v[73:74], s[36:37]
	s_mov_b32 s36, 0x11122322
	s_mov_b32 s37, 0x3f811111
	;; [unrolled: 9-line block ×4, first 2 shown]
	s_delay_alu instid0(VALU_DEP_1) | instskip(NEXT) | instid1(VALU_DEP_1)
	v_fma_f64 v[73:74], v[71:72], v[73:74], 1.0
	v_fma_f64 v[69:70], v[71:72], v[73:74], 1.0
	s_delay_alu instid0(VALU_DEP_1) | instskip(SKIP_1) | instid1(VALU_DEP_1)
	v_ldexp_f64 v[69:70], v[69:70], v75
	s_wait_alu 0xfffd
	v_cndmask_b32_e32 v70, 0x7ff00000, v70, vcc_lo
	s_and_b32 vcc_lo, s0, vcc_lo
	s_wait_alu 0xfffe
	s_delay_alu instid0(VALU_DEP_2) | instskip(NEXT) | instid1(VALU_DEP_2)
	v_cndmask_b32_e32 v7, 0, v69, vcc_lo
	v_cndmask_b32_e64 v8, 0, v70, s0
	s_delay_alu instid0(VALU_DEP_1) | instskip(SKIP_2) | instid1(VALU_DEP_3)
	v_add_f64_e32 v[69:70], 1.0, v[7:8]
	v_cmp_neq_f64_e64 s0, 0x7ff00000, v[7:8]
	v_cmp_ngt_f64_e64 s15, -1.0, v[7:8]
	v_frexp_mant_f64_e32 v[71:72], v[69:70]
	v_frexp_exp_i32_f64_e32 v75, v[69:70]
	v_add_f64_e32 v[73:74], -1.0, v[69:70]
	s_delay_alu instid0(VALU_DEP_3) | instskip(SKIP_1) | instid1(VALU_DEP_2)
	v_cmp_gt_f64_e32 vcc_lo, s[36:37], v[71:72]
	s_mov_b32 s36, 0x55555780
	v_add_f64_e64 v[71:72], v[73:74], -v[69:70]
	v_add_f64_e64 v[73:74], v[7:8], -v[73:74]
	s_wait_alu 0xfffd
	v_subrev_co_ci_u32_e64 v109, null, 0, v75, vcc_lo
	s_delay_alu instid0(VALU_DEP_3) | instskip(SKIP_1) | instid1(VALU_DEP_3)
	v_add_f64_e32 v[71:72], 1.0, v[71:72]
	v_cmp_nge_f64_e32 vcc_lo, -1.0, v[7:8]
	v_sub_nc_u32_e32 v77, 0, v109
	s_delay_alu instid0(VALU_DEP_1) | instskip(NEXT) | instid1(VALU_DEP_4)
	v_ldexp_f64 v[69:70], v[69:70], v77
	v_add_f64_e32 v[71:72], v[73:74], v[71:72]
	s_and_b32 vcc_lo, vcc_lo, s0
	s_delay_alu instid0(VALU_DEP_2) | instskip(SKIP_1) | instid1(VALU_DEP_3)
	v_add_f64_e32 v[75:76], 1.0, v[69:70]
	v_add_f64_e32 v[81:82], -1.0, v[69:70]
	v_ldexp_f64 v[71:72], v[71:72], v77
	s_delay_alu instid0(VALU_DEP_3) | instskip(NEXT) | instid1(VALU_DEP_3)
	v_add_f64_e32 v[73:74], -1.0, v[75:76]
	v_add_f64_e32 v[101:102], 1.0, v[81:82]
	s_delay_alu instid0(VALU_DEP_2) | instskip(NEXT) | instid1(VALU_DEP_2)
	v_add_f64_e64 v[73:74], v[69:70], -v[73:74]
	v_add_f64_e64 v[69:70], v[69:70], -v[101:102]
	s_delay_alu instid0(VALU_DEP_2) | instskip(NEXT) | instid1(VALU_DEP_2)
	v_add_f64_e32 v[73:74], v[71:72], v[73:74]
	v_add_f64_e32 v[69:70], v[71:72], v[69:70]
	s_delay_alu instid0(VALU_DEP_2) | instskip(NEXT) | instid1(VALU_DEP_2)
	v_add_f64_e32 v[77:78], v[75:76], v[73:74]
	v_add_f64_e32 v[101:102], v[81:82], v[69:70]
	s_delay_alu instid0(VALU_DEP_2) | instskip(SKIP_1) | instid1(VALU_DEP_2)
	v_rcp_f64_e32 v[79:80], v[77:78]
	v_add_f64_e64 v[75:76], v[77:78], -v[75:76]
	v_add_f64_e64 v[81:82], v[101:102], -v[81:82]
	s_delay_alu instid0(VALU_DEP_2) | instskip(NEXT) | instid1(TRANS32_DEP_1)
	v_add_f64_e64 v[73:74], v[73:74], -v[75:76]
	v_fma_f64 v[103:104], -v[77:78], v[79:80], 1.0
	s_delay_alu instid0(VALU_DEP_3) | instskip(NEXT) | instid1(VALU_DEP_2)
	v_add_f64_e64 v[69:70], v[69:70], -v[81:82]
	v_fma_f64 v[79:80], v[103:104], v[79:80], v[79:80]
	s_delay_alu instid0(VALU_DEP_1) | instskip(NEXT) | instid1(VALU_DEP_1)
	v_fma_f64 v[71:72], -v[77:78], v[79:80], 1.0
	v_fma_f64 v[71:72], v[71:72], v[79:80], v[79:80]
	s_delay_alu instid0(VALU_DEP_1) | instskip(NEXT) | instid1(VALU_DEP_1)
	v_mul_f64_e32 v[79:80], v[101:102], v[71:72]
	v_mul_f64_e32 v[103:104], v[77:78], v[79:80]
	s_delay_alu instid0(VALU_DEP_1) | instskip(NEXT) | instid1(VALU_DEP_1)
	v_fma_f64 v[75:76], v[79:80], v[77:78], -v[103:104]
	v_fma_f64 v[75:76], v[79:80], v[73:74], v[75:76]
	s_delay_alu instid0(VALU_DEP_1) | instskip(NEXT) | instid1(VALU_DEP_1)
	v_add_f64_e32 v[105:106], v[103:104], v[75:76]
	v_add_f64_e64 v[107:108], v[101:102], -v[105:106]
	v_add_f64_e64 v[81:82], v[105:106], -v[103:104]
	s_delay_alu instid0(VALU_DEP_2) | instskip(NEXT) | instid1(VALU_DEP_2)
	v_add_f64_e64 v[101:102], v[101:102], -v[107:108]
	v_add_f64_e64 v[75:76], v[81:82], -v[75:76]
	s_delay_alu instid0(VALU_DEP_2) | instskip(NEXT) | instid1(VALU_DEP_1)
	v_add_f64_e64 v[101:102], v[101:102], -v[105:106]
	v_add_f64_e32 v[69:70], v[69:70], v[101:102]
	s_delay_alu instid0(VALU_DEP_1) | instskip(NEXT) | instid1(VALU_DEP_1)
	v_add_f64_e32 v[69:70], v[75:76], v[69:70]
	v_add_f64_e32 v[75:76], v[107:108], v[69:70]
	s_delay_alu instid0(VALU_DEP_1) | instskip(SKIP_1) | instid1(VALU_DEP_2)
	v_mul_f64_e32 v[81:82], v[71:72], v[75:76]
	v_add_f64_e64 v[105:106], v[107:108], -v[75:76]
	v_mul_f64_e32 v[101:102], v[77:78], v[81:82]
	s_delay_alu instid0(VALU_DEP_2) | instskip(NEXT) | instid1(VALU_DEP_2)
	v_add_f64_e32 v[69:70], v[69:70], v[105:106]
	v_fma_f64 v[77:78], v[81:82], v[77:78], -v[101:102]
	s_delay_alu instid0(VALU_DEP_1) | instskip(NEXT) | instid1(VALU_DEP_1)
	v_fma_f64 v[73:74], v[81:82], v[73:74], v[77:78]
	v_add_f64_e32 v[77:78], v[101:102], v[73:74]
	s_delay_alu instid0(VALU_DEP_1) | instskip(SKIP_1) | instid1(VALU_DEP_2)
	v_add_f64_e64 v[103:104], v[75:76], -v[77:78]
	v_add_f64_e64 v[101:102], v[77:78], -v[101:102]
	;; [unrolled: 1-line block ×3, first 2 shown]
	s_delay_alu instid0(VALU_DEP_2) | instskip(NEXT) | instid1(VALU_DEP_2)
	v_add_f64_e64 v[73:74], v[101:102], -v[73:74]
	v_add_f64_e64 v[75:76], v[75:76], -v[77:78]
	s_delay_alu instid0(VALU_DEP_1) | instskip(SKIP_1) | instid1(VALU_DEP_2)
	v_add_f64_e32 v[69:70], v[69:70], v[75:76]
	v_add_f64_e32 v[75:76], v[79:80], v[81:82]
	;; [unrolled: 1-line block ×3, first 2 shown]
	s_delay_alu instid0(VALU_DEP_2) | instskip(NEXT) | instid1(VALU_DEP_2)
	v_add_f64_e64 v[73:74], v[75:76], -v[79:80]
	v_add_f64_e32 v[69:70], v[103:104], v[69:70]
	s_delay_alu instid0(VALU_DEP_2) | instskip(NEXT) | instid1(VALU_DEP_2)
	v_add_f64_e64 v[73:74], v[81:82], -v[73:74]
	v_mul_f64_e32 v[69:70], v[71:72], v[69:70]
	s_delay_alu instid0(VALU_DEP_1) | instskip(NEXT) | instid1(VALU_DEP_1)
	v_add_f64_e32 v[69:70], v[73:74], v[69:70]
	v_add_f64_e32 v[71:72], v[75:76], v[69:70]
	s_delay_alu instid0(VALU_DEP_1) | instskip(NEXT) | instid1(VALU_DEP_1)
	v_mul_f64_e32 v[73:74], v[71:72], v[71:72]
	v_fma_f64 v[77:78], v[73:74], s[42:43], s[40:41]
	s_mov_b32 s40, 0xd7f4df2e
	s_mov_b32 s41, 0x3fc7474d
	v_mul_f64_e32 v[79:80], v[71:72], v[73:74]
	s_wait_alu 0xfffe
	s_delay_alu instid0(VALU_DEP_2) | instskip(SKIP_3) | instid1(VALU_DEP_1)
	v_fma_f64 v[77:78], v[73:74], v[77:78], s[40:41]
	s_mov_b32 s40, 0x16291751
	s_mov_b32 s41, 0x3fcc71c0
	s_wait_alu 0xfffe
	v_fma_f64 v[77:78], v[73:74], v[77:78], s[40:41]
	s_mov_b32 s40, 0x9b27acf1
	s_mov_b32 s41, 0x3fd24924
	s_wait_alu 0xfffe
	s_delay_alu instid0(VALU_DEP_1) | instskip(SKIP_3) | instid1(VALU_DEP_1)
	v_fma_f64 v[77:78], v[73:74], v[77:78], s[40:41]
	s_mov_b32 s40, 0x998ef7b6
	s_mov_b32 s41, 0x3fd99999
	s_wait_alu 0xfffe
	v_fma_f64 v[77:78], v[73:74], v[77:78], s[40:41]
	s_delay_alu instid0(VALU_DEP_1) | instskip(SKIP_2) | instid1(VALU_DEP_3)
	v_fma_f64 v[73:74], v[73:74], v[77:78], s[36:37]
	v_ldexp_f64 v[77:78], v[71:72], 1
	v_add_f64_e64 v[71:72], v[71:72], -v[75:76]
	v_mul_f64_e32 v[73:74], v[79:80], v[73:74]
	v_cvt_f64_i32_e32 v[79:80], v109
	s_delay_alu instid0(VALU_DEP_3) | instskip(NEXT) | instid1(VALU_DEP_3)
	v_add_f64_e64 v[69:70], v[69:70], -v[71:72]
	v_add_f64_e32 v[75:76], v[77:78], v[73:74]
	s_delay_alu instid0(VALU_DEP_3) | instskip(NEXT) | instid1(VALU_DEP_3)
	v_mul_f64_e32 v[81:82], s[16:17], v[79:80]
	v_ldexp_f64 v[69:70], v[69:70], 1
	s_delay_alu instid0(VALU_DEP_3) | instskip(NEXT) | instid1(VALU_DEP_3)
	v_add_f64_e64 v[71:72], v[75:76], -v[77:78]
	v_fma_f64 v[77:78], v[79:80], s[16:17], -v[81:82]
	s_delay_alu instid0(VALU_DEP_2) | instskip(NEXT) | instid1(VALU_DEP_2)
	v_add_f64_e64 v[71:72], v[73:74], -v[71:72]
	v_fma_f64 v[73:74], v[79:80], s[18:19], v[77:78]
	s_delay_alu instid0(VALU_DEP_2) | instskip(NEXT) | instid1(VALU_DEP_2)
	v_add_f64_e32 v[69:70], v[69:70], v[71:72]
	v_add_f64_e32 v[71:72], v[81:82], v[73:74]
	s_delay_alu instid0(VALU_DEP_2) | instskip(NEXT) | instid1(VALU_DEP_2)
	v_add_f64_e32 v[77:78], v[75:76], v[69:70]
	v_add_f64_e64 v[81:82], v[71:72], -v[81:82]
	s_delay_alu instid0(VALU_DEP_2) | instskip(SKIP_1) | instid1(VALU_DEP_3)
	v_add_f64_e32 v[79:80], v[71:72], v[77:78]
	v_add_f64_e64 v[75:76], v[77:78], -v[75:76]
	v_add_f64_e64 v[73:74], v[73:74], -v[81:82]
	s_delay_alu instid0(VALU_DEP_3) | instskip(NEXT) | instid1(VALU_DEP_3)
	v_add_f64_e64 v[101:102], v[79:80], -v[71:72]
	v_add_f64_e64 v[69:70], v[69:70], -v[75:76]
	s_delay_alu instid0(VALU_DEP_2) | instskip(SKIP_1) | instid1(VALU_DEP_3)
	v_add_f64_e64 v[103:104], v[79:80], -v[101:102]
	v_add_f64_e64 v[75:76], v[77:78], -v[101:102]
	v_add_f64_e32 v[77:78], v[73:74], v[69:70]
	s_delay_alu instid0(VALU_DEP_3) | instskip(NEXT) | instid1(VALU_DEP_1)
	v_add_f64_e64 v[71:72], v[71:72], -v[103:104]
	v_add_f64_e32 v[71:72], v[75:76], v[71:72]
	s_delay_alu instid0(VALU_DEP_3) | instskip(NEXT) | instid1(VALU_DEP_2)
	v_add_f64_e64 v[75:76], v[77:78], -v[73:74]
	v_add_f64_e32 v[71:72], v[77:78], v[71:72]
	s_delay_alu instid0(VALU_DEP_2) | instskip(SKIP_1) | instid1(VALU_DEP_3)
	v_add_f64_e64 v[77:78], v[77:78], -v[75:76]
	v_add_f64_e64 v[69:70], v[69:70], -v[75:76]
	v_add_f64_e32 v[81:82], v[79:80], v[71:72]
	s_delay_alu instid0(VALU_DEP_3) | instskip(NEXT) | instid1(VALU_DEP_2)
	v_add_f64_e64 v[73:74], v[73:74], -v[77:78]
	v_add_f64_e64 v[75:76], v[81:82], -v[79:80]
	s_delay_alu instid0(VALU_DEP_2) | instskip(NEXT) | instid1(VALU_DEP_2)
	v_add_f64_e32 v[69:70], v[69:70], v[73:74]
	v_add_f64_e64 v[71:72], v[71:72], -v[75:76]
	s_delay_alu instid0(VALU_DEP_1) | instskip(NEXT) | instid1(VALU_DEP_1)
	v_add_f64_e32 v[69:70], v[69:70], v[71:72]
	v_add_f64_e32 v[69:70], v[81:82], v[69:70]
	s_delay_alu instid0(VALU_DEP_1) | instskip(SKIP_1) | instid1(VALU_DEP_3)
	v_cndmask_b32_e32 v69, 0, v69, vcc_lo
	v_cmp_neq_f64_e32 vcc_lo, -1.0, v[7:8]
	v_cndmask_b32_e64 v70, 0x7ff00000, v70, s0
	s_delay_alu instid0(VALU_DEP_1) | instskip(SKIP_1) | instid1(VALU_DEP_1)
	v_cndmask_b32_e64 v70, 0x7ff80000, v70, s15
	s_wait_alu 0xfffd
	v_cndmask_b32_e32 v70, 0xfff00000, v70, vcc_lo
	s_delay_alu instid0(VALU_DEP_1)
	v_add_f64_e32 v[7:8], v[9:10], v[69:70]
.LBB6_163:
	s_wait_alu 0xfffe
	s_or_b32 exec_lo, exec_lo, s38
	s_delay_alu instid0(VALU_DEP_1) | instskip(SKIP_1) | instid1(VALU_DEP_2)
	v_max_num_f64_e32 v[9:10], v[7:8], v[7:8]
	v_cmp_u_f64_e32 vcc_lo, v[7:8], v[7:8]
	v_min_num_f64_e32 v[69:70], v[9:10], v[11:12]
	v_max_num_f64_e32 v[9:10], v[9:10], v[11:12]
	s_wait_alu 0xfffd
	s_delay_alu instid0(VALU_DEP_2) | instskip(NEXT) | instid1(VALU_DEP_2)
	v_dual_cndmask_b32 v11, v69, v7 :: v_dual_cndmask_b32 v12, v70, v8
	v_dual_cndmask_b32 v10, v10, v8 :: v_dual_cndmask_b32 v9, v9, v7
	s_delay_alu instid0(VALU_DEP_2) | instskip(NEXT) | instid1(VALU_DEP_3)
	v_cndmask_b32_e64 v69, v11, v61, s1
	v_cndmask_b32_e64 v70, v12, v62, s1
	s_delay_alu instid0(VALU_DEP_3) | instskip(NEXT) | instid1(VALU_DEP_4)
	v_cndmask_b32_e64 v12, v10, v62, s1
	v_cndmask_b32_e64 v11, v9, v61, s1
	v_dual_mov_b32 v10, v8 :: v_dual_mov_b32 v9, v7
	s_delay_alu instid0(VALU_DEP_4) | instskip(NEXT) | instid1(VALU_DEP_3)
	v_cmp_class_f64_e64 s0, v[69:70], 0x1f8
	v_cmp_neq_f64_e32 vcc_lo, v[69:70], v[11:12]
	s_or_b32 s0, vcc_lo, s0
	s_wait_alu 0xfffe
	s_and_saveexec_b32 s15, s0
	s_cbranch_execz .LBB6_165
; %bb.164:
	v_add_f64_e64 v[9:10], v[69:70], -v[11:12]
	s_mov_b32 s0, 0x652b82fe
	s_mov_b32 s1, 0x3ff71547
	;; [unrolled: 1-line block ×10, first 2 shown]
	s_wait_alu 0xfffe
	s_delay_alu instid0(VALU_DEP_1) | instskip(SKIP_3) | instid1(VALU_DEP_2)
	v_mul_f64_e32 v[69:70], s[0:1], v[9:10]
	s_mov_b32 s0, 0xfca7ab0c
	s_mov_b32 s1, 0x3e928af3
	v_cmp_nlt_f64_e32 vcc_lo, 0x40900000, v[9:10]
	v_rndne_f64_e32 v[69:70], v[69:70]
	s_delay_alu instid0(VALU_DEP_1) | instskip(SKIP_2) | instid1(VALU_DEP_2)
	v_fma_f64 v[71:72], v[69:70], s[16:17], v[9:10]
	v_cvt_i32_f64_e32 v75, v[69:70]
	s_mov_b32 s17, 0x3fe62e42
	v_fma_f64 v[71:72], v[69:70], s[18:19], v[71:72]
	s_mov_b32 s19, 0x3c7abc9e
	s_wait_alu 0xfffe
	s_delay_alu instid0(VALU_DEP_1)
	v_fma_f64 v[73:74], v[71:72], s[36:37], s[0:1]
	s_mov_b32 s0, 0x623fde64
	s_mov_b32 s1, 0x3ec71dee
	;; [unrolled: 1-line block ×4, first 2 shown]
	s_wait_alu 0xfffe
	s_delay_alu instid0(VALU_DEP_1) | instskip(SKIP_3) | instid1(VALU_DEP_1)
	v_fma_f64 v[73:74], v[71:72], v[73:74], s[0:1]
	s_mov_b32 s0, 0x7c89e6b0
	s_mov_b32 s1, 0x3efa0199
	s_wait_alu 0xfffe
	v_fma_f64 v[73:74], v[71:72], v[73:74], s[0:1]
	s_mov_b32 s0, 0x14761f6e
	s_mov_b32 s1, 0x3f2a01a0
	s_wait_alu 0xfffe
	s_delay_alu instid0(VALU_DEP_1) | instskip(SKIP_3) | instid1(VALU_DEP_1)
	v_fma_f64 v[73:74], v[71:72], v[73:74], s[0:1]
	s_mov_b32 s0, 0x1852b7b0
	s_mov_b32 s1, 0x3f56c16c
	s_wait_alu 0xfffe
	v_fma_f64 v[73:74], v[71:72], v[73:74], s[0:1]
	s_mov_b32 s0, 0x11122322
	s_mov_b32 s1, 0x3f811111
	s_wait_alu 0xfffe
	s_delay_alu instid0(VALU_DEP_1) | instskip(SKIP_3) | instid1(VALU_DEP_1)
	v_fma_f64 v[73:74], v[71:72], v[73:74], s[0:1]
	s_mov_b32 s0, 0x555502a1
	s_mov_b32 s1, 0x3fa55555
	s_wait_alu 0xfffe
	v_fma_f64 v[73:74], v[71:72], v[73:74], s[0:1]
	s_mov_b32 s0, 0x55555511
	s_mov_b32 s1, 0x3fc55555
	s_wait_alu 0xfffe
	s_delay_alu instid0(VALU_DEP_1) | instskip(SKIP_3) | instid1(VALU_DEP_1)
	v_fma_f64 v[73:74], v[71:72], v[73:74], s[0:1]
	s_mov_b32 s0, 11
	s_mov_b32 s1, 0x3fe00000
	s_wait_alu 0xfffe
	v_fma_f64 v[73:74], v[71:72], v[73:74], s[0:1]
	v_cmp_ngt_f64_e64 s0, 0xc090cc00, v[9:10]
	s_mov_b32 s1, 0x3fe55555
	v_fma_f64 v[73:74], v[71:72], v[73:74], 1.0
	s_delay_alu instid0(VALU_DEP_1) | instskip(NEXT) | instid1(VALU_DEP_1)
	v_fma_f64 v[69:70], v[71:72], v[73:74], 1.0
	v_ldexp_f64 v[69:70], v[69:70], v75
	s_wait_alu 0xfffd
	s_delay_alu instid0(VALU_DEP_1) | instskip(SKIP_2) | instid1(VALU_DEP_2)
	v_cndmask_b32_e32 v70, 0x7ff00000, v70, vcc_lo
	s_and_b32 vcc_lo, s0, vcc_lo
	s_wait_alu 0xfffe
	v_cndmask_b32_e32 v9, 0, v69, vcc_lo
	s_delay_alu instid0(VALU_DEP_2) | instskip(SKIP_1) | instid1(VALU_DEP_1)
	v_cndmask_b32_e64 v10, 0, v70, s0
	s_mov_b32 s0, 0x55555555
	v_add_f64_e32 v[69:70], 1.0, v[9:10]
	s_delay_alu instid0(VALU_DEP_1) | instskip(SKIP_3) | instid1(VALU_DEP_3)
	v_frexp_mant_f64_e32 v[71:72], v[69:70]
	v_frexp_exp_i32_f64_e32 v75, v[69:70]
	v_add_f64_e32 v[73:74], -1.0, v[69:70]
	s_wait_alu 0xfffe
	v_cmp_gt_f64_e32 vcc_lo, s[0:1], v[71:72]
	s_mov_b32 s0, 0x55555780
	s_delay_alu instid0(VALU_DEP_2) | instskip(SKIP_3) | instid1(VALU_DEP_3)
	v_add_f64_e64 v[71:72], v[73:74], -v[69:70]
	v_add_f64_e64 v[73:74], v[9:10], -v[73:74]
	s_wait_alu 0xfffd
	v_subrev_co_ci_u32_e64 v109, null, 0, v75, vcc_lo
	v_add_f64_e32 v[71:72], 1.0, v[71:72]
	v_cmp_nge_f64_e32 vcc_lo, -1.0, v[9:10]
	s_delay_alu instid0(VALU_DEP_3) | instskip(NEXT) | instid1(VALU_DEP_1)
	v_sub_nc_u32_e32 v77, 0, v109
	v_ldexp_f64 v[69:70], v[69:70], v77
	s_delay_alu instid0(VALU_DEP_4) | instskip(NEXT) | instid1(VALU_DEP_2)
	v_add_f64_e32 v[71:72], v[73:74], v[71:72]
	v_add_f64_e32 v[75:76], 1.0, v[69:70]
	v_add_f64_e32 v[81:82], -1.0, v[69:70]
	s_delay_alu instid0(VALU_DEP_3) | instskip(NEXT) | instid1(VALU_DEP_3)
	v_ldexp_f64 v[71:72], v[71:72], v77
	v_add_f64_e32 v[73:74], -1.0, v[75:76]
	s_delay_alu instid0(VALU_DEP_3) | instskip(NEXT) | instid1(VALU_DEP_2)
	v_add_f64_e32 v[101:102], 1.0, v[81:82]
	v_add_f64_e64 v[73:74], v[69:70], -v[73:74]
	s_delay_alu instid0(VALU_DEP_2) | instskip(NEXT) | instid1(VALU_DEP_2)
	v_add_f64_e64 v[69:70], v[69:70], -v[101:102]
	v_add_f64_e32 v[73:74], v[71:72], v[73:74]
	s_delay_alu instid0(VALU_DEP_2) | instskip(NEXT) | instid1(VALU_DEP_2)
	v_add_f64_e32 v[69:70], v[71:72], v[69:70]
	v_add_f64_e32 v[77:78], v[75:76], v[73:74]
	s_delay_alu instid0(VALU_DEP_2) | instskip(NEXT) | instid1(VALU_DEP_2)
	v_add_f64_e32 v[101:102], v[81:82], v[69:70]
	v_rcp_f64_e32 v[79:80], v[77:78]
	v_add_f64_e64 v[75:76], v[77:78], -v[75:76]
	s_delay_alu instid0(VALU_DEP_2) | instskip(NEXT) | instid1(VALU_DEP_2)
	v_add_f64_e64 v[81:82], v[101:102], -v[81:82]
	v_add_f64_e64 v[73:74], v[73:74], -v[75:76]
	s_delay_alu instid0(TRANS32_DEP_1) | instskip(NEXT) | instid1(VALU_DEP_3)
	v_fma_f64 v[103:104], -v[77:78], v[79:80], 1.0
	v_add_f64_e64 v[69:70], v[69:70], -v[81:82]
	s_delay_alu instid0(VALU_DEP_2) | instskip(NEXT) | instid1(VALU_DEP_1)
	v_fma_f64 v[79:80], v[103:104], v[79:80], v[79:80]
	v_fma_f64 v[71:72], -v[77:78], v[79:80], 1.0
	s_delay_alu instid0(VALU_DEP_1) | instskip(NEXT) | instid1(VALU_DEP_1)
	v_fma_f64 v[71:72], v[71:72], v[79:80], v[79:80]
	v_mul_f64_e32 v[79:80], v[101:102], v[71:72]
	s_delay_alu instid0(VALU_DEP_1) | instskip(NEXT) | instid1(VALU_DEP_1)
	v_mul_f64_e32 v[103:104], v[77:78], v[79:80]
	v_fma_f64 v[75:76], v[79:80], v[77:78], -v[103:104]
	s_delay_alu instid0(VALU_DEP_1) | instskip(NEXT) | instid1(VALU_DEP_1)
	v_fma_f64 v[75:76], v[79:80], v[73:74], v[75:76]
	v_add_f64_e32 v[105:106], v[103:104], v[75:76]
	s_delay_alu instid0(VALU_DEP_1) | instskip(SKIP_1) | instid1(VALU_DEP_2)
	v_add_f64_e64 v[107:108], v[101:102], -v[105:106]
	v_add_f64_e64 v[81:82], v[105:106], -v[103:104]
	;; [unrolled: 1-line block ×3, first 2 shown]
	s_delay_alu instid0(VALU_DEP_2) | instskip(NEXT) | instid1(VALU_DEP_2)
	v_add_f64_e64 v[75:76], v[81:82], -v[75:76]
	v_add_f64_e64 v[101:102], v[101:102], -v[105:106]
	s_delay_alu instid0(VALU_DEP_1) | instskip(NEXT) | instid1(VALU_DEP_1)
	v_add_f64_e32 v[69:70], v[69:70], v[101:102]
	v_add_f64_e32 v[69:70], v[75:76], v[69:70]
	s_delay_alu instid0(VALU_DEP_1) | instskip(NEXT) | instid1(VALU_DEP_1)
	v_add_f64_e32 v[75:76], v[107:108], v[69:70]
	v_mul_f64_e32 v[81:82], v[71:72], v[75:76]
	v_add_f64_e64 v[105:106], v[107:108], -v[75:76]
	s_delay_alu instid0(VALU_DEP_2) | instskip(NEXT) | instid1(VALU_DEP_2)
	v_mul_f64_e32 v[101:102], v[77:78], v[81:82]
	v_add_f64_e32 v[69:70], v[69:70], v[105:106]
	s_delay_alu instid0(VALU_DEP_2) | instskip(NEXT) | instid1(VALU_DEP_1)
	v_fma_f64 v[77:78], v[81:82], v[77:78], -v[101:102]
	v_fma_f64 v[73:74], v[81:82], v[73:74], v[77:78]
	s_delay_alu instid0(VALU_DEP_1) | instskip(NEXT) | instid1(VALU_DEP_1)
	v_add_f64_e32 v[77:78], v[101:102], v[73:74]
	v_add_f64_e64 v[103:104], v[75:76], -v[77:78]
	v_add_f64_e64 v[101:102], v[77:78], -v[101:102]
	s_delay_alu instid0(VALU_DEP_2) | instskip(NEXT) | instid1(VALU_DEP_2)
	v_add_f64_e64 v[75:76], v[75:76], -v[103:104]
	v_add_f64_e64 v[73:74], v[101:102], -v[73:74]
	s_delay_alu instid0(VALU_DEP_2) | instskip(NEXT) | instid1(VALU_DEP_1)
	v_add_f64_e64 v[75:76], v[75:76], -v[77:78]
	v_add_f64_e32 v[69:70], v[69:70], v[75:76]
	v_add_f64_e32 v[75:76], v[79:80], v[81:82]
	s_delay_alu instid0(VALU_DEP_2) | instskip(NEXT) | instid1(VALU_DEP_2)
	v_add_f64_e32 v[69:70], v[73:74], v[69:70]
	v_add_f64_e64 v[73:74], v[75:76], -v[79:80]
	s_delay_alu instid0(VALU_DEP_2) | instskip(NEXT) | instid1(VALU_DEP_2)
	v_add_f64_e32 v[69:70], v[103:104], v[69:70]
	v_add_f64_e64 v[73:74], v[81:82], -v[73:74]
	s_delay_alu instid0(VALU_DEP_2) | instskip(NEXT) | instid1(VALU_DEP_1)
	v_mul_f64_e32 v[69:70], v[71:72], v[69:70]
	v_add_f64_e32 v[69:70], v[73:74], v[69:70]
	s_delay_alu instid0(VALU_DEP_1) | instskip(NEXT) | instid1(VALU_DEP_1)
	v_add_f64_e32 v[71:72], v[75:76], v[69:70]
	v_mul_f64_e32 v[73:74], v[71:72], v[71:72]
	s_delay_alu instid0(VALU_DEP_1) | instskip(SKIP_4) | instid1(VALU_DEP_2)
	v_fma_f64 v[77:78], v[73:74], s[38:39], s[36:37]
	s_mov_b32 s36, 0xd7f4df2e
	s_mov_b32 s37, 0x3fc7474d
	v_mul_f64_e32 v[79:80], v[71:72], v[73:74]
	s_wait_alu 0xfffe
	v_fma_f64 v[77:78], v[73:74], v[77:78], s[36:37]
	s_mov_b32 s36, 0x16291751
	s_mov_b32 s37, 0x3fcc71c0
	s_wait_alu 0xfffe
	s_delay_alu instid0(VALU_DEP_1) | instskip(SKIP_3) | instid1(VALU_DEP_1)
	v_fma_f64 v[77:78], v[73:74], v[77:78], s[36:37]
	s_mov_b32 s36, 0x9b27acf1
	s_mov_b32 s37, 0x3fd24924
	s_wait_alu 0xfffe
	v_fma_f64 v[77:78], v[73:74], v[77:78], s[36:37]
	s_mov_b32 s36, 0x998ef7b6
	s_mov_b32 s37, 0x3fd99999
	s_wait_alu 0xfffe
	s_delay_alu instid0(VALU_DEP_1) | instskip(NEXT) | instid1(VALU_DEP_1)
	v_fma_f64 v[77:78], v[73:74], v[77:78], s[36:37]
	v_fma_f64 v[73:74], v[73:74], v[77:78], s[0:1]
	v_ldexp_f64 v[77:78], v[71:72], 1
	v_add_f64_e64 v[71:72], v[71:72], -v[75:76]
	v_cmp_neq_f64_e64 s0, 0x7ff00000, v[9:10]
	v_cmp_ngt_f64_e64 s1, -1.0, v[9:10]
	v_mul_f64_e32 v[73:74], v[79:80], v[73:74]
	v_cvt_f64_i32_e32 v[79:80], v109
	v_add_f64_e64 v[69:70], v[69:70], -v[71:72]
	s_and_b32 vcc_lo, vcc_lo, s0
	s_delay_alu instid0(VALU_DEP_3) | instskip(NEXT) | instid1(VALU_DEP_3)
	v_add_f64_e32 v[75:76], v[77:78], v[73:74]
	v_mul_f64_e32 v[81:82], s[16:17], v[79:80]
	s_delay_alu instid0(VALU_DEP_3) | instskip(NEXT) | instid1(VALU_DEP_3)
	v_ldexp_f64 v[69:70], v[69:70], 1
	v_add_f64_e64 v[71:72], v[75:76], -v[77:78]
	s_delay_alu instid0(VALU_DEP_3) | instskip(NEXT) | instid1(VALU_DEP_2)
	v_fma_f64 v[77:78], v[79:80], s[16:17], -v[81:82]
	v_add_f64_e64 v[71:72], v[73:74], -v[71:72]
	s_delay_alu instid0(VALU_DEP_2) | instskip(NEXT) | instid1(VALU_DEP_2)
	v_fma_f64 v[73:74], v[79:80], s[18:19], v[77:78]
	v_add_f64_e32 v[69:70], v[69:70], v[71:72]
	s_delay_alu instid0(VALU_DEP_2) | instskip(NEXT) | instid1(VALU_DEP_2)
	v_add_f64_e32 v[71:72], v[81:82], v[73:74]
	v_add_f64_e32 v[77:78], v[75:76], v[69:70]
	s_delay_alu instid0(VALU_DEP_2) | instskip(NEXT) | instid1(VALU_DEP_2)
	v_add_f64_e64 v[81:82], v[71:72], -v[81:82]
	v_add_f64_e32 v[79:80], v[71:72], v[77:78]
	v_add_f64_e64 v[75:76], v[77:78], -v[75:76]
	s_delay_alu instid0(VALU_DEP_3) | instskip(NEXT) | instid1(VALU_DEP_3)
	v_add_f64_e64 v[73:74], v[73:74], -v[81:82]
	v_add_f64_e64 v[101:102], v[79:80], -v[71:72]
	s_delay_alu instid0(VALU_DEP_3) | instskip(NEXT) | instid1(VALU_DEP_2)
	v_add_f64_e64 v[69:70], v[69:70], -v[75:76]
	v_add_f64_e64 v[103:104], v[79:80], -v[101:102]
	;; [unrolled: 1-line block ×3, first 2 shown]
	s_delay_alu instid0(VALU_DEP_3) | instskip(NEXT) | instid1(VALU_DEP_3)
	v_add_f64_e32 v[77:78], v[73:74], v[69:70]
	v_add_f64_e64 v[71:72], v[71:72], -v[103:104]
	s_delay_alu instid0(VALU_DEP_1) | instskip(NEXT) | instid1(VALU_DEP_3)
	v_add_f64_e32 v[71:72], v[75:76], v[71:72]
	v_add_f64_e64 v[75:76], v[77:78], -v[73:74]
	s_delay_alu instid0(VALU_DEP_2) | instskip(NEXT) | instid1(VALU_DEP_2)
	v_add_f64_e32 v[71:72], v[77:78], v[71:72]
	v_add_f64_e64 v[77:78], v[77:78], -v[75:76]
	v_add_f64_e64 v[69:70], v[69:70], -v[75:76]
	s_delay_alu instid0(VALU_DEP_3) | instskip(NEXT) | instid1(VALU_DEP_3)
	v_add_f64_e32 v[81:82], v[79:80], v[71:72]
	v_add_f64_e64 v[73:74], v[73:74], -v[77:78]
	s_delay_alu instid0(VALU_DEP_2) | instskip(NEXT) | instid1(VALU_DEP_2)
	v_add_f64_e64 v[75:76], v[81:82], -v[79:80]
	v_add_f64_e32 v[69:70], v[69:70], v[73:74]
	s_delay_alu instid0(VALU_DEP_2) | instskip(NEXT) | instid1(VALU_DEP_1)
	v_add_f64_e64 v[71:72], v[71:72], -v[75:76]
	v_add_f64_e32 v[69:70], v[69:70], v[71:72]
	s_delay_alu instid0(VALU_DEP_1) | instskip(SKIP_1) | instid1(VALU_DEP_1)
	v_add_f64_e32 v[69:70], v[81:82], v[69:70]
	s_wait_alu 0xfffe
	v_cndmask_b32_e32 v69, 0, v69, vcc_lo
	v_cmp_neq_f64_e32 vcc_lo, -1.0, v[9:10]
	s_delay_alu instid0(VALU_DEP_3) | instskip(NEXT) | instid1(VALU_DEP_1)
	v_cndmask_b32_e64 v70, 0x7ff00000, v70, s0
	v_cndmask_b32_e64 v70, 0x7ff80000, v70, s1
	s_wait_alu 0xfffd
	s_delay_alu instid0(VALU_DEP_1) | instskip(NEXT) | instid1(VALU_DEP_1)
	v_cndmask_b32_e32 v70, 0xfff00000, v70, vcc_lo
	v_add_f64_e32 v[9:10], v[11:12], v[69:70]
.LBB6_165:
	s_wait_alu 0xfffe
	s_or_b32 exec_lo, exec_lo, s15
	s_delay_alu instid0(VALU_DEP_1) | instskip(SKIP_1) | instid1(VALU_DEP_2)
	v_max_num_f64_e32 v[11:12], v[9:10], v[9:10]
	v_cmp_u_f64_e32 vcc_lo, v[9:10], v[9:10]
	v_min_num_f64_e32 v[69:70], v[11:12], v[13:14]
	v_max_num_f64_e32 v[11:12], v[11:12], v[13:14]
	s_wait_alu 0xfffd
	s_delay_alu instid0(VALU_DEP_2) | instskip(NEXT) | instid1(VALU_DEP_2)
	v_dual_cndmask_b32 v13, v69, v9 :: v_dual_cndmask_b32 v14, v70, v10
	v_dual_cndmask_b32 v12, v12, v10 :: v_dual_cndmask_b32 v11, v11, v9
	s_delay_alu instid0(VALU_DEP_2) | instskip(NEXT) | instid1(VALU_DEP_3)
	v_cndmask_b32_e64 v69, v13, v63, s2
	v_cndmask_b32_e64 v70, v14, v64, s2
	s_delay_alu instid0(VALU_DEP_3) | instskip(NEXT) | instid1(VALU_DEP_4)
	v_cndmask_b32_e64 v14, v12, v64, s2
	v_cndmask_b32_e64 v13, v11, v63, s2
	v_dual_mov_b32 v12, v10 :: v_dual_mov_b32 v11, v9
	s_delay_alu instid0(VALU_DEP_4) | instskip(NEXT) | instid1(VALU_DEP_3)
	v_cmp_class_f64_e64 s0, v[69:70], 0x1f8
	v_cmp_neq_f64_e32 vcc_lo, v[69:70], v[13:14]
	s_or_b32 s0, vcc_lo, s0
	s_wait_alu 0xfffe
	s_and_saveexec_b32 s2, s0
	s_cbranch_execz .LBB6_167
; %bb.166:
	v_add_f64_e64 v[11:12], v[69:70], -v[13:14]
	s_mov_b32 s0, 0x652b82fe
	s_mov_b32 s1, 0x3ff71547
	;; [unrolled: 1-line block ×10, first 2 shown]
	s_wait_alu 0xfffe
	s_delay_alu instid0(VALU_DEP_1) | instskip(SKIP_3) | instid1(VALU_DEP_2)
	v_mul_f64_e32 v[69:70], s[0:1], v[11:12]
	s_mov_b32 s0, 0xfca7ab0c
	s_mov_b32 s1, 0x3e928af3
	v_cmp_nlt_f64_e32 vcc_lo, 0x40900000, v[11:12]
	v_rndne_f64_e32 v[69:70], v[69:70]
	s_delay_alu instid0(VALU_DEP_1) | instskip(SKIP_2) | instid1(VALU_DEP_2)
	v_fma_f64 v[71:72], v[69:70], s[16:17], v[11:12]
	v_cvt_i32_f64_e32 v75, v[69:70]
	s_mov_b32 s17, 0x3fe62e42
	v_fma_f64 v[71:72], v[69:70], s[18:19], v[71:72]
	s_mov_b32 s19, 0x3c7abc9e
	s_wait_alu 0xfffe
	s_delay_alu instid0(VALU_DEP_1)
	v_fma_f64 v[73:74], v[71:72], s[36:37], s[0:1]
	s_mov_b32 s0, 0x623fde64
	s_mov_b32 s1, 0x3ec71dee
	;; [unrolled: 1-line block ×4, first 2 shown]
	s_wait_alu 0xfffe
	s_delay_alu instid0(VALU_DEP_1) | instskip(SKIP_3) | instid1(VALU_DEP_1)
	v_fma_f64 v[73:74], v[71:72], v[73:74], s[0:1]
	s_mov_b32 s0, 0x7c89e6b0
	s_mov_b32 s1, 0x3efa0199
	s_wait_alu 0xfffe
	v_fma_f64 v[73:74], v[71:72], v[73:74], s[0:1]
	s_mov_b32 s0, 0x14761f6e
	s_mov_b32 s1, 0x3f2a01a0
	s_wait_alu 0xfffe
	s_delay_alu instid0(VALU_DEP_1) | instskip(SKIP_3) | instid1(VALU_DEP_1)
	v_fma_f64 v[73:74], v[71:72], v[73:74], s[0:1]
	s_mov_b32 s0, 0x1852b7b0
	s_mov_b32 s1, 0x3f56c16c
	s_wait_alu 0xfffe
	v_fma_f64 v[73:74], v[71:72], v[73:74], s[0:1]
	s_mov_b32 s0, 0x11122322
	s_mov_b32 s1, 0x3f811111
	;; [unrolled: 9-line block ×3, first 2 shown]
	s_wait_alu 0xfffe
	s_delay_alu instid0(VALU_DEP_1) | instskip(SKIP_3) | instid1(VALU_DEP_1)
	v_fma_f64 v[73:74], v[71:72], v[73:74], s[0:1]
	s_mov_b32 s0, 11
	s_mov_b32 s1, 0x3fe00000
	s_wait_alu 0xfffe
	v_fma_f64 v[73:74], v[71:72], v[73:74], s[0:1]
	v_cmp_ngt_f64_e64 s0, 0xc090cc00, v[11:12]
	s_mov_b32 s1, 0x3fe55555
	v_fma_f64 v[73:74], v[71:72], v[73:74], 1.0
	s_delay_alu instid0(VALU_DEP_1) | instskip(NEXT) | instid1(VALU_DEP_1)
	v_fma_f64 v[69:70], v[71:72], v[73:74], 1.0
	v_ldexp_f64 v[69:70], v[69:70], v75
	s_wait_alu 0xfffd
	s_delay_alu instid0(VALU_DEP_1) | instskip(SKIP_2) | instid1(VALU_DEP_2)
	v_cndmask_b32_e32 v70, 0x7ff00000, v70, vcc_lo
	s_and_b32 vcc_lo, s0, vcc_lo
	s_wait_alu 0xfffe
	v_cndmask_b32_e32 v11, 0, v69, vcc_lo
	s_delay_alu instid0(VALU_DEP_2) | instskip(SKIP_1) | instid1(VALU_DEP_1)
	v_cndmask_b32_e64 v12, 0, v70, s0
	s_mov_b32 s0, 0x55555555
	v_add_f64_e32 v[69:70], 1.0, v[11:12]
	s_delay_alu instid0(VALU_DEP_1) | instskip(SKIP_3) | instid1(VALU_DEP_3)
	v_frexp_mant_f64_e32 v[71:72], v[69:70]
	v_frexp_exp_i32_f64_e32 v75, v[69:70]
	v_add_f64_e32 v[73:74], -1.0, v[69:70]
	s_wait_alu 0xfffe
	v_cmp_gt_f64_e32 vcc_lo, s[0:1], v[71:72]
	s_mov_b32 s0, 0x55555780
	s_delay_alu instid0(VALU_DEP_2) | instskip(SKIP_3) | instid1(VALU_DEP_3)
	v_add_f64_e64 v[71:72], v[73:74], -v[69:70]
	v_add_f64_e64 v[73:74], v[11:12], -v[73:74]
	s_wait_alu 0xfffd
	v_subrev_co_ci_u32_e64 v109, null, 0, v75, vcc_lo
	v_add_f64_e32 v[71:72], 1.0, v[71:72]
	v_cmp_nge_f64_e32 vcc_lo, -1.0, v[11:12]
	s_delay_alu instid0(VALU_DEP_3) | instskip(NEXT) | instid1(VALU_DEP_1)
	v_sub_nc_u32_e32 v77, 0, v109
	v_ldexp_f64 v[69:70], v[69:70], v77
	s_delay_alu instid0(VALU_DEP_4) | instskip(NEXT) | instid1(VALU_DEP_2)
	v_add_f64_e32 v[71:72], v[73:74], v[71:72]
	v_add_f64_e32 v[75:76], 1.0, v[69:70]
	v_add_f64_e32 v[81:82], -1.0, v[69:70]
	s_delay_alu instid0(VALU_DEP_3) | instskip(NEXT) | instid1(VALU_DEP_3)
	v_ldexp_f64 v[71:72], v[71:72], v77
	v_add_f64_e32 v[73:74], -1.0, v[75:76]
	s_delay_alu instid0(VALU_DEP_3) | instskip(NEXT) | instid1(VALU_DEP_2)
	v_add_f64_e32 v[101:102], 1.0, v[81:82]
	v_add_f64_e64 v[73:74], v[69:70], -v[73:74]
	s_delay_alu instid0(VALU_DEP_2) | instskip(NEXT) | instid1(VALU_DEP_2)
	v_add_f64_e64 v[69:70], v[69:70], -v[101:102]
	v_add_f64_e32 v[73:74], v[71:72], v[73:74]
	s_delay_alu instid0(VALU_DEP_2) | instskip(NEXT) | instid1(VALU_DEP_2)
	v_add_f64_e32 v[69:70], v[71:72], v[69:70]
	v_add_f64_e32 v[77:78], v[75:76], v[73:74]
	s_delay_alu instid0(VALU_DEP_2) | instskip(NEXT) | instid1(VALU_DEP_2)
	v_add_f64_e32 v[101:102], v[81:82], v[69:70]
	v_rcp_f64_e32 v[79:80], v[77:78]
	v_add_f64_e64 v[75:76], v[77:78], -v[75:76]
	s_delay_alu instid0(VALU_DEP_2) | instskip(NEXT) | instid1(VALU_DEP_2)
	v_add_f64_e64 v[81:82], v[101:102], -v[81:82]
	v_add_f64_e64 v[73:74], v[73:74], -v[75:76]
	s_delay_alu instid0(TRANS32_DEP_1) | instskip(NEXT) | instid1(VALU_DEP_3)
	v_fma_f64 v[103:104], -v[77:78], v[79:80], 1.0
	v_add_f64_e64 v[69:70], v[69:70], -v[81:82]
	s_delay_alu instid0(VALU_DEP_2) | instskip(NEXT) | instid1(VALU_DEP_1)
	v_fma_f64 v[79:80], v[103:104], v[79:80], v[79:80]
	v_fma_f64 v[71:72], -v[77:78], v[79:80], 1.0
	s_delay_alu instid0(VALU_DEP_1) | instskip(NEXT) | instid1(VALU_DEP_1)
	v_fma_f64 v[71:72], v[71:72], v[79:80], v[79:80]
	v_mul_f64_e32 v[79:80], v[101:102], v[71:72]
	s_delay_alu instid0(VALU_DEP_1) | instskip(NEXT) | instid1(VALU_DEP_1)
	v_mul_f64_e32 v[103:104], v[77:78], v[79:80]
	v_fma_f64 v[75:76], v[79:80], v[77:78], -v[103:104]
	s_delay_alu instid0(VALU_DEP_1) | instskip(NEXT) | instid1(VALU_DEP_1)
	v_fma_f64 v[75:76], v[79:80], v[73:74], v[75:76]
	v_add_f64_e32 v[105:106], v[103:104], v[75:76]
	s_delay_alu instid0(VALU_DEP_1) | instskip(SKIP_1) | instid1(VALU_DEP_2)
	v_add_f64_e64 v[107:108], v[101:102], -v[105:106]
	v_add_f64_e64 v[81:82], v[105:106], -v[103:104]
	;; [unrolled: 1-line block ×3, first 2 shown]
	s_delay_alu instid0(VALU_DEP_2) | instskip(NEXT) | instid1(VALU_DEP_2)
	v_add_f64_e64 v[75:76], v[81:82], -v[75:76]
	v_add_f64_e64 v[101:102], v[101:102], -v[105:106]
	s_delay_alu instid0(VALU_DEP_1) | instskip(NEXT) | instid1(VALU_DEP_1)
	v_add_f64_e32 v[69:70], v[69:70], v[101:102]
	v_add_f64_e32 v[69:70], v[75:76], v[69:70]
	s_delay_alu instid0(VALU_DEP_1) | instskip(NEXT) | instid1(VALU_DEP_1)
	v_add_f64_e32 v[75:76], v[107:108], v[69:70]
	v_mul_f64_e32 v[81:82], v[71:72], v[75:76]
	v_add_f64_e64 v[105:106], v[107:108], -v[75:76]
	s_delay_alu instid0(VALU_DEP_2) | instskip(NEXT) | instid1(VALU_DEP_2)
	v_mul_f64_e32 v[101:102], v[77:78], v[81:82]
	v_add_f64_e32 v[69:70], v[69:70], v[105:106]
	s_delay_alu instid0(VALU_DEP_2) | instskip(NEXT) | instid1(VALU_DEP_1)
	v_fma_f64 v[77:78], v[81:82], v[77:78], -v[101:102]
	v_fma_f64 v[73:74], v[81:82], v[73:74], v[77:78]
	s_delay_alu instid0(VALU_DEP_1) | instskip(NEXT) | instid1(VALU_DEP_1)
	v_add_f64_e32 v[77:78], v[101:102], v[73:74]
	v_add_f64_e64 v[103:104], v[75:76], -v[77:78]
	v_add_f64_e64 v[101:102], v[77:78], -v[101:102]
	s_delay_alu instid0(VALU_DEP_2) | instskip(NEXT) | instid1(VALU_DEP_2)
	v_add_f64_e64 v[75:76], v[75:76], -v[103:104]
	v_add_f64_e64 v[73:74], v[101:102], -v[73:74]
	s_delay_alu instid0(VALU_DEP_2) | instskip(NEXT) | instid1(VALU_DEP_1)
	v_add_f64_e64 v[75:76], v[75:76], -v[77:78]
	v_add_f64_e32 v[69:70], v[69:70], v[75:76]
	v_add_f64_e32 v[75:76], v[79:80], v[81:82]
	s_delay_alu instid0(VALU_DEP_2) | instskip(NEXT) | instid1(VALU_DEP_2)
	v_add_f64_e32 v[69:70], v[73:74], v[69:70]
	v_add_f64_e64 v[73:74], v[75:76], -v[79:80]
	s_delay_alu instid0(VALU_DEP_2) | instskip(NEXT) | instid1(VALU_DEP_2)
	v_add_f64_e32 v[69:70], v[103:104], v[69:70]
	v_add_f64_e64 v[73:74], v[81:82], -v[73:74]
	s_delay_alu instid0(VALU_DEP_2) | instskip(NEXT) | instid1(VALU_DEP_1)
	v_mul_f64_e32 v[69:70], v[71:72], v[69:70]
	v_add_f64_e32 v[69:70], v[73:74], v[69:70]
	s_delay_alu instid0(VALU_DEP_1) | instskip(NEXT) | instid1(VALU_DEP_1)
	v_add_f64_e32 v[71:72], v[75:76], v[69:70]
	v_mul_f64_e32 v[73:74], v[71:72], v[71:72]
	s_delay_alu instid0(VALU_DEP_1) | instskip(SKIP_4) | instid1(VALU_DEP_2)
	v_fma_f64 v[77:78], v[73:74], s[38:39], s[36:37]
	s_mov_b32 s36, 0xd7f4df2e
	s_mov_b32 s37, 0x3fc7474d
	v_mul_f64_e32 v[79:80], v[71:72], v[73:74]
	s_wait_alu 0xfffe
	v_fma_f64 v[77:78], v[73:74], v[77:78], s[36:37]
	s_mov_b32 s36, 0x16291751
	s_mov_b32 s37, 0x3fcc71c0
	s_wait_alu 0xfffe
	s_delay_alu instid0(VALU_DEP_1) | instskip(SKIP_3) | instid1(VALU_DEP_1)
	v_fma_f64 v[77:78], v[73:74], v[77:78], s[36:37]
	s_mov_b32 s36, 0x9b27acf1
	s_mov_b32 s37, 0x3fd24924
	s_wait_alu 0xfffe
	v_fma_f64 v[77:78], v[73:74], v[77:78], s[36:37]
	s_mov_b32 s36, 0x998ef7b6
	s_mov_b32 s37, 0x3fd99999
	s_wait_alu 0xfffe
	s_delay_alu instid0(VALU_DEP_1) | instskip(NEXT) | instid1(VALU_DEP_1)
	v_fma_f64 v[77:78], v[73:74], v[77:78], s[36:37]
	v_fma_f64 v[73:74], v[73:74], v[77:78], s[0:1]
	v_ldexp_f64 v[77:78], v[71:72], 1
	v_add_f64_e64 v[71:72], v[71:72], -v[75:76]
	v_cmp_neq_f64_e64 s0, 0x7ff00000, v[11:12]
	v_cmp_ngt_f64_e64 s1, -1.0, v[11:12]
	v_mul_f64_e32 v[73:74], v[79:80], v[73:74]
	v_cvt_f64_i32_e32 v[79:80], v109
	v_add_f64_e64 v[69:70], v[69:70], -v[71:72]
	s_and_b32 vcc_lo, vcc_lo, s0
	s_delay_alu instid0(VALU_DEP_3) | instskip(NEXT) | instid1(VALU_DEP_3)
	v_add_f64_e32 v[75:76], v[77:78], v[73:74]
	v_mul_f64_e32 v[81:82], s[16:17], v[79:80]
	s_delay_alu instid0(VALU_DEP_3) | instskip(NEXT) | instid1(VALU_DEP_3)
	v_ldexp_f64 v[69:70], v[69:70], 1
	v_add_f64_e64 v[71:72], v[75:76], -v[77:78]
	s_delay_alu instid0(VALU_DEP_3) | instskip(NEXT) | instid1(VALU_DEP_2)
	v_fma_f64 v[77:78], v[79:80], s[16:17], -v[81:82]
	v_add_f64_e64 v[71:72], v[73:74], -v[71:72]
	s_delay_alu instid0(VALU_DEP_2) | instskip(NEXT) | instid1(VALU_DEP_2)
	v_fma_f64 v[73:74], v[79:80], s[18:19], v[77:78]
	v_add_f64_e32 v[69:70], v[69:70], v[71:72]
	s_delay_alu instid0(VALU_DEP_2) | instskip(NEXT) | instid1(VALU_DEP_2)
	v_add_f64_e32 v[71:72], v[81:82], v[73:74]
	v_add_f64_e32 v[77:78], v[75:76], v[69:70]
	s_delay_alu instid0(VALU_DEP_2) | instskip(NEXT) | instid1(VALU_DEP_2)
	v_add_f64_e64 v[81:82], v[71:72], -v[81:82]
	v_add_f64_e32 v[79:80], v[71:72], v[77:78]
	v_add_f64_e64 v[75:76], v[77:78], -v[75:76]
	s_delay_alu instid0(VALU_DEP_3) | instskip(NEXT) | instid1(VALU_DEP_3)
	v_add_f64_e64 v[73:74], v[73:74], -v[81:82]
	v_add_f64_e64 v[101:102], v[79:80], -v[71:72]
	s_delay_alu instid0(VALU_DEP_3) | instskip(NEXT) | instid1(VALU_DEP_2)
	v_add_f64_e64 v[69:70], v[69:70], -v[75:76]
	v_add_f64_e64 v[103:104], v[79:80], -v[101:102]
	v_add_f64_e64 v[75:76], v[77:78], -v[101:102]
	s_delay_alu instid0(VALU_DEP_3) | instskip(NEXT) | instid1(VALU_DEP_3)
	v_add_f64_e32 v[77:78], v[73:74], v[69:70]
	v_add_f64_e64 v[71:72], v[71:72], -v[103:104]
	s_delay_alu instid0(VALU_DEP_1) | instskip(NEXT) | instid1(VALU_DEP_3)
	v_add_f64_e32 v[71:72], v[75:76], v[71:72]
	v_add_f64_e64 v[75:76], v[77:78], -v[73:74]
	s_delay_alu instid0(VALU_DEP_2) | instskip(NEXT) | instid1(VALU_DEP_2)
	v_add_f64_e32 v[71:72], v[77:78], v[71:72]
	v_add_f64_e64 v[77:78], v[77:78], -v[75:76]
	v_add_f64_e64 v[69:70], v[69:70], -v[75:76]
	s_delay_alu instid0(VALU_DEP_3) | instskip(NEXT) | instid1(VALU_DEP_3)
	v_add_f64_e32 v[81:82], v[79:80], v[71:72]
	v_add_f64_e64 v[73:74], v[73:74], -v[77:78]
	s_delay_alu instid0(VALU_DEP_2) | instskip(NEXT) | instid1(VALU_DEP_2)
	v_add_f64_e64 v[75:76], v[81:82], -v[79:80]
	v_add_f64_e32 v[69:70], v[69:70], v[73:74]
	s_delay_alu instid0(VALU_DEP_2) | instskip(NEXT) | instid1(VALU_DEP_1)
	v_add_f64_e64 v[71:72], v[71:72], -v[75:76]
	v_add_f64_e32 v[69:70], v[69:70], v[71:72]
	s_delay_alu instid0(VALU_DEP_1) | instskip(SKIP_1) | instid1(VALU_DEP_1)
	v_add_f64_e32 v[69:70], v[81:82], v[69:70]
	s_wait_alu 0xfffe
	v_cndmask_b32_e32 v69, 0, v69, vcc_lo
	v_cmp_neq_f64_e32 vcc_lo, -1.0, v[11:12]
	s_delay_alu instid0(VALU_DEP_3) | instskip(NEXT) | instid1(VALU_DEP_1)
	v_cndmask_b32_e64 v70, 0x7ff00000, v70, s0
	v_cndmask_b32_e64 v70, 0x7ff80000, v70, s1
	s_wait_alu 0xfffd
	s_delay_alu instid0(VALU_DEP_1) | instskip(NEXT) | instid1(VALU_DEP_1)
	v_cndmask_b32_e32 v70, 0xfff00000, v70, vcc_lo
	v_add_f64_e32 v[11:12], v[13:14], v[69:70]
.LBB6_167:
	s_wait_alu 0xfffe
	s_or_b32 exec_lo, exec_lo, s2
	s_delay_alu instid0(VALU_DEP_1) | instskip(SKIP_1) | instid1(VALU_DEP_2)
	v_max_num_f64_e32 v[13:14], v[11:12], v[11:12]
	v_cmp_u_f64_e32 vcc_lo, v[11:12], v[11:12]
	v_min_num_f64_e32 v[69:70], v[13:14], v[15:16]
	v_max_num_f64_e32 v[13:14], v[13:14], v[15:16]
	s_wait_alu 0xfffd
	s_delay_alu instid0(VALU_DEP_2) | instskip(NEXT) | instid1(VALU_DEP_2)
	v_dual_cndmask_b32 v15, v69, v11 :: v_dual_cndmask_b32 v16, v70, v12
	v_dual_cndmask_b32 v14, v14, v12 :: v_dual_cndmask_b32 v13, v13, v11
	s_delay_alu instid0(VALU_DEP_2) | instskip(NEXT) | instid1(VALU_DEP_3)
	v_cndmask_b32_e64 v69, v15, v57, s3
	v_cndmask_b32_e64 v70, v16, v58, s3
	s_delay_alu instid0(VALU_DEP_3) | instskip(NEXT) | instid1(VALU_DEP_4)
	v_cndmask_b32_e64 v16, v14, v58, s3
	v_cndmask_b32_e64 v15, v13, v57, s3
	v_dual_mov_b32 v14, v12 :: v_dual_mov_b32 v13, v11
	s_delay_alu instid0(VALU_DEP_4) | instskip(NEXT) | instid1(VALU_DEP_3)
	v_cmp_class_f64_e64 s0, v[69:70], 0x1f8
	v_cmp_neq_f64_e32 vcc_lo, v[69:70], v[15:16]
	s_or_b32 s0, vcc_lo, s0
	s_wait_alu 0xfffe
	s_and_saveexec_b32 s15, s0
	s_cbranch_execz .LBB6_169
; %bb.168:
	v_add_f64_e64 v[13:14], v[69:70], -v[15:16]
	s_mov_b32 s0, 0x652b82fe
	s_mov_b32 s1, 0x3ff71547
	s_mov_b32 s3, 0xbfe62e42
	s_mov_b32 s2, 0xfefa39ef
	s_mov_b32 s17, 0xbc7abc9e
	s_mov_b32 s16, 0x3b39803f
	s_mov_b32 s18, 0x6a5dcb37
	s_mov_b32 s19, 0x3e5ade15
	s_mov_b32 s36, 0xbf559e2b
	s_mov_b32 s37, 0x3fc3ab76
	s_wait_alu 0xfffe
	s_delay_alu instid0(VALU_DEP_1) | instskip(SKIP_3) | instid1(VALU_DEP_2)
	v_mul_f64_e32 v[69:70], s[0:1], v[13:14]
	s_mov_b32 s0, 0xfca7ab0c
	s_mov_b32 s1, 0x3e928af3
	v_cmp_nlt_f64_e32 vcc_lo, 0x40900000, v[13:14]
	v_rndne_f64_e32 v[69:70], v[69:70]
	s_delay_alu instid0(VALU_DEP_1) | instskip(SKIP_2) | instid1(VALU_DEP_2)
	v_fma_f64 v[71:72], v[69:70], s[2:3], v[13:14]
	v_cvt_i32_f64_e32 v75, v[69:70]
	s_mov_b32 s3, 0x3fe62e42
	v_fma_f64 v[71:72], v[69:70], s[16:17], v[71:72]
	s_mov_b32 s17, 0x3c7abc9e
	s_wait_alu 0xfffe
	s_delay_alu instid0(VALU_DEP_1)
	v_fma_f64 v[73:74], v[71:72], s[18:19], s[0:1]
	s_mov_b32 s0, 0x623fde64
	s_mov_b32 s1, 0x3ec71dee
	;; [unrolled: 1-line block ×4, first 2 shown]
	s_wait_alu 0xfffe
	s_delay_alu instid0(VALU_DEP_1) | instskip(SKIP_3) | instid1(VALU_DEP_1)
	v_fma_f64 v[73:74], v[71:72], v[73:74], s[0:1]
	s_mov_b32 s0, 0x7c89e6b0
	s_mov_b32 s1, 0x3efa0199
	s_wait_alu 0xfffe
	v_fma_f64 v[73:74], v[71:72], v[73:74], s[0:1]
	s_mov_b32 s0, 0x14761f6e
	s_mov_b32 s1, 0x3f2a01a0
	s_wait_alu 0xfffe
	s_delay_alu instid0(VALU_DEP_1) | instskip(SKIP_3) | instid1(VALU_DEP_1)
	v_fma_f64 v[73:74], v[71:72], v[73:74], s[0:1]
	s_mov_b32 s0, 0x1852b7b0
	s_mov_b32 s1, 0x3f56c16c
	s_wait_alu 0xfffe
	v_fma_f64 v[73:74], v[71:72], v[73:74], s[0:1]
	s_mov_b32 s0, 0x11122322
	s_mov_b32 s1, 0x3f811111
	s_wait_alu 0xfffe
	s_delay_alu instid0(VALU_DEP_1) | instskip(SKIP_3) | instid1(VALU_DEP_1)
	v_fma_f64 v[73:74], v[71:72], v[73:74], s[0:1]
	s_mov_b32 s0, 0x555502a1
	s_mov_b32 s1, 0x3fa55555
	s_wait_alu 0xfffe
	v_fma_f64 v[73:74], v[71:72], v[73:74], s[0:1]
	s_mov_b32 s0, 0x55555511
	s_mov_b32 s1, 0x3fc55555
	s_wait_alu 0xfffe
	s_delay_alu instid0(VALU_DEP_1) | instskip(SKIP_3) | instid1(VALU_DEP_1)
	v_fma_f64 v[73:74], v[71:72], v[73:74], s[0:1]
	s_mov_b32 s0, 11
	s_mov_b32 s1, 0x3fe00000
	s_wait_alu 0xfffe
	v_fma_f64 v[73:74], v[71:72], v[73:74], s[0:1]
	v_cmp_ngt_f64_e64 s0, 0xc090cc00, v[13:14]
	s_mov_b32 s1, 0x3fe55555
	v_fma_f64 v[73:74], v[71:72], v[73:74], 1.0
	s_delay_alu instid0(VALU_DEP_1) | instskip(NEXT) | instid1(VALU_DEP_1)
	v_fma_f64 v[69:70], v[71:72], v[73:74], 1.0
	v_ldexp_f64 v[69:70], v[69:70], v75
	s_wait_alu 0xfffd
	s_delay_alu instid0(VALU_DEP_1) | instskip(SKIP_2) | instid1(VALU_DEP_2)
	v_cndmask_b32_e32 v70, 0x7ff00000, v70, vcc_lo
	s_and_b32 vcc_lo, s0, vcc_lo
	s_wait_alu 0xfffe
	v_cndmask_b32_e32 v13, 0, v69, vcc_lo
	s_delay_alu instid0(VALU_DEP_2) | instskip(SKIP_1) | instid1(VALU_DEP_1)
	v_cndmask_b32_e64 v14, 0, v70, s0
	s_mov_b32 s0, 0x55555555
	v_add_f64_e32 v[69:70], 1.0, v[13:14]
	s_delay_alu instid0(VALU_DEP_1) | instskip(SKIP_3) | instid1(VALU_DEP_3)
	v_frexp_mant_f64_e32 v[71:72], v[69:70]
	v_frexp_exp_i32_f64_e32 v75, v[69:70]
	v_add_f64_e32 v[73:74], -1.0, v[69:70]
	s_wait_alu 0xfffe
	v_cmp_gt_f64_e32 vcc_lo, s[0:1], v[71:72]
	s_mov_b32 s0, 0x55555780
	s_delay_alu instid0(VALU_DEP_2) | instskip(SKIP_3) | instid1(VALU_DEP_3)
	v_add_f64_e64 v[71:72], v[73:74], -v[69:70]
	v_add_f64_e64 v[73:74], v[13:14], -v[73:74]
	s_wait_alu 0xfffd
	v_subrev_co_ci_u32_e64 v109, null, 0, v75, vcc_lo
	v_add_f64_e32 v[71:72], 1.0, v[71:72]
	v_cmp_nge_f64_e32 vcc_lo, -1.0, v[13:14]
	s_delay_alu instid0(VALU_DEP_3) | instskip(NEXT) | instid1(VALU_DEP_1)
	v_sub_nc_u32_e32 v77, 0, v109
	v_ldexp_f64 v[69:70], v[69:70], v77
	s_delay_alu instid0(VALU_DEP_4) | instskip(NEXT) | instid1(VALU_DEP_2)
	v_add_f64_e32 v[71:72], v[73:74], v[71:72]
	v_add_f64_e32 v[75:76], 1.0, v[69:70]
	v_add_f64_e32 v[81:82], -1.0, v[69:70]
	s_delay_alu instid0(VALU_DEP_3) | instskip(NEXT) | instid1(VALU_DEP_3)
	v_ldexp_f64 v[71:72], v[71:72], v77
	v_add_f64_e32 v[73:74], -1.0, v[75:76]
	s_delay_alu instid0(VALU_DEP_3) | instskip(NEXT) | instid1(VALU_DEP_2)
	v_add_f64_e32 v[101:102], 1.0, v[81:82]
	v_add_f64_e64 v[73:74], v[69:70], -v[73:74]
	s_delay_alu instid0(VALU_DEP_2) | instskip(NEXT) | instid1(VALU_DEP_2)
	v_add_f64_e64 v[69:70], v[69:70], -v[101:102]
	v_add_f64_e32 v[73:74], v[71:72], v[73:74]
	s_delay_alu instid0(VALU_DEP_2) | instskip(NEXT) | instid1(VALU_DEP_2)
	v_add_f64_e32 v[69:70], v[71:72], v[69:70]
	v_add_f64_e32 v[77:78], v[75:76], v[73:74]
	s_delay_alu instid0(VALU_DEP_2) | instskip(NEXT) | instid1(VALU_DEP_2)
	v_add_f64_e32 v[101:102], v[81:82], v[69:70]
	v_rcp_f64_e32 v[79:80], v[77:78]
	v_add_f64_e64 v[75:76], v[77:78], -v[75:76]
	s_delay_alu instid0(VALU_DEP_2) | instskip(NEXT) | instid1(VALU_DEP_2)
	v_add_f64_e64 v[81:82], v[101:102], -v[81:82]
	v_add_f64_e64 v[73:74], v[73:74], -v[75:76]
	s_delay_alu instid0(TRANS32_DEP_1) | instskip(NEXT) | instid1(VALU_DEP_3)
	v_fma_f64 v[103:104], -v[77:78], v[79:80], 1.0
	v_add_f64_e64 v[69:70], v[69:70], -v[81:82]
	s_delay_alu instid0(VALU_DEP_2) | instskip(NEXT) | instid1(VALU_DEP_1)
	v_fma_f64 v[79:80], v[103:104], v[79:80], v[79:80]
	v_fma_f64 v[71:72], -v[77:78], v[79:80], 1.0
	s_delay_alu instid0(VALU_DEP_1) | instskip(NEXT) | instid1(VALU_DEP_1)
	v_fma_f64 v[71:72], v[71:72], v[79:80], v[79:80]
	v_mul_f64_e32 v[79:80], v[101:102], v[71:72]
	s_delay_alu instid0(VALU_DEP_1) | instskip(NEXT) | instid1(VALU_DEP_1)
	v_mul_f64_e32 v[103:104], v[77:78], v[79:80]
	v_fma_f64 v[75:76], v[79:80], v[77:78], -v[103:104]
	s_delay_alu instid0(VALU_DEP_1) | instskip(NEXT) | instid1(VALU_DEP_1)
	v_fma_f64 v[75:76], v[79:80], v[73:74], v[75:76]
	v_add_f64_e32 v[105:106], v[103:104], v[75:76]
	s_delay_alu instid0(VALU_DEP_1) | instskip(SKIP_1) | instid1(VALU_DEP_2)
	v_add_f64_e64 v[107:108], v[101:102], -v[105:106]
	v_add_f64_e64 v[81:82], v[105:106], -v[103:104]
	;; [unrolled: 1-line block ×3, first 2 shown]
	s_delay_alu instid0(VALU_DEP_2) | instskip(NEXT) | instid1(VALU_DEP_2)
	v_add_f64_e64 v[75:76], v[81:82], -v[75:76]
	v_add_f64_e64 v[101:102], v[101:102], -v[105:106]
	s_delay_alu instid0(VALU_DEP_1) | instskip(NEXT) | instid1(VALU_DEP_1)
	v_add_f64_e32 v[69:70], v[69:70], v[101:102]
	v_add_f64_e32 v[69:70], v[75:76], v[69:70]
	s_delay_alu instid0(VALU_DEP_1) | instskip(NEXT) | instid1(VALU_DEP_1)
	v_add_f64_e32 v[75:76], v[107:108], v[69:70]
	v_mul_f64_e32 v[81:82], v[71:72], v[75:76]
	v_add_f64_e64 v[105:106], v[107:108], -v[75:76]
	s_delay_alu instid0(VALU_DEP_2) | instskip(NEXT) | instid1(VALU_DEP_2)
	v_mul_f64_e32 v[101:102], v[77:78], v[81:82]
	v_add_f64_e32 v[69:70], v[69:70], v[105:106]
	s_delay_alu instid0(VALU_DEP_2) | instskip(NEXT) | instid1(VALU_DEP_1)
	v_fma_f64 v[77:78], v[81:82], v[77:78], -v[101:102]
	v_fma_f64 v[73:74], v[81:82], v[73:74], v[77:78]
	s_delay_alu instid0(VALU_DEP_1) | instskip(NEXT) | instid1(VALU_DEP_1)
	v_add_f64_e32 v[77:78], v[101:102], v[73:74]
	v_add_f64_e64 v[103:104], v[75:76], -v[77:78]
	v_add_f64_e64 v[101:102], v[77:78], -v[101:102]
	s_delay_alu instid0(VALU_DEP_2) | instskip(NEXT) | instid1(VALU_DEP_2)
	v_add_f64_e64 v[75:76], v[75:76], -v[103:104]
	v_add_f64_e64 v[73:74], v[101:102], -v[73:74]
	s_delay_alu instid0(VALU_DEP_2) | instskip(NEXT) | instid1(VALU_DEP_1)
	v_add_f64_e64 v[75:76], v[75:76], -v[77:78]
	v_add_f64_e32 v[69:70], v[69:70], v[75:76]
	v_add_f64_e32 v[75:76], v[79:80], v[81:82]
	s_delay_alu instid0(VALU_DEP_2) | instskip(NEXT) | instid1(VALU_DEP_2)
	v_add_f64_e32 v[69:70], v[73:74], v[69:70]
	v_add_f64_e64 v[73:74], v[75:76], -v[79:80]
	s_delay_alu instid0(VALU_DEP_2) | instskip(NEXT) | instid1(VALU_DEP_2)
	v_add_f64_e32 v[69:70], v[103:104], v[69:70]
	v_add_f64_e64 v[73:74], v[81:82], -v[73:74]
	s_delay_alu instid0(VALU_DEP_2) | instskip(NEXT) | instid1(VALU_DEP_1)
	v_mul_f64_e32 v[69:70], v[71:72], v[69:70]
	v_add_f64_e32 v[69:70], v[73:74], v[69:70]
	s_delay_alu instid0(VALU_DEP_1) | instskip(NEXT) | instid1(VALU_DEP_1)
	v_add_f64_e32 v[71:72], v[75:76], v[69:70]
	v_mul_f64_e32 v[73:74], v[71:72], v[71:72]
	s_delay_alu instid0(VALU_DEP_1) | instskip(SKIP_4) | instid1(VALU_DEP_2)
	v_fma_f64 v[77:78], v[73:74], s[36:37], s[18:19]
	s_mov_b32 s18, 0xd7f4df2e
	s_mov_b32 s19, 0x3fc7474d
	v_mul_f64_e32 v[79:80], v[71:72], v[73:74]
	s_wait_alu 0xfffe
	v_fma_f64 v[77:78], v[73:74], v[77:78], s[18:19]
	s_mov_b32 s18, 0x16291751
	s_mov_b32 s19, 0x3fcc71c0
	s_wait_alu 0xfffe
	s_delay_alu instid0(VALU_DEP_1) | instskip(SKIP_3) | instid1(VALU_DEP_1)
	v_fma_f64 v[77:78], v[73:74], v[77:78], s[18:19]
	s_mov_b32 s18, 0x9b27acf1
	s_mov_b32 s19, 0x3fd24924
	s_wait_alu 0xfffe
	v_fma_f64 v[77:78], v[73:74], v[77:78], s[18:19]
	s_mov_b32 s18, 0x998ef7b6
	s_mov_b32 s19, 0x3fd99999
	s_wait_alu 0xfffe
	s_delay_alu instid0(VALU_DEP_1) | instskip(NEXT) | instid1(VALU_DEP_1)
	v_fma_f64 v[77:78], v[73:74], v[77:78], s[18:19]
	v_fma_f64 v[73:74], v[73:74], v[77:78], s[0:1]
	v_ldexp_f64 v[77:78], v[71:72], 1
	v_add_f64_e64 v[71:72], v[71:72], -v[75:76]
	v_cmp_neq_f64_e64 s0, 0x7ff00000, v[13:14]
	v_cmp_ngt_f64_e64 s1, -1.0, v[13:14]
	v_mul_f64_e32 v[73:74], v[79:80], v[73:74]
	v_cvt_f64_i32_e32 v[79:80], v109
	v_add_f64_e64 v[69:70], v[69:70], -v[71:72]
	s_and_b32 vcc_lo, vcc_lo, s0
	s_delay_alu instid0(VALU_DEP_3) | instskip(NEXT) | instid1(VALU_DEP_3)
	v_add_f64_e32 v[75:76], v[77:78], v[73:74]
	v_mul_f64_e32 v[81:82], s[2:3], v[79:80]
	s_delay_alu instid0(VALU_DEP_3) | instskip(NEXT) | instid1(VALU_DEP_3)
	v_ldexp_f64 v[69:70], v[69:70], 1
	v_add_f64_e64 v[71:72], v[75:76], -v[77:78]
	s_delay_alu instid0(VALU_DEP_3) | instskip(NEXT) | instid1(VALU_DEP_2)
	v_fma_f64 v[77:78], v[79:80], s[2:3], -v[81:82]
	v_add_f64_e64 v[71:72], v[73:74], -v[71:72]
	s_delay_alu instid0(VALU_DEP_2) | instskip(NEXT) | instid1(VALU_DEP_2)
	v_fma_f64 v[73:74], v[79:80], s[16:17], v[77:78]
	v_add_f64_e32 v[69:70], v[69:70], v[71:72]
	s_delay_alu instid0(VALU_DEP_2) | instskip(NEXT) | instid1(VALU_DEP_2)
	v_add_f64_e32 v[71:72], v[81:82], v[73:74]
	v_add_f64_e32 v[77:78], v[75:76], v[69:70]
	s_delay_alu instid0(VALU_DEP_2) | instskip(NEXT) | instid1(VALU_DEP_2)
	v_add_f64_e64 v[81:82], v[71:72], -v[81:82]
	v_add_f64_e32 v[79:80], v[71:72], v[77:78]
	v_add_f64_e64 v[75:76], v[77:78], -v[75:76]
	s_delay_alu instid0(VALU_DEP_3) | instskip(NEXT) | instid1(VALU_DEP_3)
	v_add_f64_e64 v[73:74], v[73:74], -v[81:82]
	v_add_f64_e64 v[101:102], v[79:80], -v[71:72]
	s_delay_alu instid0(VALU_DEP_3) | instskip(NEXT) | instid1(VALU_DEP_2)
	v_add_f64_e64 v[69:70], v[69:70], -v[75:76]
	v_add_f64_e64 v[103:104], v[79:80], -v[101:102]
	;; [unrolled: 1-line block ×3, first 2 shown]
	s_delay_alu instid0(VALU_DEP_3) | instskip(NEXT) | instid1(VALU_DEP_3)
	v_add_f64_e32 v[77:78], v[73:74], v[69:70]
	v_add_f64_e64 v[71:72], v[71:72], -v[103:104]
	s_delay_alu instid0(VALU_DEP_1) | instskip(NEXT) | instid1(VALU_DEP_3)
	v_add_f64_e32 v[71:72], v[75:76], v[71:72]
	v_add_f64_e64 v[75:76], v[77:78], -v[73:74]
	s_delay_alu instid0(VALU_DEP_2) | instskip(NEXT) | instid1(VALU_DEP_2)
	v_add_f64_e32 v[71:72], v[77:78], v[71:72]
	v_add_f64_e64 v[77:78], v[77:78], -v[75:76]
	v_add_f64_e64 v[69:70], v[69:70], -v[75:76]
	s_delay_alu instid0(VALU_DEP_3) | instskip(NEXT) | instid1(VALU_DEP_3)
	v_add_f64_e32 v[81:82], v[79:80], v[71:72]
	v_add_f64_e64 v[73:74], v[73:74], -v[77:78]
	s_delay_alu instid0(VALU_DEP_2) | instskip(NEXT) | instid1(VALU_DEP_2)
	v_add_f64_e64 v[75:76], v[81:82], -v[79:80]
	v_add_f64_e32 v[69:70], v[69:70], v[73:74]
	s_delay_alu instid0(VALU_DEP_2) | instskip(NEXT) | instid1(VALU_DEP_1)
	v_add_f64_e64 v[71:72], v[71:72], -v[75:76]
	v_add_f64_e32 v[69:70], v[69:70], v[71:72]
	s_delay_alu instid0(VALU_DEP_1) | instskip(SKIP_1) | instid1(VALU_DEP_1)
	v_add_f64_e32 v[69:70], v[81:82], v[69:70]
	s_wait_alu 0xfffe
	v_cndmask_b32_e32 v69, 0, v69, vcc_lo
	v_cmp_neq_f64_e32 vcc_lo, -1.0, v[13:14]
	s_delay_alu instid0(VALU_DEP_3) | instskip(NEXT) | instid1(VALU_DEP_1)
	v_cndmask_b32_e64 v70, 0x7ff00000, v70, s0
	v_cndmask_b32_e64 v70, 0x7ff80000, v70, s1
	s_wait_alu 0xfffd
	s_delay_alu instid0(VALU_DEP_1) | instskip(NEXT) | instid1(VALU_DEP_1)
	v_cndmask_b32_e32 v70, 0xfff00000, v70, vcc_lo
	v_add_f64_e32 v[13:14], v[15:16], v[69:70]
.LBB6_169:
	s_wait_alu 0xfffe
	s_or_b32 exec_lo, exec_lo, s15
	s_delay_alu instid0(VALU_DEP_1) | instskip(SKIP_1) | instid1(VALU_DEP_2)
	v_max_num_f64_e32 v[15:16], v[13:14], v[13:14]
	v_cmp_u_f64_e32 vcc_lo, v[13:14], v[13:14]
	v_min_num_f64_e32 v[69:70], v[15:16], v[17:18]
	v_max_num_f64_e32 v[15:16], v[15:16], v[17:18]
	s_wait_alu 0xfffd
	s_delay_alu instid0(VALU_DEP_2) | instskip(NEXT) | instid1(VALU_DEP_2)
	v_dual_cndmask_b32 v17, v69, v13 :: v_dual_cndmask_b32 v18, v70, v14
	v_dual_cndmask_b32 v16, v16, v14 :: v_dual_cndmask_b32 v15, v15, v13
	s_delay_alu instid0(VALU_DEP_2) | instskip(NEXT) | instid1(VALU_DEP_3)
	v_cndmask_b32_e64 v69, v17, v59, s4
	v_cndmask_b32_e64 v70, v18, v60, s4
	s_delay_alu instid0(VALU_DEP_3) | instskip(NEXT) | instid1(VALU_DEP_4)
	v_cndmask_b32_e64 v18, v16, v60, s4
	v_cndmask_b32_e64 v17, v15, v59, s4
	v_dual_mov_b32 v16, v14 :: v_dual_mov_b32 v15, v13
	s_delay_alu instid0(VALU_DEP_4) | instskip(NEXT) | instid1(VALU_DEP_3)
	v_cmp_class_f64_e64 s0, v[69:70], 0x1f8
	v_cmp_neq_f64_e32 vcc_lo, v[69:70], v[17:18]
	s_or_b32 s0, vcc_lo, s0
	s_wait_alu 0xfffe
	s_and_saveexec_b32 s4, s0
	s_cbranch_execz .LBB6_171
; %bb.170:
	v_add_f64_e64 v[15:16], v[69:70], -v[17:18]
	s_mov_b32 s0, 0x652b82fe
	s_mov_b32 s1, 0x3ff71547
	;; [unrolled: 1-line block ×10, first 2 shown]
	s_wait_alu 0xfffe
	s_delay_alu instid0(VALU_DEP_1) | instskip(SKIP_3) | instid1(VALU_DEP_2)
	v_mul_f64_e32 v[69:70], s[0:1], v[15:16]
	s_mov_b32 s0, 0xfca7ab0c
	s_mov_b32 s1, 0x3e928af3
	v_cmp_nlt_f64_e32 vcc_lo, 0x40900000, v[15:16]
	v_rndne_f64_e32 v[69:70], v[69:70]
	s_delay_alu instid0(VALU_DEP_1) | instskip(SKIP_2) | instid1(VALU_DEP_2)
	v_fma_f64 v[71:72], v[69:70], s[2:3], v[15:16]
	v_cvt_i32_f64_e32 v75, v[69:70]
	s_mov_b32 s3, 0x3fe62e42
	v_fma_f64 v[71:72], v[69:70], s[16:17], v[71:72]
	s_mov_b32 s17, 0x3c7abc9e
	s_wait_alu 0xfffe
	s_delay_alu instid0(VALU_DEP_1)
	v_fma_f64 v[73:74], v[71:72], s[18:19], s[0:1]
	s_mov_b32 s0, 0x623fde64
	s_mov_b32 s1, 0x3ec71dee
	;; [unrolled: 1-line block ×4, first 2 shown]
	s_wait_alu 0xfffe
	s_delay_alu instid0(VALU_DEP_1) | instskip(SKIP_3) | instid1(VALU_DEP_1)
	v_fma_f64 v[73:74], v[71:72], v[73:74], s[0:1]
	s_mov_b32 s0, 0x7c89e6b0
	s_mov_b32 s1, 0x3efa0199
	s_wait_alu 0xfffe
	v_fma_f64 v[73:74], v[71:72], v[73:74], s[0:1]
	s_mov_b32 s0, 0x14761f6e
	s_mov_b32 s1, 0x3f2a01a0
	s_wait_alu 0xfffe
	s_delay_alu instid0(VALU_DEP_1) | instskip(SKIP_3) | instid1(VALU_DEP_1)
	v_fma_f64 v[73:74], v[71:72], v[73:74], s[0:1]
	s_mov_b32 s0, 0x1852b7b0
	s_mov_b32 s1, 0x3f56c16c
	s_wait_alu 0xfffe
	v_fma_f64 v[73:74], v[71:72], v[73:74], s[0:1]
	s_mov_b32 s0, 0x11122322
	s_mov_b32 s1, 0x3f811111
	;; [unrolled: 9-line block ×3, first 2 shown]
	s_wait_alu 0xfffe
	s_delay_alu instid0(VALU_DEP_1) | instskip(SKIP_3) | instid1(VALU_DEP_1)
	v_fma_f64 v[73:74], v[71:72], v[73:74], s[0:1]
	s_mov_b32 s0, 11
	s_mov_b32 s1, 0x3fe00000
	s_wait_alu 0xfffe
	v_fma_f64 v[73:74], v[71:72], v[73:74], s[0:1]
	v_cmp_ngt_f64_e64 s0, 0xc090cc00, v[15:16]
	s_mov_b32 s1, 0x3fe55555
	v_fma_f64 v[73:74], v[71:72], v[73:74], 1.0
	s_delay_alu instid0(VALU_DEP_1) | instskip(NEXT) | instid1(VALU_DEP_1)
	v_fma_f64 v[69:70], v[71:72], v[73:74], 1.0
	v_ldexp_f64 v[69:70], v[69:70], v75
	s_wait_alu 0xfffd
	s_delay_alu instid0(VALU_DEP_1) | instskip(SKIP_2) | instid1(VALU_DEP_2)
	v_cndmask_b32_e32 v70, 0x7ff00000, v70, vcc_lo
	s_and_b32 vcc_lo, s0, vcc_lo
	s_wait_alu 0xfffe
	v_cndmask_b32_e32 v15, 0, v69, vcc_lo
	s_delay_alu instid0(VALU_DEP_2) | instskip(SKIP_1) | instid1(VALU_DEP_1)
	v_cndmask_b32_e64 v16, 0, v70, s0
	s_mov_b32 s0, 0x55555555
	v_add_f64_e32 v[69:70], 1.0, v[15:16]
	s_delay_alu instid0(VALU_DEP_1) | instskip(SKIP_3) | instid1(VALU_DEP_3)
	v_frexp_mant_f64_e32 v[71:72], v[69:70]
	v_frexp_exp_i32_f64_e32 v75, v[69:70]
	v_add_f64_e32 v[73:74], -1.0, v[69:70]
	s_wait_alu 0xfffe
	v_cmp_gt_f64_e32 vcc_lo, s[0:1], v[71:72]
	s_mov_b32 s0, 0x55555780
	s_delay_alu instid0(VALU_DEP_2) | instskip(SKIP_3) | instid1(VALU_DEP_3)
	v_add_f64_e64 v[71:72], v[73:74], -v[69:70]
	v_add_f64_e64 v[73:74], v[15:16], -v[73:74]
	s_wait_alu 0xfffd
	v_subrev_co_ci_u32_e64 v109, null, 0, v75, vcc_lo
	v_add_f64_e32 v[71:72], 1.0, v[71:72]
	v_cmp_nge_f64_e32 vcc_lo, -1.0, v[15:16]
	s_delay_alu instid0(VALU_DEP_3) | instskip(NEXT) | instid1(VALU_DEP_1)
	v_sub_nc_u32_e32 v77, 0, v109
	v_ldexp_f64 v[69:70], v[69:70], v77
	s_delay_alu instid0(VALU_DEP_4) | instskip(NEXT) | instid1(VALU_DEP_2)
	v_add_f64_e32 v[71:72], v[73:74], v[71:72]
	v_add_f64_e32 v[75:76], 1.0, v[69:70]
	v_add_f64_e32 v[81:82], -1.0, v[69:70]
	s_delay_alu instid0(VALU_DEP_3) | instskip(NEXT) | instid1(VALU_DEP_3)
	v_ldexp_f64 v[71:72], v[71:72], v77
	v_add_f64_e32 v[73:74], -1.0, v[75:76]
	s_delay_alu instid0(VALU_DEP_3) | instskip(NEXT) | instid1(VALU_DEP_2)
	v_add_f64_e32 v[101:102], 1.0, v[81:82]
	v_add_f64_e64 v[73:74], v[69:70], -v[73:74]
	s_delay_alu instid0(VALU_DEP_2) | instskip(NEXT) | instid1(VALU_DEP_2)
	v_add_f64_e64 v[69:70], v[69:70], -v[101:102]
	v_add_f64_e32 v[73:74], v[71:72], v[73:74]
	s_delay_alu instid0(VALU_DEP_2) | instskip(NEXT) | instid1(VALU_DEP_2)
	v_add_f64_e32 v[69:70], v[71:72], v[69:70]
	v_add_f64_e32 v[77:78], v[75:76], v[73:74]
	s_delay_alu instid0(VALU_DEP_2) | instskip(NEXT) | instid1(VALU_DEP_2)
	v_add_f64_e32 v[101:102], v[81:82], v[69:70]
	v_rcp_f64_e32 v[79:80], v[77:78]
	v_add_f64_e64 v[75:76], v[77:78], -v[75:76]
	s_delay_alu instid0(VALU_DEP_2) | instskip(NEXT) | instid1(VALU_DEP_2)
	v_add_f64_e64 v[81:82], v[101:102], -v[81:82]
	v_add_f64_e64 v[73:74], v[73:74], -v[75:76]
	s_delay_alu instid0(TRANS32_DEP_1) | instskip(NEXT) | instid1(VALU_DEP_3)
	v_fma_f64 v[103:104], -v[77:78], v[79:80], 1.0
	v_add_f64_e64 v[69:70], v[69:70], -v[81:82]
	s_delay_alu instid0(VALU_DEP_2) | instskip(NEXT) | instid1(VALU_DEP_1)
	v_fma_f64 v[79:80], v[103:104], v[79:80], v[79:80]
	v_fma_f64 v[71:72], -v[77:78], v[79:80], 1.0
	s_delay_alu instid0(VALU_DEP_1) | instskip(NEXT) | instid1(VALU_DEP_1)
	v_fma_f64 v[71:72], v[71:72], v[79:80], v[79:80]
	v_mul_f64_e32 v[79:80], v[101:102], v[71:72]
	s_delay_alu instid0(VALU_DEP_1) | instskip(NEXT) | instid1(VALU_DEP_1)
	v_mul_f64_e32 v[103:104], v[77:78], v[79:80]
	v_fma_f64 v[75:76], v[79:80], v[77:78], -v[103:104]
	s_delay_alu instid0(VALU_DEP_1) | instskip(NEXT) | instid1(VALU_DEP_1)
	v_fma_f64 v[75:76], v[79:80], v[73:74], v[75:76]
	v_add_f64_e32 v[105:106], v[103:104], v[75:76]
	s_delay_alu instid0(VALU_DEP_1) | instskip(SKIP_1) | instid1(VALU_DEP_2)
	v_add_f64_e64 v[107:108], v[101:102], -v[105:106]
	v_add_f64_e64 v[81:82], v[105:106], -v[103:104]
	;; [unrolled: 1-line block ×3, first 2 shown]
	s_delay_alu instid0(VALU_DEP_2) | instskip(NEXT) | instid1(VALU_DEP_2)
	v_add_f64_e64 v[75:76], v[81:82], -v[75:76]
	v_add_f64_e64 v[101:102], v[101:102], -v[105:106]
	s_delay_alu instid0(VALU_DEP_1) | instskip(NEXT) | instid1(VALU_DEP_1)
	v_add_f64_e32 v[69:70], v[69:70], v[101:102]
	v_add_f64_e32 v[69:70], v[75:76], v[69:70]
	s_delay_alu instid0(VALU_DEP_1) | instskip(NEXT) | instid1(VALU_DEP_1)
	v_add_f64_e32 v[75:76], v[107:108], v[69:70]
	v_mul_f64_e32 v[81:82], v[71:72], v[75:76]
	v_add_f64_e64 v[105:106], v[107:108], -v[75:76]
	s_delay_alu instid0(VALU_DEP_2) | instskip(NEXT) | instid1(VALU_DEP_2)
	v_mul_f64_e32 v[101:102], v[77:78], v[81:82]
	v_add_f64_e32 v[69:70], v[69:70], v[105:106]
	s_delay_alu instid0(VALU_DEP_2) | instskip(NEXT) | instid1(VALU_DEP_1)
	v_fma_f64 v[77:78], v[81:82], v[77:78], -v[101:102]
	v_fma_f64 v[73:74], v[81:82], v[73:74], v[77:78]
	s_delay_alu instid0(VALU_DEP_1) | instskip(NEXT) | instid1(VALU_DEP_1)
	v_add_f64_e32 v[77:78], v[101:102], v[73:74]
	v_add_f64_e64 v[103:104], v[75:76], -v[77:78]
	v_add_f64_e64 v[101:102], v[77:78], -v[101:102]
	s_delay_alu instid0(VALU_DEP_2) | instskip(NEXT) | instid1(VALU_DEP_2)
	v_add_f64_e64 v[75:76], v[75:76], -v[103:104]
	v_add_f64_e64 v[73:74], v[101:102], -v[73:74]
	s_delay_alu instid0(VALU_DEP_2) | instskip(NEXT) | instid1(VALU_DEP_1)
	v_add_f64_e64 v[75:76], v[75:76], -v[77:78]
	v_add_f64_e32 v[69:70], v[69:70], v[75:76]
	v_add_f64_e32 v[75:76], v[79:80], v[81:82]
	s_delay_alu instid0(VALU_DEP_2) | instskip(NEXT) | instid1(VALU_DEP_2)
	v_add_f64_e32 v[69:70], v[73:74], v[69:70]
	v_add_f64_e64 v[73:74], v[75:76], -v[79:80]
	s_delay_alu instid0(VALU_DEP_2) | instskip(NEXT) | instid1(VALU_DEP_2)
	v_add_f64_e32 v[69:70], v[103:104], v[69:70]
	v_add_f64_e64 v[73:74], v[81:82], -v[73:74]
	s_delay_alu instid0(VALU_DEP_2) | instskip(NEXT) | instid1(VALU_DEP_1)
	v_mul_f64_e32 v[69:70], v[71:72], v[69:70]
	v_add_f64_e32 v[69:70], v[73:74], v[69:70]
	s_delay_alu instid0(VALU_DEP_1) | instskip(NEXT) | instid1(VALU_DEP_1)
	v_add_f64_e32 v[71:72], v[75:76], v[69:70]
	v_mul_f64_e32 v[73:74], v[71:72], v[71:72]
	s_delay_alu instid0(VALU_DEP_1) | instskip(SKIP_4) | instid1(VALU_DEP_2)
	v_fma_f64 v[77:78], v[73:74], s[36:37], s[18:19]
	s_mov_b32 s18, 0xd7f4df2e
	s_mov_b32 s19, 0x3fc7474d
	v_mul_f64_e32 v[79:80], v[71:72], v[73:74]
	s_wait_alu 0xfffe
	v_fma_f64 v[77:78], v[73:74], v[77:78], s[18:19]
	s_mov_b32 s18, 0x16291751
	s_mov_b32 s19, 0x3fcc71c0
	s_wait_alu 0xfffe
	s_delay_alu instid0(VALU_DEP_1) | instskip(SKIP_3) | instid1(VALU_DEP_1)
	v_fma_f64 v[77:78], v[73:74], v[77:78], s[18:19]
	s_mov_b32 s18, 0x9b27acf1
	s_mov_b32 s19, 0x3fd24924
	s_wait_alu 0xfffe
	v_fma_f64 v[77:78], v[73:74], v[77:78], s[18:19]
	s_mov_b32 s18, 0x998ef7b6
	s_mov_b32 s19, 0x3fd99999
	s_wait_alu 0xfffe
	s_delay_alu instid0(VALU_DEP_1) | instskip(NEXT) | instid1(VALU_DEP_1)
	v_fma_f64 v[77:78], v[73:74], v[77:78], s[18:19]
	v_fma_f64 v[73:74], v[73:74], v[77:78], s[0:1]
	v_ldexp_f64 v[77:78], v[71:72], 1
	v_add_f64_e64 v[71:72], v[71:72], -v[75:76]
	v_cmp_neq_f64_e64 s0, 0x7ff00000, v[15:16]
	v_cmp_ngt_f64_e64 s1, -1.0, v[15:16]
	v_mul_f64_e32 v[73:74], v[79:80], v[73:74]
	v_cvt_f64_i32_e32 v[79:80], v109
	v_add_f64_e64 v[69:70], v[69:70], -v[71:72]
	s_and_b32 vcc_lo, vcc_lo, s0
	s_delay_alu instid0(VALU_DEP_3) | instskip(NEXT) | instid1(VALU_DEP_3)
	v_add_f64_e32 v[75:76], v[77:78], v[73:74]
	v_mul_f64_e32 v[81:82], s[2:3], v[79:80]
	s_delay_alu instid0(VALU_DEP_3) | instskip(NEXT) | instid1(VALU_DEP_3)
	v_ldexp_f64 v[69:70], v[69:70], 1
	v_add_f64_e64 v[71:72], v[75:76], -v[77:78]
	s_delay_alu instid0(VALU_DEP_3) | instskip(NEXT) | instid1(VALU_DEP_2)
	v_fma_f64 v[77:78], v[79:80], s[2:3], -v[81:82]
	v_add_f64_e64 v[71:72], v[73:74], -v[71:72]
	s_delay_alu instid0(VALU_DEP_2) | instskip(NEXT) | instid1(VALU_DEP_2)
	v_fma_f64 v[73:74], v[79:80], s[16:17], v[77:78]
	v_add_f64_e32 v[69:70], v[69:70], v[71:72]
	s_delay_alu instid0(VALU_DEP_2) | instskip(NEXT) | instid1(VALU_DEP_2)
	v_add_f64_e32 v[71:72], v[81:82], v[73:74]
	v_add_f64_e32 v[77:78], v[75:76], v[69:70]
	s_delay_alu instid0(VALU_DEP_2) | instskip(NEXT) | instid1(VALU_DEP_2)
	v_add_f64_e64 v[81:82], v[71:72], -v[81:82]
	v_add_f64_e32 v[79:80], v[71:72], v[77:78]
	v_add_f64_e64 v[75:76], v[77:78], -v[75:76]
	s_delay_alu instid0(VALU_DEP_3) | instskip(NEXT) | instid1(VALU_DEP_3)
	v_add_f64_e64 v[73:74], v[73:74], -v[81:82]
	v_add_f64_e64 v[101:102], v[79:80], -v[71:72]
	s_delay_alu instid0(VALU_DEP_3) | instskip(NEXT) | instid1(VALU_DEP_2)
	v_add_f64_e64 v[69:70], v[69:70], -v[75:76]
	v_add_f64_e64 v[103:104], v[79:80], -v[101:102]
	;; [unrolled: 1-line block ×3, first 2 shown]
	s_delay_alu instid0(VALU_DEP_3) | instskip(NEXT) | instid1(VALU_DEP_3)
	v_add_f64_e32 v[77:78], v[73:74], v[69:70]
	v_add_f64_e64 v[71:72], v[71:72], -v[103:104]
	s_delay_alu instid0(VALU_DEP_1) | instskip(NEXT) | instid1(VALU_DEP_3)
	v_add_f64_e32 v[71:72], v[75:76], v[71:72]
	v_add_f64_e64 v[75:76], v[77:78], -v[73:74]
	s_delay_alu instid0(VALU_DEP_2) | instskip(NEXT) | instid1(VALU_DEP_2)
	v_add_f64_e32 v[71:72], v[77:78], v[71:72]
	v_add_f64_e64 v[77:78], v[77:78], -v[75:76]
	v_add_f64_e64 v[69:70], v[69:70], -v[75:76]
	s_delay_alu instid0(VALU_DEP_3) | instskip(NEXT) | instid1(VALU_DEP_3)
	v_add_f64_e32 v[81:82], v[79:80], v[71:72]
	v_add_f64_e64 v[73:74], v[73:74], -v[77:78]
	s_delay_alu instid0(VALU_DEP_2) | instskip(NEXT) | instid1(VALU_DEP_2)
	v_add_f64_e64 v[75:76], v[81:82], -v[79:80]
	v_add_f64_e32 v[69:70], v[69:70], v[73:74]
	s_delay_alu instid0(VALU_DEP_2) | instskip(NEXT) | instid1(VALU_DEP_1)
	v_add_f64_e64 v[71:72], v[71:72], -v[75:76]
	v_add_f64_e32 v[69:70], v[69:70], v[71:72]
	s_delay_alu instid0(VALU_DEP_1) | instskip(SKIP_1) | instid1(VALU_DEP_1)
	v_add_f64_e32 v[69:70], v[81:82], v[69:70]
	s_wait_alu 0xfffe
	v_cndmask_b32_e32 v69, 0, v69, vcc_lo
	v_cmp_neq_f64_e32 vcc_lo, -1.0, v[15:16]
	s_delay_alu instid0(VALU_DEP_3) | instskip(NEXT) | instid1(VALU_DEP_1)
	v_cndmask_b32_e64 v70, 0x7ff00000, v70, s0
	v_cndmask_b32_e64 v70, 0x7ff80000, v70, s1
	s_wait_alu 0xfffd
	s_delay_alu instid0(VALU_DEP_1) | instskip(NEXT) | instid1(VALU_DEP_1)
	v_cndmask_b32_e32 v70, 0xfff00000, v70, vcc_lo
	v_add_f64_e32 v[15:16], v[17:18], v[69:70]
.LBB6_171:
	s_wait_alu 0xfffe
	s_or_b32 exec_lo, exec_lo, s4
	s_delay_alu instid0(VALU_DEP_1) | instskip(SKIP_1) | instid1(VALU_DEP_2)
	v_max_num_f64_e32 v[17:18], v[15:16], v[15:16]
	v_cmp_u_f64_e32 vcc_lo, v[15:16], v[15:16]
	v_min_num_f64_e32 v[69:70], v[17:18], v[19:20]
	v_max_num_f64_e32 v[17:18], v[17:18], v[19:20]
	s_wait_alu 0xfffd
	s_delay_alu instid0(VALU_DEP_2) | instskip(NEXT) | instid1(VALU_DEP_2)
	v_dual_cndmask_b32 v19, v69, v15 :: v_dual_cndmask_b32 v20, v70, v16
	v_dual_cndmask_b32 v18, v18, v16 :: v_dual_cndmask_b32 v17, v17, v15
	s_delay_alu instid0(VALU_DEP_2) | instskip(NEXT) | instid1(VALU_DEP_3)
	v_cndmask_b32_e64 v69, v19, v53, s5
	v_cndmask_b32_e64 v70, v20, v54, s5
	s_delay_alu instid0(VALU_DEP_3) | instskip(NEXT) | instid1(VALU_DEP_4)
	v_cndmask_b32_e64 v20, v18, v54, s5
	v_cndmask_b32_e64 v19, v17, v53, s5
	v_dual_mov_b32 v18, v16 :: v_dual_mov_b32 v17, v15
	s_delay_alu instid0(VALU_DEP_4) | instskip(NEXT) | instid1(VALU_DEP_3)
	v_cmp_class_f64_e64 s0, v[69:70], 0x1f8
	v_cmp_neq_f64_e32 vcc_lo, v[69:70], v[19:20]
	s_or_b32 s0, vcc_lo, s0
	s_wait_alu 0xfffe
	s_and_saveexec_b32 s15, s0
	s_cbranch_execz .LBB6_173
; %bb.172:
	v_add_f64_e64 v[17:18], v[69:70], -v[19:20]
	s_mov_b32 s0, 0x652b82fe
	s_mov_b32 s1, 0x3ff71547
	;; [unrolled: 1-line block ×10, first 2 shown]
	s_wait_alu 0xfffe
	s_delay_alu instid0(VALU_DEP_1) | instskip(SKIP_3) | instid1(VALU_DEP_2)
	v_mul_f64_e32 v[69:70], s[0:1], v[17:18]
	s_mov_b32 s0, 0xfca7ab0c
	s_mov_b32 s1, 0x3e928af3
	v_cmp_nlt_f64_e32 vcc_lo, 0x40900000, v[17:18]
	v_rndne_f64_e32 v[69:70], v[69:70]
	s_delay_alu instid0(VALU_DEP_1) | instskip(SKIP_2) | instid1(VALU_DEP_2)
	v_fma_f64 v[71:72], v[69:70], s[2:3], v[17:18]
	v_cvt_i32_f64_e32 v75, v[69:70]
	s_mov_b32 s3, 0x3fe62e42
	v_fma_f64 v[71:72], v[69:70], s[4:5], v[71:72]
	s_mov_b32 s5, 0x3c7abc9e
	s_wait_alu 0xfffe
	s_delay_alu instid0(VALU_DEP_1)
	v_fma_f64 v[73:74], v[71:72], s[16:17], s[0:1]
	s_mov_b32 s0, 0x623fde64
	s_mov_b32 s1, 0x3ec71dee
	s_mov_b32 s16, 0x6b47b09a
	s_mov_b32 s17, 0x3fc38538
	s_wait_alu 0xfffe
	s_delay_alu instid0(VALU_DEP_1) | instskip(SKIP_3) | instid1(VALU_DEP_1)
	v_fma_f64 v[73:74], v[71:72], v[73:74], s[0:1]
	s_mov_b32 s0, 0x7c89e6b0
	s_mov_b32 s1, 0x3efa0199
	s_wait_alu 0xfffe
	v_fma_f64 v[73:74], v[71:72], v[73:74], s[0:1]
	s_mov_b32 s0, 0x14761f6e
	s_mov_b32 s1, 0x3f2a01a0
	s_wait_alu 0xfffe
	s_delay_alu instid0(VALU_DEP_1) | instskip(SKIP_3) | instid1(VALU_DEP_1)
	v_fma_f64 v[73:74], v[71:72], v[73:74], s[0:1]
	s_mov_b32 s0, 0x1852b7b0
	s_mov_b32 s1, 0x3f56c16c
	s_wait_alu 0xfffe
	v_fma_f64 v[73:74], v[71:72], v[73:74], s[0:1]
	s_mov_b32 s0, 0x11122322
	s_mov_b32 s1, 0x3f811111
	;; [unrolled: 9-line block ×3, first 2 shown]
	s_wait_alu 0xfffe
	s_delay_alu instid0(VALU_DEP_1) | instskip(SKIP_3) | instid1(VALU_DEP_1)
	v_fma_f64 v[73:74], v[71:72], v[73:74], s[0:1]
	s_mov_b32 s0, 11
	s_mov_b32 s1, 0x3fe00000
	s_wait_alu 0xfffe
	v_fma_f64 v[73:74], v[71:72], v[73:74], s[0:1]
	v_cmp_ngt_f64_e64 s0, 0xc090cc00, v[17:18]
	s_mov_b32 s1, 0x3fe55555
	v_fma_f64 v[73:74], v[71:72], v[73:74], 1.0
	s_delay_alu instid0(VALU_DEP_1) | instskip(NEXT) | instid1(VALU_DEP_1)
	v_fma_f64 v[69:70], v[71:72], v[73:74], 1.0
	v_ldexp_f64 v[69:70], v[69:70], v75
	s_wait_alu 0xfffd
	s_delay_alu instid0(VALU_DEP_1) | instskip(SKIP_2) | instid1(VALU_DEP_2)
	v_cndmask_b32_e32 v70, 0x7ff00000, v70, vcc_lo
	s_and_b32 vcc_lo, s0, vcc_lo
	s_wait_alu 0xfffe
	v_cndmask_b32_e32 v17, 0, v69, vcc_lo
	s_delay_alu instid0(VALU_DEP_2) | instskip(SKIP_1) | instid1(VALU_DEP_1)
	v_cndmask_b32_e64 v18, 0, v70, s0
	s_mov_b32 s0, 0x55555555
	v_add_f64_e32 v[69:70], 1.0, v[17:18]
	s_delay_alu instid0(VALU_DEP_1) | instskip(SKIP_3) | instid1(VALU_DEP_3)
	v_frexp_mant_f64_e32 v[71:72], v[69:70]
	v_frexp_exp_i32_f64_e32 v75, v[69:70]
	v_add_f64_e32 v[73:74], -1.0, v[69:70]
	s_wait_alu 0xfffe
	v_cmp_gt_f64_e32 vcc_lo, s[0:1], v[71:72]
	s_mov_b32 s0, 0x55555780
	s_delay_alu instid0(VALU_DEP_2) | instskip(SKIP_3) | instid1(VALU_DEP_3)
	v_add_f64_e64 v[71:72], v[73:74], -v[69:70]
	v_add_f64_e64 v[73:74], v[17:18], -v[73:74]
	s_wait_alu 0xfffd
	v_subrev_co_ci_u32_e64 v109, null, 0, v75, vcc_lo
	v_add_f64_e32 v[71:72], 1.0, v[71:72]
	v_cmp_nge_f64_e32 vcc_lo, -1.0, v[17:18]
	s_delay_alu instid0(VALU_DEP_3) | instskip(NEXT) | instid1(VALU_DEP_1)
	v_sub_nc_u32_e32 v77, 0, v109
	v_ldexp_f64 v[69:70], v[69:70], v77
	s_delay_alu instid0(VALU_DEP_4) | instskip(NEXT) | instid1(VALU_DEP_2)
	v_add_f64_e32 v[71:72], v[73:74], v[71:72]
	v_add_f64_e32 v[75:76], 1.0, v[69:70]
	v_add_f64_e32 v[81:82], -1.0, v[69:70]
	s_delay_alu instid0(VALU_DEP_3) | instskip(NEXT) | instid1(VALU_DEP_3)
	v_ldexp_f64 v[71:72], v[71:72], v77
	v_add_f64_e32 v[73:74], -1.0, v[75:76]
	s_delay_alu instid0(VALU_DEP_3) | instskip(NEXT) | instid1(VALU_DEP_2)
	v_add_f64_e32 v[101:102], 1.0, v[81:82]
	v_add_f64_e64 v[73:74], v[69:70], -v[73:74]
	s_delay_alu instid0(VALU_DEP_2) | instskip(NEXT) | instid1(VALU_DEP_2)
	v_add_f64_e64 v[69:70], v[69:70], -v[101:102]
	v_add_f64_e32 v[73:74], v[71:72], v[73:74]
	s_delay_alu instid0(VALU_DEP_2) | instskip(NEXT) | instid1(VALU_DEP_2)
	v_add_f64_e32 v[69:70], v[71:72], v[69:70]
	v_add_f64_e32 v[77:78], v[75:76], v[73:74]
	s_delay_alu instid0(VALU_DEP_2) | instskip(NEXT) | instid1(VALU_DEP_2)
	v_add_f64_e32 v[101:102], v[81:82], v[69:70]
	v_rcp_f64_e32 v[79:80], v[77:78]
	v_add_f64_e64 v[75:76], v[77:78], -v[75:76]
	s_delay_alu instid0(VALU_DEP_2) | instskip(NEXT) | instid1(VALU_DEP_2)
	v_add_f64_e64 v[81:82], v[101:102], -v[81:82]
	v_add_f64_e64 v[73:74], v[73:74], -v[75:76]
	s_delay_alu instid0(TRANS32_DEP_1) | instskip(NEXT) | instid1(VALU_DEP_3)
	v_fma_f64 v[103:104], -v[77:78], v[79:80], 1.0
	v_add_f64_e64 v[69:70], v[69:70], -v[81:82]
	s_delay_alu instid0(VALU_DEP_2) | instskip(NEXT) | instid1(VALU_DEP_1)
	v_fma_f64 v[79:80], v[103:104], v[79:80], v[79:80]
	v_fma_f64 v[71:72], -v[77:78], v[79:80], 1.0
	s_delay_alu instid0(VALU_DEP_1) | instskip(NEXT) | instid1(VALU_DEP_1)
	v_fma_f64 v[71:72], v[71:72], v[79:80], v[79:80]
	v_mul_f64_e32 v[79:80], v[101:102], v[71:72]
	s_delay_alu instid0(VALU_DEP_1) | instskip(NEXT) | instid1(VALU_DEP_1)
	v_mul_f64_e32 v[103:104], v[77:78], v[79:80]
	v_fma_f64 v[75:76], v[79:80], v[77:78], -v[103:104]
	s_delay_alu instid0(VALU_DEP_1) | instskip(NEXT) | instid1(VALU_DEP_1)
	v_fma_f64 v[75:76], v[79:80], v[73:74], v[75:76]
	v_add_f64_e32 v[105:106], v[103:104], v[75:76]
	s_delay_alu instid0(VALU_DEP_1) | instskip(SKIP_1) | instid1(VALU_DEP_2)
	v_add_f64_e64 v[107:108], v[101:102], -v[105:106]
	v_add_f64_e64 v[81:82], v[105:106], -v[103:104]
	;; [unrolled: 1-line block ×3, first 2 shown]
	s_delay_alu instid0(VALU_DEP_2) | instskip(NEXT) | instid1(VALU_DEP_2)
	v_add_f64_e64 v[75:76], v[81:82], -v[75:76]
	v_add_f64_e64 v[101:102], v[101:102], -v[105:106]
	s_delay_alu instid0(VALU_DEP_1) | instskip(NEXT) | instid1(VALU_DEP_1)
	v_add_f64_e32 v[69:70], v[69:70], v[101:102]
	v_add_f64_e32 v[69:70], v[75:76], v[69:70]
	s_delay_alu instid0(VALU_DEP_1) | instskip(NEXT) | instid1(VALU_DEP_1)
	v_add_f64_e32 v[75:76], v[107:108], v[69:70]
	v_mul_f64_e32 v[81:82], v[71:72], v[75:76]
	v_add_f64_e64 v[105:106], v[107:108], -v[75:76]
	s_delay_alu instid0(VALU_DEP_2) | instskip(NEXT) | instid1(VALU_DEP_2)
	v_mul_f64_e32 v[101:102], v[77:78], v[81:82]
	v_add_f64_e32 v[69:70], v[69:70], v[105:106]
	s_delay_alu instid0(VALU_DEP_2) | instskip(NEXT) | instid1(VALU_DEP_1)
	v_fma_f64 v[77:78], v[81:82], v[77:78], -v[101:102]
	v_fma_f64 v[73:74], v[81:82], v[73:74], v[77:78]
	s_delay_alu instid0(VALU_DEP_1) | instskip(NEXT) | instid1(VALU_DEP_1)
	v_add_f64_e32 v[77:78], v[101:102], v[73:74]
	v_add_f64_e64 v[103:104], v[75:76], -v[77:78]
	v_add_f64_e64 v[101:102], v[77:78], -v[101:102]
	s_delay_alu instid0(VALU_DEP_2) | instskip(NEXT) | instid1(VALU_DEP_2)
	v_add_f64_e64 v[75:76], v[75:76], -v[103:104]
	v_add_f64_e64 v[73:74], v[101:102], -v[73:74]
	s_delay_alu instid0(VALU_DEP_2) | instskip(NEXT) | instid1(VALU_DEP_1)
	v_add_f64_e64 v[75:76], v[75:76], -v[77:78]
	v_add_f64_e32 v[69:70], v[69:70], v[75:76]
	v_add_f64_e32 v[75:76], v[79:80], v[81:82]
	s_delay_alu instid0(VALU_DEP_2) | instskip(NEXT) | instid1(VALU_DEP_2)
	v_add_f64_e32 v[69:70], v[73:74], v[69:70]
	v_add_f64_e64 v[73:74], v[75:76], -v[79:80]
	s_delay_alu instid0(VALU_DEP_2) | instskip(NEXT) | instid1(VALU_DEP_2)
	v_add_f64_e32 v[69:70], v[103:104], v[69:70]
	v_add_f64_e64 v[73:74], v[81:82], -v[73:74]
	s_delay_alu instid0(VALU_DEP_2) | instskip(NEXT) | instid1(VALU_DEP_1)
	v_mul_f64_e32 v[69:70], v[71:72], v[69:70]
	v_add_f64_e32 v[69:70], v[73:74], v[69:70]
	s_delay_alu instid0(VALU_DEP_1) | instskip(NEXT) | instid1(VALU_DEP_1)
	v_add_f64_e32 v[71:72], v[75:76], v[69:70]
	v_mul_f64_e32 v[73:74], v[71:72], v[71:72]
	s_delay_alu instid0(VALU_DEP_1) | instskip(SKIP_4) | instid1(VALU_DEP_2)
	v_fma_f64 v[77:78], v[73:74], s[18:19], s[16:17]
	s_mov_b32 s16, 0xd7f4df2e
	s_mov_b32 s17, 0x3fc7474d
	v_mul_f64_e32 v[79:80], v[71:72], v[73:74]
	s_wait_alu 0xfffe
	v_fma_f64 v[77:78], v[73:74], v[77:78], s[16:17]
	s_mov_b32 s16, 0x16291751
	s_mov_b32 s17, 0x3fcc71c0
	s_wait_alu 0xfffe
	s_delay_alu instid0(VALU_DEP_1) | instskip(SKIP_3) | instid1(VALU_DEP_1)
	v_fma_f64 v[77:78], v[73:74], v[77:78], s[16:17]
	s_mov_b32 s16, 0x9b27acf1
	s_mov_b32 s17, 0x3fd24924
	s_wait_alu 0xfffe
	v_fma_f64 v[77:78], v[73:74], v[77:78], s[16:17]
	s_mov_b32 s16, 0x998ef7b6
	s_mov_b32 s17, 0x3fd99999
	s_wait_alu 0xfffe
	s_delay_alu instid0(VALU_DEP_1) | instskip(NEXT) | instid1(VALU_DEP_1)
	v_fma_f64 v[77:78], v[73:74], v[77:78], s[16:17]
	v_fma_f64 v[73:74], v[73:74], v[77:78], s[0:1]
	v_ldexp_f64 v[77:78], v[71:72], 1
	v_add_f64_e64 v[71:72], v[71:72], -v[75:76]
	v_cmp_neq_f64_e64 s0, 0x7ff00000, v[17:18]
	v_cmp_ngt_f64_e64 s1, -1.0, v[17:18]
	v_mul_f64_e32 v[73:74], v[79:80], v[73:74]
	v_cvt_f64_i32_e32 v[79:80], v109
	v_add_f64_e64 v[69:70], v[69:70], -v[71:72]
	s_and_b32 vcc_lo, vcc_lo, s0
	s_delay_alu instid0(VALU_DEP_3) | instskip(NEXT) | instid1(VALU_DEP_3)
	v_add_f64_e32 v[75:76], v[77:78], v[73:74]
	v_mul_f64_e32 v[81:82], s[2:3], v[79:80]
	s_delay_alu instid0(VALU_DEP_3) | instskip(NEXT) | instid1(VALU_DEP_3)
	v_ldexp_f64 v[69:70], v[69:70], 1
	v_add_f64_e64 v[71:72], v[75:76], -v[77:78]
	s_delay_alu instid0(VALU_DEP_3) | instskip(NEXT) | instid1(VALU_DEP_2)
	v_fma_f64 v[77:78], v[79:80], s[2:3], -v[81:82]
	v_add_f64_e64 v[71:72], v[73:74], -v[71:72]
	s_delay_alu instid0(VALU_DEP_2) | instskip(NEXT) | instid1(VALU_DEP_2)
	v_fma_f64 v[73:74], v[79:80], s[4:5], v[77:78]
	v_add_f64_e32 v[69:70], v[69:70], v[71:72]
	s_delay_alu instid0(VALU_DEP_2) | instskip(NEXT) | instid1(VALU_DEP_2)
	v_add_f64_e32 v[71:72], v[81:82], v[73:74]
	v_add_f64_e32 v[77:78], v[75:76], v[69:70]
	s_delay_alu instid0(VALU_DEP_2) | instskip(NEXT) | instid1(VALU_DEP_2)
	v_add_f64_e64 v[81:82], v[71:72], -v[81:82]
	v_add_f64_e32 v[79:80], v[71:72], v[77:78]
	v_add_f64_e64 v[75:76], v[77:78], -v[75:76]
	s_delay_alu instid0(VALU_DEP_3) | instskip(NEXT) | instid1(VALU_DEP_3)
	v_add_f64_e64 v[73:74], v[73:74], -v[81:82]
	v_add_f64_e64 v[101:102], v[79:80], -v[71:72]
	s_delay_alu instid0(VALU_DEP_3) | instskip(NEXT) | instid1(VALU_DEP_2)
	v_add_f64_e64 v[69:70], v[69:70], -v[75:76]
	v_add_f64_e64 v[103:104], v[79:80], -v[101:102]
	;; [unrolled: 1-line block ×3, first 2 shown]
	s_delay_alu instid0(VALU_DEP_3) | instskip(NEXT) | instid1(VALU_DEP_3)
	v_add_f64_e32 v[77:78], v[73:74], v[69:70]
	v_add_f64_e64 v[71:72], v[71:72], -v[103:104]
	s_delay_alu instid0(VALU_DEP_1) | instskip(NEXT) | instid1(VALU_DEP_3)
	v_add_f64_e32 v[71:72], v[75:76], v[71:72]
	v_add_f64_e64 v[75:76], v[77:78], -v[73:74]
	s_delay_alu instid0(VALU_DEP_2) | instskip(NEXT) | instid1(VALU_DEP_2)
	v_add_f64_e32 v[71:72], v[77:78], v[71:72]
	v_add_f64_e64 v[77:78], v[77:78], -v[75:76]
	v_add_f64_e64 v[69:70], v[69:70], -v[75:76]
	s_delay_alu instid0(VALU_DEP_3) | instskip(NEXT) | instid1(VALU_DEP_3)
	v_add_f64_e32 v[81:82], v[79:80], v[71:72]
	v_add_f64_e64 v[73:74], v[73:74], -v[77:78]
	s_delay_alu instid0(VALU_DEP_2) | instskip(NEXT) | instid1(VALU_DEP_2)
	v_add_f64_e64 v[75:76], v[81:82], -v[79:80]
	v_add_f64_e32 v[69:70], v[69:70], v[73:74]
	s_delay_alu instid0(VALU_DEP_2) | instskip(NEXT) | instid1(VALU_DEP_1)
	v_add_f64_e64 v[71:72], v[71:72], -v[75:76]
	v_add_f64_e32 v[69:70], v[69:70], v[71:72]
	s_delay_alu instid0(VALU_DEP_1) | instskip(SKIP_1) | instid1(VALU_DEP_1)
	v_add_f64_e32 v[69:70], v[81:82], v[69:70]
	s_wait_alu 0xfffe
	v_cndmask_b32_e32 v69, 0, v69, vcc_lo
	v_cmp_neq_f64_e32 vcc_lo, -1.0, v[17:18]
	s_delay_alu instid0(VALU_DEP_3) | instskip(NEXT) | instid1(VALU_DEP_1)
	v_cndmask_b32_e64 v70, 0x7ff00000, v70, s0
	v_cndmask_b32_e64 v70, 0x7ff80000, v70, s1
	s_wait_alu 0xfffd
	s_delay_alu instid0(VALU_DEP_1) | instskip(NEXT) | instid1(VALU_DEP_1)
	v_cndmask_b32_e32 v70, 0xfff00000, v70, vcc_lo
	v_add_f64_e32 v[17:18], v[19:20], v[69:70]
.LBB6_173:
	s_wait_alu 0xfffe
	s_or_b32 exec_lo, exec_lo, s15
	s_delay_alu instid0(VALU_DEP_1) | instskip(SKIP_1) | instid1(VALU_DEP_2)
	v_max_num_f64_e32 v[19:20], v[17:18], v[17:18]
	v_cmp_u_f64_e32 vcc_lo, v[17:18], v[17:18]
	v_min_num_f64_e32 v[69:70], v[19:20], v[21:22]
	v_max_num_f64_e32 v[19:20], v[19:20], v[21:22]
	s_wait_alu 0xfffd
	s_delay_alu instid0(VALU_DEP_2) | instskip(NEXT) | instid1(VALU_DEP_2)
	v_dual_cndmask_b32 v21, v69, v17 :: v_dual_cndmask_b32 v22, v70, v18
	v_dual_cndmask_b32 v20, v20, v18 :: v_dual_cndmask_b32 v19, v19, v17
	s_delay_alu instid0(VALU_DEP_2) | instskip(NEXT) | instid1(VALU_DEP_3)
	v_cndmask_b32_e64 v69, v21, v55, s6
	v_cndmask_b32_e64 v70, v22, v56, s6
	s_delay_alu instid0(VALU_DEP_3) | instskip(NEXT) | instid1(VALU_DEP_4)
	v_cndmask_b32_e64 v22, v20, v56, s6
	v_cndmask_b32_e64 v21, v19, v55, s6
	v_dual_mov_b32 v20, v18 :: v_dual_mov_b32 v19, v17
	s_delay_alu instid0(VALU_DEP_4) | instskip(NEXT) | instid1(VALU_DEP_3)
	v_cmp_class_f64_e64 s0, v[69:70], 0x1f8
	v_cmp_neq_f64_e32 vcc_lo, v[69:70], v[21:22]
	s_or_b32 s0, vcc_lo, s0
	s_wait_alu 0xfffe
	s_and_saveexec_b32 s6, s0
	s_cbranch_execz .LBB6_175
; %bb.174:
	v_add_f64_e64 v[19:20], v[69:70], -v[21:22]
	s_mov_b32 s0, 0x652b82fe
	s_mov_b32 s1, 0x3ff71547
	;; [unrolled: 1-line block ×10, first 2 shown]
	s_wait_alu 0xfffe
	s_delay_alu instid0(VALU_DEP_1) | instskip(SKIP_3) | instid1(VALU_DEP_2)
	v_mul_f64_e32 v[69:70], s[0:1], v[19:20]
	s_mov_b32 s0, 0xfca7ab0c
	s_mov_b32 s1, 0x3e928af3
	v_cmp_nlt_f64_e32 vcc_lo, 0x40900000, v[19:20]
	v_rndne_f64_e32 v[69:70], v[69:70]
	s_delay_alu instid0(VALU_DEP_1) | instskip(SKIP_2) | instid1(VALU_DEP_2)
	v_fma_f64 v[71:72], v[69:70], s[2:3], v[19:20]
	v_cvt_i32_f64_e32 v75, v[69:70]
	s_mov_b32 s3, 0x3fe62e42
	v_fma_f64 v[71:72], v[69:70], s[4:5], v[71:72]
	s_mov_b32 s5, 0x3c7abc9e
	s_wait_alu 0xfffe
	s_delay_alu instid0(VALU_DEP_1)
	v_fma_f64 v[73:74], v[71:72], s[16:17], s[0:1]
	s_mov_b32 s0, 0x623fde64
	s_mov_b32 s1, 0x3ec71dee
	;; [unrolled: 1-line block ×4, first 2 shown]
	s_wait_alu 0xfffe
	s_delay_alu instid0(VALU_DEP_1) | instskip(SKIP_3) | instid1(VALU_DEP_1)
	v_fma_f64 v[73:74], v[71:72], v[73:74], s[0:1]
	s_mov_b32 s0, 0x7c89e6b0
	s_mov_b32 s1, 0x3efa0199
	s_wait_alu 0xfffe
	v_fma_f64 v[73:74], v[71:72], v[73:74], s[0:1]
	s_mov_b32 s0, 0x14761f6e
	s_mov_b32 s1, 0x3f2a01a0
	s_wait_alu 0xfffe
	s_delay_alu instid0(VALU_DEP_1) | instskip(SKIP_3) | instid1(VALU_DEP_1)
	v_fma_f64 v[73:74], v[71:72], v[73:74], s[0:1]
	s_mov_b32 s0, 0x1852b7b0
	s_mov_b32 s1, 0x3f56c16c
	s_wait_alu 0xfffe
	v_fma_f64 v[73:74], v[71:72], v[73:74], s[0:1]
	s_mov_b32 s0, 0x11122322
	s_mov_b32 s1, 0x3f811111
	;; [unrolled: 9-line block ×3, first 2 shown]
	s_wait_alu 0xfffe
	s_delay_alu instid0(VALU_DEP_1) | instskip(SKIP_3) | instid1(VALU_DEP_1)
	v_fma_f64 v[73:74], v[71:72], v[73:74], s[0:1]
	s_mov_b32 s0, 11
	s_mov_b32 s1, 0x3fe00000
	s_wait_alu 0xfffe
	v_fma_f64 v[73:74], v[71:72], v[73:74], s[0:1]
	v_cmp_ngt_f64_e64 s0, 0xc090cc00, v[19:20]
	s_mov_b32 s1, 0x3fe55555
	v_fma_f64 v[73:74], v[71:72], v[73:74], 1.0
	s_delay_alu instid0(VALU_DEP_1) | instskip(NEXT) | instid1(VALU_DEP_1)
	v_fma_f64 v[69:70], v[71:72], v[73:74], 1.0
	v_ldexp_f64 v[69:70], v[69:70], v75
	s_wait_alu 0xfffd
	s_delay_alu instid0(VALU_DEP_1) | instskip(SKIP_2) | instid1(VALU_DEP_2)
	v_cndmask_b32_e32 v70, 0x7ff00000, v70, vcc_lo
	s_and_b32 vcc_lo, s0, vcc_lo
	s_wait_alu 0xfffe
	v_cndmask_b32_e32 v19, 0, v69, vcc_lo
	s_delay_alu instid0(VALU_DEP_2) | instskip(SKIP_1) | instid1(VALU_DEP_1)
	v_cndmask_b32_e64 v20, 0, v70, s0
	s_mov_b32 s0, 0x55555555
	v_add_f64_e32 v[69:70], 1.0, v[19:20]
	s_delay_alu instid0(VALU_DEP_1) | instskip(SKIP_3) | instid1(VALU_DEP_3)
	v_frexp_mant_f64_e32 v[71:72], v[69:70]
	v_frexp_exp_i32_f64_e32 v75, v[69:70]
	v_add_f64_e32 v[73:74], -1.0, v[69:70]
	s_wait_alu 0xfffe
	v_cmp_gt_f64_e32 vcc_lo, s[0:1], v[71:72]
	s_mov_b32 s0, 0x55555780
	s_delay_alu instid0(VALU_DEP_2) | instskip(SKIP_3) | instid1(VALU_DEP_3)
	v_add_f64_e64 v[71:72], v[73:74], -v[69:70]
	v_add_f64_e64 v[73:74], v[19:20], -v[73:74]
	s_wait_alu 0xfffd
	v_subrev_co_ci_u32_e64 v109, null, 0, v75, vcc_lo
	v_add_f64_e32 v[71:72], 1.0, v[71:72]
	v_cmp_nge_f64_e32 vcc_lo, -1.0, v[19:20]
	s_delay_alu instid0(VALU_DEP_3) | instskip(NEXT) | instid1(VALU_DEP_1)
	v_sub_nc_u32_e32 v77, 0, v109
	v_ldexp_f64 v[69:70], v[69:70], v77
	s_delay_alu instid0(VALU_DEP_4) | instskip(NEXT) | instid1(VALU_DEP_2)
	v_add_f64_e32 v[71:72], v[73:74], v[71:72]
	v_add_f64_e32 v[75:76], 1.0, v[69:70]
	v_add_f64_e32 v[81:82], -1.0, v[69:70]
	s_delay_alu instid0(VALU_DEP_3) | instskip(NEXT) | instid1(VALU_DEP_3)
	v_ldexp_f64 v[71:72], v[71:72], v77
	v_add_f64_e32 v[73:74], -1.0, v[75:76]
	s_delay_alu instid0(VALU_DEP_3) | instskip(NEXT) | instid1(VALU_DEP_2)
	v_add_f64_e32 v[101:102], 1.0, v[81:82]
	v_add_f64_e64 v[73:74], v[69:70], -v[73:74]
	s_delay_alu instid0(VALU_DEP_2) | instskip(NEXT) | instid1(VALU_DEP_2)
	v_add_f64_e64 v[69:70], v[69:70], -v[101:102]
	v_add_f64_e32 v[73:74], v[71:72], v[73:74]
	s_delay_alu instid0(VALU_DEP_2) | instskip(NEXT) | instid1(VALU_DEP_2)
	v_add_f64_e32 v[69:70], v[71:72], v[69:70]
	v_add_f64_e32 v[77:78], v[75:76], v[73:74]
	s_delay_alu instid0(VALU_DEP_2) | instskip(NEXT) | instid1(VALU_DEP_2)
	v_add_f64_e32 v[101:102], v[81:82], v[69:70]
	v_rcp_f64_e32 v[79:80], v[77:78]
	v_add_f64_e64 v[75:76], v[77:78], -v[75:76]
	s_delay_alu instid0(VALU_DEP_2) | instskip(NEXT) | instid1(VALU_DEP_2)
	v_add_f64_e64 v[81:82], v[101:102], -v[81:82]
	v_add_f64_e64 v[73:74], v[73:74], -v[75:76]
	s_delay_alu instid0(TRANS32_DEP_1) | instskip(NEXT) | instid1(VALU_DEP_3)
	v_fma_f64 v[103:104], -v[77:78], v[79:80], 1.0
	v_add_f64_e64 v[69:70], v[69:70], -v[81:82]
	s_delay_alu instid0(VALU_DEP_2) | instskip(NEXT) | instid1(VALU_DEP_1)
	v_fma_f64 v[79:80], v[103:104], v[79:80], v[79:80]
	v_fma_f64 v[71:72], -v[77:78], v[79:80], 1.0
	s_delay_alu instid0(VALU_DEP_1) | instskip(NEXT) | instid1(VALU_DEP_1)
	v_fma_f64 v[71:72], v[71:72], v[79:80], v[79:80]
	v_mul_f64_e32 v[79:80], v[101:102], v[71:72]
	s_delay_alu instid0(VALU_DEP_1) | instskip(NEXT) | instid1(VALU_DEP_1)
	v_mul_f64_e32 v[103:104], v[77:78], v[79:80]
	v_fma_f64 v[75:76], v[79:80], v[77:78], -v[103:104]
	s_delay_alu instid0(VALU_DEP_1) | instskip(NEXT) | instid1(VALU_DEP_1)
	v_fma_f64 v[75:76], v[79:80], v[73:74], v[75:76]
	v_add_f64_e32 v[105:106], v[103:104], v[75:76]
	s_delay_alu instid0(VALU_DEP_1) | instskip(SKIP_1) | instid1(VALU_DEP_2)
	v_add_f64_e64 v[107:108], v[101:102], -v[105:106]
	v_add_f64_e64 v[81:82], v[105:106], -v[103:104]
	;; [unrolled: 1-line block ×3, first 2 shown]
	s_delay_alu instid0(VALU_DEP_2) | instskip(NEXT) | instid1(VALU_DEP_2)
	v_add_f64_e64 v[75:76], v[81:82], -v[75:76]
	v_add_f64_e64 v[101:102], v[101:102], -v[105:106]
	s_delay_alu instid0(VALU_DEP_1) | instskip(NEXT) | instid1(VALU_DEP_1)
	v_add_f64_e32 v[69:70], v[69:70], v[101:102]
	v_add_f64_e32 v[69:70], v[75:76], v[69:70]
	s_delay_alu instid0(VALU_DEP_1) | instskip(NEXT) | instid1(VALU_DEP_1)
	v_add_f64_e32 v[75:76], v[107:108], v[69:70]
	v_mul_f64_e32 v[81:82], v[71:72], v[75:76]
	v_add_f64_e64 v[105:106], v[107:108], -v[75:76]
	s_delay_alu instid0(VALU_DEP_2) | instskip(NEXT) | instid1(VALU_DEP_2)
	v_mul_f64_e32 v[101:102], v[77:78], v[81:82]
	v_add_f64_e32 v[69:70], v[69:70], v[105:106]
	s_delay_alu instid0(VALU_DEP_2) | instskip(NEXT) | instid1(VALU_DEP_1)
	v_fma_f64 v[77:78], v[81:82], v[77:78], -v[101:102]
	v_fma_f64 v[73:74], v[81:82], v[73:74], v[77:78]
	s_delay_alu instid0(VALU_DEP_1) | instskip(NEXT) | instid1(VALU_DEP_1)
	v_add_f64_e32 v[77:78], v[101:102], v[73:74]
	v_add_f64_e64 v[103:104], v[75:76], -v[77:78]
	v_add_f64_e64 v[101:102], v[77:78], -v[101:102]
	s_delay_alu instid0(VALU_DEP_2) | instskip(NEXT) | instid1(VALU_DEP_2)
	v_add_f64_e64 v[75:76], v[75:76], -v[103:104]
	v_add_f64_e64 v[73:74], v[101:102], -v[73:74]
	s_delay_alu instid0(VALU_DEP_2) | instskip(NEXT) | instid1(VALU_DEP_1)
	v_add_f64_e64 v[75:76], v[75:76], -v[77:78]
	v_add_f64_e32 v[69:70], v[69:70], v[75:76]
	v_add_f64_e32 v[75:76], v[79:80], v[81:82]
	s_delay_alu instid0(VALU_DEP_2) | instskip(NEXT) | instid1(VALU_DEP_2)
	v_add_f64_e32 v[69:70], v[73:74], v[69:70]
	v_add_f64_e64 v[73:74], v[75:76], -v[79:80]
	s_delay_alu instid0(VALU_DEP_2) | instskip(NEXT) | instid1(VALU_DEP_2)
	v_add_f64_e32 v[69:70], v[103:104], v[69:70]
	v_add_f64_e64 v[73:74], v[81:82], -v[73:74]
	s_delay_alu instid0(VALU_DEP_2) | instskip(NEXT) | instid1(VALU_DEP_1)
	v_mul_f64_e32 v[69:70], v[71:72], v[69:70]
	v_add_f64_e32 v[69:70], v[73:74], v[69:70]
	s_delay_alu instid0(VALU_DEP_1) | instskip(NEXT) | instid1(VALU_DEP_1)
	v_add_f64_e32 v[71:72], v[75:76], v[69:70]
	v_mul_f64_e32 v[73:74], v[71:72], v[71:72]
	s_delay_alu instid0(VALU_DEP_1) | instskip(SKIP_4) | instid1(VALU_DEP_2)
	v_fma_f64 v[77:78], v[73:74], s[18:19], s[16:17]
	s_mov_b32 s16, 0xd7f4df2e
	s_mov_b32 s17, 0x3fc7474d
	v_mul_f64_e32 v[79:80], v[71:72], v[73:74]
	s_wait_alu 0xfffe
	v_fma_f64 v[77:78], v[73:74], v[77:78], s[16:17]
	s_mov_b32 s16, 0x16291751
	s_mov_b32 s17, 0x3fcc71c0
	s_wait_alu 0xfffe
	s_delay_alu instid0(VALU_DEP_1) | instskip(SKIP_3) | instid1(VALU_DEP_1)
	v_fma_f64 v[77:78], v[73:74], v[77:78], s[16:17]
	s_mov_b32 s16, 0x9b27acf1
	s_mov_b32 s17, 0x3fd24924
	s_wait_alu 0xfffe
	v_fma_f64 v[77:78], v[73:74], v[77:78], s[16:17]
	s_mov_b32 s16, 0x998ef7b6
	s_mov_b32 s17, 0x3fd99999
	s_wait_alu 0xfffe
	s_delay_alu instid0(VALU_DEP_1) | instskip(NEXT) | instid1(VALU_DEP_1)
	v_fma_f64 v[77:78], v[73:74], v[77:78], s[16:17]
	v_fma_f64 v[73:74], v[73:74], v[77:78], s[0:1]
	v_ldexp_f64 v[77:78], v[71:72], 1
	v_add_f64_e64 v[71:72], v[71:72], -v[75:76]
	v_cmp_neq_f64_e64 s0, 0x7ff00000, v[19:20]
	v_cmp_ngt_f64_e64 s1, -1.0, v[19:20]
	v_mul_f64_e32 v[73:74], v[79:80], v[73:74]
	v_cvt_f64_i32_e32 v[79:80], v109
	v_add_f64_e64 v[69:70], v[69:70], -v[71:72]
	s_and_b32 vcc_lo, vcc_lo, s0
	s_delay_alu instid0(VALU_DEP_3) | instskip(NEXT) | instid1(VALU_DEP_3)
	v_add_f64_e32 v[75:76], v[77:78], v[73:74]
	v_mul_f64_e32 v[81:82], s[2:3], v[79:80]
	s_delay_alu instid0(VALU_DEP_3) | instskip(NEXT) | instid1(VALU_DEP_3)
	v_ldexp_f64 v[69:70], v[69:70], 1
	v_add_f64_e64 v[71:72], v[75:76], -v[77:78]
	s_delay_alu instid0(VALU_DEP_3) | instskip(NEXT) | instid1(VALU_DEP_2)
	v_fma_f64 v[77:78], v[79:80], s[2:3], -v[81:82]
	v_add_f64_e64 v[71:72], v[73:74], -v[71:72]
	s_delay_alu instid0(VALU_DEP_2) | instskip(NEXT) | instid1(VALU_DEP_2)
	v_fma_f64 v[73:74], v[79:80], s[4:5], v[77:78]
	v_add_f64_e32 v[69:70], v[69:70], v[71:72]
	s_delay_alu instid0(VALU_DEP_2) | instskip(NEXT) | instid1(VALU_DEP_2)
	v_add_f64_e32 v[71:72], v[81:82], v[73:74]
	v_add_f64_e32 v[77:78], v[75:76], v[69:70]
	s_delay_alu instid0(VALU_DEP_2) | instskip(NEXT) | instid1(VALU_DEP_2)
	v_add_f64_e64 v[81:82], v[71:72], -v[81:82]
	v_add_f64_e32 v[79:80], v[71:72], v[77:78]
	v_add_f64_e64 v[75:76], v[77:78], -v[75:76]
	s_delay_alu instid0(VALU_DEP_3) | instskip(NEXT) | instid1(VALU_DEP_3)
	v_add_f64_e64 v[73:74], v[73:74], -v[81:82]
	v_add_f64_e64 v[101:102], v[79:80], -v[71:72]
	s_delay_alu instid0(VALU_DEP_3) | instskip(NEXT) | instid1(VALU_DEP_2)
	v_add_f64_e64 v[69:70], v[69:70], -v[75:76]
	v_add_f64_e64 v[103:104], v[79:80], -v[101:102]
	;; [unrolled: 1-line block ×3, first 2 shown]
	s_delay_alu instid0(VALU_DEP_3) | instskip(NEXT) | instid1(VALU_DEP_3)
	v_add_f64_e32 v[77:78], v[73:74], v[69:70]
	v_add_f64_e64 v[71:72], v[71:72], -v[103:104]
	s_delay_alu instid0(VALU_DEP_1) | instskip(NEXT) | instid1(VALU_DEP_3)
	v_add_f64_e32 v[71:72], v[75:76], v[71:72]
	v_add_f64_e64 v[75:76], v[77:78], -v[73:74]
	s_delay_alu instid0(VALU_DEP_2) | instskip(NEXT) | instid1(VALU_DEP_2)
	v_add_f64_e32 v[71:72], v[77:78], v[71:72]
	v_add_f64_e64 v[77:78], v[77:78], -v[75:76]
	v_add_f64_e64 v[69:70], v[69:70], -v[75:76]
	s_delay_alu instid0(VALU_DEP_3) | instskip(NEXT) | instid1(VALU_DEP_3)
	v_add_f64_e32 v[81:82], v[79:80], v[71:72]
	v_add_f64_e64 v[73:74], v[73:74], -v[77:78]
	s_delay_alu instid0(VALU_DEP_2) | instskip(NEXT) | instid1(VALU_DEP_2)
	v_add_f64_e64 v[75:76], v[81:82], -v[79:80]
	v_add_f64_e32 v[69:70], v[69:70], v[73:74]
	s_delay_alu instid0(VALU_DEP_2) | instskip(NEXT) | instid1(VALU_DEP_1)
	v_add_f64_e64 v[71:72], v[71:72], -v[75:76]
	v_add_f64_e32 v[69:70], v[69:70], v[71:72]
	s_delay_alu instid0(VALU_DEP_1) | instskip(SKIP_1) | instid1(VALU_DEP_1)
	v_add_f64_e32 v[69:70], v[81:82], v[69:70]
	s_wait_alu 0xfffe
	v_cndmask_b32_e32 v69, 0, v69, vcc_lo
	v_cmp_neq_f64_e32 vcc_lo, -1.0, v[19:20]
	s_delay_alu instid0(VALU_DEP_3) | instskip(NEXT) | instid1(VALU_DEP_1)
	v_cndmask_b32_e64 v70, 0x7ff00000, v70, s0
	v_cndmask_b32_e64 v70, 0x7ff80000, v70, s1
	s_wait_alu 0xfffd
	s_delay_alu instid0(VALU_DEP_1) | instskip(NEXT) | instid1(VALU_DEP_1)
	v_cndmask_b32_e32 v70, 0xfff00000, v70, vcc_lo
	v_add_f64_e32 v[19:20], v[21:22], v[69:70]
.LBB6_175:
	s_wait_alu 0xfffe
	s_or_b32 exec_lo, exec_lo, s6
	s_delay_alu instid0(VALU_DEP_1) | instskip(SKIP_1) | instid1(VALU_DEP_2)
	v_max_num_f64_e32 v[21:22], v[19:20], v[19:20]
	v_cmp_u_f64_e32 vcc_lo, v[19:20], v[19:20]
	v_min_num_f64_e32 v[69:70], v[21:22], v[23:24]
	v_max_num_f64_e32 v[21:22], v[21:22], v[23:24]
	s_wait_alu 0xfffd
	s_delay_alu instid0(VALU_DEP_2) | instskip(NEXT) | instid1(VALU_DEP_2)
	v_dual_cndmask_b32 v23, v69, v19 :: v_dual_cndmask_b32 v24, v70, v20
	v_dual_cndmask_b32 v22, v22, v20 :: v_dual_cndmask_b32 v21, v21, v19
	s_delay_alu instid0(VALU_DEP_2) | instskip(NEXT) | instid1(VALU_DEP_3)
	v_cndmask_b32_e64 v69, v23, v49, s7
	v_cndmask_b32_e64 v70, v24, v50, s7
	s_delay_alu instid0(VALU_DEP_3) | instskip(NEXT) | instid1(VALU_DEP_4)
	v_cndmask_b32_e64 v24, v22, v50, s7
	v_cndmask_b32_e64 v23, v21, v49, s7
	v_dual_mov_b32 v22, v20 :: v_dual_mov_b32 v21, v19
	s_delay_alu instid0(VALU_DEP_4) | instskip(NEXT) | instid1(VALU_DEP_3)
	v_cmp_class_f64_e64 s0, v[69:70], 0x1f8
	v_cmp_neq_f64_e32 vcc_lo, v[69:70], v[23:24]
	s_or_b32 s0, vcc_lo, s0
	s_wait_alu 0xfffe
	s_and_saveexec_b32 s6, s0
	s_cbranch_execz .LBB6_177
; %bb.176:
	v_add_f64_e64 v[21:22], v[69:70], -v[23:24]
	s_mov_b32 s0, 0x652b82fe
	s_mov_b32 s1, 0x3ff71547
	s_mov_b32 s3, 0xbfe62e42
	s_mov_b32 s2, 0xfefa39ef
	s_mov_b32 s5, 0xbc7abc9e
	s_mov_b32 s4, 0x3b39803f
	s_mov_b32 s16, 0x6a5dcb37
	s_mov_b32 s17, 0x3e5ade15
	s_mov_b32 s18, 0xbf559e2b
	s_mov_b32 s19, 0x3fc3ab76
	s_wait_alu 0xfffe
	s_delay_alu instid0(VALU_DEP_1) | instskip(SKIP_3) | instid1(VALU_DEP_2)
	v_mul_f64_e32 v[69:70], s[0:1], v[21:22]
	s_mov_b32 s0, 0xfca7ab0c
	s_mov_b32 s1, 0x3e928af3
	v_cmp_nlt_f64_e32 vcc_lo, 0x40900000, v[21:22]
	v_rndne_f64_e32 v[69:70], v[69:70]
	s_delay_alu instid0(VALU_DEP_1) | instskip(SKIP_2) | instid1(VALU_DEP_2)
	v_fma_f64 v[71:72], v[69:70], s[2:3], v[21:22]
	v_cvt_i32_f64_e32 v75, v[69:70]
	s_mov_b32 s3, 0x3fe62e42
	v_fma_f64 v[71:72], v[69:70], s[4:5], v[71:72]
	s_mov_b32 s5, 0x3c7abc9e
	s_wait_alu 0xfffe
	s_delay_alu instid0(VALU_DEP_1)
	v_fma_f64 v[73:74], v[71:72], s[16:17], s[0:1]
	s_mov_b32 s0, 0x623fde64
	s_mov_b32 s1, 0x3ec71dee
	;; [unrolled: 1-line block ×4, first 2 shown]
	s_wait_alu 0xfffe
	s_delay_alu instid0(VALU_DEP_1) | instskip(SKIP_3) | instid1(VALU_DEP_1)
	v_fma_f64 v[73:74], v[71:72], v[73:74], s[0:1]
	s_mov_b32 s0, 0x7c89e6b0
	s_mov_b32 s1, 0x3efa0199
	s_wait_alu 0xfffe
	v_fma_f64 v[73:74], v[71:72], v[73:74], s[0:1]
	s_mov_b32 s0, 0x14761f6e
	s_mov_b32 s1, 0x3f2a01a0
	s_wait_alu 0xfffe
	s_delay_alu instid0(VALU_DEP_1) | instskip(SKIP_3) | instid1(VALU_DEP_1)
	v_fma_f64 v[73:74], v[71:72], v[73:74], s[0:1]
	s_mov_b32 s0, 0x1852b7b0
	s_mov_b32 s1, 0x3f56c16c
	s_wait_alu 0xfffe
	v_fma_f64 v[73:74], v[71:72], v[73:74], s[0:1]
	s_mov_b32 s0, 0x11122322
	s_mov_b32 s1, 0x3f811111
	;; [unrolled: 9-line block ×3, first 2 shown]
	s_wait_alu 0xfffe
	s_delay_alu instid0(VALU_DEP_1) | instskip(SKIP_3) | instid1(VALU_DEP_1)
	v_fma_f64 v[73:74], v[71:72], v[73:74], s[0:1]
	s_mov_b32 s0, 11
	s_mov_b32 s1, 0x3fe00000
	s_wait_alu 0xfffe
	v_fma_f64 v[73:74], v[71:72], v[73:74], s[0:1]
	v_cmp_ngt_f64_e64 s0, 0xc090cc00, v[21:22]
	s_mov_b32 s1, 0x3fe55555
	v_fma_f64 v[73:74], v[71:72], v[73:74], 1.0
	s_delay_alu instid0(VALU_DEP_1) | instskip(NEXT) | instid1(VALU_DEP_1)
	v_fma_f64 v[69:70], v[71:72], v[73:74], 1.0
	v_ldexp_f64 v[69:70], v[69:70], v75
	s_wait_alu 0xfffd
	s_delay_alu instid0(VALU_DEP_1) | instskip(SKIP_2) | instid1(VALU_DEP_2)
	v_cndmask_b32_e32 v70, 0x7ff00000, v70, vcc_lo
	s_and_b32 vcc_lo, s0, vcc_lo
	s_wait_alu 0xfffe
	v_cndmask_b32_e32 v21, 0, v69, vcc_lo
	s_delay_alu instid0(VALU_DEP_2) | instskip(SKIP_1) | instid1(VALU_DEP_1)
	v_cndmask_b32_e64 v22, 0, v70, s0
	s_mov_b32 s0, 0x55555555
	v_add_f64_e32 v[69:70], 1.0, v[21:22]
	s_delay_alu instid0(VALU_DEP_1) | instskip(SKIP_3) | instid1(VALU_DEP_3)
	v_frexp_mant_f64_e32 v[71:72], v[69:70]
	v_frexp_exp_i32_f64_e32 v75, v[69:70]
	v_add_f64_e32 v[73:74], -1.0, v[69:70]
	s_wait_alu 0xfffe
	v_cmp_gt_f64_e32 vcc_lo, s[0:1], v[71:72]
	s_mov_b32 s0, 0x55555780
	s_delay_alu instid0(VALU_DEP_2) | instskip(SKIP_3) | instid1(VALU_DEP_3)
	v_add_f64_e64 v[71:72], v[73:74], -v[69:70]
	v_add_f64_e64 v[73:74], v[21:22], -v[73:74]
	s_wait_alu 0xfffd
	v_subrev_co_ci_u32_e64 v109, null, 0, v75, vcc_lo
	v_add_f64_e32 v[71:72], 1.0, v[71:72]
	v_cmp_nge_f64_e32 vcc_lo, -1.0, v[21:22]
	s_delay_alu instid0(VALU_DEP_3) | instskip(NEXT) | instid1(VALU_DEP_1)
	v_sub_nc_u32_e32 v77, 0, v109
	v_ldexp_f64 v[69:70], v[69:70], v77
	s_delay_alu instid0(VALU_DEP_4) | instskip(NEXT) | instid1(VALU_DEP_2)
	v_add_f64_e32 v[71:72], v[73:74], v[71:72]
	v_add_f64_e32 v[75:76], 1.0, v[69:70]
	v_add_f64_e32 v[81:82], -1.0, v[69:70]
	s_delay_alu instid0(VALU_DEP_3) | instskip(NEXT) | instid1(VALU_DEP_3)
	v_ldexp_f64 v[71:72], v[71:72], v77
	v_add_f64_e32 v[73:74], -1.0, v[75:76]
	s_delay_alu instid0(VALU_DEP_3) | instskip(NEXT) | instid1(VALU_DEP_2)
	v_add_f64_e32 v[101:102], 1.0, v[81:82]
	v_add_f64_e64 v[73:74], v[69:70], -v[73:74]
	s_delay_alu instid0(VALU_DEP_2) | instskip(NEXT) | instid1(VALU_DEP_2)
	v_add_f64_e64 v[69:70], v[69:70], -v[101:102]
	v_add_f64_e32 v[73:74], v[71:72], v[73:74]
	s_delay_alu instid0(VALU_DEP_2) | instskip(NEXT) | instid1(VALU_DEP_2)
	v_add_f64_e32 v[69:70], v[71:72], v[69:70]
	v_add_f64_e32 v[77:78], v[75:76], v[73:74]
	s_delay_alu instid0(VALU_DEP_2) | instskip(NEXT) | instid1(VALU_DEP_2)
	v_add_f64_e32 v[101:102], v[81:82], v[69:70]
	v_rcp_f64_e32 v[79:80], v[77:78]
	v_add_f64_e64 v[75:76], v[77:78], -v[75:76]
	s_delay_alu instid0(VALU_DEP_2) | instskip(NEXT) | instid1(VALU_DEP_2)
	v_add_f64_e64 v[81:82], v[101:102], -v[81:82]
	v_add_f64_e64 v[73:74], v[73:74], -v[75:76]
	s_delay_alu instid0(TRANS32_DEP_1) | instskip(NEXT) | instid1(VALU_DEP_3)
	v_fma_f64 v[103:104], -v[77:78], v[79:80], 1.0
	v_add_f64_e64 v[69:70], v[69:70], -v[81:82]
	s_delay_alu instid0(VALU_DEP_2) | instskip(NEXT) | instid1(VALU_DEP_1)
	v_fma_f64 v[79:80], v[103:104], v[79:80], v[79:80]
	v_fma_f64 v[71:72], -v[77:78], v[79:80], 1.0
	s_delay_alu instid0(VALU_DEP_1) | instskip(NEXT) | instid1(VALU_DEP_1)
	v_fma_f64 v[71:72], v[71:72], v[79:80], v[79:80]
	v_mul_f64_e32 v[79:80], v[101:102], v[71:72]
	s_delay_alu instid0(VALU_DEP_1) | instskip(NEXT) | instid1(VALU_DEP_1)
	v_mul_f64_e32 v[103:104], v[77:78], v[79:80]
	v_fma_f64 v[75:76], v[79:80], v[77:78], -v[103:104]
	s_delay_alu instid0(VALU_DEP_1) | instskip(NEXT) | instid1(VALU_DEP_1)
	v_fma_f64 v[75:76], v[79:80], v[73:74], v[75:76]
	v_add_f64_e32 v[105:106], v[103:104], v[75:76]
	s_delay_alu instid0(VALU_DEP_1) | instskip(SKIP_1) | instid1(VALU_DEP_2)
	v_add_f64_e64 v[107:108], v[101:102], -v[105:106]
	v_add_f64_e64 v[81:82], v[105:106], -v[103:104]
	;; [unrolled: 1-line block ×3, first 2 shown]
	s_delay_alu instid0(VALU_DEP_2) | instskip(NEXT) | instid1(VALU_DEP_2)
	v_add_f64_e64 v[75:76], v[81:82], -v[75:76]
	v_add_f64_e64 v[101:102], v[101:102], -v[105:106]
	s_delay_alu instid0(VALU_DEP_1) | instskip(NEXT) | instid1(VALU_DEP_1)
	v_add_f64_e32 v[69:70], v[69:70], v[101:102]
	v_add_f64_e32 v[69:70], v[75:76], v[69:70]
	s_delay_alu instid0(VALU_DEP_1) | instskip(NEXT) | instid1(VALU_DEP_1)
	v_add_f64_e32 v[75:76], v[107:108], v[69:70]
	v_mul_f64_e32 v[81:82], v[71:72], v[75:76]
	v_add_f64_e64 v[105:106], v[107:108], -v[75:76]
	s_delay_alu instid0(VALU_DEP_2) | instskip(NEXT) | instid1(VALU_DEP_2)
	v_mul_f64_e32 v[101:102], v[77:78], v[81:82]
	v_add_f64_e32 v[69:70], v[69:70], v[105:106]
	s_delay_alu instid0(VALU_DEP_2) | instskip(NEXT) | instid1(VALU_DEP_1)
	v_fma_f64 v[77:78], v[81:82], v[77:78], -v[101:102]
	v_fma_f64 v[73:74], v[81:82], v[73:74], v[77:78]
	s_delay_alu instid0(VALU_DEP_1) | instskip(NEXT) | instid1(VALU_DEP_1)
	v_add_f64_e32 v[77:78], v[101:102], v[73:74]
	v_add_f64_e64 v[103:104], v[75:76], -v[77:78]
	v_add_f64_e64 v[101:102], v[77:78], -v[101:102]
	s_delay_alu instid0(VALU_DEP_2) | instskip(NEXT) | instid1(VALU_DEP_2)
	v_add_f64_e64 v[75:76], v[75:76], -v[103:104]
	v_add_f64_e64 v[73:74], v[101:102], -v[73:74]
	s_delay_alu instid0(VALU_DEP_2) | instskip(NEXT) | instid1(VALU_DEP_1)
	v_add_f64_e64 v[75:76], v[75:76], -v[77:78]
	v_add_f64_e32 v[69:70], v[69:70], v[75:76]
	v_add_f64_e32 v[75:76], v[79:80], v[81:82]
	s_delay_alu instid0(VALU_DEP_2) | instskip(NEXT) | instid1(VALU_DEP_2)
	v_add_f64_e32 v[69:70], v[73:74], v[69:70]
	v_add_f64_e64 v[73:74], v[75:76], -v[79:80]
	s_delay_alu instid0(VALU_DEP_2) | instskip(NEXT) | instid1(VALU_DEP_2)
	v_add_f64_e32 v[69:70], v[103:104], v[69:70]
	v_add_f64_e64 v[73:74], v[81:82], -v[73:74]
	s_delay_alu instid0(VALU_DEP_2) | instskip(NEXT) | instid1(VALU_DEP_1)
	v_mul_f64_e32 v[69:70], v[71:72], v[69:70]
	v_add_f64_e32 v[69:70], v[73:74], v[69:70]
	s_delay_alu instid0(VALU_DEP_1) | instskip(NEXT) | instid1(VALU_DEP_1)
	v_add_f64_e32 v[71:72], v[75:76], v[69:70]
	v_mul_f64_e32 v[73:74], v[71:72], v[71:72]
	s_delay_alu instid0(VALU_DEP_1) | instskip(SKIP_4) | instid1(VALU_DEP_2)
	v_fma_f64 v[77:78], v[73:74], s[18:19], s[16:17]
	s_mov_b32 s16, 0xd7f4df2e
	s_mov_b32 s17, 0x3fc7474d
	v_mul_f64_e32 v[79:80], v[71:72], v[73:74]
	s_wait_alu 0xfffe
	v_fma_f64 v[77:78], v[73:74], v[77:78], s[16:17]
	s_mov_b32 s16, 0x16291751
	s_mov_b32 s17, 0x3fcc71c0
	s_wait_alu 0xfffe
	s_delay_alu instid0(VALU_DEP_1) | instskip(SKIP_3) | instid1(VALU_DEP_1)
	v_fma_f64 v[77:78], v[73:74], v[77:78], s[16:17]
	s_mov_b32 s16, 0x9b27acf1
	s_mov_b32 s17, 0x3fd24924
	s_wait_alu 0xfffe
	v_fma_f64 v[77:78], v[73:74], v[77:78], s[16:17]
	s_mov_b32 s16, 0x998ef7b6
	s_mov_b32 s17, 0x3fd99999
	s_wait_alu 0xfffe
	s_delay_alu instid0(VALU_DEP_1) | instskip(NEXT) | instid1(VALU_DEP_1)
	v_fma_f64 v[77:78], v[73:74], v[77:78], s[16:17]
	v_fma_f64 v[73:74], v[73:74], v[77:78], s[0:1]
	v_ldexp_f64 v[77:78], v[71:72], 1
	v_add_f64_e64 v[71:72], v[71:72], -v[75:76]
	v_cmp_neq_f64_e64 s0, 0x7ff00000, v[21:22]
	v_cmp_ngt_f64_e64 s1, -1.0, v[21:22]
	v_mul_f64_e32 v[73:74], v[79:80], v[73:74]
	v_cvt_f64_i32_e32 v[79:80], v109
	v_add_f64_e64 v[69:70], v[69:70], -v[71:72]
	s_and_b32 vcc_lo, vcc_lo, s0
	s_delay_alu instid0(VALU_DEP_3) | instskip(NEXT) | instid1(VALU_DEP_3)
	v_add_f64_e32 v[75:76], v[77:78], v[73:74]
	v_mul_f64_e32 v[81:82], s[2:3], v[79:80]
	s_delay_alu instid0(VALU_DEP_3) | instskip(NEXT) | instid1(VALU_DEP_3)
	v_ldexp_f64 v[69:70], v[69:70], 1
	v_add_f64_e64 v[71:72], v[75:76], -v[77:78]
	s_delay_alu instid0(VALU_DEP_3) | instskip(NEXT) | instid1(VALU_DEP_2)
	v_fma_f64 v[77:78], v[79:80], s[2:3], -v[81:82]
	v_add_f64_e64 v[71:72], v[73:74], -v[71:72]
	s_delay_alu instid0(VALU_DEP_2) | instskip(NEXT) | instid1(VALU_DEP_2)
	v_fma_f64 v[73:74], v[79:80], s[4:5], v[77:78]
	v_add_f64_e32 v[69:70], v[69:70], v[71:72]
	s_delay_alu instid0(VALU_DEP_2) | instskip(NEXT) | instid1(VALU_DEP_2)
	v_add_f64_e32 v[71:72], v[81:82], v[73:74]
	v_add_f64_e32 v[77:78], v[75:76], v[69:70]
	s_delay_alu instid0(VALU_DEP_2) | instskip(NEXT) | instid1(VALU_DEP_2)
	v_add_f64_e64 v[81:82], v[71:72], -v[81:82]
	v_add_f64_e32 v[79:80], v[71:72], v[77:78]
	v_add_f64_e64 v[75:76], v[77:78], -v[75:76]
	s_delay_alu instid0(VALU_DEP_3) | instskip(NEXT) | instid1(VALU_DEP_3)
	v_add_f64_e64 v[73:74], v[73:74], -v[81:82]
	v_add_f64_e64 v[101:102], v[79:80], -v[71:72]
	s_delay_alu instid0(VALU_DEP_3) | instskip(NEXT) | instid1(VALU_DEP_2)
	v_add_f64_e64 v[69:70], v[69:70], -v[75:76]
	v_add_f64_e64 v[103:104], v[79:80], -v[101:102]
	;; [unrolled: 1-line block ×3, first 2 shown]
	s_delay_alu instid0(VALU_DEP_3) | instskip(NEXT) | instid1(VALU_DEP_3)
	v_add_f64_e32 v[77:78], v[73:74], v[69:70]
	v_add_f64_e64 v[71:72], v[71:72], -v[103:104]
	s_delay_alu instid0(VALU_DEP_1) | instskip(NEXT) | instid1(VALU_DEP_3)
	v_add_f64_e32 v[71:72], v[75:76], v[71:72]
	v_add_f64_e64 v[75:76], v[77:78], -v[73:74]
	s_delay_alu instid0(VALU_DEP_2) | instskip(NEXT) | instid1(VALU_DEP_2)
	v_add_f64_e32 v[71:72], v[77:78], v[71:72]
	v_add_f64_e64 v[77:78], v[77:78], -v[75:76]
	v_add_f64_e64 v[69:70], v[69:70], -v[75:76]
	s_delay_alu instid0(VALU_DEP_3) | instskip(NEXT) | instid1(VALU_DEP_3)
	v_add_f64_e32 v[81:82], v[79:80], v[71:72]
	v_add_f64_e64 v[73:74], v[73:74], -v[77:78]
	s_delay_alu instid0(VALU_DEP_2) | instskip(NEXT) | instid1(VALU_DEP_2)
	v_add_f64_e64 v[75:76], v[81:82], -v[79:80]
	v_add_f64_e32 v[69:70], v[69:70], v[73:74]
	s_delay_alu instid0(VALU_DEP_2) | instskip(NEXT) | instid1(VALU_DEP_1)
	v_add_f64_e64 v[71:72], v[71:72], -v[75:76]
	v_add_f64_e32 v[69:70], v[69:70], v[71:72]
	s_delay_alu instid0(VALU_DEP_1) | instskip(SKIP_1) | instid1(VALU_DEP_1)
	v_add_f64_e32 v[69:70], v[81:82], v[69:70]
	s_wait_alu 0xfffe
	v_cndmask_b32_e32 v69, 0, v69, vcc_lo
	v_cmp_neq_f64_e32 vcc_lo, -1.0, v[21:22]
	s_delay_alu instid0(VALU_DEP_3) | instskip(NEXT) | instid1(VALU_DEP_1)
	v_cndmask_b32_e64 v70, 0x7ff00000, v70, s0
	v_cndmask_b32_e64 v70, 0x7ff80000, v70, s1
	s_wait_alu 0xfffd
	s_delay_alu instid0(VALU_DEP_1) | instskip(NEXT) | instid1(VALU_DEP_1)
	v_cndmask_b32_e32 v70, 0xfff00000, v70, vcc_lo
	v_add_f64_e32 v[21:22], v[23:24], v[69:70]
.LBB6_177:
	s_wait_alu 0xfffe
	s_or_b32 exec_lo, exec_lo, s6
	s_delay_alu instid0(VALU_DEP_1) | instskip(SKIP_1) | instid1(VALU_DEP_2)
	v_max_num_f64_e32 v[23:24], v[21:22], v[21:22]
	v_cmp_u_f64_e32 vcc_lo, v[21:22], v[21:22]
	v_min_num_f64_e32 v[69:70], v[23:24], v[25:26]
	v_max_num_f64_e32 v[23:24], v[23:24], v[25:26]
	s_wait_alu 0xfffd
	s_delay_alu instid0(VALU_DEP_2) | instskip(NEXT) | instid1(VALU_DEP_2)
	v_dual_cndmask_b32 v25, v69, v21 :: v_dual_cndmask_b32 v26, v70, v22
	v_dual_cndmask_b32 v24, v24, v22 :: v_dual_cndmask_b32 v23, v23, v21
	s_delay_alu instid0(VALU_DEP_2) | instskip(NEXT) | instid1(VALU_DEP_3)
	v_cndmask_b32_e64 v69, v25, v51, s8
	v_cndmask_b32_e64 v70, v26, v52, s8
	s_delay_alu instid0(VALU_DEP_3) | instskip(NEXT) | instid1(VALU_DEP_4)
	v_cndmask_b32_e64 v26, v24, v52, s8
	v_cndmask_b32_e64 v25, v23, v51, s8
	v_dual_mov_b32 v24, v22 :: v_dual_mov_b32 v23, v21
	s_delay_alu instid0(VALU_DEP_4) | instskip(NEXT) | instid1(VALU_DEP_3)
	v_cmp_class_f64_e64 s0, v[69:70], 0x1f8
	v_cmp_neq_f64_e32 vcc_lo, v[69:70], v[25:26]
	s_or_b32 s0, vcc_lo, s0
	s_wait_alu 0xfffe
	s_and_saveexec_b32 s6, s0
	s_cbranch_execz .LBB6_179
; %bb.178:
	v_add_f64_e64 v[23:24], v[69:70], -v[25:26]
	s_mov_b32 s0, 0x652b82fe
	s_mov_b32 s1, 0x3ff71547
	;; [unrolled: 1-line block ×10, first 2 shown]
	s_wait_alu 0xfffe
	s_delay_alu instid0(VALU_DEP_1) | instskip(SKIP_3) | instid1(VALU_DEP_2)
	v_mul_f64_e32 v[69:70], s[0:1], v[23:24]
	s_mov_b32 s0, 0xfca7ab0c
	s_mov_b32 s1, 0x3e928af3
	v_cmp_nlt_f64_e32 vcc_lo, 0x40900000, v[23:24]
	v_rndne_f64_e32 v[69:70], v[69:70]
	s_delay_alu instid0(VALU_DEP_1) | instskip(SKIP_2) | instid1(VALU_DEP_2)
	v_fma_f64 v[71:72], v[69:70], s[2:3], v[23:24]
	v_cvt_i32_f64_e32 v75, v[69:70]
	s_mov_b32 s3, 0x3fe62e42
	v_fma_f64 v[71:72], v[69:70], s[4:5], v[71:72]
	s_mov_b32 s5, 0x3c7abc9e
	s_wait_alu 0xfffe
	s_delay_alu instid0(VALU_DEP_1)
	v_fma_f64 v[73:74], v[71:72], s[16:17], s[0:1]
	s_mov_b32 s0, 0x623fde64
	s_mov_b32 s1, 0x3ec71dee
	;; [unrolled: 1-line block ×4, first 2 shown]
	s_wait_alu 0xfffe
	s_delay_alu instid0(VALU_DEP_1) | instskip(SKIP_3) | instid1(VALU_DEP_1)
	v_fma_f64 v[73:74], v[71:72], v[73:74], s[0:1]
	s_mov_b32 s0, 0x7c89e6b0
	s_mov_b32 s1, 0x3efa0199
	s_wait_alu 0xfffe
	v_fma_f64 v[73:74], v[71:72], v[73:74], s[0:1]
	s_mov_b32 s0, 0x14761f6e
	s_mov_b32 s1, 0x3f2a01a0
	s_wait_alu 0xfffe
	s_delay_alu instid0(VALU_DEP_1) | instskip(SKIP_3) | instid1(VALU_DEP_1)
	v_fma_f64 v[73:74], v[71:72], v[73:74], s[0:1]
	s_mov_b32 s0, 0x1852b7b0
	s_mov_b32 s1, 0x3f56c16c
	s_wait_alu 0xfffe
	v_fma_f64 v[73:74], v[71:72], v[73:74], s[0:1]
	s_mov_b32 s0, 0x11122322
	s_mov_b32 s1, 0x3f811111
	;; [unrolled: 9-line block ×3, first 2 shown]
	s_wait_alu 0xfffe
	s_delay_alu instid0(VALU_DEP_1) | instskip(SKIP_3) | instid1(VALU_DEP_1)
	v_fma_f64 v[73:74], v[71:72], v[73:74], s[0:1]
	s_mov_b32 s0, 11
	s_mov_b32 s1, 0x3fe00000
	s_wait_alu 0xfffe
	v_fma_f64 v[73:74], v[71:72], v[73:74], s[0:1]
	v_cmp_ngt_f64_e64 s0, 0xc090cc00, v[23:24]
	s_mov_b32 s1, 0x3fe55555
	v_fma_f64 v[73:74], v[71:72], v[73:74], 1.0
	s_delay_alu instid0(VALU_DEP_1) | instskip(NEXT) | instid1(VALU_DEP_1)
	v_fma_f64 v[69:70], v[71:72], v[73:74], 1.0
	v_ldexp_f64 v[69:70], v[69:70], v75
	s_wait_alu 0xfffd
	s_delay_alu instid0(VALU_DEP_1) | instskip(SKIP_2) | instid1(VALU_DEP_2)
	v_cndmask_b32_e32 v70, 0x7ff00000, v70, vcc_lo
	s_and_b32 vcc_lo, s0, vcc_lo
	s_wait_alu 0xfffe
	v_cndmask_b32_e32 v23, 0, v69, vcc_lo
	s_delay_alu instid0(VALU_DEP_2) | instskip(SKIP_1) | instid1(VALU_DEP_1)
	v_cndmask_b32_e64 v24, 0, v70, s0
	s_mov_b32 s0, 0x55555555
	v_add_f64_e32 v[69:70], 1.0, v[23:24]
	s_delay_alu instid0(VALU_DEP_1) | instskip(SKIP_3) | instid1(VALU_DEP_3)
	v_frexp_mant_f64_e32 v[71:72], v[69:70]
	v_frexp_exp_i32_f64_e32 v75, v[69:70]
	v_add_f64_e32 v[73:74], -1.0, v[69:70]
	s_wait_alu 0xfffe
	v_cmp_gt_f64_e32 vcc_lo, s[0:1], v[71:72]
	s_mov_b32 s0, 0x55555780
	s_delay_alu instid0(VALU_DEP_2) | instskip(SKIP_3) | instid1(VALU_DEP_3)
	v_add_f64_e64 v[71:72], v[73:74], -v[69:70]
	v_add_f64_e64 v[73:74], v[23:24], -v[73:74]
	s_wait_alu 0xfffd
	v_subrev_co_ci_u32_e64 v109, null, 0, v75, vcc_lo
	v_add_f64_e32 v[71:72], 1.0, v[71:72]
	v_cmp_nge_f64_e32 vcc_lo, -1.0, v[23:24]
	s_delay_alu instid0(VALU_DEP_3) | instskip(NEXT) | instid1(VALU_DEP_1)
	v_sub_nc_u32_e32 v77, 0, v109
	v_ldexp_f64 v[69:70], v[69:70], v77
	s_delay_alu instid0(VALU_DEP_4) | instskip(NEXT) | instid1(VALU_DEP_2)
	v_add_f64_e32 v[71:72], v[73:74], v[71:72]
	v_add_f64_e32 v[75:76], 1.0, v[69:70]
	v_add_f64_e32 v[81:82], -1.0, v[69:70]
	s_delay_alu instid0(VALU_DEP_3) | instskip(NEXT) | instid1(VALU_DEP_3)
	v_ldexp_f64 v[71:72], v[71:72], v77
	v_add_f64_e32 v[73:74], -1.0, v[75:76]
	s_delay_alu instid0(VALU_DEP_3) | instskip(NEXT) | instid1(VALU_DEP_2)
	v_add_f64_e32 v[101:102], 1.0, v[81:82]
	v_add_f64_e64 v[73:74], v[69:70], -v[73:74]
	s_delay_alu instid0(VALU_DEP_2) | instskip(NEXT) | instid1(VALU_DEP_2)
	v_add_f64_e64 v[69:70], v[69:70], -v[101:102]
	v_add_f64_e32 v[73:74], v[71:72], v[73:74]
	s_delay_alu instid0(VALU_DEP_2) | instskip(NEXT) | instid1(VALU_DEP_2)
	v_add_f64_e32 v[69:70], v[71:72], v[69:70]
	v_add_f64_e32 v[77:78], v[75:76], v[73:74]
	s_delay_alu instid0(VALU_DEP_2) | instskip(NEXT) | instid1(VALU_DEP_2)
	v_add_f64_e32 v[101:102], v[81:82], v[69:70]
	v_rcp_f64_e32 v[79:80], v[77:78]
	v_add_f64_e64 v[75:76], v[77:78], -v[75:76]
	s_delay_alu instid0(VALU_DEP_2) | instskip(NEXT) | instid1(VALU_DEP_2)
	v_add_f64_e64 v[81:82], v[101:102], -v[81:82]
	v_add_f64_e64 v[73:74], v[73:74], -v[75:76]
	s_delay_alu instid0(TRANS32_DEP_1) | instskip(NEXT) | instid1(VALU_DEP_3)
	v_fma_f64 v[103:104], -v[77:78], v[79:80], 1.0
	v_add_f64_e64 v[69:70], v[69:70], -v[81:82]
	s_delay_alu instid0(VALU_DEP_2) | instskip(NEXT) | instid1(VALU_DEP_1)
	v_fma_f64 v[79:80], v[103:104], v[79:80], v[79:80]
	v_fma_f64 v[71:72], -v[77:78], v[79:80], 1.0
	s_delay_alu instid0(VALU_DEP_1) | instskip(NEXT) | instid1(VALU_DEP_1)
	v_fma_f64 v[71:72], v[71:72], v[79:80], v[79:80]
	v_mul_f64_e32 v[79:80], v[101:102], v[71:72]
	s_delay_alu instid0(VALU_DEP_1) | instskip(NEXT) | instid1(VALU_DEP_1)
	v_mul_f64_e32 v[103:104], v[77:78], v[79:80]
	v_fma_f64 v[75:76], v[79:80], v[77:78], -v[103:104]
	s_delay_alu instid0(VALU_DEP_1) | instskip(NEXT) | instid1(VALU_DEP_1)
	v_fma_f64 v[75:76], v[79:80], v[73:74], v[75:76]
	v_add_f64_e32 v[105:106], v[103:104], v[75:76]
	s_delay_alu instid0(VALU_DEP_1) | instskip(SKIP_1) | instid1(VALU_DEP_2)
	v_add_f64_e64 v[107:108], v[101:102], -v[105:106]
	v_add_f64_e64 v[81:82], v[105:106], -v[103:104]
	;; [unrolled: 1-line block ×3, first 2 shown]
	s_delay_alu instid0(VALU_DEP_2) | instskip(NEXT) | instid1(VALU_DEP_2)
	v_add_f64_e64 v[75:76], v[81:82], -v[75:76]
	v_add_f64_e64 v[101:102], v[101:102], -v[105:106]
	s_delay_alu instid0(VALU_DEP_1) | instskip(NEXT) | instid1(VALU_DEP_1)
	v_add_f64_e32 v[69:70], v[69:70], v[101:102]
	v_add_f64_e32 v[69:70], v[75:76], v[69:70]
	s_delay_alu instid0(VALU_DEP_1) | instskip(NEXT) | instid1(VALU_DEP_1)
	v_add_f64_e32 v[75:76], v[107:108], v[69:70]
	v_mul_f64_e32 v[81:82], v[71:72], v[75:76]
	v_add_f64_e64 v[105:106], v[107:108], -v[75:76]
	s_delay_alu instid0(VALU_DEP_2) | instskip(NEXT) | instid1(VALU_DEP_2)
	v_mul_f64_e32 v[101:102], v[77:78], v[81:82]
	v_add_f64_e32 v[69:70], v[69:70], v[105:106]
	s_delay_alu instid0(VALU_DEP_2) | instskip(NEXT) | instid1(VALU_DEP_1)
	v_fma_f64 v[77:78], v[81:82], v[77:78], -v[101:102]
	v_fma_f64 v[73:74], v[81:82], v[73:74], v[77:78]
	s_delay_alu instid0(VALU_DEP_1) | instskip(NEXT) | instid1(VALU_DEP_1)
	v_add_f64_e32 v[77:78], v[101:102], v[73:74]
	v_add_f64_e64 v[103:104], v[75:76], -v[77:78]
	v_add_f64_e64 v[101:102], v[77:78], -v[101:102]
	s_delay_alu instid0(VALU_DEP_2) | instskip(NEXT) | instid1(VALU_DEP_2)
	v_add_f64_e64 v[75:76], v[75:76], -v[103:104]
	v_add_f64_e64 v[73:74], v[101:102], -v[73:74]
	s_delay_alu instid0(VALU_DEP_2) | instskip(NEXT) | instid1(VALU_DEP_1)
	v_add_f64_e64 v[75:76], v[75:76], -v[77:78]
	v_add_f64_e32 v[69:70], v[69:70], v[75:76]
	v_add_f64_e32 v[75:76], v[79:80], v[81:82]
	s_delay_alu instid0(VALU_DEP_2) | instskip(NEXT) | instid1(VALU_DEP_2)
	v_add_f64_e32 v[69:70], v[73:74], v[69:70]
	v_add_f64_e64 v[73:74], v[75:76], -v[79:80]
	s_delay_alu instid0(VALU_DEP_2) | instskip(NEXT) | instid1(VALU_DEP_2)
	v_add_f64_e32 v[69:70], v[103:104], v[69:70]
	v_add_f64_e64 v[73:74], v[81:82], -v[73:74]
	s_delay_alu instid0(VALU_DEP_2) | instskip(NEXT) | instid1(VALU_DEP_1)
	v_mul_f64_e32 v[69:70], v[71:72], v[69:70]
	v_add_f64_e32 v[69:70], v[73:74], v[69:70]
	s_delay_alu instid0(VALU_DEP_1) | instskip(NEXT) | instid1(VALU_DEP_1)
	v_add_f64_e32 v[71:72], v[75:76], v[69:70]
	v_mul_f64_e32 v[73:74], v[71:72], v[71:72]
	s_delay_alu instid0(VALU_DEP_1) | instskip(SKIP_4) | instid1(VALU_DEP_2)
	v_fma_f64 v[77:78], v[73:74], s[18:19], s[16:17]
	s_mov_b32 s16, 0xd7f4df2e
	s_mov_b32 s17, 0x3fc7474d
	v_mul_f64_e32 v[79:80], v[71:72], v[73:74]
	s_wait_alu 0xfffe
	v_fma_f64 v[77:78], v[73:74], v[77:78], s[16:17]
	s_mov_b32 s16, 0x16291751
	s_mov_b32 s17, 0x3fcc71c0
	s_wait_alu 0xfffe
	s_delay_alu instid0(VALU_DEP_1) | instskip(SKIP_3) | instid1(VALU_DEP_1)
	v_fma_f64 v[77:78], v[73:74], v[77:78], s[16:17]
	s_mov_b32 s16, 0x9b27acf1
	s_mov_b32 s17, 0x3fd24924
	s_wait_alu 0xfffe
	v_fma_f64 v[77:78], v[73:74], v[77:78], s[16:17]
	s_mov_b32 s16, 0x998ef7b6
	s_mov_b32 s17, 0x3fd99999
	s_wait_alu 0xfffe
	s_delay_alu instid0(VALU_DEP_1) | instskip(NEXT) | instid1(VALU_DEP_1)
	v_fma_f64 v[77:78], v[73:74], v[77:78], s[16:17]
	v_fma_f64 v[73:74], v[73:74], v[77:78], s[0:1]
	v_ldexp_f64 v[77:78], v[71:72], 1
	v_add_f64_e64 v[71:72], v[71:72], -v[75:76]
	v_cmp_neq_f64_e64 s0, 0x7ff00000, v[23:24]
	v_cmp_ngt_f64_e64 s1, -1.0, v[23:24]
	v_mul_f64_e32 v[73:74], v[79:80], v[73:74]
	v_cvt_f64_i32_e32 v[79:80], v109
	v_add_f64_e64 v[69:70], v[69:70], -v[71:72]
	s_and_b32 vcc_lo, vcc_lo, s0
	s_delay_alu instid0(VALU_DEP_3) | instskip(NEXT) | instid1(VALU_DEP_3)
	v_add_f64_e32 v[75:76], v[77:78], v[73:74]
	v_mul_f64_e32 v[81:82], s[2:3], v[79:80]
	s_delay_alu instid0(VALU_DEP_3) | instskip(NEXT) | instid1(VALU_DEP_3)
	v_ldexp_f64 v[69:70], v[69:70], 1
	v_add_f64_e64 v[71:72], v[75:76], -v[77:78]
	s_delay_alu instid0(VALU_DEP_3) | instskip(NEXT) | instid1(VALU_DEP_2)
	v_fma_f64 v[77:78], v[79:80], s[2:3], -v[81:82]
	v_add_f64_e64 v[71:72], v[73:74], -v[71:72]
	s_delay_alu instid0(VALU_DEP_2) | instskip(NEXT) | instid1(VALU_DEP_2)
	v_fma_f64 v[73:74], v[79:80], s[4:5], v[77:78]
	v_add_f64_e32 v[69:70], v[69:70], v[71:72]
	s_delay_alu instid0(VALU_DEP_2) | instskip(NEXT) | instid1(VALU_DEP_2)
	v_add_f64_e32 v[71:72], v[81:82], v[73:74]
	v_add_f64_e32 v[77:78], v[75:76], v[69:70]
	s_delay_alu instid0(VALU_DEP_2) | instskip(NEXT) | instid1(VALU_DEP_2)
	v_add_f64_e64 v[81:82], v[71:72], -v[81:82]
	v_add_f64_e32 v[79:80], v[71:72], v[77:78]
	v_add_f64_e64 v[75:76], v[77:78], -v[75:76]
	s_delay_alu instid0(VALU_DEP_3) | instskip(NEXT) | instid1(VALU_DEP_3)
	v_add_f64_e64 v[73:74], v[73:74], -v[81:82]
	v_add_f64_e64 v[101:102], v[79:80], -v[71:72]
	s_delay_alu instid0(VALU_DEP_3) | instskip(NEXT) | instid1(VALU_DEP_2)
	v_add_f64_e64 v[69:70], v[69:70], -v[75:76]
	v_add_f64_e64 v[103:104], v[79:80], -v[101:102]
	;; [unrolled: 1-line block ×3, first 2 shown]
	s_delay_alu instid0(VALU_DEP_3) | instskip(NEXT) | instid1(VALU_DEP_3)
	v_add_f64_e32 v[77:78], v[73:74], v[69:70]
	v_add_f64_e64 v[71:72], v[71:72], -v[103:104]
	s_delay_alu instid0(VALU_DEP_1) | instskip(NEXT) | instid1(VALU_DEP_3)
	v_add_f64_e32 v[71:72], v[75:76], v[71:72]
	v_add_f64_e64 v[75:76], v[77:78], -v[73:74]
	s_delay_alu instid0(VALU_DEP_2) | instskip(NEXT) | instid1(VALU_DEP_2)
	v_add_f64_e32 v[71:72], v[77:78], v[71:72]
	v_add_f64_e64 v[77:78], v[77:78], -v[75:76]
	v_add_f64_e64 v[69:70], v[69:70], -v[75:76]
	s_delay_alu instid0(VALU_DEP_3) | instskip(NEXT) | instid1(VALU_DEP_3)
	v_add_f64_e32 v[81:82], v[79:80], v[71:72]
	v_add_f64_e64 v[73:74], v[73:74], -v[77:78]
	s_delay_alu instid0(VALU_DEP_2) | instskip(NEXT) | instid1(VALU_DEP_2)
	v_add_f64_e64 v[75:76], v[81:82], -v[79:80]
	v_add_f64_e32 v[69:70], v[69:70], v[73:74]
	s_delay_alu instid0(VALU_DEP_2) | instskip(NEXT) | instid1(VALU_DEP_1)
	v_add_f64_e64 v[71:72], v[71:72], -v[75:76]
	v_add_f64_e32 v[69:70], v[69:70], v[71:72]
	s_delay_alu instid0(VALU_DEP_1) | instskip(SKIP_1) | instid1(VALU_DEP_1)
	v_add_f64_e32 v[69:70], v[81:82], v[69:70]
	s_wait_alu 0xfffe
	v_cndmask_b32_e32 v69, 0, v69, vcc_lo
	v_cmp_neq_f64_e32 vcc_lo, -1.0, v[23:24]
	s_delay_alu instid0(VALU_DEP_3) | instskip(NEXT) | instid1(VALU_DEP_1)
	v_cndmask_b32_e64 v70, 0x7ff00000, v70, s0
	v_cndmask_b32_e64 v70, 0x7ff80000, v70, s1
	s_wait_alu 0xfffd
	s_delay_alu instid0(VALU_DEP_1) | instskip(NEXT) | instid1(VALU_DEP_1)
	v_cndmask_b32_e32 v70, 0xfff00000, v70, vcc_lo
	v_add_f64_e32 v[23:24], v[25:26], v[69:70]
.LBB6_179:
	s_wait_alu 0xfffe
	s_or_b32 exec_lo, exec_lo, s6
	s_delay_alu instid0(VALU_DEP_1) | instskip(SKIP_1) | instid1(VALU_DEP_2)
	v_max_num_f64_e32 v[25:26], v[23:24], v[23:24]
	v_cmp_u_f64_e32 vcc_lo, v[23:24], v[23:24]
	v_min_num_f64_e32 v[69:70], v[25:26], v[27:28]
	v_max_num_f64_e32 v[25:26], v[25:26], v[27:28]
	s_wait_alu 0xfffd
	s_delay_alu instid0(VALU_DEP_2) | instskip(NEXT) | instid1(VALU_DEP_2)
	v_dual_cndmask_b32 v27, v69, v23 :: v_dual_cndmask_b32 v28, v70, v24
	v_dual_cndmask_b32 v26, v26, v24 :: v_dual_cndmask_b32 v25, v25, v23
	s_delay_alu instid0(VALU_DEP_2) | instskip(NEXT) | instid1(VALU_DEP_3)
	v_cndmask_b32_e64 v69, v27, v45, s9
	v_cndmask_b32_e64 v70, v28, v46, s9
	s_delay_alu instid0(VALU_DEP_3) | instskip(NEXT) | instid1(VALU_DEP_4)
	v_cndmask_b32_e64 v28, v26, v46, s9
	v_cndmask_b32_e64 v27, v25, v45, s9
	v_dual_mov_b32 v26, v24 :: v_dual_mov_b32 v25, v23
	s_delay_alu instid0(VALU_DEP_4) | instskip(NEXT) | instid1(VALU_DEP_3)
	v_cmp_class_f64_e64 s0, v[69:70], 0x1f8
	v_cmp_neq_f64_e32 vcc_lo, v[69:70], v[27:28]
	s_or_b32 s0, vcc_lo, s0
	s_wait_alu 0xfffe
	s_and_saveexec_b32 s6, s0
	s_cbranch_execz .LBB6_181
; %bb.180:
	v_add_f64_e64 v[25:26], v[69:70], -v[27:28]
	s_mov_b32 s0, 0x652b82fe
	s_mov_b32 s1, 0x3ff71547
	;; [unrolled: 1-line block ×10, first 2 shown]
	s_wait_alu 0xfffe
	s_delay_alu instid0(VALU_DEP_1) | instskip(SKIP_3) | instid1(VALU_DEP_2)
	v_mul_f64_e32 v[69:70], s[0:1], v[25:26]
	s_mov_b32 s0, 0xfca7ab0c
	s_mov_b32 s1, 0x3e928af3
	v_cmp_nlt_f64_e32 vcc_lo, 0x40900000, v[25:26]
	v_rndne_f64_e32 v[69:70], v[69:70]
	s_delay_alu instid0(VALU_DEP_1) | instskip(SKIP_2) | instid1(VALU_DEP_2)
	v_fma_f64 v[71:72], v[69:70], s[2:3], v[25:26]
	v_cvt_i32_f64_e32 v75, v[69:70]
	s_mov_b32 s3, 0x3fe62e42
	v_fma_f64 v[71:72], v[69:70], s[4:5], v[71:72]
	s_mov_b32 s5, 0x3c7abc9e
	s_wait_alu 0xfffe
	s_delay_alu instid0(VALU_DEP_1)
	v_fma_f64 v[73:74], v[71:72], s[8:9], s[0:1]
	s_mov_b32 s0, 0x623fde64
	s_mov_b32 s1, 0x3ec71dee
	;; [unrolled: 1-line block ×4, first 2 shown]
	s_wait_alu 0xfffe
	s_delay_alu instid0(VALU_DEP_1) | instskip(SKIP_3) | instid1(VALU_DEP_1)
	v_fma_f64 v[73:74], v[71:72], v[73:74], s[0:1]
	s_mov_b32 s0, 0x7c89e6b0
	s_mov_b32 s1, 0x3efa0199
	s_wait_alu 0xfffe
	v_fma_f64 v[73:74], v[71:72], v[73:74], s[0:1]
	s_mov_b32 s0, 0x14761f6e
	s_mov_b32 s1, 0x3f2a01a0
	s_wait_alu 0xfffe
	s_delay_alu instid0(VALU_DEP_1) | instskip(SKIP_3) | instid1(VALU_DEP_1)
	v_fma_f64 v[73:74], v[71:72], v[73:74], s[0:1]
	s_mov_b32 s0, 0x1852b7b0
	s_mov_b32 s1, 0x3f56c16c
	s_wait_alu 0xfffe
	v_fma_f64 v[73:74], v[71:72], v[73:74], s[0:1]
	s_mov_b32 s0, 0x11122322
	s_mov_b32 s1, 0x3f811111
	;; [unrolled: 9-line block ×3, first 2 shown]
	s_wait_alu 0xfffe
	s_delay_alu instid0(VALU_DEP_1) | instskip(SKIP_3) | instid1(VALU_DEP_1)
	v_fma_f64 v[73:74], v[71:72], v[73:74], s[0:1]
	s_mov_b32 s0, 11
	s_mov_b32 s1, 0x3fe00000
	s_wait_alu 0xfffe
	v_fma_f64 v[73:74], v[71:72], v[73:74], s[0:1]
	v_cmp_ngt_f64_e64 s0, 0xc090cc00, v[25:26]
	s_mov_b32 s1, 0x3fe55555
	v_fma_f64 v[73:74], v[71:72], v[73:74], 1.0
	s_delay_alu instid0(VALU_DEP_1) | instskip(NEXT) | instid1(VALU_DEP_1)
	v_fma_f64 v[69:70], v[71:72], v[73:74], 1.0
	v_ldexp_f64 v[69:70], v[69:70], v75
	s_wait_alu 0xfffd
	s_delay_alu instid0(VALU_DEP_1) | instskip(SKIP_2) | instid1(VALU_DEP_2)
	v_cndmask_b32_e32 v70, 0x7ff00000, v70, vcc_lo
	s_and_b32 vcc_lo, s0, vcc_lo
	s_wait_alu 0xfffe
	v_cndmask_b32_e32 v25, 0, v69, vcc_lo
	s_delay_alu instid0(VALU_DEP_2) | instskip(SKIP_1) | instid1(VALU_DEP_1)
	v_cndmask_b32_e64 v26, 0, v70, s0
	s_mov_b32 s0, 0x55555555
	v_add_f64_e32 v[69:70], 1.0, v[25:26]
	s_delay_alu instid0(VALU_DEP_1) | instskip(SKIP_3) | instid1(VALU_DEP_3)
	v_frexp_mant_f64_e32 v[71:72], v[69:70]
	v_frexp_exp_i32_f64_e32 v75, v[69:70]
	v_add_f64_e32 v[73:74], -1.0, v[69:70]
	s_wait_alu 0xfffe
	v_cmp_gt_f64_e32 vcc_lo, s[0:1], v[71:72]
	s_mov_b32 s0, 0x55555780
	s_delay_alu instid0(VALU_DEP_2) | instskip(SKIP_3) | instid1(VALU_DEP_3)
	v_add_f64_e64 v[71:72], v[73:74], -v[69:70]
	v_add_f64_e64 v[73:74], v[25:26], -v[73:74]
	s_wait_alu 0xfffd
	v_subrev_co_ci_u32_e64 v109, null, 0, v75, vcc_lo
	v_add_f64_e32 v[71:72], 1.0, v[71:72]
	v_cmp_nge_f64_e32 vcc_lo, -1.0, v[25:26]
	s_delay_alu instid0(VALU_DEP_3) | instskip(NEXT) | instid1(VALU_DEP_1)
	v_sub_nc_u32_e32 v77, 0, v109
	v_ldexp_f64 v[69:70], v[69:70], v77
	s_delay_alu instid0(VALU_DEP_4) | instskip(NEXT) | instid1(VALU_DEP_2)
	v_add_f64_e32 v[71:72], v[73:74], v[71:72]
	v_add_f64_e32 v[75:76], 1.0, v[69:70]
	v_add_f64_e32 v[81:82], -1.0, v[69:70]
	s_delay_alu instid0(VALU_DEP_3) | instskip(NEXT) | instid1(VALU_DEP_3)
	v_ldexp_f64 v[71:72], v[71:72], v77
	v_add_f64_e32 v[73:74], -1.0, v[75:76]
	s_delay_alu instid0(VALU_DEP_3) | instskip(NEXT) | instid1(VALU_DEP_2)
	v_add_f64_e32 v[101:102], 1.0, v[81:82]
	v_add_f64_e64 v[73:74], v[69:70], -v[73:74]
	s_delay_alu instid0(VALU_DEP_2) | instskip(NEXT) | instid1(VALU_DEP_2)
	v_add_f64_e64 v[69:70], v[69:70], -v[101:102]
	v_add_f64_e32 v[73:74], v[71:72], v[73:74]
	s_delay_alu instid0(VALU_DEP_2) | instskip(NEXT) | instid1(VALU_DEP_2)
	v_add_f64_e32 v[69:70], v[71:72], v[69:70]
	v_add_f64_e32 v[77:78], v[75:76], v[73:74]
	s_delay_alu instid0(VALU_DEP_2) | instskip(NEXT) | instid1(VALU_DEP_2)
	v_add_f64_e32 v[101:102], v[81:82], v[69:70]
	v_rcp_f64_e32 v[79:80], v[77:78]
	v_add_f64_e64 v[75:76], v[77:78], -v[75:76]
	s_delay_alu instid0(VALU_DEP_2) | instskip(NEXT) | instid1(VALU_DEP_2)
	v_add_f64_e64 v[81:82], v[101:102], -v[81:82]
	v_add_f64_e64 v[73:74], v[73:74], -v[75:76]
	s_delay_alu instid0(TRANS32_DEP_1) | instskip(NEXT) | instid1(VALU_DEP_3)
	v_fma_f64 v[103:104], -v[77:78], v[79:80], 1.0
	v_add_f64_e64 v[69:70], v[69:70], -v[81:82]
	s_delay_alu instid0(VALU_DEP_2) | instskip(NEXT) | instid1(VALU_DEP_1)
	v_fma_f64 v[79:80], v[103:104], v[79:80], v[79:80]
	v_fma_f64 v[71:72], -v[77:78], v[79:80], 1.0
	s_delay_alu instid0(VALU_DEP_1) | instskip(NEXT) | instid1(VALU_DEP_1)
	v_fma_f64 v[71:72], v[71:72], v[79:80], v[79:80]
	v_mul_f64_e32 v[79:80], v[101:102], v[71:72]
	s_delay_alu instid0(VALU_DEP_1) | instskip(NEXT) | instid1(VALU_DEP_1)
	v_mul_f64_e32 v[103:104], v[77:78], v[79:80]
	v_fma_f64 v[75:76], v[79:80], v[77:78], -v[103:104]
	s_delay_alu instid0(VALU_DEP_1) | instskip(NEXT) | instid1(VALU_DEP_1)
	v_fma_f64 v[75:76], v[79:80], v[73:74], v[75:76]
	v_add_f64_e32 v[105:106], v[103:104], v[75:76]
	s_delay_alu instid0(VALU_DEP_1) | instskip(SKIP_1) | instid1(VALU_DEP_2)
	v_add_f64_e64 v[107:108], v[101:102], -v[105:106]
	v_add_f64_e64 v[81:82], v[105:106], -v[103:104]
	;; [unrolled: 1-line block ×3, first 2 shown]
	s_delay_alu instid0(VALU_DEP_2) | instskip(NEXT) | instid1(VALU_DEP_2)
	v_add_f64_e64 v[75:76], v[81:82], -v[75:76]
	v_add_f64_e64 v[101:102], v[101:102], -v[105:106]
	s_delay_alu instid0(VALU_DEP_1) | instskip(NEXT) | instid1(VALU_DEP_1)
	v_add_f64_e32 v[69:70], v[69:70], v[101:102]
	v_add_f64_e32 v[69:70], v[75:76], v[69:70]
	s_delay_alu instid0(VALU_DEP_1) | instskip(NEXT) | instid1(VALU_DEP_1)
	v_add_f64_e32 v[75:76], v[107:108], v[69:70]
	v_mul_f64_e32 v[81:82], v[71:72], v[75:76]
	v_add_f64_e64 v[105:106], v[107:108], -v[75:76]
	s_delay_alu instid0(VALU_DEP_2) | instskip(NEXT) | instid1(VALU_DEP_2)
	v_mul_f64_e32 v[101:102], v[77:78], v[81:82]
	v_add_f64_e32 v[69:70], v[69:70], v[105:106]
	s_delay_alu instid0(VALU_DEP_2) | instskip(NEXT) | instid1(VALU_DEP_1)
	v_fma_f64 v[77:78], v[81:82], v[77:78], -v[101:102]
	v_fma_f64 v[73:74], v[81:82], v[73:74], v[77:78]
	s_delay_alu instid0(VALU_DEP_1) | instskip(NEXT) | instid1(VALU_DEP_1)
	v_add_f64_e32 v[77:78], v[101:102], v[73:74]
	v_add_f64_e64 v[103:104], v[75:76], -v[77:78]
	v_add_f64_e64 v[101:102], v[77:78], -v[101:102]
	s_delay_alu instid0(VALU_DEP_2) | instskip(NEXT) | instid1(VALU_DEP_2)
	v_add_f64_e64 v[75:76], v[75:76], -v[103:104]
	v_add_f64_e64 v[73:74], v[101:102], -v[73:74]
	s_delay_alu instid0(VALU_DEP_2) | instskip(NEXT) | instid1(VALU_DEP_1)
	v_add_f64_e64 v[75:76], v[75:76], -v[77:78]
	v_add_f64_e32 v[69:70], v[69:70], v[75:76]
	v_add_f64_e32 v[75:76], v[79:80], v[81:82]
	s_delay_alu instid0(VALU_DEP_2) | instskip(NEXT) | instid1(VALU_DEP_2)
	v_add_f64_e32 v[69:70], v[73:74], v[69:70]
	v_add_f64_e64 v[73:74], v[75:76], -v[79:80]
	s_delay_alu instid0(VALU_DEP_2) | instskip(NEXT) | instid1(VALU_DEP_2)
	v_add_f64_e32 v[69:70], v[103:104], v[69:70]
	v_add_f64_e64 v[73:74], v[81:82], -v[73:74]
	s_delay_alu instid0(VALU_DEP_2) | instskip(NEXT) | instid1(VALU_DEP_1)
	v_mul_f64_e32 v[69:70], v[71:72], v[69:70]
	v_add_f64_e32 v[69:70], v[73:74], v[69:70]
	s_delay_alu instid0(VALU_DEP_1) | instskip(NEXT) | instid1(VALU_DEP_1)
	v_add_f64_e32 v[71:72], v[75:76], v[69:70]
	v_mul_f64_e32 v[73:74], v[71:72], v[71:72]
	s_delay_alu instid0(VALU_DEP_1) | instskip(SKIP_4) | instid1(VALU_DEP_2)
	v_fma_f64 v[77:78], v[73:74], s[16:17], s[8:9]
	s_mov_b32 s8, 0xd7f4df2e
	s_mov_b32 s9, 0x3fc7474d
	v_mul_f64_e32 v[79:80], v[71:72], v[73:74]
	s_wait_alu 0xfffe
	v_fma_f64 v[77:78], v[73:74], v[77:78], s[8:9]
	s_mov_b32 s8, 0x16291751
	s_mov_b32 s9, 0x3fcc71c0
	s_wait_alu 0xfffe
	s_delay_alu instid0(VALU_DEP_1) | instskip(SKIP_3) | instid1(VALU_DEP_1)
	v_fma_f64 v[77:78], v[73:74], v[77:78], s[8:9]
	s_mov_b32 s8, 0x9b27acf1
	s_mov_b32 s9, 0x3fd24924
	s_wait_alu 0xfffe
	v_fma_f64 v[77:78], v[73:74], v[77:78], s[8:9]
	s_mov_b32 s8, 0x998ef7b6
	s_mov_b32 s9, 0x3fd99999
	s_wait_alu 0xfffe
	s_delay_alu instid0(VALU_DEP_1) | instskip(NEXT) | instid1(VALU_DEP_1)
	v_fma_f64 v[77:78], v[73:74], v[77:78], s[8:9]
	v_fma_f64 v[73:74], v[73:74], v[77:78], s[0:1]
	v_ldexp_f64 v[77:78], v[71:72], 1
	v_add_f64_e64 v[71:72], v[71:72], -v[75:76]
	v_cmp_neq_f64_e64 s0, 0x7ff00000, v[25:26]
	v_cmp_ngt_f64_e64 s1, -1.0, v[25:26]
	v_mul_f64_e32 v[73:74], v[79:80], v[73:74]
	v_cvt_f64_i32_e32 v[79:80], v109
	v_add_f64_e64 v[69:70], v[69:70], -v[71:72]
	s_and_b32 vcc_lo, vcc_lo, s0
	s_delay_alu instid0(VALU_DEP_3) | instskip(NEXT) | instid1(VALU_DEP_3)
	v_add_f64_e32 v[75:76], v[77:78], v[73:74]
	v_mul_f64_e32 v[81:82], s[2:3], v[79:80]
	s_delay_alu instid0(VALU_DEP_3) | instskip(NEXT) | instid1(VALU_DEP_3)
	v_ldexp_f64 v[69:70], v[69:70], 1
	v_add_f64_e64 v[71:72], v[75:76], -v[77:78]
	s_delay_alu instid0(VALU_DEP_3) | instskip(NEXT) | instid1(VALU_DEP_2)
	v_fma_f64 v[77:78], v[79:80], s[2:3], -v[81:82]
	v_add_f64_e64 v[71:72], v[73:74], -v[71:72]
	s_delay_alu instid0(VALU_DEP_2) | instskip(NEXT) | instid1(VALU_DEP_2)
	v_fma_f64 v[73:74], v[79:80], s[4:5], v[77:78]
	v_add_f64_e32 v[69:70], v[69:70], v[71:72]
	s_delay_alu instid0(VALU_DEP_2) | instskip(NEXT) | instid1(VALU_DEP_2)
	v_add_f64_e32 v[71:72], v[81:82], v[73:74]
	v_add_f64_e32 v[77:78], v[75:76], v[69:70]
	s_delay_alu instid0(VALU_DEP_2) | instskip(NEXT) | instid1(VALU_DEP_2)
	v_add_f64_e64 v[81:82], v[71:72], -v[81:82]
	v_add_f64_e32 v[79:80], v[71:72], v[77:78]
	v_add_f64_e64 v[75:76], v[77:78], -v[75:76]
	s_delay_alu instid0(VALU_DEP_3) | instskip(NEXT) | instid1(VALU_DEP_3)
	v_add_f64_e64 v[73:74], v[73:74], -v[81:82]
	v_add_f64_e64 v[101:102], v[79:80], -v[71:72]
	s_delay_alu instid0(VALU_DEP_3) | instskip(NEXT) | instid1(VALU_DEP_2)
	v_add_f64_e64 v[69:70], v[69:70], -v[75:76]
	v_add_f64_e64 v[103:104], v[79:80], -v[101:102]
	;; [unrolled: 1-line block ×3, first 2 shown]
	s_delay_alu instid0(VALU_DEP_3) | instskip(NEXT) | instid1(VALU_DEP_3)
	v_add_f64_e32 v[77:78], v[73:74], v[69:70]
	v_add_f64_e64 v[71:72], v[71:72], -v[103:104]
	s_delay_alu instid0(VALU_DEP_1) | instskip(NEXT) | instid1(VALU_DEP_3)
	v_add_f64_e32 v[71:72], v[75:76], v[71:72]
	v_add_f64_e64 v[75:76], v[77:78], -v[73:74]
	s_delay_alu instid0(VALU_DEP_2) | instskip(NEXT) | instid1(VALU_DEP_2)
	v_add_f64_e32 v[71:72], v[77:78], v[71:72]
	v_add_f64_e64 v[77:78], v[77:78], -v[75:76]
	v_add_f64_e64 v[69:70], v[69:70], -v[75:76]
	s_delay_alu instid0(VALU_DEP_3) | instskip(NEXT) | instid1(VALU_DEP_3)
	v_add_f64_e32 v[81:82], v[79:80], v[71:72]
	v_add_f64_e64 v[73:74], v[73:74], -v[77:78]
	s_delay_alu instid0(VALU_DEP_2) | instskip(NEXT) | instid1(VALU_DEP_2)
	v_add_f64_e64 v[75:76], v[81:82], -v[79:80]
	v_add_f64_e32 v[69:70], v[69:70], v[73:74]
	s_delay_alu instid0(VALU_DEP_2) | instskip(NEXT) | instid1(VALU_DEP_1)
	v_add_f64_e64 v[71:72], v[71:72], -v[75:76]
	v_add_f64_e32 v[69:70], v[69:70], v[71:72]
	s_delay_alu instid0(VALU_DEP_1) | instskip(SKIP_1) | instid1(VALU_DEP_1)
	v_add_f64_e32 v[69:70], v[81:82], v[69:70]
	s_wait_alu 0xfffe
	v_cndmask_b32_e32 v69, 0, v69, vcc_lo
	v_cmp_neq_f64_e32 vcc_lo, -1.0, v[25:26]
	s_delay_alu instid0(VALU_DEP_3) | instskip(NEXT) | instid1(VALU_DEP_1)
	v_cndmask_b32_e64 v70, 0x7ff00000, v70, s0
	v_cndmask_b32_e64 v70, 0x7ff80000, v70, s1
	s_wait_alu 0xfffd
	s_delay_alu instid0(VALU_DEP_1) | instskip(NEXT) | instid1(VALU_DEP_1)
	v_cndmask_b32_e32 v70, 0xfff00000, v70, vcc_lo
	v_add_f64_e32 v[25:26], v[27:28], v[69:70]
.LBB6_181:
	s_wait_alu 0xfffe
	s_or_b32 exec_lo, exec_lo, s6
	s_delay_alu instid0(VALU_DEP_1) | instskip(SKIP_1) | instid1(VALU_DEP_2)
	v_max_num_f64_e32 v[27:28], v[25:26], v[25:26]
	v_cmp_u_f64_e32 vcc_lo, v[25:26], v[25:26]
	v_min_num_f64_e32 v[69:70], v[27:28], v[29:30]
	v_max_num_f64_e32 v[27:28], v[27:28], v[29:30]
	s_wait_alu 0xfffd
	s_delay_alu instid0(VALU_DEP_2) | instskip(NEXT) | instid1(VALU_DEP_2)
	v_dual_cndmask_b32 v29, v69, v25 :: v_dual_cndmask_b32 v30, v70, v26
	v_dual_cndmask_b32 v28, v28, v26 :: v_dual_cndmask_b32 v27, v27, v25
	s_delay_alu instid0(VALU_DEP_2) | instskip(NEXT) | instid1(VALU_DEP_3)
	v_cndmask_b32_e64 v69, v29, v47, s10
	v_cndmask_b32_e64 v70, v30, v48, s10
	s_delay_alu instid0(VALU_DEP_3) | instskip(NEXT) | instid1(VALU_DEP_4)
	v_cndmask_b32_e64 v30, v28, v48, s10
	v_cndmask_b32_e64 v29, v27, v47, s10
	v_dual_mov_b32 v28, v26 :: v_dual_mov_b32 v27, v25
	s_delay_alu instid0(VALU_DEP_4) | instskip(NEXT) | instid1(VALU_DEP_3)
	v_cmp_class_f64_e64 s0, v[69:70], 0x1f8
	v_cmp_neq_f64_e32 vcc_lo, v[69:70], v[29:30]
	s_or_b32 s0, vcc_lo, s0
	s_wait_alu 0xfffe
	s_and_saveexec_b32 s6, s0
	s_cbranch_execz .LBB6_183
; %bb.182:
	v_add_f64_e64 v[27:28], v[69:70], -v[29:30]
	s_mov_b32 s0, 0x652b82fe
	s_mov_b32 s1, 0x3ff71547
	;; [unrolled: 1-line block ×10, first 2 shown]
	s_wait_alu 0xfffe
	s_delay_alu instid0(VALU_DEP_1) | instskip(SKIP_3) | instid1(VALU_DEP_2)
	v_mul_f64_e32 v[69:70], s[0:1], v[27:28]
	s_mov_b32 s0, 0xfca7ab0c
	s_mov_b32 s1, 0x3e928af3
	v_cmp_nlt_f64_e32 vcc_lo, 0x40900000, v[27:28]
	v_rndne_f64_e32 v[69:70], v[69:70]
	s_delay_alu instid0(VALU_DEP_1) | instskip(SKIP_2) | instid1(VALU_DEP_2)
	v_fma_f64 v[71:72], v[69:70], s[2:3], v[27:28]
	v_cvt_i32_f64_e32 v75, v[69:70]
	s_mov_b32 s3, 0x3fe62e42
	v_fma_f64 v[71:72], v[69:70], s[4:5], v[71:72]
	s_mov_b32 s5, 0x3c7abc9e
	s_wait_alu 0xfffe
	s_delay_alu instid0(VALU_DEP_1)
	v_fma_f64 v[73:74], v[71:72], s[8:9], s[0:1]
	s_mov_b32 s0, 0x623fde64
	s_mov_b32 s1, 0x3ec71dee
	;; [unrolled: 1-line block ×4, first 2 shown]
	s_wait_alu 0xfffe
	s_delay_alu instid0(VALU_DEP_1) | instskip(SKIP_3) | instid1(VALU_DEP_1)
	v_fma_f64 v[73:74], v[71:72], v[73:74], s[0:1]
	s_mov_b32 s0, 0x7c89e6b0
	s_mov_b32 s1, 0x3efa0199
	s_wait_alu 0xfffe
	v_fma_f64 v[73:74], v[71:72], v[73:74], s[0:1]
	s_mov_b32 s0, 0x14761f6e
	s_mov_b32 s1, 0x3f2a01a0
	s_wait_alu 0xfffe
	s_delay_alu instid0(VALU_DEP_1) | instskip(SKIP_3) | instid1(VALU_DEP_1)
	v_fma_f64 v[73:74], v[71:72], v[73:74], s[0:1]
	s_mov_b32 s0, 0x1852b7b0
	s_mov_b32 s1, 0x3f56c16c
	s_wait_alu 0xfffe
	v_fma_f64 v[73:74], v[71:72], v[73:74], s[0:1]
	s_mov_b32 s0, 0x11122322
	s_mov_b32 s1, 0x3f811111
	;; [unrolled: 9-line block ×3, first 2 shown]
	s_wait_alu 0xfffe
	s_delay_alu instid0(VALU_DEP_1) | instskip(SKIP_3) | instid1(VALU_DEP_1)
	v_fma_f64 v[73:74], v[71:72], v[73:74], s[0:1]
	s_mov_b32 s0, 11
	s_mov_b32 s1, 0x3fe00000
	s_wait_alu 0xfffe
	v_fma_f64 v[73:74], v[71:72], v[73:74], s[0:1]
	v_cmp_ngt_f64_e64 s0, 0xc090cc00, v[27:28]
	s_mov_b32 s1, 0x3fe55555
	v_fma_f64 v[73:74], v[71:72], v[73:74], 1.0
	s_delay_alu instid0(VALU_DEP_1) | instskip(NEXT) | instid1(VALU_DEP_1)
	v_fma_f64 v[69:70], v[71:72], v[73:74], 1.0
	v_ldexp_f64 v[69:70], v[69:70], v75
	s_wait_alu 0xfffd
	s_delay_alu instid0(VALU_DEP_1) | instskip(SKIP_2) | instid1(VALU_DEP_2)
	v_cndmask_b32_e32 v70, 0x7ff00000, v70, vcc_lo
	s_and_b32 vcc_lo, s0, vcc_lo
	s_wait_alu 0xfffe
	v_cndmask_b32_e32 v27, 0, v69, vcc_lo
	s_delay_alu instid0(VALU_DEP_2) | instskip(SKIP_1) | instid1(VALU_DEP_1)
	v_cndmask_b32_e64 v28, 0, v70, s0
	s_mov_b32 s0, 0x55555555
	v_add_f64_e32 v[69:70], 1.0, v[27:28]
	s_delay_alu instid0(VALU_DEP_1) | instskip(SKIP_3) | instid1(VALU_DEP_3)
	v_frexp_mant_f64_e32 v[71:72], v[69:70]
	v_frexp_exp_i32_f64_e32 v75, v[69:70]
	v_add_f64_e32 v[73:74], -1.0, v[69:70]
	s_wait_alu 0xfffe
	v_cmp_gt_f64_e32 vcc_lo, s[0:1], v[71:72]
	s_mov_b32 s0, 0x55555780
	s_delay_alu instid0(VALU_DEP_2) | instskip(SKIP_3) | instid1(VALU_DEP_3)
	v_add_f64_e64 v[71:72], v[73:74], -v[69:70]
	v_add_f64_e64 v[73:74], v[27:28], -v[73:74]
	s_wait_alu 0xfffd
	v_subrev_co_ci_u32_e64 v109, null, 0, v75, vcc_lo
	v_add_f64_e32 v[71:72], 1.0, v[71:72]
	v_cmp_nge_f64_e32 vcc_lo, -1.0, v[27:28]
	s_delay_alu instid0(VALU_DEP_3) | instskip(NEXT) | instid1(VALU_DEP_1)
	v_sub_nc_u32_e32 v77, 0, v109
	v_ldexp_f64 v[69:70], v[69:70], v77
	s_delay_alu instid0(VALU_DEP_4) | instskip(NEXT) | instid1(VALU_DEP_2)
	v_add_f64_e32 v[71:72], v[73:74], v[71:72]
	v_add_f64_e32 v[75:76], 1.0, v[69:70]
	v_add_f64_e32 v[81:82], -1.0, v[69:70]
	s_delay_alu instid0(VALU_DEP_3) | instskip(NEXT) | instid1(VALU_DEP_3)
	v_ldexp_f64 v[71:72], v[71:72], v77
	v_add_f64_e32 v[73:74], -1.0, v[75:76]
	s_delay_alu instid0(VALU_DEP_3) | instskip(NEXT) | instid1(VALU_DEP_2)
	v_add_f64_e32 v[101:102], 1.0, v[81:82]
	v_add_f64_e64 v[73:74], v[69:70], -v[73:74]
	s_delay_alu instid0(VALU_DEP_2) | instskip(NEXT) | instid1(VALU_DEP_2)
	v_add_f64_e64 v[69:70], v[69:70], -v[101:102]
	v_add_f64_e32 v[73:74], v[71:72], v[73:74]
	s_delay_alu instid0(VALU_DEP_2) | instskip(NEXT) | instid1(VALU_DEP_2)
	v_add_f64_e32 v[69:70], v[71:72], v[69:70]
	v_add_f64_e32 v[77:78], v[75:76], v[73:74]
	s_delay_alu instid0(VALU_DEP_2) | instskip(NEXT) | instid1(VALU_DEP_2)
	v_add_f64_e32 v[101:102], v[81:82], v[69:70]
	v_rcp_f64_e32 v[79:80], v[77:78]
	v_add_f64_e64 v[75:76], v[77:78], -v[75:76]
	s_delay_alu instid0(VALU_DEP_2) | instskip(NEXT) | instid1(VALU_DEP_2)
	v_add_f64_e64 v[81:82], v[101:102], -v[81:82]
	v_add_f64_e64 v[73:74], v[73:74], -v[75:76]
	s_delay_alu instid0(TRANS32_DEP_1) | instskip(NEXT) | instid1(VALU_DEP_3)
	v_fma_f64 v[103:104], -v[77:78], v[79:80], 1.0
	v_add_f64_e64 v[69:70], v[69:70], -v[81:82]
	s_delay_alu instid0(VALU_DEP_2) | instskip(NEXT) | instid1(VALU_DEP_1)
	v_fma_f64 v[79:80], v[103:104], v[79:80], v[79:80]
	v_fma_f64 v[71:72], -v[77:78], v[79:80], 1.0
	s_delay_alu instid0(VALU_DEP_1) | instskip(NEXT) | instid1(VALU_DEP_1)
	v_fma_f64 v[71:72], v[71:72], v[79:80], v[79:80]
	v_mul_f64_e32 v[79:80], v[101:102], v[71:72]
	s_delay_alu instid0(VALU_DEP_1) | instskip(NEXT) | instid1(VALU_DEP_1)
	v_mul_f64_e32 v[103:104], v[77:78], v[79:80]
	v_fma_f64 v[75:76], v[79:80], v[77:78], -v[103:104]
	s_delay_alu instid0(VALU_DEP_1) | instskip(NEXT) | instid1(VALU_DEP_1)
	v_fma_f64 v[75:76], v[79:80], v[73:74], v[75:76]
	v_add_f64_e32 v[105:106], v[103:104], v[75:76]
	s_delay_alu instid0(VALU_DEP_1) | instskip(SKIP_1) | instid1(VALU_DEP_2)
	v_add_f64_e64 v[107:108], v[101:102], -v[105:106]
	v_add_f64_e64 v[81:82], v[105:106], -v[103:104]
	;; [unrolled: 1-line block ×3, first 2 shown]
	s_delay_alu instid0(VALU_DEP_2) | instskip(NEXT) | instid1(VALU_DEP_2)
	v_add_f64_e64 v[75:76], v[81:82], -v[75:76]
	v_add_f64_e64 v[101:102], v[101:102], -v[105:106]
	s_delay_alu instid0(VALU_DEP_1) | instskip(NEXT) | instid1(VALU_DEP_1)
	v_add_f64_e32 v[69:70], v[69:70], v[101:102]
	v_add_f64_e32 v[69:70], v[75:76], v[69:70]
	s_delay_alu instid0(VALU_DEP_1) | instskip(NEXT) | instid1(VALU_DEP_1)
	v_add_f64_e32 v[75:76], v[107:108], v[69:70]
	v_mul_f64_e32 v[81:82], v[71:72], v[75:76]
	v_add_f64_e64 v[105:106], v[107:108], -v[75:76]
	s_delay_alu instid0(VALU_DEP_2) | instskip(NEXT) | instid1(VALU_DEP_2)
	v_mul_f64_e32 v[101:102], v[77:78], v[81:82]
	v_add_f64_e32 v[69:70], v[69:70], v[105:106]
	s_delay_alu instid0(VALU_DEP_2) | instskip(NEXT) | instid1(VALU_DEP_1)
	v_fma_f64 v[77:78], v[81:82], v[77:78], -v[101:102]
	v_fma_f64 v[73:74], v[81:82], v[73:74], v[77:78]
	s_delay_alu instid0(VALU_DEP_1) | instskip(NEXT) | instid1(VALU_DEP_1)
	v_add_f64_e32 v[77:78], v[101:102], v[73:74]
	v_add_f64_e64 v[103:104], v[75:76], -v[77:78]
	v_add_f64_e64 v[101:102], v[77:78], -v[101:102]
	s_delay_alu instid0(VALU_DEP_2) | instskip(NEXT) | instid1(VALU_DEP_2)
	v_add_f64_e64 v[75:76], v[75:76], -v[103:104]
	v_add_f64_e64 v[73:74], v[101:102], -v[73:74]
	s_delay_alu instid0(VALU_DEP_2) | instskip(NEXT) | instid1(VALU_DEP_1)
	v_add_f64_e64 v[75:76], v[75:76], -v[77:78]
	v_add_f64_e32 v[69:70], v[69:70], v[75:76]
	v_add_f64_e32 v[75:76], v[79:80], v[81:82]
	s_delay_alu instid0(VALU_DEP_2) | instskip(NEXT) | instid1(VALU_DEP_2)
	v_add_f64_e32 v[69:70], v[73:74], v[69:70]
	v_add_f64_e64 v[73:74], v[75:76], -v[79:80]
	s_delay_alu instid0(VALU_DEP_2) | instskip(NEXT) | instid1(VALU_DEP_2)
	v_add_f64_e32 v[69:70], v[103:104], v[69:70]
	v_add_f64_e64 v[73:74], v[81:82], -v[73:74]
	s_delay_alu instid0(VALU_DEP_2) | instskip(NEXT) | instid1(VALU_DEP_1)
	v_mul_f64_e32 v[69:70], v[71:72], v[69:70]
	v_add_f64_e32 v[69:70], v[73:74], v[69:70]
	s_delay_alu instid0(VALU_DEP_1) | instskip(NEXT) | instid1(VALU_DEP_1)
	v_add_f64_e32 v[71:72], v[75:76], v[69:70]
	v_mul_f64_e32 v[73:74], v[71:72], v[71:72]
	s_delay_alu instid0(VALU_DEP_1) | instskip(SKIP_4) | instid1(VALU_DEP_2)
	v_fma_f64 v[77:78], v[73:74], s[16:17], s[8:9]
	s_mov_b32 s8, 0xd7f4df2e
	s_mov_b32 s9, 0x3fc7474d
	v_mul_f64_e32 v[79:80], v[71:72], v[73:74]
	s_wait_alu 0xfffe
	v_fma_f64 v[77:78], v[73:74], v[77:78], s[8:9]
	s_mov_b32 s8, 0x16291751
	s_mov_b32 s9, 0x3fcc71c0
	s_wait_alu 0xfffe
	s_delay_alu instid0(VALU_DEP_1) | instskip(SKIP_3) | instid1(VALU_DEP_1)
	v_fma_f64 v[77:78], v[73:74], v[77:78], s[8:9]
	s_mov_b32 s8, 0x9b27acf1
	s_mov_b32 s9, 0x3fd24924
	s_wait_alu 0xfffe
	v_fma_f64 v[77:78], v[73:74], v[77:78], s[8:9]
	s_mov_b32 s8, 0x998ef7b6
	s_mov_b32 s9, 0x3fd99999
	s_wait_alu 0xfffe
	s_delay_alu instid0(VALU_DEP_1) | instskip(NEXT) | instid1(VALU_DEP_1)
	v_fma_f64 v[77:78], v[73:74], v[77:78], s[8:9]
	v_fma_f64 v[73:74], v[73:74], v[77:78], s[0:1]
	v_ldexp_f64 v[77:78], v[71:72], 1
	v_add_f64_e64 v[71:72], v[71:72], -v[75:76]
	v_cmp_neq_f64_e64 s0, 0x7ff00000, v[27:28]
	v_cmp_ngt_f64_e64 s1, -1.0, v[27:28]
	v_mul_f64_e32 v[73:74], v[79:80], v[73:74]
	v_cvt_f64_i32_e32 v[79:80], v109
	v_add_f64_e64 v[69:70], v[69:70], -v[71:72]
	s_and_b32 vcc_lo, vcc_lo, s0
	s_delay_alu instid0(VALU_DEP_3) | instskip(NEXT) | instid1(VALU_DEP_3)
	v_add_f64_e32 v[75:76], v[77:78], v[73:74]
	v_mul_f64_e32 v[81:82], s[2:3], v[79:80]
	s_delay_alu instid0(VALU_DEP_3) | instskip(NEXT) | instid1(VALU_DEP_3)
	v_ldexp_f64 v[69:70], v[69:70], 1
	v_add_f64_e64 v[71:72], v[75:76], -v[77:78]
	s_delay_alu instid0(VALU_DEP_3) | instskip(NEXT) | instid1(VALU_DEP_2)
	v_fma_f64 v[77:78], v[79:80], s[2:3], -v[81:82]
	v_add_f64_e64 v[71:72], v[73:74], -v[71:72]
	s_delay_alu instid0(VALU_DEP_2) | instskip(NEXT) | instid1(VALU_DEP_2)
	v_fma_f64 v[73:74], v[79:80], s[4:5], v[77:78]
	v_add_f64_e32 v[69:70], v[69:70], v[71:72]
	s_delay_alu instid0(VALU_DEP_2) | instskip(NEXT) | instid1(VALU_DEP_2)
	v_add_f64_e32 v[71:72], v[81:82], v[73:74]
	v_add_f64_e32 v[77:78], v[75:76], v[69:70]
	s_delay_alu instid0(VALU_DEP_2) | instskip(NEXT) | instid1(VALU_DEP_2)
	v_add_f64_e64 v[81:82], v[71:72], -v[81:82]
	v_add_f64_e32 v[79:80], v[71:72], v[77:78]
	v_add_f64_e64 v[75:76], v[77:78], -v[75:76]
	s_delay_alu instid0(VALU_DEP_3) | instskip(NEXT) | instid1(VALU_DEP_3)
	v_add_f64_e64 v[73:74], v[73:74], -v[81:82]
	v_add_f64_e64 v[101:102], v[79:80], -v[71:72]
	s_delay_alu instid0(VALU_DEP_3) | instskip(NEXT) | instid1(VALU_DEP_2)
	v_add_f64_e64 v[69:70], v[69:70], -v[75:76]
	v_add_f64_e64 v[103:104], v[79:80], -v[101:102]
	v_add_f64_e64 v[75:76], v[77:78], -v[101:102]
	s_delay_alu instid0(VALU_DEP_3) | instskip(NEXT) | instid1(VALU_DEP_3)
	v_add_f64_e32 v[77:78], v[73:74], v[69:70]
	v_add_f64_e64 v[71:72], v[71:72], -v[103:104]
	s_delay_alu instid0(VALU_DEP_1) | instskip(NEXT) | instid1(VALU_DEP_3)
	v_add_f64_e32 v[71:72], v[75:76], v[71:72]
	v_add_f64_e64 v[75:76], v[77:78], -v[73:74]
	s_delay_alu instid0(VALU_DEP_2) | instskip(NEXT) | instid1(VALU_DEP_2)
	v_add_f64_e32 v[71:72], v[77:78], v[71:72]
	v_add_f64_e64 v[77:78], v[77:78], -v[75:76]
	v_add_f64_e64 v[69:70], v[69:70], -v[75:76]
	s_delay_alu instid0(VALU_DEP_3) | instskip(NEXT) | instid1(VALU_DEP_3)
	v_add_f64_e32 v[81:82], v[79:80], v[71:72]
	v_add_f64_e64 v[73:74], v[73:74], -v[77:78]
	s_delay_alu instid0(VALU_DEP_2) | instskip(NEXT) | instid1(VALU_DEP_2)
	v_add_f64_e64 v[75:76], v[81:82], -v[79:80]
	v_add_f64_e32 v[69:70], v[69:70], v[73:74]
	s_delay_alu instid0(VALU_DEP_2) | instskip(NEXT) | instid1(VALU_DEP_1)
	v_add_f64_e64 v[71:72], v[71:72], -v[75:76]
	v_add_f64_e32 v[69:70], v[69:70], v[71:72]
	s_delay_alu instid0(VALU_DEP_1) | instskip(SKIP_1) | instid1(VALU_DEP_1)
	v_add_f64_e32 v[69:70], v[81:82], v[69:70]
	s_wait_alu 0xfffe
	v_cndmask_b32_e32 v69, 0, v69, vcc_lo
	v_cmp_neq_f64_e32 vcc_lo, -1.0, v[27:28]
	s_delay_alu instid0(VALU_DEP_3) | instskip(NEXT) | instid1(VALU_DEP_1)
	v_cndmask_b32_e64 v70, 0x7ff00000, v70, s0
	v_cndmask_b32_e64 v70, 0x7ff80000, v70, s1
	s_wait_alu 0xfffd
	s_delay_alu instid0(VALU_DEP_1) | instskip(NEXT) | instid1(VALU_DEP_1)
	v_cndmask_b32_e32 v70, 0xfff00000, v70, vcc_lo
	v_add_f64_e32 v[27:28], v[29:30], v[69:70]
.LBB6_183:
	s_wait_alu 0xfffe
	s_or_b32 exec_lo, exec_lo, s6
	s_delay_alu instid0(VALU_DEP_1) | instskip(SKIP_1) | instid1(VALU_DEP_2)
	v_max_num_f64_e32 v[29:30], v[27:28], v[27:28]
	v_cmp_u_f64_e32 vcc_lo, v[27:28], v[27:28]
	v_min_num_f64_e32 v[69:70], v[29:30], v[31:32]
	v_max_num_f64_e32 v[29:30], v[29:30], v[31:32]
	s_wait_alu 0xfffd
	s_delay_alu instid0(VALU_DEP_2) | instskip(NEXT) | instid1(VALU_DEP_2)
	v_dual_cndmask_b32 v31, v69, v27 :: v_dual_cndmask_b32 v32, v70, v28
	v_dual_cndmask_b32 v30, v30, v28 :: v_dual_cndmask_b32 v29, v29, v27
	s_delay_alu instid0(VALU_DEP_2) | instskip(NEXT) | instid1(VALU_DEP_3)
	v_cndmask_b32_e64 v69, v31, v41, s11
	v_cndmask_b32_e64 v70, v32, v42, s11
	s_delay_alu instid0(VALU_DEP_3) | instskip(NEXT) | instid1(VALU_DEP_4)
	v_cndmask_b32_e64 v32, v30, v42, s11
	v_cndmask_b32_e64 v31, v29, v41, s11
	v_dual_mov_b32 v30, v28 :: v_dual_mov_b32 v29, v27
	s_delay_alu instid0(VALU_DEP_4) | instskip(NEXT) | instid1(VALU_DEP_3)
	v_cmp_class_f64_e64 s0, v[69:70], 0x1f8
	v_cmp_neq_f64_e32 vcc_lo, v[69:70], v[31:32]
	s_or_b32 s0, vcc_lo, s0
	s_wait_alu 0xfffe
	s_and_saveexec_b32 s6, s0
	s_cbranch_execz .LBB6_185
; %bb.184:
	v_add_f64_e64 v[29:30], v[69:70], -v[31:32]
	s_mov_b32 s0, 0x652b82fe
	s_mov_b32 s1, 0x3ff71547
	;; [unrolled: 1-line block ×10, first 2 shown]
	s_wait_alu 0xfffe
	s_delay_alu instid0(VALU_DEP_1) | instskip(SKIP_3) | instid1(VALU_DEP_2)
	v_mul_f64_e32 v[69:70], s[0:1], v[29:30]
	s_mov_b32 s0, 0xfca7ab0c
	s_mov_b32 s1, 0x3e928af3
	v_cmp_nlt_f64_e32 vcc_lo, 0x40900000, v[29:30]
	v_rndne_f64_e32 v[69:70], v[69:70]
	s_delay_alu instid0(VALU_DEP_1) | instskip(SKIP_2) | instid1(VALU_DEP_2)
	v_fma_f64 v[71:72], v[69:70], s[2:3], v[29:30]
	v_cvt_i32_f64_e32 v75, v[69:70]
	s_mov_b32 s3, 0x3fe62e42
	v_fma_f64 v[71:72], v[69:70], s[4:5], v[71:72]
	s_mov_b32 s5, 0x3c7abc9e
	s_wait_alu 0xfffe
	s_delay_alu instid0(VALU_DEP_1)
	v_fma_f64 v[73:74], v[71:72], s[8:9], s[0:1]
	s_mov_b32 s0, 0x623fde64
	s_mov_b32 s1, 0x3ec71dee
	;; [unrolled: 1-line block ×4, first 2 shown]
	s_wait_alu 0xfffe
	s_delay_alu instid0(VALU_DEP_1) | instskip(SKIP_3) | instid1(VALU_DEP_1)
	v_fma_f64 v[73:74], v[71:72], v[73:74], s[0:1]
	s_mov_b32 s0, 0x7c89e6b0
	s_mov_b32 s1, 0x3efa0199
	s_wait_alu 0xfffe
	v_fma_f64 v[73:74], v[71:72], v[73:74], s[0:1]
	s_mov_b32 s0, 0x14761f6e
	s_mov_b32 s1, 0x3f2a01a0
	s_wait_alu 0xfffe
	s_delay_alu instid0(VALU_DEP_1) | instskip(SKIP_3) | instid1(VALU_DEP_1)
	v_fma_f64 v[73:74], v[71:72], v[73:74], s[0:1]
	s_mov_b32 s0, 0x1852b7b0
	s_mov_b32 s1, 0x3f56c16c
	s_wait_alu 0xfffe
	v_fma_f64 v[73:74], v[71:72], v[73:74], s[0:1]
	s_mov_b32 s0, 0x11122322
	s_mov_b32 s1, 0x3f811111
	;; [unrolled: 9-line block ×3, first 2 shown]
	s_wait_alu 0xfffe
	s_delay_alu instid0(VALU_DEP_1) | instskip(SKIP_3) | instid1(VALU_DEP_1)
	v_fma_f64 v[73:74], v[71:72], v[73:74], s[0:1]
	s_mov_b32 s0, 11
	s_mov_b32 s1, 0x3fe00000
	s_wait_alu 0xfffe
	v_fma_f64 v[73:74], v[71:72], v[73:74], s[0:1]
	v_cmp_ngt_f64_e64 s0, 0xc090cc00, v[29:30]
	s_mov_b32 s1, 0x3fe55555
	v_fma_f64 v[73:74], v[71:72], v[73:74], 1.0
	s_delay_alu instid0(VALU_DEP_1) | instskip(NEXT) | instid1(VALU_DEP_1)
	v_fma_f64 v[69:70], v[71:72], v[73:74], 1.0
	v_ldexp_f64 v[69:70], v[69:70], v75
	s_wait_alu 0xfffd
	s_delay_alu instid0(VALU_DEP_1) | instskip(SKIP_2) | instid1(VALU_DEP_2)
	v_cndmask_b32_e32 v70, 0x7ff00000, v70, vcc_lo
	s_and_b32 vcc_lo, s0, vcc_lo
	s_wait_alu 0xfffe
	v_cndmask_b32_e32 v29, 0, v69, vcc_lo
	s_delay_alu instid0(VALU_DEP_2) | instskip(SKIP_1) | instid1(VALU_DEP_1)
	v_cndmask_b32_e64 v30, 0, v70, s0
	s_mov_b32 s0, 0x55555555
	v_add_f64_e32 v[69:70], 1.0, v[29:30]
	s_delay_alu instid0(VALU_DEP_1) | instskip(SKIP_3) | instid1(VALU_DEP_3)
	v_frexp_mant_f64_e32 v[71:72], v[69:70]
	v_frexp_exp_i32_f64_e32 v75, v[69:70]
	v_add_f64_e32 v[73:74], -1.0, v[69:70]
	s_wait_alu 0xfffe
	v_cmp_gt_f64_e32 vcc_lo, s[0:1], v[71:72]
	s_mov_b32 s0, 0x55555780
	s_delay_alu instid0(VALU_DEP_2) | instskip(SKIP_3) | instid1(VALU_DEP_3)
	v_add_f64_e64 v[71:72], v[73:74], -v[69:70]
	v_add_f64_e64 v[73:74], v[29:30], -v[73:74]
	s_wait_alu 0xfffd
	v_subrev_co_ci_u32_e64 v109, null, 0, v75, vcc_lo
	v_add_f64_e32 v[71:72], 1.0, v[71:72]
	v_cmp_nge_f64_e32 vcc_lo, -1.0, v[29:30]
	s_delay_alu instid0(VALU_DEP_3) | instskip(NEXT) | instid1(VALU_DEP_1)
	v_sub_nc_u32_e32 v77, 0, v109
	v_ldexp_f64 v[69:70], v[69:70], v77
	s_delay_alu instid0(VALU_DEP_4) | instskip(NEXT) | instid1(VALU_DEP_2)
	v_add_f64_e32 v[71:72], v[73:74], v[71:72]
	v_add_f64_e32 v[75:76], 1.0, v[69:70]
	v_add_f64_e32 v[81:82], -1.0, v[69:70]
	s_delay_alu instid0(VALU_DEP_3) | instskip(NEXT) | instid1(VALU_DEP_3)
	v_ldexp_f64 v[71:72], v[71:72], v77
	v_add_f64_e32 v[73:74], -1.0, v[75:76]
	s_delay_alu instid0(VALU_DEP_3) | instskip(NEXT) | instid1(VALU_DEP_2)
	v_add_f64_e32 v[101:102], 1.0, v[81:82]
	v_add_f64_e64 v[73:74], v[69:70], -v[73:74]
	s_delay_alu instid0(VALU_DEP_2) | instskip(NEXT) | instid1(VALU_DEP_2)
	v_add_f64_e64 v[69:70], v[69:70], -v[101:102]
	v_add_f64_e32 v[73:74], v[71:72], v[73:74]
	s_delay_alu instid0(VALU_DEP_2) | instskip(NEXT) | instid1(VALU_DEP_2)
	v_add_f64_e32 v[69:70], v[71:72], v[69:70]
	v_add_f64_e32 v[77:78], v[75:76], v[73:74]
	s_delay_alu instid0(VALU_DEP_2) | instskip(NEXT) | instid1(VALU_DEP_2)
	v_add_f64_e32 v[101:102], v[81:82], v[69:70]
	v_rcp_f64_e32 v[79:80], v[77:78]
	v_add_f64_e64 v[75:76], v[77:78], -v[75:76]
	s_delay_alu instid0(VALU_DEP_2) | instskip(NEXT) | instid1(VALU_DEP_2)
	v_add_f64_e64 v[81:82], v[101:102], -v[81:82]
	v_add_f64_e64 v[73:74], v[73:74], -v[75:76]
	s_delay_alu instid0(TRANS32_DEP_1) | instskip(NEXT) | instid1(VALU_DEP_3)
	v_fma_f64 v[103:104], -v[77:78], v[79:80], 1.0
	v_add_f64_e64 v[69:70], v[69:70], -v[81:82]
	s_delay_alu instid0(VALU_DEP_2) | instskip(NEXT) | instid1(VALU_DEP_1)
	v_fma_f64 v[79:80], v[103:104], v[79:80], v[79:80]
	v_fma_f64 v[71:72], -v[77:78], v[79:80], 1.0
	s_delay_alu instid0(VALU_DEP_1) | instskip(NEXT) | instid1(VALU_DEP_1)
	v_fma_f64 v[71:72], v[71:72], v[79:80], v[79:80]
	v_mul_f64_e32 v[79:80], v[101:102], v[71:72]
	s_delay_alu instid0(VALU_DEP_1) | instskip(NEXT) | instid1(VALU_DEP_1)
	v_mul_f64_e32 v[103:104], v[77:78], v[79:80]
	v_fma_f64 v[75:76], v[79:80], v[77:78], -v[103:104]
	s_delay_alu instid0(VALU_DEP_1) | instskip(NEXT) | instid1(VALU_DEP_1)
	v_fma_f64 v[75:76], v[79:80], v[73:74], v[75:76]
	v_add_f64_e32 v[105:106], v[103:104], v[75:76]
	s_delay_alu instid0(VALU_DEP_1) | instskip(SKIP_1) | instid1(VALU_DEP_2)
	v_add_f64_e64 v[107:108], v[101:102], -v[105:106]
	v_add_f64_e64 v[81:82], v[105:106], -v[103:104]
	;; [unrolled: 1-line block ×3, first 2 shown]
	s_delay_alu instid0(VALU_DEP_2) | instskip(NEXT) | instid1(VALU_DEP_2)
	v_add_f64_e64 v[75:76], v[81:82], -v[75:76]
	v_add_f64_e64 v[101:102], v[101:102], -v[105:106]
	s_delay_alu instid0(VALU_DEP_1) | instskip(NEXT) | instid1(VALU_DEP_1)
	v_add_f64_e32 v[69:70], v[69:70], v[101:102]
	v_add_f64_e32 v[69:70], v[75:76], v[69:70]
	s_delay_alu instid0(VALU_DEP_1) | instskip(NEXT) | instid1(VALU_DEP_1)
	v_add_f64_e32 v[75:76], v[107:108], v[69:70]
	v_mul_f64_e32 v[81:82], v[71:72], v[75:76]
	v_add_f64_e64 v[105:106], v[107:108], -v[75:76]
	s_delay_alu instid0(VALU_DEP_2) | instskip(NEXT) | instid1(VALU_DEP_2)
	v_mul_f64_e32 v[101:102], v[77:78], v[81:82]
	v_add_f64_e32 v[69:70], v[69:70], v[105:106]
	s_delay_alu instid0(VALU_DEP_2) | instskip(NEXT) | instid1(VALU_DEP_1)
	v_fma_f64 v[77:78], v[81:82], v[77:78], -v[101:102]
	v_fma_f64 v[73:74], v[81:82], v[73:74], v[77:78]
	s_delay_alu instid0(VALU_DEP_1) | instskip(NEXT) | instid1(VALU_DEP_1)
	v_add_f64_e32 v[77:78], v[101:102], v[73:74]
	v_add_f64_e64 v[103:104], v[75:76], -v[77:78]
	v_add_f64_e64 v[101:102], v[77:78], -v[101:102]
	s_delay_alu instid0(VALU_DEP_2) | instskip(NEXT) | instid1(VALU_DEP_2)
	v_add_f64_e64 v[75:76], v[75:76], -v[103:104]
	v_add_f64_e64 v[73:74], v[101:102], -v[73:74]
	s_delay_alu instid0(VALU_DEP_2) | instskip(NEXT) | instid1(VALU_DEP_1)
	v_add_f64_e64 v[75:76], v[75:76], -v[77:78]
	v_add_f64_e32 v[69:70], v[69:70], v[75:76]
	v_add_f64_e32 v[75:76], v[79:80], v[81:82]
	s_delay_alu instid0(VALU_DEP_2) | instskip(NEXT) | instid1(VALU_DEP_2)
	v_add_f64_e32 v[69:70], v[73:74], v[69:70]
	v_add_f64_e64 v[73:74], v[75:76], -v[79:80]
	s_delay_alu instid0(VALU_DEP_2) | instskip(NEXT) | instid1(VALU_DEP_2)
	v_add_f64_e32 v[69:70], v[103:104], v[69:70]
	v_add_f64_e64 v[73:74], v[81:82], -v[73:74]
	s_delay_alu instid0(VALU_DEP_2) | instskip(NEXT) | instid1(VALU_DEP_1)
	v_mul_f64_e32 v[69:70], v[71:72], v[69:70]
	v_add_f64_e32 v[69:70], v[73:74], v[69:70]
	s_delay_alu instid0(VALU_DEP_1) | instskip(NEXT) | instid1(VALU_DEP_1)
	v_add_f64_e32 v[71:72], v[75:76], v[69:70]
	v_mul_f64_e32 v[73:74], v[71:72], v[71:72]
	s_delay_alu instid0(VALU_DEP_1) | instskip(SKIP_4) | instid1(VALU_DEP_2)
	v_fma_f64 v[77:78], v[73:74], s[10:11], s[8:9]
	s_mov_b32 s8, 0xd7f4df2e
	s_mov_b32 s9, 0x3fc7474d
	v_mul_f64_e32 v[79:80], v[71:72], v[73:74]
	s_wait_alu 0xfffe
	v_fma_f64 v[77:78], v[73:74], v[77:78], s[8:9]
	s_mov_b32 s8, 0x16291751
	s_mov_b32 s9, 0x3fcc71c0
	s_wait_alu 0xfffe
	s_delay_alu instid0(VALU_DEP_1) | instskip(SKIP_3) | instid1(VALU_DEP_1)
	v_fma_f64 v[77:78], v[73:74], v[77:78], s[8:9]
	s_mov_b32 s8, 0x9b27acf1
	s_mov_b32 s9, 0x3fd24924
	s_wait_alu 0xfffe
	v_fma_f64 v[77:78], v[73:74], v[77:78], s[8:9]
	s_mov_b32 s8, 0x998ef7b6
	s_mov_b32 s9, 0x3fd99999
	s_wait_alu 0xfffe
	s_delay_alu instid0(VALU_DEP_1) | instskip(NEXT) | instid1(VALU_DEP_1)
	v_fma_f64 v[77:78], v[73:74], v[77:78], s[8:9]
	v_fma_f64 v[73:74], v[73:74], v[77:78], s[0:1]
	v_ldexp_f64 v[77:78], v[71:72], 1
	v_add_f64_e64 v[71:72], v[71:72], -v[75:76]
	v_cmp_neq_f64_e64 s0, 0x7ff00000, v[29:30]
	v_cmp_ngt_f64_e64 s1, -1.0, v[29:30]
	v_mul_f64_e32 v[73:74], v[79:80], v[73:74]
	v_cvt_f64_i32_e32 v[79:80], v109
	v_add_f64_e64 v[69:70], v[69:70], -v[71:72]
	s_and_b32 vcc_lo, vcc_lo, s0
	s_delay_alu instid0(VALU_DEP_3) | instskip(NEXT) | instid1(VALU_DEP_3)
	v_add_f64_e32 v[75:76], v[77:78], v[73:74]
	v_mul_f64_e32 v[81:82], s[2:3], v[79:80]
	s_delay_alu instid0(VALU_DEP_3) | instskip(NEXT) | instid1(VALU_DEP_3)
	v_ldexp_f64 v[69:70], v[69:70], 1
	v_add_f64_e64 v[71:72], v[75:76], -v[77:78]
	s_delay_alu instid0(VALU_DEP_3) | instskip(NEXT) | instid1(VALU_DEP_2)
	v_fma_f64 v[77:78], v[79:80], s[2:3], -v[81:82]
	v_add_f64_e64 v[71:72], v[73:74], -v[71:72]
	s_delay_alu instid0(VALU_DEP_2) | instskip(NEXT) | instid1(VALU_DEP_2)
	v_fma_f64 v[73:74], v[79:80], s[4:5], v[77:78]
	v_add_f64_e32 v[69:70], v[69:70], v[71:72]
	s_delay_alu instid0(VALU_DEP_2) | instskip(NEXT) | instid1(VALU_DEP_2)
	v_add_f64_e32 v[71:72], v[81:82], v[73:74]
	v_add_f64_e32 v[77:78], v[75:76], v[69:70]
	s_delay_alu instid0(VALU_DEP_2) | instskip(NEXT) | instid1(VALU_DEP_2)
	v_add_f64_e64 v[81:82], v[71:72], -v[81:82]
	v_add_f64_e32 v[79:80], v[71:72], v[77:78]
	v_add_f64_e64 v[75:76], v[77:78], -v[75:76]
	s_delay_alu instid0(VALU_DEP_3) | instskip(NEXT) | instid1(VALU_DEP_3)
	v_add_f64_e64 v[73:74], v[73:74], -v[81:82]
	v_add_f64_e64 v[101:102], v[79:80], -v[71:72]
	s_delay_alu instid0(VALU_DEP_3) | instskip(NEXT) | instid1(VALU_DEP_2)
	v_add_f64_e64 v[69:70], v[69:70], -v[75:76]
	v_add_f64_e64 v[103:104], v[79:80], -v[101:102]
	v_add_f64_e64 v[75:76], v[77:78], -v[101:102]
	s_delay_alu instid0(VALU_DEP_3) | instskip(NEXT) | instid1(VALU_DEP_3)
	v_add_f64_e32 v[77:78], v[73:74], v[69:70]
	v_add_f64_e64 v[71:72], v[71:72], -v[103:104]
	s_delay_alu instid0(VALU_DEP_1) | instskip(NEXT) | instid1(VALU_DEP_3)
	v_add_f64_e32 v[71:72], v[75:76], v[71:72]
	v_add_f64_e64 v[75:76], v[77:78], -v[73:74]
	s_delay_alu instid0(VALU_DEP_2) | instskip(NEXT) | instid1(VALU_DEP_2)
	v_add_f64_e32 v[71:72], v[77:78], v[71:72]
	v_add_f64_e64 v[77:78], v[77:78], -v[75:76]
	v_add_f64_e64 v[69:70], v[69:70], -v[75:76]
	s_delay_alu instid0(VALU_DEP_3) | instskip(NEXT) | instid1(VALU_DEP_3)
	v_add_f64_e32 v[81:82], v[79:80], v[71:72]
	v_add_f64_e64 v[73:74], v[73:74], -v[77:78]
	s_delay_alu instid0(VALU_DEP_2) | instskip(NEXT) | instid1(VALU_DEP_2)
	v_add_f64_e64 v[75:76], v[81:82], -v[79:80]
	v_add_f64_e32 v[69:70], v[69:70], v[73:74]
	s_delay_alu instid0(VALU_DEP_2) | instskip(NEXT) | instid1(VALU_DEP_1)
	v_add_f64_e64 v[71:72], v[71:72], -v[75:76]
	v_add_f64_e32 v[69:70], v[69:70], v[71:72]
	s_delay_alu instid0(VALU_DEP_1) | instskip(SKIP_1) | instid1(VALU_DEP_1)
	v_add_f64_e32 v[69:70], v[81:82], v[69:70]
	s_wait_alu 0xfffe
	v_cndmask_b32_e32 v69, 0, v69, vcc_lo
	v_cmp_neq_f64_e32 vcc_lo, -1.0, v[29:30]
	s_delay_alu instid0(VALU_DEP_3) | instskip(NEXT) | instid1(VALU_DEP_1)
	v_cndmask_b32_e64 v70, 0x7ff00000, v70, s0
	v_cndmask_b32_e64 v70, 0x7ff80000, v70, s1
	s_wait_alu 0xfffd
	s_delay_alu instid0(VALU_DEP_1) | instskip(NEXT) | instid1(VALU_DEP_1)
	v_cndmask_b32_e32 v70, 0xfff00000, v70, vcc_lo
	v_add_f64_e32 v[29:30], v[31:32], v[69:70]
.LBB6_185:
	s_wait_alu 0xfffe
	s_or_b32 exec_lo, exec_lo, s6
	s_delay_alu instid0(VALU_DEP_1) | instskip(SKIP_1) | instid1(VALU_DEP_2)
	v_max_num_f64_e32 v[31:32], v[29:30], v[29:30]
	v_cmp_u_f64_e32 vcc_lo, v[29:30], v[29:30]
	v_min_num_f64_e32 v[69:70], v[31:32], v[33:34]
	v_max_num_f64_e32 v[31:32], v[31:32], v[33:34]
	s_wait_alu 0xfffd
	s_delay_alu instid0(VALU_DEP_2) | instskip(NEXT) | instid1(VALU_DEP_2)
	v_dual_cndmask_b32 v33, v69, v29 :: v_dual_cndmask_b32 v34, v70, v30
	v_dual_cndmask_b32 v32, v32, v30 :: v_dual_cndmask_b32 v31, v31, v29
	s_delay_alu instid0(VALU_DEP_2) | instskip(NEXT) | instid1(VALU_DEP_3)
	v_cndmask_b32_e64 v69, v33, v43, s12
	v_cndmask_b32_e64 v70, v34, v44, s12
	s_delay_alu instid0(VALU_DEP_3) | instskip(NEXT) | instid1(VALU_DEP_4)
	v_cndmask_b32_e64 v34, v32, v44, s12
	v_cndmask_b32_e64 v33, v31, v43, s12
	v_dual_mov_b32 v32, v30 :: v_dual_mov_b32 v31, v29
	s_delay_alu instid0(VALU_DEP_4) | instskip(NEXT) | instid1(VALU_DEP_3)
	v_cmp_class_f64_e64 s0, v[69:70], 0x1f8
	v_cmp_neq_f64_e32 vcc_lo, v[69:70], v[33:34]
	s_or_b32 s0, vcc_lo, s0
	s_wait_alu 0xfffe
	s_and_saveexec_b32 s6, s0
	s_cbranch_execz .LBB6_187
; %bb.186:
	v_add_f64_e64 v[31:32], v[69:70], -v[33:34]
	s_mov_b32 s0, 0x652b82fe
	s_mov_b32 s1, 0x3ff71547
	s_mov_b32 s3, 0xbfe62e42
	s_mov_b32 s2, 0xfefa39ef
	s_mov_b32 s5, 0xbc7abc9e
	s_mov_b32 s4, 0x3b39803f
	s_mov_b32 s8, 0x6a5dcb37
	s_mov_b32 s9, 0x3e5ade15
	s_mov_b32 s10, 0xbf559e2b
	s_mov_b32 s11, 0x3fc3ab76
	s_wait_alu 0xfffe
	s_delay_alu instid0(VALU_DEP_1) | instskip(SKIP_3) | instid1(VALU_DEP_2)
	v_mul_f64_e32 v[69:70], s[0:1], v[31:32]
	s_mov_b32 s0, 0xfca7ab0c
	s_mov_b32 s1, 0x3e928af3
	v_cmp_nlt_f64_e32 vcc_lo, 0x40900000, v[31:32]
	v_rndne_f64_e32 v[69:70], v[69:70]
	s_delay_alu instid0(VALU_DEP_1) | instskip(SKIP_2) | instid1(VALU_DEP_2)
	v_fma_f64 v[71:72], v[69:70], s[2:3], v[31:32]
	v_cvt_i32_f64_e32 v75, v[69:70]
	s_mov_b32 s3, 0x3fe62e42
	v_fma_f64 v[71:72], v[69:70], s[4:5], v[71:72]
	s_mov_b32 s5, 0x3c7abc9e
	s_wait_alu 0xfffe
	s_delay_alu instid0(VALU_DEP_1)
	v_fma_f64 v[73:74], v[71:72], s[8:9], s[0:1]
	s_mov_b32 s0, 0x623fde64
	s_mov_b32 s1, 0x3ec71dee
	;; [unrolled: 1-line block ×4, first 2 shown]
	s_wait_alu 0xfffe
	s_delay_alu instid0(VALU_DEP_1) | instskip(SKIP_3) | instid1(VALU_DEP_1)
	v_fma_f64 v[73:74], v[71:72], v[73:74], s[0:1]
	s_mov_b32 s0, 0x7c89e6b0
	s_mov_b32 s1, 0x3efa0199
	s_wait_alu 0xfffe
	v_fma_f64 v[73:74], v[71:72], v[73:74], s[0:1]
	s_mov_b32 s0, 0x14761f6e
	s_mov_b32 s1, 0x3f2a01a0
	s_wait_alu 0xfffe
	s_delay_alu instid0(VALU_DEP_1) | instskip(SKIP_3) | instid1(VALU_DEP_1)
	v_fma_f64 v[73:74], v[71:72], v[73:74], s[0:1]
	s_mov_b32 s0, 0x1852b7b0
	s_mov_b32 s1, 0x3f56c16c
	s_wait_alu 0xfffe
	v_fma_f64 v[73:74], v[71:72], v[73:74], s[0:1]
	s_mov_b32 s0, 0x11122322
	s_mov_b32 s1, 0x3f811111
	;; [unrolled: 9-line block ×3, first 2 shown]
	s_wait_alu 0xfffe
	s_delay_alu instid0(VALU_DEP_1) | instskip(SKIP_3) | instid1(VALU_DEP_1)
	v_fma_f64 v[73:74], v[71:72], v[73:74], s[0:1]
	s_mov_b32 s0, 11
	s_mov_b32 s1, 0x3fe00000
	s_wait_alu 0xfffe
	v_fma_f64 v[73:74], v[71:72], v[73:74], s[0:1]
	v_cmp_ngt_f64_e64 s0, 0xc090cc00, v[31:32]
	s_mov_b32 s1, 0x3fe55555
	v_fma_f64 v[73:74], v[71:72], v[73:74], 1.0
	s_delay_alu instid0(VALU_DEP_1) | instskip(NEXT) | instid1(VALU_DEP_1)
	v_fma_f64 v[69:70], v[71:72], v[73:74], 1.0
	v_ldexp_f64 v[69:70], v[69:70], v75
	s_wait_alu 0xfffd
	s_delay_alu instid0(VALU_DEP_1) | instskip(SKIP_2) | instid1(VALU_DEP_2)
	v_cndmask_b32_e32 v70, 0x7ff00000, v70, vcc_lo
	s_and_b32 vcc_lo, s0, vcc_lo
	s_wait_alu 0xfffe
	v_cndmask_b32_e32 v31, 0, v69, vcc_lo
	s_delay_alu instid0(VALU_DEP_2) | instskip(SKIP_1) | instid1(VALU_DEP_1)
	v_cndmask_b32_e64 v32, 0, v70, s0
	s_mov_b32 s0, 0x55555555
	v_add_f64_e32 v[69:70], 1.0, v[31:32]
	s_delay_alu instid0(VALU_DEP_1) | instskip(SKIP_3) | instid1(VALU_DEP_3)
	v_frexp_mant_f64_e32 v[71:72], v[69:70]
	v_frexp_exp_i32_f64_e32 v75, v[69:70]
	v_add_f64_e32 v[73:74], -1.0, v[69:70]
	s_wait_alu 0xfffe
	v_cmp_gt_f64_e32 vcc_lo, s[0:1], v[71:72]
	s_mov_b32 s0, 0x55555780
	s_delay_alu instid0(VALU_DEP_2) | instskip(SKIP_3) | instid1(VALU_DEP_3)
	v_add_f64_e64 v[71:72], v[73:74], -v[69:70]
	v_add_f64_e64 v[73:74], v[31:32], -v[73:74]
	s_wait_alu 0xfffd
	v_subrev_co_ci_u32_e64 v109, null, 0, v75, vcc_lo
	v_add_f64_e32 v[71:72], 1.0, v[71:72]
	v_cmp_nge_f64_e32 vcc_lo, -1.0, v[31:32]
	s_delay_alu instid0(VALU_DEP_3) | instskip(NEXT) | instid1(VALU_DEP_1)
	v_sub_nc_u32_e32 v77, 0, v109
	v_ldexp_f64 v[69:70], v[69:70], v77
	s_delay_alu instid0(VALU_DEP_4) | instskip(NEXT) | instid1(VALU_DEP_2)
	v_add_f64_e32 v[71:72], v[73:74], v[71:72]
	v_add_f64_e32 v[75:76], 1.0, v[69:70]
	v_add_f64_e32 v[81:82], -1.0, v[69:70]
	s_delay_alu instid0(VALU_DEP_3) | instskip(NEXT) | instid1(VALU_DEP_3)
	v_ldexp_f64 v[71:72], v[71:72], v77
	v_add_f64_e32 v[73:74], -1.0, v[75:76]
	s_delay_alu instid0(VALU_DEP_3) | instskip(NEXT) | instid1(VALU_DEP_2)
	v_add_f64_e32 v[101:102], 1.0, v[81:82]
	v_add_f64_e64 v[73:74], v[69:70], -v[73:74]
	s_delay_alu instid0(VALU_DEP_2) | instskip(NEXT) | instid1(VALU_DEP_2)
	v_add_f64_e64 v[69:70], v[69:70], -v[101:102]
	v_add_f64_e32 v[73:74], v[71:72], v[73:74]
	s_delay_alu instid0(VALU_DEP_2) | instskip(NEXT) | instid1(VALU_DEP_2)
	v_add_f64_e32 v[69:70], v[71:72], v[69:70]
	v_add_f64_e32 v[77:78], v[75:76], v[73:74]
	s_delay_alu instid0(VALU_DEP_2) | instskip(NEXT) | instid1(VALU_DEP_2)
	v_add_f64_e32 v[101:102], v[81:82], v[69:70]
	v_rcp_f64_e32 v[79:80], v[77:78]
	v_add_f64_e64 v[75:76], v[77:78], -v[75:76]
	s_delay_alu instid0(VALU_DEP_2) | instskip(NEXT) | instid1(VALU_DEP_2)
	v_add_f64_e64 v[81:82], v[101:102], -v[81:82]
	v_add_f64_e64 v[73:74], v[73:74], -v[75:76]
	s_delay_alu instid0(TRANS32_DEP_1) | instskip(NEXT) | instid1(VALU_DEP_3)
	v_fma_f64 v[103:104], -v[77:78], v[79:80], 1.0
	v_add_f64_e64 v[69:70], v[69:70], -v[81:82]
	s_delay_alu instid0(VALU_DEP_2) | instskip(NEXT) | instid1(VALU_DEP_1)
	v_fma_f64 v[79:80], v[103:104], v[79:80], v[79:80]
	v_fma_f64 v[71:72], -v[77:78], v[79:80], 1.0
	s_delay_alu instid0(VALU_DEP_1) | instskip(NEXT) | instid1(VALU_DEP_1)
	v_fma_f64 v[71:72], v[71:72], v[79:80], v[79:80]
	v_mul_f64_e32 v[79:80], v[101:102], v[71:72]
	s_delay_alu instid0(VALU_DEP_1) | instskip(NEXT) | instid1(VALU_DEP_1)
	v_mul_f64_e32 v[103:104], v[77:78], v[79:80]
	v_fma_f64 v[75:76], v[79:80], v[77:78], -v[103:104]
	s_delay_alu instid0(VALU_DEP_1) | instskip(NEXT) | instid1(VALU_DEP_1)
	v_fma_f64 v[75:76], v[79:80], v[73:74], v[75:76]
	v_add_f64_e32 v[105:106], v[103:104], v[75:76]
	s_delay_alu instid0(VALU_DEP_1) | instskip(SKIP_1) | instid1(VALU_DEP_2)
	v_add_f64_e64 v[107:108], v[101:102], -v[105:106]
	v_add_f64_e64 v[81:82], v[105:106], -v[103:104]
	v_add_f64_e64 v[101:102], v[101:102], -v[107:108]
	s_delay_alu instid0(VALU_DEP_2) | instskip(NEXT) | instid1(VALU_DEP_2)
	v_add_f64_e64 v[75:76], v[81:82], -v[75:76]
	v_add_f64_e64 v[101:102], v[101:102], -v[105:106]
	s_delay_alu instid0(VALU_DEP_1) | instskip(NEXT) | instid1(VALU_DEP_1)
	v_add_f64_e32 v[69:70], v[69:70], v[101:102]
	v_add_f64_e32 v[69:70], v[75:76], v[69:70]
	s_delay_alu instid0(VALU_DEP_1) | instskip(NEXT) | instid1(VALU_DEP_1)
	v_add_f64_e32 v[75:76], v[107:108], v[69:70]
	v_mul_f64_e32 v[81:82], v[71:72], v[75:76]
	v_add_f64_e64 v[105:106], v[107:108], -v[75:76]
	s_delay_alu instid0(VALU_DEP_2) | instskip(NEXT) | instid1(VALU_DEP_2)
	v_mul_f64_e32 v[101:102], v[77:78], v[81:82]
	v_add_f64_e32 v[69:70], v[69:70], v[105:106]
	s_delay_alu instid0(VALU_DEP_2) | instskip(NEXT) | instid1(VALU_DEP_1)
	v_fma_f64 v[77:78], v[81:82], v[77:78], -v[101:102]
	v_fma_f64 v[73:74], v[81:82], v[73:74], v[77:78]
	s_delay_alu instid0(VALU_DEP_1) | instskip(NEXT) | instid1(VALU_DEP_1)
	v_add_f64_e32 v[77:78], v[101:102], v[73:74]
	v_add_f64_e64 v[103:104], v[75:76], -v[77:78]
	v_add_f64_e64 v[101:102], v[77:78], -v[101:102]
	s_delay_alu instid0(VALU_DEP_2) | instskip(NEXT) | instid1(VALU_DEP_2)
	v_add_f64_e64 v[75:76], v[75:76], -v[103:104]
	v_add_f64_e64 v[73:74], v[101:102], -v[73:74]
	s_delay_alu instid0(VALU_DEP_2) | instskip(NEXT) | instid1(VALU_DEP_1)
	v_add_f64_e64 v[75:76], v[75:76], -v[77:78]
	v_add_f64_e32 v[69:70], v[69:70], v[75:76]
	v_add_f64_e32 v[75:76], v[79:80], v[81:82]
	s_delay_alu instid0(VALU_DEP_2) | instskip(NEXT) | instid1(VALU_DEP_2)
	v_add_f64_e32 v[69:70], v[73:74], v[69:70]
	v_add_f64_e64 v[73:74], v[75:76], -v[79:80]
	s_delay_alu instid0(VALU_DEP_2) | instskip(NEXT) | instid1(VALU_DEP_2)
	v_add_f64_e32 v[69:70], v[103:104], v[69:70]
	v_add_f64_e64 v[73:74], v[81:82], -v[73:74]
	s_delay_alu instid0(VALU_DEP_2) | instskip(NEXT) | instid1(VALU_DEP_1)
	v_mul_f64_e32 v[69:70], v[71:72], v[69:70]
	v_add_f64_e32 v[69:70], v[73:74], v[69:70]
	s_delay_alu instid0(VALU_DEP_1) | instskip(NEXT) | instid1(VALU_DEP_1)
	v_add_f64_e32 v[71:72], v[75:76], v[69:70]
	v_mul_f64_e32 v[73:74], v[71:72], v[71:72]
	s_delay_alu instid0(VALU_DEP_1) | instskip(SKIP_4) | instid1(VALU_DEP_2)
	v_fma_f64 v[77:78], v[73:74], s[10:11], s[8:9]
	s_mov_b32 s8, 0xd7f4df2e
	s_mov_b32 s9, 0x3fc7474d
	v_mul_f64_e32 v[79:80], v[71:72], v[73:74]
	s_wait_alu 0xfffe
	v_fma_f64 v[77:78], v[73:74], v[77:78], s[8:9]
	s_mov_b32 s8, 0x16291751
	s_mov_b32 s9, 0x3fcc71c0
	s_wait_alu 0xfffe
	s_delay_alu instid0(VALU_DEP_1) | instskip(SKIP_3) | instid1(VALU_DEP_1)
	v_fma_f64 v[77:78], v[73:74], v[77:78], s[8:9]
	s_mov_b32 s8, 0x9b27acf1
	s_mov_b32 s9, 0x3fd24924
	s_wait_alu 0xfffe
	v_fma_f64 v[77:78], v[73:74], v[77:78], s[8:9]
	s_mov_b32 s8, 0x998ef7b6
	s_mov_b32 s9, 0x3fd99999
	s_wait_alu 0xfffe
	s_delay_alu instid0(VALU_DEP_1) | instskip(NEXT) | instid1(VALU_DEP_1)
	v_fma_f64 v[77:78], v[73:74], v[77:78], s[8:9]
	v_fma_f64 v[73:74], v[73:74], v[77:78], s[0:1]
	v_ldexp_f64 v[77:78], v[71:72], 1
	v_add_f64_e64 v[71:72], v[71:72], -v[75:76]
	v_cmp_neq_f64_e64 s0, 0x7ff00000, v[31:32]
	v_cmp_ngt_f64_e64 s1, -1.0, v[31:32]
	v_mul_f64_e32 v[73:74], v[79:80], v[73:74]
	v_cvt_f64_i32_e32 v[79:80], v109
	v_add_f64_e64 v[69:70], v[69:70], -v[71:72]
	s_and_b32 vcc_lo, vcc_lo, s0
	s_delay_alu instid0(VALU_DEP_3) | instskip(NEXT) | instid1(VALU_DEP_3)
	v_add_f64_e32 v[75:76], v[77:78], v[73:74]
	v_mul_f64_e32 v[81:82], s[2:3], v[79:80]
	s_delay_alu instid0(VALU_DEP_3) | instskip(NEXT) | instid1(VALU_DEP_3)
	v_ldexp_f64 v[69:70], v[69:70], 1
	v_add_f64_e64 v[71:72], v[75:76], -v[77:78]
	s_delay_alu instid0(VALU_DEP_3) | instskip(NEXT) | instid1(VALU_DEP_2)
	v_fma_f64 v[77:78], v[79:80], s[2:3], -v[81:82]
	v_add_f64_e64 v[71:72], v[73:74], -v[71:72]
	s_delay_alu instid0(VALU_DEP_2) | instskip(NEXT) | instid1(VALU_DEP_2)
	v_fma_f64 v[73:74], v[79:80], s[4:5], v[77:78]
	v_add_f64_e32 v[69:70], v[69:70], v[71:72]
	s_delay_alu instid0(VALU_DEP_2) | instskip(NEXT) | instid1(VALU_DEP_2)
	v_add_f64_e32 v[71:72], v[81:82], v[73:74]
	v_add_f64_e32 v[77:78], v[75:76], v[69:70]
	s_delay_alu instid0(VALU_DEP_2) | instskip(NEXT) | instid1(VALU_DEP_2)
	v_add_f64_e64 v[81:82], v[71:72], -v[81:82]
	v_add_f64_e32 v[79:80], v[71:72], v[77:78]
	v_add_f64_e64 v[75:76], v[77:78], -v[75:76]
	s_delay_alu instid0(VALU_DEP_3) | instskip(NEXT) | instid1(VALU_DEP_3)
	v_add_f64_e64 v[73:74], v[73:74], -v[81:82]
	v_add_f64_e64 v[101:102], v[79:80], -v[71:72]
	s_delay_alu instid0(VALU_DEP_3) | instskip(NEXT) | instid1(VALU_DEP_2)
	v_add_f64_e64 v[69:70], v[69:70], -v[75:76]
	v_add_f64_e64 v[103:104], v[79:80], -v[101:102]
	;; [unrolled: 1-line block ×3, first 2 shown]
	s_delay_alu instid0(VALU_DEP_3) | instskip(NEXT) | instid1(VALU_DEP_3)
	v_add_f64_e32 v[77:78], v[73:74], v[69:70]
	v_add_f64_e64 v[71:72], v[71:72], -v[103:104]
	s_delay_alu instid0(VALU_DEP_1) | instskip(NEXT) | instid1(VALU_DEP_3)
	v_add_f64_e32 v[71:72], v[75:76], v[71:72]
	v_add_f64_e64 v[75:76], v[77:78], -v[73:74]
	s_delay_alu instid0(VALU_DEP_2) | instskip(NEXT) | instid1(VALU_DEP_2)
	v_add_f64_e32 v[71:72], v[77:78], v[71:72]
	v_add_f64_e64 v[77:78], v[77:78], -v[75:76]
	v_add_f64_e64 v[69:70], v[69:70], -v[75:76]
	s_delay_alu instid0(VALU_DEP_3) | instskip(NEXT) | instid1(VALU_DEP_3)
	v_add_f64_e32 v[81:82], v[79:80], v[71:72]
	v_add_f64_e64 v[73:74], v[73:74], -v[77:78]
	s_delay_alu instid0(VALU_DEP_2) | instskip(NEXT) | instid1(VALU_DEP_2)
	v_add_f64_e64 v[75:76], v[81:82], -v[79:80]
	v_add_f64_e32 v[69:70], v[69:70], v[73:74]
	s_delay_alu instid0(VALU_DEP_2) | instskip(NEXT) | instid1(VALU_DEP_1)
	v_add_f64_e64 v[71:72], v[71:72], -v[75:76]
	v_add_f64_e32 v[69:70], v[69:70], v[71:72]
	s_delay_alu instid0(VALU_DEP_1) | instskip(SKIP_1) | instid1(VALU_DEP_1)
	v_add_f64_e32 v[69:70], v[81:82], v[69:70]
	s_wait_alu 0xfffe
	v_cndmask_b32_e32 v69, 0, v69, vcc_lo
	v_cmp_neq_f64_e32 vcc_lo, -1.0, v[31:32]
	s_delay_alu instid0(VALU_DEP_3) | instskip(NEXT) | instid1(VALU_DEP_1)
	v_cndmask_b32_e64 v70, 0x7ff00000, v70, s0
	v_cndmask_b32_e64 v70, 0x7ff80000, v70, s1
	s_wait_alu 0xfffd
	s_delay_alu instid0(VALU_DEP_1) | instskip(NEXT) | instid1(VALU_DEP_1)
	v_cndmask_b32_e32 v70, 0xfff00000, v70, vcc_lo
	v_add_f64_e32 v[31:32], v[33:34], v[69:70]
.LBB6_187:
	s_wait_alu 0xfffe
	s_or_b32 exec_lo, exec_lo, s6
	s_delay_alu instid0(VALU_DEP_1) | instskip(SKIP_1) | instid1(VALU_DEP_2)
	v_max_num_f64_e32 v[33:34], v[31:32], v[31:32]
	v_cmp_u_f64_e32 vcc_lo, v[31:32], v[31:32]
	v_min_num_f64_e32 v[69:70], v[33:34], v[35:36]
	v_max_num_f64_e32 v[33:34], v[33:34], v[35:36]
	s_wait_alu 0xfffd
	s_delay_alu instid0(VALU_DEP_2) | instskip(NEXT) | instid1(VALU_DEP_2)
	v_dual_cndmask_b32 v35, v69, v31 :: v_dual_cndmask_b32 v36, v70, v32
	v_dual_cndmask_b32 v34, v34, v32 :: v_dual_cndmask_b32 v33, v33, v31
	s_delay_alu instid0(VALU_DEP_2) | instskip(NEXT) | instid1(VALU_DEP_3)
	v_cndmask_b32_e64 v69, v35, v37, s13
	v_cndmask_b32_e64 v70, v36, v38, s13
	s_delay_alu instid0(VALU_DEP_3) | instskip(NEXT) | instid1(VALU_DEP_4)
	v_cndmask_b32_e64 v36, v34, v38, s13
	v_cndmask_b32_e64 v35, v33, v37, s13
	v_dual_mov_b32 v34, v32 :: v_dual_mov_b32 v33, v31
	s_delay_alu instid0(VALU_DEP_4) | instskip(NEXT) | instid1(VALU_DEP_3)
	v_cmp_class_f64_e64 s0, v[69:70], 0x1f8
	v_cmp_neq_f64_e32 vcc_lo, v[69:70], v[35:36]
	s_or_b32 s0, vcc_lo, s0
	s_wait_alu 0xfffe
	s_and_saveexec_b32 s6, s0
	s_cbranch_execz .LBB6_189
; %bb.188:
	v_add_f64_e64 v[33:34], v[69:70], -v[35:36]
	s_mov_b32 s0, 0x652b82fe
	s_mov_b32 s1, 0x3ff71547
	;; [unrolled: 1-line block ×10, first 2 shown]
	s_wait_alu 0xfffe
	s_delay_alu instid0(VALU_DEP_1) | instskip(SKIP_3) | instid1(VALU_DEP_2)
	v_mul_f64_e32 v[69:70], s[0:1], v[33:34]
	s_mov_b32 s0, 0xfca7ab0c
	s_mov_b32 s1, 0x3e928af3
	v_cmp_nlt_f64_e32 vcc_lo, 0x40900000, v[33:34]
	v_rndne_f64_e32 v[69:70], v[69:70]
	s_delay_alu instid0(VALU_DEP_1) | instskip(SKIP_2) | instid1(VALU_DEP_2)
	v_fma_f64 v[71:72], v[69:70], s[2:3], v[33:34]
	v_cvt_i32_f64_e32 v75, v[69:70]
	s_mov_b32 s3, 0x3fe62e42
	v_fma_f64 v[71:72], v[69:70], s[4:5], v[71:72]
	s_mov_b32 s5, 0x3c7abc9e
	s_wait_alu 0xfffe
	s_delay_alu instid0(VALU_DEP_1)
	v_fma_f64 v[73:74], v[71:72], s[8:9], s[0:1]
	s_mov_b32 s0, 0x623fde64
	s_mov_b32 s1, 0x3ec71dee
	;; [unrolled: 1-line block ×4, first 2 shown]
	s_wait_alu 0xfffe
	s_delay_alu instid0(VALU_DEP_1) | instskip(SKIP_3) | instid1(VALU_DEP_1)
	v_fma_f64 v[73:74], v[71:72], v[73:74], s[0:1]
	s_mov_b32 s0, 0x7c89e6b0
	s_mov_b32 s1, 0x3efa0199
	s_wait_alu 0xfffe
	v_fma_f64 v[73:74], v[71:72], v[73:74], s[0:1]
	s_mov_b32 s0, 0x14761f6e
	s_mov_b32 s1, 0x3f2a01a0
	s_wait_alu 0xfffe
	s_delay_alu instid0(VALU_DEP_1) | instskip(SKIP_3) | instid1(VALU_DEP_1)
	v_fma_f64 v[73:74], v[71:72], v[73:74], s[0:1]
	s_mov_b32 s0, 0x1852b7b0
	s_mov_b32 s1, 0x3f56c16c
	s_wait_alu 0xfffe
	v_fma_f64 v[73:74], v[71:72], v[73:74], s[0:1]
	s_mov_b32 s0, 0x11122322
	s_mov_b32 s1, 0x3f811111
	;; [unrolled: 9-line block ×3, first 2 shown]
	s_wait_alu 0xfffe
	s_delay_alu instid0(VALU_DEP_1) | instskip(SKIP_3) | instid1(VALU_DEP_1)
	v_fma_f64 v[73:74], v[71:72], v[73:74], s[0:1]
	s_mov_b32 s0, 11
	s_mov_b32 s1, 0x3fe00000
	s_wait_alu 0xfffe
	v_fma_f64 v[73:74], v[71:72], v[73:74], s[0:1]
	v_cmp_ngt_f64_e64 s0, 0xc090cc00, v[33:34]
	s_mov_b32 s1, 0x3fe55555
	v_fma_f64 v[73:74], v[71:72], v[73:74], 1.0
	s_delay_alu instid0(VALU_DEP_1) | instskip(NEXT) | instid1(VALU_DEP_1)
	v_fma_f64 v[69:70], v[71:72], v[73:74], 1.0
	v_ldexp_f64 v[69:70], v[69:70], v75
	s_wait_alu 0xfffd
	s_delay_alu instid0(VALU_DEP_1) | instskip(SKIP_2) | instid1(VALU_DEP_2)
	v_cndmask_b32_e32 v70, 0x7ff00000, v70, vcc_lo
	s_and_b32 vcc_lo, s0, vcc_lo
	s_wait_alu 0xfffe
	v_cndmask_b32_e32 v33, 0, v69, vcc_lo
	s_delay_alu instid0(VALU_DEP_2) | instskip(SKIP_1) | instid1(VALU_DEP_1)
	v_cndmask_b32_e64 v34, 0, v70, s0
	s_mov_b32 s0, 0x55555555
	v_add_f64_e32 v[69:70], 1.0, v[33:34]
	s_delay_alu instid0(VALU_DEP_1) | instskip(SKIP_3) | instid1(VALU_DEP_3)
	v_frexp_mant_f64_e32 v[71:72], v[69:70]
	v_frexp_exp_i32_f64_e32 v75, v[69:70]
	v_add_f64_e32 v[73:74], -1.0, v[69:70]
	s_wait_alu 0xfffe
	v_cmp_gt_f64_e32 vcc_lo, s[0:1], v[71:72]
	s_mov_b32 s0, 0x55555780
	s_delay_alu instid0(VALU_DEP_2) | instskip(SKIP_3) | instid1(VALU_DEP_3)
	v_add_f64_e64 v[71:72], v[73:74], -v[69:70]
	v_add_f64_e64 v[73:74], v[33:34], -v[73:74]
	s_wait_alu 0xfffd
	v_subrev_co_ci_u32_e64 v109, null, 0, v75, vcc_lo
	v_add_f64_e32 v[71:72], 1.0, v[71:72]
	v_cmp_nge_f64_e32 vcc_lo, -1.0, v[33:34]
	s_delay_alu instid0(VALU_DEP_3) | instskip(NEXT) | instid1(VALU_DEP_1)
	v_sub_nc_u32_e32 v77, 0, v109
	v_ldexp_f64 v[69:70], v[69:70], v77
	s_delay_alu instid0(VALU_DEP_4) | instskip(NEXT) | instid1(VALU_DEP_2)
	v_add_f64_e32 v[71:72], v[73:74], v[71:72]
	v_add_f64_e32 v[75:76], 1.0, v[69:70]
	v_add_f64_e32 v[81:82], -1.0, v[69:70]
	s_delay_alu instid0(VALU_DEP_3) | instskip(NEXT) | instid1(VALU_DEP_3)
	v_ldexp_f64 v[71:72], v[71:72], v77
	v_add_f64_e32 v[73:74], -1.0, v[75:76]
	s_delay_alu instid0(VALU_DEP_3) | instskip(NEXT) | instid1(VALU_DEP_2)
	v_add_f64_e32 v[101:102], 1.0, v[81:82]
	v_add_f64_e64 v[73:74], v[69:70], -v[73:74]
	s_delay_alu instid0(VALU_DEP_2) | instskip(NEXT) | instid1(VALU_DEP_2)
	v_add_f64_e64 v[69:70], v[69:70], -v[101:102]
	v_add_f64_e32 v[73:74], v[71:72], v[73:74]
	s_delay_alu instid0(VALU_DEP_2) | instskip(NEXT) | instid1(VALU_DEP_2)
	v_add_f64_e32 v[69:70], v[71:72], v[69:70]
	v_add_f64_e32 v[77:78], v[75:76], v[73:74]
	s_delay_alu instid0(VALU_DEP_2) | instskip(NEXT) | instid1(VALU_DEP_2)
	v_add_f64_e32 v[101:102], v[81:82], v[69:70]
	v_rcp_f64_e32 v[79:80], v[77:78]
	v_add_f64_e64 v[75:76], v[77:78], -v[75:76]
	s_delay_alu instid0(VALU_DEP_2) | instskip(NEXT) | instid1(VALU_DEP_2)
	v_add_f64_e64 v[81:82], v[101:102], -v[81:82]
	v_add_f64_e64 v[73:74], v[73:74], -v[75:76]
	s_delay_alu instid0(TRANS32_DEP_1) | instskip(NEXT) | instid1(VALU_DEP_3)
	v_fma_f64 v[103:104], -v[77:78], v[79:80], 1.0
	v_add_f64_e64 v[69:70], v[69:70], -v[81:82]
	s_delay_alu instid0(VALU_DEP_2) | instskip(NEXT) | instid1(VALU_DEP_1)
	v_fma_f64 v[79:80], v[103:104], v[79:80], v[79:80]
	v_fma_f64 v[71:72], -v[77:78], v[79:80], 1.0
	s_delay_alu instid0(VALU_DEP_1) | instskip(NEXT) | instid1(VALU_DEP_1)
	v_fma_f64 v[71:72], v[71:72], v[79:80], v[79:80]
	v_mul_f64_e32 v[79:80], v[101:102], v[71:72]
	s_delay_alu instid0(VALU_DEP_1) | instskip(NEXT) | instid1(VALU_DEP_1)
	v_mul_f64_e32 v[103:104], v[77:78], v[79:80]
	v_fma_f64 v[75:76], v[79:80], v[77:78], -v[103:104]
	s_delay_alu instid0(VALU_DEP_1) | instskip(NEXT) | instid1(VALU_DEP_1)
	v_fma_f64 v[75:76], v[79:80], v[73:74], v[75:76]
	v_add_f64_e32 v[105:106], v[103:104], v[75:76]
	s_delay_alu instid0(VALU_DEP_1) | instskip(SKIP_1) | instid1(VALU_DEP_2)
	v_add_f64_e64 v[107:108], v[101:102], -v[105:106]
	v_add_f64_e64 v[81:82], v[105:106], -v[103:104]
	;; [unrolled: 1-line block ×3, first 2 shown]
	s_delay_alu instid0(VALU_DEP_2) | instskip(NEXT) | instid1(VALU_DEP_2)
	v_add_f64_e64 v[75:76], v[81:82], -v[75:76]
	v_add_f64_e64 v[101:102], v[101:102], -v[105:106]
	s_delay_alu instid0(VALU_DEP_1) | instskip(NEXT) | instid1(VALU_DEP_1)
	v_add_f64_e32 v[69:70], v[69:70], v[101:102]
	v_add_f64_e32 v[69:70], v[75:76], v[69:70]
	s_delay_alu instid0(VALU_DEP_1) | instskip(NEXT) | instid1(VALU_DEP_1)
	v_add_f64_e32 v[75:76], v[107:108], v[69:70]
	v_mul_f64_e32 v[81:82], v[71:72], v[75:76]
	v_add_f64_e64 v[105:106], v[107:108], -v[75:76]
	s_delay_alu instid0(VALU_DEP_2) | instskip(NEXT) | instid1(VALU_DEP_2)
	v_mul_f64_e32 v[101:102], v[77:78], v[81:82]
	v_add_f64_e32 v[69:70], v[69:70], v[105:106]
	s_delay_alu instid0(VALU_DEP_2) | instskip(NEXT) | instid1(VALU_DEP_1)
	v_fma_f64 v[77:78], v[81:82], v[77:78], -v[101:102]
	v_fma_f64 v[73:74], v[81:82], v[73:74], v[77:78]
	s_delay_alu instid0(VALU_DEP_1) | instskip(NEXT) | instid1(VALU_DEP_1)
	v_add_f64_e32 v[77:78], v[101:102], v[73:74]
	v_add_f64_e64 v[103:104], v[75:76], -v[77:78]
	v_add_f64_e64 v[101:102], v[77:78], -v[101:102]
	s_delay_alu instid0(VALU_DEP_2) | instskip(NEXT) | instid1(VALU_DEP_2)
	v_add_f64_e64 v[75:76], v[75:76], -v[103:104]
	v_add_f64_e64 v[73:74], v[101:102], -v[73:74]
	s_delay_alu instid0(VALU_DEP_2) | instskip(NEXT) | instid1(VALU_DEP_1)
	v_add_f64_e64 v[75:76], v[75:76], -v[77:78]
	v_add_f64_e32 v[69:70], v[69:70], v[75:76]
	v_add_f64_e32 v[75:76], v[79:80], v[81:82]
	s_delay_alu instid0(VALU_DEP_2) | instskip(NEXT) | instid1(VALU_DEP_2)
	v_add_f64_e32 v[69:70], v[73:74], v[69:70]
	v_add_f64_e64 v[73:74], v[75:76], -v[79:80]
	s_delay_alu instid0(VALU_DEP_2) | instskip(NEXT) | instid1(VALU_DEP_2)
	v_add_f64_e32 v[69:70], v[103:104], v[69:70]
	v_add_f64_e64 v[73:74], v[81:82], -v[73:74]
	s_delay_alu instid0(VALU_DEP_2) | instskip(NEXT) | instid1(VALU_DEP_1)
	v_mul_f64_e32 v[69:70], v[71:72], v[69:70]
	v_add_f64_e32 v[69:70], v[73:74], v[69:70]
	s_delay_alu instid0(VALU_DEP_1) | instskip(NEXT) | instid1(VALU_DEP_1)
	v_add_f64_e32 v[71:72], v[75:76], v[69:70]
	v_mul_f64_e32 v[73:74], v[71:72], v[71:72]
	s_delay_alu instid0(VALU_DEP_1) | instskip(SKIP_4) | instid1(VALU_DEP_2)
	v_fma_f64 v[77:78], v[73:74], s[10:11], s[8:9]
	s_mov_b32 s8, 0xd7f4df2e
	s_mov_b32 s9, 0x3fc7474d
	v_mul_f64_e32 v[79:80], v[71:72], v[73:74]
	s_wait_alu 0xfffe
	v_fma_f64 v[77:78], v[73:74], v[77:78], s[8:9]
	s_mov_b32 s8, 0x16291751
	s_mov_b32 s9, 0x3fcc71c0
	s_wait_alu 0xfffe
	s_delay_alu instid0(VALU_DEP_1) | instskip(SKIP_3) | instid1(VALU_DEP_1)
	v_fma_f64 v[77:78], v[73:74], v[77:78], s[8:9]
	s_mov_b32 s8, 0x9b27acf1
	s_mov_b32 s9, 0x3fd24924
	s_wait_alu 0xfffe
	v_fma_f64 v[77:78], v[73:74], v[77:78], s[8:9]
	s_mov_b32 s8, 0x998ef7b6
	s_mov_b32 s9, 0x3fd99999
	s_wait_alu 0xfffe
	s_delay_alu instid0(VALU_DEP_1) | instskip(NEXT) | instid1(VALU_DEP_1)
	v_fma_f64 v[77:78], v[73:74], v[77:78], s[8:9]
	v_fma_f64 v[73:74], v[73:74], v[77:78], s[0:1]
	v_ldexp_f64 v[77:78], v[71:72], 1
	v_add_f64_e64 v[71:72], v[71:72], -v[75:76]
	v_cmp_neq_f64_e64 s0, 0x7ff00000, v[33:34]
	v_cmp_ngt_f64_e64 s1, -1.0, v[33:34]
	v_mul_f64_e32 v[73:74], v[79:80], v[73:74]
	v_cvt_f64_i32_e32 v[79:80], v109
	v_add_f64_e64 v[69:70], v[69:70], -v[71:72]
	s_and_b32 vcc_lo, vcc_lo, s0
	s_delay_alu instid0(VALU_DEP_3) | instskip(NEXT) | instid1(VALU_DEP_3)
	v_add_f64_e32 v[75:76], v[77:78], v[73:74]
	v_mul_f64_e32 v[81:82], s[2:3], v[79:80]
	s_delay_alu instid0(VALU_DEP_3) | instskip(NEXT) | instid1(VALU_DEP_3)
	v_ldexp_f64 v[69:70], v[69:70], 1
	v_add_f64_e64 v[71:72], v[75:76], -v[77:78]
	s_delay_alu instid0(VALU_DEP_3) | instskip(NEXT) | instid1(VALU_DEP_2)
	v_fma_f64 v[77:78], v[79:80], s[2:3], -v[81:82]
	v_add_f64_e64 v[71:72], v[73:74], -v[71:72]
	s_delay_alu instid0(VALU_DEP_2) | instskip(NEXT) | instid1(VALU_DEP_2)
	v_fma_f64 v[73:74], v[79:80], s[4:5], v[77:78]
	v_add_f64_e32 v[69:70], v[69:70], v[71:72]
	s_delay_alu instid0(VALU_DEP_2) | instskip(NEXT) | instid1(VALU_DEP_2)
	v_add_f64_e32 v[71:72], v[81:82], v[73:74]
	v_add_f64_e32 v[77:78], v[75:76], v[69:70]
	s_delay_alu instid0(VALU_DEP_2) | instskip(NEXT) | instid1(VALU_DEP_2)
	v_add_f64_e64 v[81:82], v[71:72], -v[81:82]
	v_add_f64_e32 v[79:80], v[71:72], v[77:78]
	v_add_f64_e64 v[75:76], v[77:78], -v[75:76]
	s_delay_alu instid0(VALU_DEP_3) | instskip(NEXT) | instid1(VALU_DEP_3)
	v_add_f64_e64 v[73:74], v[73:74], -v[81:82]
	v_add_f64_e64 v[101:102], v[79:80], -v[71:72]
	s_delay_alu instid0(VALU_DEP_3) | instskip(NEXT) | instid1(VALU_DEP_2)
	v_add_f64_e64 v[69:70], v[69:70], -v[75:76]
	v_add_f64_e64 v[103:104], v[79:80], -v[101:102]
	;; [unrolled: 1-line block ×3, first 2 shown]
	s_delay_alu instid0(VALU_DEP_3) | instskip(NEXT) | instid1(VALU_DEP_3)
	v_add_f64_e32 v[77:78], v[73:74], v[69:70]
	v_add_f64_e64 v[71:72], v[71:72], -v[103:104]
	s_delay_alu instid0(VALU_DEP_1) | instskip(NEXT) | instid1(VALU_DEP_3)
	v_add_f64_e32 v[71:72], v[75:76], v[71:72]
	v_add_f64_e64 v[75:76], v[77:78], -v[73:74]
	s_delay_alu instid0(VALU_DEP_2) | instskip(NEXT) | instid1(VALU_DEP_2)
	v_add_f64_e32 v[71:72], v[77:78], v[71:72]
	v_add_f64_e64 v[77:78], v[77:78], -v[75:76]
	v_add_f64_e64 v[69:70], v[69:70], -v[75:76]
	s_delay_alu instid0(VALU_DEP_3) | instskip(NEXT) | instid1(VALU_DEP_3)
	v_add_f64_e32 v[81:82], v[79:80], v[71:72]
	v_add_f64_e64 v[73:74], v[73:74], -v[77:78]
	s_delay_alu instid0(VALU_DEP_2) | instskip(NEXT) | instid1(VALU_DEP_2)
	v_add_f64_e64 v[75:76], v[81:82], -v[79:80]
	v_add_f64_e32 v[69:70], v[69:70], v[73:74]
	s_delay_alu instid0(VALU_DEP_2) | instskip(NEXT) | instid1(VALU_DEP_1)
	v_add_f64_e64 v[71:72], v[71:72], -v[75:76]
	v_add_f64_e32 v[69:70], v[69:70], v[71:72]
	s_delay_alu instid0(VALU_DEP_1) | instskip(SKIP_1) | instid1(VALU_DEP_1)
	v_add_f64_e32 v[69:70], v[81:82], v[69:70]
	s_wait_alu 0xfffe
	v_cndmask_b32_e32 v69, 0, v69, vcc_lo
	v_cmp_neq_f64_e32 vcc_lo, -1.0, v[33:34]
	s_delay_alu instid0(VALU_DEP_3) | instskip(NEXT) | instid1(VALU_DEP_1)
	v_cndmask_b32_e64 v70, 0x7ff00000, v70, s0
	v_cndmask_b32_e64 v70, 0x7ff80000, v70, s1
	s_wait_alu 0xfffd
	s_delay_alu instid0(VALU_DEP_1) | instskip(NEXT) | instid1(VALU_DEP_1)
	v_cndmask_b32_e32 v70, 0xfff00000, v70, vcc_lo
	v_add_f64_e32 v[33:34], v[35:36], v[69:70]
.LBB6_189:
	s_wait_alu 0xfffe
	s_or_b32 exec_lo, exec_lo, s6
	s_delay_alu instid0(VALU_DEP_1) | instskip(SKIP_1) | instid1(VALU_DEP_2)
	v_max_num_f64_e32 v[35:36], v[33:34], v[33:34]
	v_cmp_u_f64_e32 vcc_lo, v[33:34], v[33:34]
	v_min_num_f64_e32 v[69:70], v[35:36], v[67:68]
	v_max_num_f64_e32 v[35:36], v[35:36], v[67:68]
	s_wait_alu 0xfffd
	s_delay_alu instid0(VALU_DEP_2) | instskip(NEXT) | instid1(VALU_DEP_2)
	v_dual_cndmask_b32 v67, v69, v33 :: v_dual_cndmask_b32 v68, v70, v34
	v_dual_cndmask_b32 v36, v36, v34 :: v_dual_cndmask_b32 v35, v35, v33
	s_delay_alu instid0(VALU_DEP_2) | instskip(NEXT) | instid1(VALU_DEP_3)
	v_cndmask_b32_e64 v69, v67, v39, s14
	v_cndmask_b32_e64 v70, v68, v40, s14
	s_delay_alu instid0(VALU_DEP_3) | instskip(NEXT) | instid1(VALU_DEP_4)
	v_cndmask_b32_e64 v68, v36, v40, s14
	v_cndmask_b32_e64 v67, v35, v39, s14
	v_dual_mov_b32 v36, v34 :: v_dual_mov_b32 v35, v33
	s_delay_alu instid0(VALU_DEP_4) | instskip(NEXT) | instid1(VALU_DEP_3)
	v_cmp_class_f64_e64 s0, v[69:70], 0x1f8
	v_cmp_neq_f64_e32 vcc_lo, v[69:70], v[67:68]
	s_or_b32 s0, vcc_lo, s0
	s_wait_alu 0xfffe
	s_and_saveexec_b32 s6, s0
	s_cbranch_execz .LBB6_191
; %bb.190:
	v_add_f64_e64 v[35:36], v[69:70], -v[67:68]
	s_mov_b32 s0, 0x652b82fe
	s_mov_b32 s1, 0x3ff71547
	s_mov_b32 s3, 0xbfe62e42
	s_mov_b32 s2, 0xfefa39ef
	s_mov_b32 s5, 0xbc7abc9e
	s_mov_b32 s4, 0x3b39803f
	s_mov_b32 s8, 0x6a5dcb37
	s_mov_b32 s9, 0x3e5ade15
	s_mov_b32 s10, 0xbf559e2b
	s_mov_b32 s11, 0x3fc3ab76
	s_wait_alu 0xfffe
	s_delay_alu instid0(VALU_DEP_1) | instskip(SKIP_3) | instid1(VALU_DEP_2)
	v_mul_f64_e32 v[69:70], s[0:1], v[35:36]
	s_mov_b32 s0, 0xfca7ab0c
	s_mov_b32 s1, 0x3e928af3
	v_cmp_nlt_f64_e32 vcc_lo, 0x40900000, v[35:36]
	v_rndne_f64_e32 v[69:70], v[69:70]
	s_delay_alu instid0(VALU_DEP_1) | instskip(SKIP_2) | instid1(VALU_DEP_2)
	v_fma_f64 v[71:72], v[69:70], s[2:3], v[35:36]
	v_cvt_i32_f64_e32 v75, v[69:70]
	s_mov_b32 s3, 0x3fe62e42
	v_fma_f64 v[71:72], v[69:70], s[4:5], v[71:72]
	s_mov_b32 s5, 0x3c7abc9e
	s_wait_alu 0xfffe
	s_delay_alu instid0(VALU_DEP_1)
	v_fma_f64 v[73:74], v[71:72], s[8:9], s[0:1]
	s_mov_b32 s0, 0x623fde64
	s_mov_b32 s1, 0x3ec71dee
	;; [unrolled: 1-line block ×4, first 2 shown]
	s_wait_alu 0xfffe
	s_delay_alu instid0(VALU_DEP_1) | instskip(SKIP_3) | instid1(VALU_DEP_1)
	v_fma_f64 v[73:74], v[71:72], v[73:74], s[0:1]
	s_mov_b32 s0, 0x7c89e6b0
	s_mov_b32 s1, 0x3efa0199
	s_wait_alu 0xfffe
	v_fma_f64 v[73:74], v[71:72], v[73:74], s[0:1]
	s_mov_b32 s0, 0x14761f6e
	s_mov_b32 s1, 0x3f2a01a0
	s_wait_alu 0xfffe
	s_delay_alu instid0(VALU_DEP_1) | instskip(SKIP_3) | instid1(VALU_DEP_1)
	v_fma_f64 v[73:74], v[71:72], v[73:74], s[0:1]
	s_mov_b32 s0, 0x1852b7b0
	s_mov_b32 s1, 0x3f56c16c
	s_wait_alu 0xfffe
	v_fma_f64 v[73:74], v[71:72], v[73:74], s[0:1]
	s_mov_b32 s0, 0x11122322
	s_mov_b32 s1, 0x3f811111
	;; [unrolled: 9-line block ×3, first 2 shown]
	s_wait_alu 0xfffe
	s_delay_alu instid0(VALU_DEP_1) | instskip(SKIP_3) | instid1(VALU_DEP_1)
	v_fma_f64 v[73:74], v[71:72], v[73:74], s[0:1]
	s_mov_b32 s0, 11
	s_mov_b32 s1, 0x3fe00000
	s_wait_alu 0xfffe
	v_fma_f64 v[73:74], v[71:72], v[73:74], s[0:1]
	v_cmp_ngt_f64_e64 s0, 0xc090cc00, v[35:36]
	s_mov_b32 s1, 0x3fe55555
	v_fma_f64 v[73:74], v[71:72], v[73:74], 1.0
	s_delay_alu instid0(VALU_DEP_1) | instskip(NEXT) | instid1(VALU_DEP_1)
	v_fma_f64 v[69:70], v[71:72], v[73:74], 1.0
	v_ldexp_f64 v[69:70], v[69:70], v75
	s_wait_alu 0xfffd
	s_delay_alu instid0(VALU_DEP_1) | instskip(SKIP_2) | instid1(VALU_DEP_2)
	v_cndmask_b32_e32 v70, 0x7ff00000, v70, vcc_lo
	s_and_b32 vcc_lo, s0, vcc_lo
	s_wait_alu 0xfffe
	v_cndmask_b32_e32 v35, 0, v69, vcc_lo
	s_delay_alu instid0(VALU_DEP_2) | instskip(SKIP_1) | instid1(VALU_DEP_1)
	v_cndmask_b32_e64 v36, 0, v70, s0
	s_mov_b32 s0, 0x55555555
	v_add_f64_e32 v[69:70], 1.0, v[35:36]
	s_delay_alu instid0(VALU_DEP_1) | instskip(SKIP_3) | instid1(VALU_DEP_3)
	v_frexp_mant_f64_e32 v[71:72], v[69:70]
	v_frexp_exp_i32_f64_e32 v75, v[69:70]
	v_add_f64_e32 v[73:74], -1.0, v[69:70]
	s_wait_alu 0xfffe
	v_cmp_gt_f64_e32 vcc_lo, s[0:1], v[71:72]
	s_mov_b32 s0, 0x55555780
	s_delay_alu instid0(VALU_DEP_2) | instskip(SKIP_3) | instid1(VALU_DEP_3)
	v_add_f64_e64 v[71:72], v[73:74], -v[69:70]
	v_add_f64_e64 v[73:74], v[35:36], -v[73:74]
	s_wait_alu 0xfffd
	v_subrev_co_ci_u32_e64 v109, null, 0, v75, vcc_lo
	v_add_f64_e32 v[71:72], 1.0, v[71:72]
	v_cmp_nge_f64_e32 vcc_lo, -1.0, v[35:36]
	s_delay_alu instid0(VALU_DEP_3) | instskip(NEXT) | instid1(VALU_DEP_1)
	v_sub_nc_u32_e32 v77, 0, v109
	v_ldexp_f64 v[69:70], v[69:70], v77
	s_delay_alu instid0(VALU_DEP_4) | instskip(NEXT) | instid1(VALU_DEP_2)
	v_add_f64_e32 v[71:72], v[73:74], v[71:72]
	v_add_f64_e32 v[75:76], 1.0, v[69:70]
	v_add_f64_e32 v[81:82], -1.0, v[69:70]
	s_delay_alu instid0(VALU_DEP_3) | instskip(NEXT) | instid1(VALU_DEP_3)
	v_ldexp_f64 v[71:72], v[71:72], v77
	v_add_f64_e32 v[73:74], -1.0, v[75:76]
	s_delay_alu instid0(VALU_DEP_3) | instskip(NEXT) | instid1(VALU_DEP_2)
	v_add_f64_e32 v[101:102], 1.0, v[81:82]
	v_add_f64_e64 v[73:74], v[69:70], -v[73:74]
	s_delay_alu instid0(VALU_DEP_2) | instskip(NEXT) | instid1(VALU_DEP_2)
	v_add_f64_e64 v[69:70], v[69:70], -v[101:102]
	v_add_f64_e32 v[73:74], v[71:72], v[73:74]
	s_delay_alu instid0(VALU_DEP_2) | instskip(NEXT) | instid1(VALU_DEP_2)
	v_add_f64_e32 v[69:70], v[71:72], v[69:70]
	v_add_f64_e32 v[77:78], v[75:76], v[73:74]
	s_delay_alu instid0(VALU_DEP_2) | instskip(NEXT) | instid1(VALU_DEP_2)
	v_add_f64_e32 v[101:102], v[81:82], v[69:70]
	v_rcp_f64_e32 v[79:80], v[77:78]
	v_add_f64_e64 v[75:76], v[77:78], -v[75:76]
	s_delay_alu instid0(VALU_DEP_2) | instskip(NEXT) | instid1(VALU_DEP_2)
	v_add_f64_e64 v[81:82], v[101:102], -v[81:82]
	v_add_f64_e64 v[73:74], v[73:74], -v[75:76]
	s_delay_alu instid0(TRANS32_DEP_1) | instskip(NEXT) | instid1(VALU_DEP_3)
	v_fma_f64 v[103:104], -v[77:78], v[79:80], 1.0
	v_add_f64_e64 v[69:70], v[69:70], -v[81:82]
	s_delay_alu instid0(VALU_DEP_2) | instskip(NEXT) | instid1(VALU_DEP_1)
	v_fma_f64 v[79:80], v[103:104], v[79:80], v[79:80]
	v_fma_f64 v[71:72], -v[77:78], v[79:80], 1.0
	s_delay_alu instid0(VALU_DEP_1) | instskip(NEXT) | instid1(VALU_DEP_1)
	v_fma_f64 v[71:72], v[71:72], v[79:80], v[79:80]
	v_mul_f64_e32 v[79:80], v[101:102], v[71:72]
	s_delay_alu instid0(VALU_DEP_1) | instskip(NEXT) | instid1(VALU_DEP_1)
	v_mul_f64_e32 v[103:104], v[77:78], v[79:80]
	v_fma_f64 v[75:76], v[79:80], v[77:78], -v[103:104]
	s_delay_alu instid0(VALU_DEP_1) | instskip(NEXT) | instid1(VALU_DEP_1)
	v_fma_f64 v[75:76], v[79:80], v[73:74], v[75:76]
	v_add_f64_e32 v[105:106], v[103:104], v[75:76]
	s_delay_alu instid0(VALU_DEP_1) | instskip(SKIP_1) | instid1(VALU_DEP_2)
	v_add_f64_e64 v[107:108], v[101:102], -v[105:106]
	v_add_f64_e64 v[81:82], v[105:106], -v[103:104]
	;; [unrolled: 1-line block ×3, first 2 shown]
	s_delay_alu instid0(VALU_DEP_2) | instskip(NEXT) | instid1(VALU_DEP_2)
	v_add_f64_e64 v[75:76], v[81:82], -v[75:76]
	v_add_f64_e64 v[101:102], v[101:102], -v[105:106]
	s_delay_alu instid0(VALU_DEP_1) | instskip(NEXT) | instid1(VALU_DEP_1)
	v_add_f64_e32 v[69:70], v[69:70], v[101:102]
	v_add_f64_e32 v[69:70], v[75:76], v[69:70]
	s_delay_alu instid0(VALU_DEP_1) | instskip(NEXT) | instid1(VALU_DEP_1)
	v_add_f64_e32 v[75:76], v[107:108], v[69:70]
	v_mul_f64_e32 v[81:82], v[71:72], v[75:76]
	v_add_f64_e64 v[105:106], v[107:108], -v[75:76]
	s_delay_alu instid0(VALU_DEP_2) | instskip(NEXT) | instid1(VALU_DEP_2)
	v_mul_f64_e32 v[101:102], v[77:78], v[81:82]
	v_add_f64_e32 v[69:70], v[69:70], v[105:106]
	s_delay_alu instid0(VALU_DEP_2) | instskip(NEXT) | instid1(VALU_DEP_1)
	v_fma_f64 v[77:78], v[81:82], v[77:78], -v[101:102]
	v_fma_f64 v[73:74], v[81:82], v[73:74], v[77:78]
	s_delay_alu instid0(VALU_DEP_1) | instskip(NEXT) | instid1(VALU_DEP_1)
	v_add_f64_e32 v[77:78], v[101:102], v[73:74]
	v_add_f64_e64 v[103:104], v[75:76], -v[77:78]
	v_add_f64_e64 v[101:102], v[77:78], -v[101:102]
	s_delay_alu instid0(VALU_DEP_2) | instskip(NEXT) | instid1(VALU_DEP_2)
	v_add_f64_e64 v[75:76], v[75:76], -v[103:104]
	v_add_f64_e64 v[73:74], v[101:102], -v[73:74]
	s_delay_alu instid0(VALU_DEP_2) | instskip(NEXT) | instid1(VALU_DEP_1)
	v_add_f64_e64 v[75:76], v[75:76], -v[77:78]
	v_add_f64_e32 v[69:70], v[69:70], v[75:76]
	v_add_f64_e32 v[75:76], v[79:80], v[81:82]
	s_delay_alu instid0(VALU_DEP_2) | instskip(NEXT) | instid1(VALU_DEP_2)
	v_add_f64_e32 v[69:70], v[73:74], v[69:70]
	v_add_f64_e64 v[73:74], v[75:76], -v[79:80]
	s_delay_alu instid0(VALU_DEP_2) | instskip(NEXT) | instid1(VALU_DEP_2)
	v_add_f64_e32 v[69:70], v[103:104], v[69:70]
	v_add_f64_e64 v[73:74], v[81:82], -v[73:74]
	s_delay_alu instid0(VALU_DEP_2) | instskip(NEXT) | instid1(VALU_DEP_1)
	v_mul_f64_e32 v[69:70], v[71:72], v[69:70]
	v_add_f64_e32 v[69:70], v[73:74], v[69:70]
	s_delay_alu instid0(VALU_DEP_1) | instskip(NEXT) | instid1(VALU_DEP_1)
	v_add_f64_e32 v[71:72], v[75:76], v[69:70]
	v_mul_f64_e32 v[73:74], v[71:72], v[71:72]
	s_delay_alu instid0(VALU_DEP_1) | instskip(SKIP_4) | instid1(VALU_DEP_2)
	v_fma_f64 v[77:78], v[73:74], s[10:11], s[8:9]
	s_mov_b32 s8, 0xd7f4df2e
	s_mov_b32 s9, 0x3fc7474d
	v_mul_f64_e32 v[79:80], v[71:72], v[73:74]
	s_wait_alu 0xfffe
	v_fma_f64 v[77:78], v[73:74], v[77:78], s[8:9]
	s_mov_b32 s8, 0x16291751
	s_mov_b32 s9, 0x3fcc71c0
	s_wait_alu 0xfffe
	s_delay_alu instid0(VALU_DEP_1) | instskip(SKIP_3) | instid1(VALU_DEP_1)
	v_fma_f64 v[77:78], v[73:74], v[77:78], s[8:9]
	s_mov_b32 s8, 0x9b27acf1
	s_mov_b32 s9, 0x3fd24924
	s_wait_alu 0xfffe
	v_fma_f64 v[77:78], v[73:74], v[77:78], s[8:9]
	s_mov_b32 s8, 0x998ef7b6
	s_mov_b32 s9, 0x3fd99999
	s_wait_alu 0xfffe
	s_delay_alu instid0(VALU_DEP_1) | instskip(NEXT) | instid1(VALU_DEP_1)
	v_fma_f64 v[77:78], v[73:74], v[77:78], s[8:9]
	v_fma_f64 v[73:74], v[73:74], v[77:78], s[0:1]
	v_ldexp_f64 v[77:78], v[71:72], 1
	v_add_f64_e64 v[71:72], v[71:72], -v[75:76]
	v_cmp_neq_f64_e64 s0, 0x7ff00000, v[35:36]
	v_cmp_ngt_f64_e64 s1, -1.0, v[35:36]
	v_mul_f64_e32 v[73:74], v[79:80], v[73:74]
	v_cvt_f64_i32_e32 v[79:80], v109
	v_add_f64_e64 v[69:70], v[69:70], -v[71:72]
	s_and_b32 vcc_lo, vcc_lo, s0
	s_delay_alu instid0(VALU_DEP_3) | instskip(NEXT) | instid1(VALU_DEP_3)
	v_add_f64_e32 v[75:76], v[77:78], v[73:74]
	v_mul_f64_e32 v[81:82], s[2:3], v[79:80]
	s_delay_alu instid0(VALU_DEP_3) | instskip(NEXT) | instid1(VALU_DEP_3)
	v_ldexp_f64 v[69:70], v[69:70], 1
	v_add_f64_e64 v[71:72], v[75:76], -v[77:78]
	s_delay_alu instid0(VALU_DEP_3) | instskip(NEXT) | instid1(VALU_DEP_2)
	v_fma_f64 v[77:78], v[79:80], s[2:3], -v[81:82]
	v_add_f64_e64 v[71:72], v[73:74], -v[71:72]
	s_delay_alu instid0(VALU_DEP_2) | instskip(NEXT) | instid1(VALU_DEP_2)
	v_fma_f64 v[73:74], v[79:80], s[4:5], v[77:78]
	v_add_f64_e32 v[69:70], v[69:70], v[71:72]
	s_delay_alu instid0(VALU_DEP_2) | instskip(NEXT) | instid1(VALU_DEP_2)
	v_add_f64_e32 v[71:72], v[81:82], v[73:74]
	v_add_f64_e32 v[77:78], v[75:76], v[69:70]
	s_delay_alu instid0(VALU_DEP_2) | instskip(NEXT) | instid1(VALU_DEP_2)
	v_add_f64_e64 v[81:82], v[71:72], -v[81:82]
	v_add_f64_e32 v[79:80], v[71:72], v[77:78]
	v_add_f64_e64 v[75:76], v[77:78], -v[75:76]
	s_delay_alu instid0(VALU_DEP_3) | instskip(NEXT) | instid1(VALU_DEP_3)
	v_add_f64_e64 v[73:74], v[73:74], -v[81:82]
	v_add_f64_e64 v[101:102], v[79:80], -v[71:72]
	s_delay_alu instid0(VALU_DEP_3) | instskip(NEXT) | instid1(VALU_DEP_2)
	v_add_f64_e64 v[69:70], v[69:70], -v[75:76]
	v_add_f64_e64 v[103:104], v[79:80], -v[101:102]
	;; [unrolled: 1-line block ×3, first 2 shown]
	s_delay_alu instid0(VALU_DEP_3) | instskip(NEXT) | instid1(VALU_DEP_3)
	v_add_f64_e32 v[77:78], v[73:74], v[69:70]
	v_add_f64_e64 v[71:72], v[71:72], -v[103:104]
	s_delay_alu instid0(VALU_DEP_1) | instskip(NEXT) | instid1(VALU_DEP_3)
	v_add_f64_e32 v[71:72], v[75:76], v[71:72]
	v_add_f64_e64 v[75:76], v[77:78], -v[73:74]
	s_delay_alu instid0(VALU_DEP_2) | instskip(NEXT) | instid1(VALU_DEP_2)
	v_add_f64_e32 v[71:72], v[77:78], v[71:72]
	v_add_f64_e64 v[77:78], v[77:78], -v[75:76]
	v_add_f64_e64 v[69:70], v[69:70], -v[75:76]
	s_delay_alu instid0(VALU_DEP_3) | instskip(NEXT) | instid1(VALU_DEP_3)
	v_add_f64_e32 v[81:82], v[79:80], v[71:72]
	v_add_f64_e64 v[73:74], v[73:74], -v[77:78]
	s_delay_alu instid0(VALU_DEP_2) | instskip(NEXT) | instid1(VALU_DEP_2)
	v_add_f64_e64 v[75:76], v[81:82], -v[79:80]
	v_add_f64_e32 v[69:70], v[69:70], v[73:74]
	s_delay_alu instid0(VALU_DEP_2) | instskip(NEXT) | instid1(VALU_DEP_1)
	v_add_f64_e64 v[71:72], v[71:72], -v[75:76]
	v_add_f64_e32 v[69:70], v[69:70], v[71:72]
	s_delay_alu instid0(VALU_DEP_1) | instskip(SKIP_1) | instid1(VALU_DEP_1)
	v_add_f64_e32 v[69:70], v[81:82], v[69:70]
	s_wait_alu 0xfffe
	v_cndmask_b32_e32 v69, 0, v69, vcc_lo
	v_cmp_neq_f64_e32 vcc_lo, -1.0, v[35:36]
	s_delay_alu instid0(VALU_DEP_3) | instskip(NEXT) | instid1(VALU_DEP_1)
	v_cndmask_b32_e64 v70, 0x7ff00000, v70, s0
	v_cndmask_b32_e64 v70, 0x7ff80000, v70, s1
	s_wait_alu 0xfffd
	s_delay_alu instid0(VALU_DEP_1) | instskip(NEXT) | instid1(VALU_DEP_1)
	v_cndmask_b32_e32 v70, 0xfff00000, v70, vcc_lo
	v_add_f64_e32 v[35:36], v[67:68], v[69:70]
.LBB6_191:
	s_wait_alu 0xfffe
	s_or_b32 exec_lo, exec_lo, s6
	s_branch .LBB6_303
.LBB6_192:
	v_cmp_eq_u32_e64 s0, 0, v0
	s_wait_kmcnt 0x0
	s_cmp_lg_u64 s[24:25], 0
	v_cmp_ne_u32_e32 vcc_lo, 0, v0
	s_cselect_b32 s1, -1, 0
	s_delay_alu instid0(SALU_CYCLE_1) | instskip(NEXT) | instid1(SALU_CYCLE_1)
	s_and_b32 s0, s0, s1
	s_and_saveexec_b32 s6, s0
	s_cbranch_execz .LBB6_196
; %bb.193:
	v_mov_b32_e32 v5, 0
	v_max_num_f64_e32 v[7:8], v[1:2], v[1:2]
	v_cmp_u_f64_e64 s1, v[1:2], v[1:2]
	global_load_b64 v[5:6], v5, s[20:21]
	s_wait_loadcnt 0x0
	v_max_num_f64_e32 v[9:10], v[5:6], v[5:6]
	v_cmp_u_f64_e64 s0, v[5:6], v[5:6]
	s_delay_alu instid0(VALU_DEP_2) | instskip(SKIP_1) | instid1(VALU_DEP_2)
	v_min_num_f64_e32 v[11:12], v[9:10], v[7:8]
	v_max_num_f64_e32 v[7:8], v[9:10], v[7:8]
	v_cndmask_b32_e64 v9, v11, v5, s0
	s_delay_alu instid0(VALU_DEP_3) | instskip(NEXT) | instid1(VALU_DEP_3)
	v_cndmask_b32_e64 v10, v12, v6, s0
	v_cndmask_b32_e64 v11, v8, v6, s0
	s_delay_alu instid0(VALU_DEP_4) | instskip(NEXT) | instid1(VALU_DEP_4)
	v_cndmask_b32_e64 v12, v7, v5, s0
	v_cndmask_b32_e64 v7, v9, v1, s1
	s_delay_alu instid0(VALU_DEP_4) | instskip(NEXT) | instid1(VALU_DEP_4)
	v_cndmask_b32_e64 v8, v10, v2, s1
	v_cndmask_b32_e64 v2, v11, v2, s1
	s_delay_alu instid0(VALU_DEP_4) | instskip(NEXT) | instid1(VALU_DEP_3)
	v_cndmask_b32_e64 v1, v12, v1, s1
	v_cmp_class_f64_e64 s1, v[7:8], 0x1f8
	s_delay_alu instid0(VALU_DEP_2)
	v_cmp_neq_f64_e64 s0, v[7:8], v[1:2]
	s_or_b32 s0, s0, s1
	s_wait_alu 0xfffe
	s_and_saveexec_b32 s7, s0
	s_cbranch_execz .LBB6_195
; %bb.194:
	v_add_f64_e64 v[5:6], v[7:8], -v[1:2]
	s_mov_b32 s0, 0x652b82fe
	s_mov_b32 s1, 0x3ff71547
	;; [unrolled: 1-line block ×10, first 2 shown]
	s_wait_alu 0xfffe
	s_delay_alu instid0(VALU_DEP_1) | instskip(SKIP_2) | instid1(VALU_DEP_1)
	v_mul_f64_e32 v[7:8], s[0:1], v[5:6]
	s_mov_b32 s0, 0xfca7ab0c
	s_mov_b32 s1, 0x3e928af3
	v_rndne_f64_e32 v[7:8], v[7:8]
	s_delay_alu instid0(VALU_DEP_1) | instskip(SKIP_2) | instid1(VALU_DEP_2)
	v_fma_f64 v[9:10], v[7:8], s[2:3], v[5:6]
	v_cvt_i32_f64_e32 v13, v[7:8]
	s_mov_b32 s3, 0x3fe62e42
	v_fma_f64 v[9:10], v[7:8], s[4:5], v[9:10]
	s_mov_b32 s5, 0x3c7abc9e
	s_wait_alu 0xfffe
	s_delay_alu instid0(VALU_DEP_1)
	v_fma_f64 v[11:12], v[9:10], s[8:9], s[0:1]
	s_mov_b32 s0, 0x623fde64
	s_mov_b32 s1, 0x3ec71dee
	;; [unrolled: 1-line block ×4, first 2 shown]
	s_wait_alu 0xfffe
	s_delay_alu instid0(VALU_DEP_1) | instskip(SKIP_3) | instid1(VALU_DEP_1)
	v_fma_f64 v[11:12], v[9:10], v[11:12], s[0:1]
	s_mov_b32 s0, 0x7c89e6b0
	s_mov_b32 s1, 0x3efa0199
	s_wait_alu 0xfffe
	v_fma_f64 v[11:12], v[9:10], v[11:12], s[0:1]
	s_mov_b32 s0, 0x14761f6e
	s_mov_b32 s1, 0x3f2a01a0
	s_wait_alu 0xfffe
	s_delay_alu instid0(VALU_DEP_1) | instskip(SKIP_3) | instid1(VALU_DEP_1)
	v_fma_f64 v[11:12], v[9:10], v[11:12], s[0:1]
	s_mov_b32 s0, 0x1852b7b0
	s_mov_b32 s1, 0x3f56c16c
	s_wait_alu 0xfffe
	v_fma_f64 v[11:12], v[9:10], v[11:12], s[0:1]
	s_mov_b32 s0, 0x11122322
	s_mov_b32 s1, 0x3f811111
	;; [unrolled: 9-line block ×3, first 2 shown]
	s_wait_alu 0xfffe
	s_delay_alu instid0(VALU_DEP_1) | instskip(SKIP_3) | instid1(VALU_DEP_1)
	v_fma_f64 v[11:12], v[9:10], v[11:12], s[0:1]
	s_mov_b32 s0, 11
	s_mov_b32 s1, 0x3fe00000
	s_wait_alu 0xfffe
	v_fma_f64 v[11:12], v[9:10], v[11:12], s[0:1]
	v_cmp_nlt_f64_e64 s0, 0x40900000, v[5:6]
	v_cmp_ngt_f64_e64 s1, 0xc090cc00, v[5:6]
	s_delay_alu instid0(VALU_DEP_3) | instskip(NEXT) | instid1(VALU_DEP_1)
	v_fma_f64 v[11:12], v[9:10], v[11:12], 1.0
	v_fma_f64 v[7:8], v[9:10], v[11:12], 1.0
	s_delay_alu instid0(VALU_DEP_1) | instskip(SKIP_1) | instid1(VALU_DEP_1)
	v_ldexp_f64 v[7:8], v[7:8], v13
	s_wait_alu 0xf1ff
	v_cndmask_b32_e64 v8, 0x7ff00000, v8, s0
	s_and_b32 s0, s1, s0
	s_wait_alu 0xfffe
	s_delay_alu instid0(VALU_DEP_2) | instskip(SKIP_3) | instid1(VALU_DEP_1)
	v_cndmask_b32_e64 v5, 0, v7, s0
	s_mov_b32 s0, 0x55555555
	v_cndmask_b32_e64 v6, 0, v8, s1
	s_mov_b32 s1, 0x3fe55555
	v_add_f64_e32 v[7:8], 1.0, v[5:6]
	s_delay_alu instid0(VALU_DEP_1) | instskip(SKIP_3) | instid1(VALU_DEP_3)
	v_frexp_mant_f64_e32 v[9:10], v[7:8]
	v_frexp_exp_i32_f64_e32 v13, v[7:8]
	v_add_f64_e32 v[11:12], -1.0, v[7:8]
	s_wait_alu 0xfffe
	v_cmp_gt_f64_e64 s0, s[0:1], v[9:10]
	s_delay_alu instid0(VALU_DEP_2) | instskip(SKIP_2) | instid1(VALU_DEP_3)
	v_add_f64_e64 v[9:10], v[11:12], -v[7:8]
	v_add_f64_e64 v[11:12], v[5:6], -v[11:12]
	s_wait_alu 0xf1ff
	v_subrev_co_ci_u32_e64 v29, null, 0, v13, s0
	s_delay_alu instid0(VALU_DEP_3) | instskip(SKIP_1) | instid1(VALU_DEP_2)
	v_add_f64_e32 v[9:10], 1.0, v[9:10]
	s_mov_b32 s0, 0x55555780
	v_sub_nc_u32_e32 v15, 0, v29
	s_delay_alu instid0(VALU_DEP_1) | instskip(NEXT) | instid1(VALU_DEP_3)
	v_ldexp_f64 v[7:8], v[7:8], v15
	v_add_f64_e32 v[9:10], v[11:12], v[9:10]
	s_delay_alu instid0(VALU_DEP_2) | instskip(SKIP_1) | instid1(VALU_DEP_3)
	v_add_f64_e32 v[13:14], 1.0, v[7:8]
	v_add_f64_e32 v[19:20], -1.0, v[7:8]
	v_ldexp_f64 v[9:10], v[9:10], v15
	s_delay_alu instid0(VALU_DEP_3) | instskip(NEXT) | instid1(VALU_DEP_3)
	v_add_f64_e32 v[11:12], -1.0, v[13:14]
	v_add_f64_e32 v[21:22], 1.0, v[19:20]
	s_delay_alu instid0(VALU_DEP_2) | instskip(NEXT) | instid1(VALU_DEP_2)
	v_add_f64_e64 v[11:12], v[7:8], -v[11:12]
	v_add_f64_e64 v[7:8], v[7:8], -v[21:22]
	s_delay_alu instid0(VALU_DEP_2) | instskip(NEXT) | instid1(VALU_DEP_2)
	v_add_f64_e32 v[11:12], v[9:10], v[11:12]
	v_add_f64_e32 v[7:8], v[9:10], v[7:8]
	s_delay_alu instid0(VALU_DEP_2) | instskip(NEXT) | instid1(VALU_DEP_2)
	v_add_f64_e32 v[15:16], v[13:14], v[11:12]
	v_add_f64_e32 v[21:22], v[19:20], v[7:8]
	s_delay_alu instid0(VALU_DEP_2) | instskip(SKIP_1) | instid1(VALU_DEP_2)
	v_rcp_f64_e32 v[17:18], v[15:16]
	v_add_f64_e64 v[13:14], v[15:16], -v[13:14]
	v_add_f64_e64 v[19:20], v[21:22], -v[19:20]
	s_delay_alu instid0(VALU_DEP_2) | instskip(NEXT) | instid1(TRANS32_DEP_1)
	v_add_f64_e64 v[11:12], v[11:12], -v[13:14]
	v_fma_f64 v[23:24], -v[15:16], v[17:18], 1.0
	s_delay_alu instid0(VALU_DEP_3) | instskip(NEXT) | instid1(VALU_DEP_2)
	v_add_f64_e64 v[7:8], v[7:8], -v[19:20]
	v_fma_f64 v[17:18], v[23:24], v[17:18], v[17:18]
	s_delay_alu instid0(VALU_DEP_1) | instskip(NEXT) | instid1(VALU_DEP_1)
	v_fma_f64 v[9:10], -v[15:16], v[17:18], 1.0
	v_fma_f64 v[9:10], v[9:10], v[17:18], v[17:18]
	s_delay_alu instid0(VALU_DEP_1) | instskip(NEXT) | instid1(VALU_DEP_1)
	v_mul_f64_e32 v[17:18], v[21:22], v[9:10]
	v_mul_f64_e32 v[23:24], v[15:16], v[17:18]
	s_delay_alu instid0(VALU_DEP_1) | instskip(NEXT) | instid1(VALU_DEP_1)
	v_fma_f64 v[13:14], v[17:18], v[15:16], -v[23:24]
	v_fma_f64 v[13:14], v[17:18], v[11:12], v[13:14]
	s_delay_alu instid0(VALU_DEP_1) | instskip(NEXT) | instid1(VALU_DEP_1)
	v_add_f64_e32 v[25:26], v[23:24], v[13:14]
	v_add_f64_e64 v[27:28], v[21:22], -v[25:26]
	v_add_f64_e64 v[19:20], v[25:26], -v[23:24]
	s_delay_alu instid0(VALU_DEP_2) | instskip(NEXT) | instid1(VALU_DEP_2)
	v_add_f64_e64 v[21:22], v[21:22], -v[27:28]
	v_add_f64_e64 v[13:14], v[19:20], -v[13:14]
	s_delay_alu instid0(VALU_DEP_2) | instskip(NEXT) | instid1(VALU_DEP_1)
	v_add_f64_e64 v[21:22], v[21:22], -v[25:26]
	v_add_f64_e32 v[7:8], v[7:8], v[21:22]
	s_delay_alu instid0(VALU_DEP_1) | instskip(NEXT) | instid1(VALU_DEP_1)
	v_add_f64_e32 v[7:8], v[13:14], v[7:8]
	v_add_f64_e32 v[13:14], v[27:28], v[7:8]
	s_delay_alu instid0(VALU_DEP_1) | instskip(SKIP_1) | instid1(VALU_DEP_2)
	v_mul_f64_e32 v[19:20], v[9:10], v[13:14]
	v_add_f64_e64 v[25:26], v[27:28], -v[13:14]
	v_mul_f64_e32 v[21:22], v[15:16], v[19:20]
	s_delay_alu instid0(VALU_DEP_2) | instskip(NEXT) | instid1(VALU_DEP_2)
	v_add_f64_e32 v[7:8], v[7:8], v[25:26]
	v_fma_f64 v[15:16], v[19:20], v[15:16], -v[21:22]
	s_delay_alu instid0(VALU_DEP_1) | instskip(NEXT) | instid1(VALU_DEP_1)
	v_fma_f64 v[11:12], v[19:20], v[11:12], v[15:16]
	v_add_f64_e32 v[15:16], v[21:22], v[11:12]
	s_delay_alu instid0(VALU_DEP_1) | instskip(SKIP_1) | instid1(VALU_DEP_2)
	v_add_f64_e64 v[23:24], v[13:14], -v[15:16]
	v_add_f64_e64 v[21:22], v[15:16], -v[21:22]
	;; [unrolled: 1-line block ×3, first 2 shown]
	s_delay_alu instid0(VALU_DEP_2) | instskip(NEXT) | instid1(VALU_DEP_2)
	v_add_f64_e64 v[11:12], v[21:22], -v[11:12]
	v_add_f64_e64 v[13:14], v[13:14], -v[15:16]
	s_delay_alu instid0(VALU_DEP_1) | instskip(SKIP_1) | instid1(VALU_DEP_2)
	v_add_f64_e32 v[7:8], v[7:8], v[13:14]
	v_add_f64_e32 v[13:14], v[17:18], v[19:20]
	;; [unrolled: 1-line block ×3, first 2 shown]
	s_delay_alu instid0(VALU_DEP_2) | instskip(NEXT) | instid1(VALU_DEP_2)
	v_add_f64_e64 v[11:12], v[13:14], -v[17:18]
	v_add_f64_e32 v[7:8], v[23:24], v[7:8]
	s_delay_alu instid0(VALU_DEP_2) | instskip(NEXT) | instid1(VALU_DEP_2)
	v_add_f64_e64 v[11:12], v[19:20], -v[11:12]
	v_mul_f64_e32 v[7:8], v[9:10], v[7:8]
	s_delay_alu instid0(VALU_DEP_1) | instskip(NEXT) | instid1(VALU_DEP_1)
	v_add_f64_e32 v[7:8], v[11:12], v[7:8]
	v_add_f64_e32 v[9:10], v[13:14], v[7:8]
	s_delay_alu instid0(VALU_DEP_1) | instskip(NEXT) | instid1(VALU_DEP_1)
	v_mul_f64_e32 v[11:12], v[9:10], v[9:10]
	v_fma_f64 v[15:16], v[11:12], s[10:11], s[8:9]
	s_mov_b32 s8, 0xd7f4df2e
	s_mov_b32 s9, 0x3fc7474d
	v_mul_f64_e32 v[17:18], v[9:10], v[11:12]
	s_wait_alu 0xfffe
	s_delay_alu instid0(VALU_DEP_2) | instskip(SKIP_3) | instid1(VALU_DEP_1)
	v_fma_f64 v[15:16], v[11:12], v[15:16], s[8:9]
	s_mov_b32 s8, 0x16291751
	s_mov_b32 s9, 0x3fcc71c0
	s_wait_alu 0xfffe
	v_fma_f64 v[15:16], v[11:12], v[15:16], s[8:9]
	s_mov_b32 s8, 0x9b27acf1
	s_mov_b32 s9, 0x3fd24924
	s_wait_alu 0xfffe
	s_delay_alu instid0(VALU_DEP_1) | instskip(SKIP_3) | instid1(VALU_DEP_1)
	v_fma_f64 v[15:16], v[11:12], v[15:16], s[8:9]
	s_mov_b32 s8, 0x998ef7b6
	s_mov_b32 s9, 0x3fd99999
	s_wait_alu 0xfffe
	v_fma_f64 v[15:16], v[11:12], v[15:16], s[8:9]
	s_delay_alu instid0(VALU_DEP_1)
	v_fma_f64 v[11:12], v[11:12], v[15:16], s[0:1]
	v_ldexp_f64 v[15:16], v[9:10], 1
	v_add_f64_e64 v[9:10], v[9:10], -v[13:14]
	v_cmp_nge_f64_e64 s0, -1.0, v[5:6]
	v_cmp_neq_f64_e64 s1, 0x7ff00000, v[5:6]
	v_mul_f64_e32 v[11:12], v[17:18], v[11:12]
	v_cvt_f64_i32_e32 v[17:18], v29
	v_add_f64_e64 v[7:8], v[7:8], -v[9:10]
	s_and_b32 s0, s0, s1
	s_delay_alu instid0(VALU_DEP_3) | instskip(NEXT) | instid1(VALU_DEP_3)
	v_add_f64_e32 v[13:14], v[15:16], v[11:12]
	v_mul_f64_e32 v[19:20], s[2:3], v[17:18]
	s_delay_alu instid0(VALU_DEP_3) | instskip(NEXT) | instid1(VALU_DEP_3)
	v_ldexp_f64 v[7:8], v[7:8], 1
	v_add_f64_e64 v[9:10], v[13:14], -v[15:16]
	s_delay_alu instid0(VALU_DEP_3) | instskip(SKIP_1) | instid1(VALU_DEP_3)
	v_fma_f64 v[15:16], v[17:18], s[2:3], -v[19:20]
	v_cmp_ngt_f64_e64 s2, -1.0, v[5:6]
	v_add_f64_e64 v[9:10], v[11:12], -v[9:10]
	s_delay_alu instid0(VALU_DEP_3) | instskip(NEXT) | instid1(VALU_DEP_2)
	v_fma_f64 v[11:12], v[17:18], s[4:5], v[15:16]
	v_add_f64_e32 v[7:8], v[7:8], v[9:10]
	s_delay_alu instid0(VALU_DEP_2) | instskip(NEXT) | instid1(VALU_DEP_2)
	v_add_f64_e32 v[9:10], v[19:20], v[11:12]
	v_add_f64_e32 v[15:16], v[13:14], v[7:8]
	s_delay_alu instid0(VALU_DEP_2) | instskip(NEXT) | instid1(VALU_DEP_2)
	v_add_f64_e64 v[19:20], v[9:10], -v[19:20]
	v_add_f64_e32 v[17:18], v[9:10], v[15:16]
	v_add_f64_e64 v[13:14], v[15:16], -v[13:14]
	s_delay_alu instid0(VALU_DEP_3) | instskip(NEXT) | instid1(VALU_DEP_3)
	v_add_f64_e64 v[11:12], v[11:12], -v[19:20]
	v_add_f64_e64 v[21:22], v[17:18], -v[9:10]
	s_delay_alu instid0(VALU_DEP_3) | instskip(NEXT) | instid1(VALU_DEP_2)
	v_add_f64_e64 v[7:8], v[7:8], -v[13:14]
	v_add_f64_e64 v[23:24], v[17:18], -v[21:22]
	;; [unrolled: 1-line block ×3, first 2 shown]
	s_delay_alu instid0(VALU_DEP_3) | instskip(NEXT) | instid1(VALU_DEP_3)
	v_add_f64_e32 v[15:16], v[11:12], v[7:8]
	v_add_f64_e64 v[9:10], v[9:10], -v[23:24]
	s_delay_alu instid0(VALU_DEP_1) | instskip(NEXT) | instid1(VALU_DEP_3)
	v_add_f64_e32 v[9:10], v[13:14], v[9:10]
	v_add_f64_e64 v[13:14], v[15:16], -v[11:12]
	s_delay_alu instid0(VALU_DEP_2) | instskip(NEXT) | instid1(VALU_DEP_2)
	v_add_f64_e32 v[9:10], v[15:16], v[9:10]
	v_add_f64_e64 v[15:16], v[15:16], -v[13:14]
	v_add_f64_e64 v[7:8], v[7:8], -v[13:14]
	s_delay_alu instid0(VALU_DEP_3) | instskip(NEXT) | instid1(VALU_DEP_3)
	v_add_f64_e32 v[19:20], v[17:18], v[9:10]
	v_add_f64_e64 v[11:12], v[11:12], -v[15:16]
	s_delay_alu instid0(VALU_DEP_2) | instskip(NEXT) | instid1(VALU_DEP_2)
	v_add_f64_e64 v[13:14], v[19:20], -v[17:18]
	v_add_f64_e32 v[7:8], v[7:8], v[11:12]
	s_delay_alu instid0(VALU_DEP_2) | instskip(NEXT) | instid1(VALU_DEP_1)
	v_add_f64_e64 v[9:10], v[9:10], -v[13:14]
	v_add_f64_e32 v[7:8], v[7:8], v[9:10]
	s_delay_alu instid0(VALU_DEP_1) | instskip(SKIP_1) | instid1(VALU_DEP_1)
	v_add_f64_e32 v[7:8], v[19:20], v[7:8]
	s_wait_alu 0xfffe
	v_cndmask_b32_e64 v7, 0, v7, s0
	v_cmp_neq_f64_e64 s0, -1.0, v[5:6]
	s_delay_alu instid0(VALU_DEP_3) | instskip(SKIP_1) | instid1(VALU_DEP_1)
	v_cndmask_b32_e64 v8, 0x7ff00000, v8, s1
	s_wait_alu 0xf1ff
	v_cndmask_b32_e64 v8, 0x7ff80000, v8, s2
	s_delay_alu instid0(VALU_DEP_1) | instskip(NEXT) | instid1(VALU_DEP_1)
	v_cndmask_b32_e64 v8, 0xfff00000, v8, s0
	v_add_f64_e32 v[5:6], v[1:2], v[7:8]
.LBB6_195:
	s_or_b32 exec_lo, exec_lo, s7
	s_delay_alu instid0(VALU_DEP_1)
	v_dual_mov_b32 v1, v5 :: v_dual_mov_b32 v2, v6
.LBB6_196:
	s_or_b32 exec_lo, exec_lo, s6
	s_delay_alu instid0(VALU_DEP_1) | instskip(SKIP_3) | instid1(VALU_DEP_4)
	v_max_num_f64_e32 v[33:34], v[1:2], v[1:2]
	v_cmp_u_f64_e64 s15, v[1:2], v[1:2]
	v_cmp_u_f64_e64 s0, v[3:4], v[3:4]
	v_dual_mov_b32 v70, v2 :: v_dual_mov_b32 v69, v1
	v_min_num_f64_e32 v[35:36], v[33:34], v[65:66]
	v_max_num_f64_e32 v[67:68], v[33:34], v[65:66]
	s_delay_alu instid0(VALU_DEP_2) | instskip(NEXT) | instid1(VALU_DEP_3)
	v_cndmask_b32_e64 v5, v35, v1, s15
	v_cndmask_b32_e64 v6, v36, v2, s15
	s_delay_alu instid0(VALU_DEP_3) | instskip(NEXT) | instid1(VALU_DEP_4)
	v_cndmask_b32_e64 v9, v68, v2, s15
	v_cndmask_b32_e64 v10, v67, v1, s15
	s_wait_alu 0xf1ff
	v_cndmask_b32_e64 v7, v5, v3, s0
	v_cndmask_b32_e64 v8, v6, v4, s0
	;; [unrolled: 1-line block ×4, first 2 shown]
	s_delay_alu instid0(VALU_DEP_3) | instskip(NEXT) | instid1(VALU_DEP_2)
	v_cmp_class_f64_e64 s2, v[7:8], 0x1f8
	v_cmp_neq_f64_e64 s1, v[7:8], v[5:6]
	s_or_b32 s1, s1, s2
	s_wait_alu 0xfffe
	s_and_saveexec_b32 s8, s1
	s_cbranch_execz .LBB6_198
; %bb.197:
	v_add_f64_e64 v[7:8], v[7:8], -v[5:6]
	s_mov_b32 s2, 0x652b82fe
	s_mov_b32 s3, 0x3ff71547
	;; [unrolled: 1-line block ×10, first 2 shown]
	s_wait_alu 0xfffe
	s_delay_alu instid0(VALU_DEP_1) | instskip(SKIP_3) | instid1(VALU_DEP_2)
	v_mul_f64_e32 v[9:10], s[2:3], v[7:8]
	s_mov_b32 s2, 0xfca7ab0c
	s_mov_b32 s3, 0x3e928af3
	v_cmp_nlt_f64_e64 s1, 0x40900000, v[7:8]
	v_rndne_f64_e32 v[9:10], v[9:10]
	s_delay_alu instid0(VALU_DEP_1) | instskip(SKIP_2) | instid1(VALU_DEP_2)
	v_fma_f64 v[11:12], v[9:10], s[4:5], v[7:8]
	v_cvt_i32_f64_e32 v15, v[9:10]
	s_mov_b32 s5, 0x3fe62e42
	v_fma_f64 v[11:12], v[9:10], s[6:7], v[11:12]
	s_mov_b32 s7, 0x3c7abc9e
	s_wait_alu 0xfffe
	s_delay_alu instid0(VALU_DEP_1)
	v_fma_f64 v[13:14], v[11:12], s[10:11], s[2:3]
	s_mov_b32 s2, 0x623fde64
	s_mov_b32 s3, 0x3ec71dee
	;; [unrolled: 1-line block ×4, first 2 shown]
	s_wait_alu 0xfffe
	s_delay_alu instid0(VALU_DEP_1) | instskip(SKIP_3) | instid1(VALU_DEP_1)
	v_fma_f64 v[13:14], v[11:12], v[13:14], s[2:3]
	s_mov_b32 s2, 0x7c89e6b0
	s_mov_b32 s3, 0x3efa0199
	s_wait_alu 0xfffe
	v_fma_f64 v[13:14], v[11:12], v[13:14], s[2:3]
	s_mov_b32 s2, 0x14761f6e
	s_mov_b32 s3, 0x3f2a01a0
	s_wait_alu 0xfffe
	s_delay_alu instid0(VALU_DEP_1) | instskip(SKIP_3) | instid1(VALU_DEP_1)
	v_fma_f64 v[13:14], v[11:12], v[13:14], s[2:3]
	s_mov_b32 s2, 0x1852b7b0
	s_mov_b32 s3, 0x3f56c16c
	s_wait_alu 0xfffe
	v_fma_f64 v[13:14], v[11:12], v[13:14], s[2:3]
	s_mov_b32 s2, 0x11122322
	s_mov_b32 s3, 0x3f811111
	;; [unrolled: 9-line block ×3, first 2 shown]
	s_wait_alu 0xfffe
	s_delay_alu instid0(VALU_DEP_1) | instskip(SKIP_3) | instid1(VALU_DEP_1)
	v_fma_f64 v[13:14], v[11:12], v[13:14], s[2:3]
	s_mov_b32 s2, 11
	s_mov_b32 s3, 0x3fe00000
	s_wait_alu 0xfffe
	v_fma_f64 v[13:14], v[11:12], v[13:14], s[2:3]
	v_cmp_ngt_f64_e64 s2, 0xc090cc00, v[7:8]
	s_mov_b32 s3, 0x3fe55555
	v_fma_f64 v[13:14], v[11:12], v[13:14], 1.0
	s_delay_alu instid0(VALU_DEP_1) | instskip(NEXT) | instid1(VALU_DEP_1)
	v_fma_f64 v[9:10], v[11:12], v[13:14], 1.0
	v_ldexp_f64 v[9:10], v[9:10], v15
	s_wait_alu 0xf1ff
	s_delay_alu instid0(VALU_DEP_1) | instskip(SKIP_2) | instid1(VALU_DEP_2)
	v_cndmask_b32_e64 v10, 0x7ff00000, v10, s1
	s_and_b32 s1, s2, s1
	s_wait_alu 0xfffe
	v_cndmask_b32_e64 v7, 0, v9, s1
	s_delay_alu instid0(VALU_DEP_2) | instskip(SKIP_1) | instid1(VALU_DEP_1)
	v_cndmask_b32_e64 v8, 0, v10, s2
	s_mov_b32 s2, 0x55555555
	v_add_f64_e32 v[9:10], 1.0, v[7:8]
	s_delay_alu instid0(VALU_DEP_1) | instskip(SKIP_3) | instid1(VALU_DEP_3)
	v_frexp_mant_f64_e32 v[11:12], v[9:10]
	v_frexp_exp_i32_f64_e32 v15, v[9:10]
	v_add_f64_e32 v[13:14], -1.0, v[9:10]
	s_wait_alu 0xfffe
	v_cmp_gt_f64_e64 s1, s[2:3], v[11:12]
	s_mov_b32 s2, 0x55555780
	v_add_f64_e64 v[11:12], v[13:14], -v[9:10]
	v_add_f64_e64 v[13:14], v[7:8], -v[13:14]
	s_wait_alu 0xf1ff
	v_subrev_co_ci_u32_e64 v31, null, 0, v15, s1
	s_delay_alu instid0(VALU_DEP_3) | instskip(SKIP_1) | instid1(VALU_DEP_3)
	v_add_f64_e32 v[11:12], 1.0, v[11:12]
	v_cmp_nge_f64_e64 s1, -1.0, v[7:8]
	v_sub_nc_u32_e32 v17, 0, v31
	s_delay_alu instid0(VALU_DEP_1) | instskip(NEXT) | instid1(VALU_DEP_4)
	v_ldexp_f64 v[9:10], v[9:10], v17
	v_add_f64_e32 v[11:12], v[13:14], v[11:12]
	s_delay_alu instid0(VALU_DEP_2) | instskip(SKIP_1) | instid1(VALU_DEP_3)
	v_add_f64_e32 v[15:16], 1.0, v[9:10]
	v_add_f64_e32 v[21:22], -1.0, v[9:10]
	v_ldexp_f64 v[11:12], v[11:12], v17
	s_delay_alu instid0(VALU_DEP_3) | instskip(NEXT) | instid1(VALU_DEP_3)
	v_add_f64_e32 v[13:14], -1.0, v[15:16]
	v_add_f64_e32 v[23:24], 1.0, v[21:22]
	s_delay_alu instid0(VALU_DEP_2) | instskip(NEXT) | instid1(VALU_DEP_2)
	v_add_f64_e64 v[13:14], v[9:10], -v[13:14]
	v_add_f64_e64 v[9:10], v[9:10], -v[23:24]
	s_delay_alu instid0(VALU_DEP_2) | instskip(NEXT) | instid1(VALU_DEP_2)
	v_add_f64_e32 v[13:14], v[11:12], v[13:14]
	v_add_f64_e32 v[9:10], v[11:12], v[9:10]
	s_delay_alu instid0(VALU_DEP_2) | instskip(NEXT) | instid1(VALU_DEP_2)
	v_add_f64_e32 v[17:18], v[15:16], v[13:14]
	v_add_f64_e32 v[23:24], v[21:22], v[9:10]
	s_delay_alu instid0(VALU_DEP_2) | instskip(SKIP_1) | instid1(VALU_DEP_2)
	v_rcp_f64_e32 v[19:20], v[17:18]
	v_add_f64_e64 v[15:16], v[17:18], -v[15:16]
	v_add_f64_e64 v[21:22], v[23:24], -v[21:22]
	s_delay_alu instid0(VALU_DEP_2) | instskip(NEXT) | instid1(TRANS32_DEP_1)
	v_add_f64_e64 v[13:14], v[13:14], -v[15:16]
	v_fma_f64 v[25:26], -v[17:18], v[19:20], 1.0
	s_delay_alu instid0(VALU_DEP_3) | instskip(NEXT) | instid1(VALU_DEP_2)
	v_add_f64_e64 v[9:10], v[9:10], -v[21:22]
	v_fma_f64 v[19:20], v[25:26], v[19:20], v[19:20]
	s_delay_alu instid0(VALU_DEP_1) | instskip(NEXT) | instid1(VALU_DEP_1)
	v_fma_f64 v[11:12], -v[17:18], v[19:20], 1.0
	v_fma_f64 v[11:12], v[11:12], v[19:20], v[19:20]
	s_delay_alu instid0(VALU_DEP_1) | instskip(NEXT) | instid1(VALU_DEP_1)
	v_mul_f64_e32 v[19:20], v[23:24], v[11:12]
	v_mul_f64_e32 v[25:26], v[17:18], v[19:20]
	s_delay_alu instid0(VALU_DEP_1) | instskip(NEXT) | instid1(VALU_DEP_1)
	v_fma_f64 v[15:16], v[19:20], v[17:18], -v[25:26]
	v_fma_f64 v[15:16], v[19:20], v[13:14], v[15:16]
	s_delay_alu instid0(VALU_DEP_1) | instskip(NEXT) | instid1(VALU_DEP_1)
	v_add_f64_e32 v[27:28], v[25:26], v[15:16]
	v_add_f64_e64 v[29:30], v[23:24], -v[27:28]
	v_add_f64_e64 v[21:22], v[27:28], -v[25:26]
	s_delay_alu instid0(VALU_DEP_2) | instskip(NEXT) | instid1(VALU_DEP_2)
	v_add_f64_e64 v[23:24], v[23:24], -v[29:30]
	v_add_f64_e64 v[15:16], v[21:22], -v[15:16]
	s_delay_alu instid0(VALU_DEP_2) | instskip(NEXT) | instid1(VALU_DEP_1)
	v_add_f64_e64 v[23:24], v[23:24], -v[27:28]
	v_add_f64_e32 v[9:10], v[9:10], v[23:24]
	s_delay_alu instid0(VALU_DEP_1) | instskip(NEXT) | instid1(VALU_DEP_1)
	v_add_f64_e32 v[9:10], v[15:16], v[9:10]
	v_add_f64_e32 v[15:16], v[29:30], v[9:10]
	s_delay_alu instid0(VALU_DEP_1) | instskip(SKIP_1) | instid1(VALU_DEP_2)
	v_mul_f64_e32 v[21:22], v[11:12], v[15:16]
	v_add_f64_e64 v[27:28], v[29:30], -v[15:16]
	v_mul_f64_e32 v[23:24], v[17:18], v[21:22]
	s_delay_alu instid0(VALU_DEP_2) | instskip(NEXT) | instid1(VALU_DEP_2)
	v_add_f64_e32 v[9:10], v[9:10], v[27:28]
	v_fma_f64 v[17:18], v[21:22], v[17:18], -v[23:24]
	s_delay_alu instid0(VALU_DEP_1) | instskip(NEXT) | instid1(VALU_DEP_1)
	v_fma_f64 v[13:14], v[21:22], v[13:14], v[17:18]
	v_add_f64_e32 v[17:18], v[23:24], v[13:14]
	s_delay_alu instid0(VALU_DEP_1) | instskip(SKIP_1) | instid1(VALU_DEP_2)
	v_add_f64_e64 v[25:26], v[15:16], -v[17:18]
	v_add_f64_e64 v[23:24], v[17:18], -v[23:24]
	;; [unrolled: 1-line block ×3, first 2 shown]
	s_delay_alu instid0(VALU_DEP_2) | instskip(NEXT) | instid1(VALU_DEP_2)
	v_add_f64_e64 v[13:14], v[23:24], -v[13:14]
	v_add_f64_e64 v[15:16], v[15:16], -v[17:18]
	s_delay_alu instid0(VALU_DEP_1) | instskip(SKIP_1) | instid1(VALU_DEP_2)
	v_add_f64_e32 v[9:10], v[9:10], v[15:16]
	v_add_f64_e32 v[15:16], v[19:20], v[21:22]
	v_add_f64_e32 v[9:10], v[13:14], v[9:10]
	s_delay_alu instid0(VALU_DEP_2) | instskip(NEXT) | instid1(VALU_DEP_2)
	v_add_f64_e64 v[13:14], v[15:16], -v[19:20]
	v_add_f64_e32 v[9:10], v[25:26], v[9:10]
	s_delay_alu instid0(VALU_DEP_2) | instskip(NEXT) | instid1(VALU_DEP_2)
	v_add_f64_e64 v[13:14], v[21:22], -v[13:14]
	v_mul_f64_e32 v[9:10], v[11:12], v[9:10]
	s_delay_alu instid0(VALU_DEP_1) | instskip(NEXT) | instid1(VALU_DEP_1)
	v_add_f64_e32 v[9:10], v[13:14], v[9:10]
	v_add_f64_e32 v[11:12], v[15:16], v[9:10]
	s_delay_alu instid0(VALU_DEP_1) | instskip(NEXT) | instid1(VALU_DEP_1)
	v_mul_f64_e32 v[13:14], v[11:12], v[11:12]
	v_fma_f64 v[17:18], v[13:14], s[12:13], s[10:11]
	s_mov_b32 s10, 0xd7f4df2e
	s_mov_b32 s11, 0x3fc7474d
	v_mul_f64_e32 v[19:20], v[11:12], v[13:14]
	s_wait_alu 0xfffe
	s_delay_alu instid0(VALU_DEP_2) | instskip(SKIP_3) | instid1(VALU_DEP_1)
	v_fma_f64 v[17:18], v[13:14], v[17:18], s[10:11]
	s_mov_b32 s10, 0x16291751
	s_mov_b32 s11, 0x3fcc71c0
	s_wait_alu 0xfffe
	v_fma_f64 v[17:18], v[13:14], v[17:18], s[10:11]
	s_mov_b32 s10, 0x9b27acf1
	s_mov_b32 s11, 0x3fd24924
	s_wait_alu 0xfffe
	s_delay_alu instid0(VALU_DEP_1) | instskip(SKIP_3) | instid1(VALU_DEP_1)
	v_fma_f64 v[17:18], v[13:14], v[17:18], s[10:11]
	s_mov_b32 s10, 0x998ef7b6
	s_mov_b32 s11, 0x3fd99999
	s_wait_alu 0xfffe
	v_fma_f64 v[17:18], v[13:14], v[17:18], s[10:11]
	s_delay_alu instid0(VALU_DEP_1)
	v_fma_f64 v[13:14], v[13:14], v[17:18], s[2:3]
	v_ldexp_f64 v[17:18], v[11:12], 1
	v_add_f64_e64 v[11:12], v[11:12], -v[15:16]
	v_cmp_neq_f64_e64 s2, 0x7ff00000, v[7:8]
	v_cmp_ngt_f64_e64 s3, -1.0, v[7:8]
	v_mul_f64_e32 v[13:14], v[19:20], v[13:14]
	v_cvt_f64_i32_e32 v[19:20], v31
	v_add_f64_e64 v[9:10], v[9:10], -v[11:12]
	s_and_b32 s1, s1, s2
	s_delay_alu instid0(VALU_DEP_3) | instskip(NEXT) | instid1(VALU_DEP_3)
	v_add_f64_e32 v[15:16], v[17:18], v[13:14]
	v_mul_f64_e32 v[21:22], s[4:5], v[19:20]
	s_delay_alu instid0(VALU_DEP_3) | instskip(NEXT) | instid1(VALU_DEP_3)
	v_ldexp_f64 v[9:10], v[9:10], 1
	v_add_f64_e64 v[11:12], v[15:16], -v[17:18]
	s_delay_alu instid0(VALU_DEP_3) | instskip(NEXT) | instid1(VALU_DEP_2)
	v_fma_f64 v[17:18], v[19:20], s[4:5], -v[21:22]
	v_add_f64_e64 v[11:12], v[13:14], -v[11:12]
	s_delay_alu instid0(VALU_DEP_2) | instskip(NEXT) | instid1(VALU_DEP_2)
	v_fma_f64 v[13:14], v[19:20], s[6:7], v[17:18]
	v_add_f64_e32 v[9:10], v[9:10], v[11:12]
	s_delay_alu instid0(VALU_DEP_2) | instskip(NEXT) | instid1(VALU_DEP_2)
	v_add_f64_e32 v[11:12], v[21:22], v[13:14]
	v_add_f64_e32 v[17:18], v[15:16], v[9:10]
	s_delay_alu instid0(VALU_DEP_2) | instskip(NEXT) | instid1(VALU_DEP_2)
	v_add_f64_e64 v[21:22], v[11:12], -v[21:22]
	v_add_f64_e32 v[19:20], v[11:12], v[17:18]
	v_add_f64_e64 v[15:16], v[17:18], -v[15:16]
	s_delay_alu instid0(VALU_DEP_3) | instskip(NEXT) | instid1(VALU_DEP_3)
	v_add_f64_e64 v[13:14], v[13:14], -v[21:22]
	v_add_f64_e64 v[23:24], v[19:20], -v[11:12]
	s_delay_alu instid0(VALU_DEP_3) | instskip(NEXT) | instid1(VALU_DEP_2)
	v_add_f64_e64 v[9:10], v[9:10], -v[15:16]
	v_add_f64_e64 v[25:26], v[19:20], -v[23:24]
	;; [unrolled: 1-line block ×3, first 2 shown]
	s_delay_alu instid0(VALU_DEP_3) | instskip(NEXT) | instid1(VALU_DEP_3)
	v_add_f64_e32 v[17:18], v[13:14], v[9:10]
	v_add_f64_e64 v[11:12], v[11:12], -v[25:26]
	s_delay_alu instid0(VALU_DEP_1) | instskip(NEXT) | instid1(VALU_DEP_3)
	v_add_f64_e32 v[11:12], v[15:16], v[11:12]
	v_add_f64_e64 v[15:16], v[17:18], -v[13:14]
	s_delay_alu instid0(VALU_DEP_2) | instskip(NEXT) | instid1(VALU_DEP_2)
	v_add_f64_e32 v[11:12], v[17:18], v[11:12]
	v_add_f64_e64 v[17:18], v[17:18], -v[15:16]
	v_add_f64_e64 v[9:10], v[9:10], -v[15:16]
	s_delay_alu instid0(VALU_DEP_3) | instskip(NEXT) | instid1(VALU_DEP_3)
	v_add_f64_e32 v[21:22], v[19:20], v[11:12]
	v_add_f64_e64 v[13:14], v[13:14], -v[17:18]
	s_delay_alu instid0(VALU_DEP_2) | instskip(NEXT) | instid1(VALU_DEP_2)
	v_add_f64_e64 v[15:16], v[21:22], -v[19:20]
	v_add_f64_e32 v[9:10], v[9:10], v[13:14]
	s_delay_alu instid0(VALU_DEP_2) | instskip(NEXT) | instid1(VALU_DEP_1)
	v_add_f64_e64 v[11:12], v[11:12], -v[15:16]
	v_add_f64_e32 v[9:10], v[9:10], v[11:12]
	s_delay_alu instid0(VALU_DEP_1) | instskip(SKIP_1) | instid1(VALU_DEP_1)
	v_add_f64_e32 v[9:10], v[21:22], v[9:10]
	s_wait_alu 0xfffe
	v_cndmask_b32_e64 v9, 0, v9, s1
	v_cmp_neq_f64_e64 s1, -1.0, v[7:8]
	s_delay_alu instid0(VALU_DEP_3) | instskip(NEXT) | instid1(VALU_DEP_1)
	v_cndmask_b32_e64 v10, 0x7ff00000, v10, s2
	v_cndmask_b32_e64 v10, 0x7ff80000, v10, s3
	s_wait_alu 0xf1ff
	s_delay_alu instid0(VALU_DEP_1) | instskip(NEXT) | instid1(VALU_DEP_1)
	v_cndmask_b32_e64 v10, 0xfff00000, v10, s1
	v_add_f64_e32 v[69:70], v[5:6], v[9:10]
.LBB6_198:
	s_wait_alu 0xfffe
	s_or_b32 exec_lo, exec_lo, s8
	v_max_num_f64_e32 v[5:6], v[61:62], v[61:62]
	s_delay_alu instid0(VALU_DEP_2) | instskip(SKIP_2) | instid1(VALU_DEP_3)
	v_max_num_f64_e32 v[7:8], v[69:70], v[69:70]
	v_cmp_u_f64_e64 s2, v[69:70], v[69:70]
	v_cmp_u_f64_e64 s1, v[61:62], v[61:62]
	v_min_num_f64_e32 v[9:10], v[7:8], v[5:6]
	v_max_num_f64_e32 v[7:8], v[7:8], v[5:6]
	s_wait_alu 0xf1ff
	s_delay_alu instid0(VALU_DEP_2) | instskip(NEXT) | instid1(VALU_DEP_3)
	v_cndmask_b32_e64 v9, v9, v69, s2
	v_cndmask_b32_e64 v10, v10, v70, s2
	s_delay_alu instid0(VALU_DEP_3) | instskip(NEXT) | instid1(VALU_DEP_4)
	v_cndmask_b32_e64 v8, v8, v70, s2
	v_cndmask_b32_e64 v7, v7, v69, s2
	s_delay_alu instid0(VALU_DEP_4) | instskip(NEXT) | instid1(VALU_DEP_4)
	v_cndmask_b32_e64 v9, v9, v61, s1
	v_cndmask_b32_e64 v10, v10, v62, s1
	s_delay_alu instid0(VALU_DEP_4) | instskip(NEXT) | instid1(VALU_DEP_4)
	v_cndmask_b32_e64 v8, v8, v62, s1
	v_cndmask_b32_e64 v7, v7, v61, s1
	s_delay_alu instid0(VALU_DEP_3) | instskip(NEXT) | instid1(VALU_DEP_2)
	v_cmp_class_f64_e64 s3, v[9:10], 0x1f8
	v_cmp_neq_f64_e64 s2, v[9:10], v[7:8]
	s_or_b32 s2, s2, s3
	s_wait_alu 0xfffe
	s_and_saveexec_b32 s8, s2
	s_cbranch_execz .LBB6_200
; %bb.199:
	v_add_f64_e64 v[9:10], v[9:10], -v[7:8]
	s_mov_b32 s2, 0x652b82fe
	s_mov_b32 s3, 0x3ff71547
	s_mov_b32 s5, 0xbfe62e42
	s_mov_b32 s4, 0xfefa39ef
	s_mov_b32 s7, 0xbc7abc9e
	s_mov_b32 s6, 0x3b39803f
	s_mov_b32 s10, 0x6a5dcb37
	s_mov_b32 s11, 0x3e5ade15
	s_mov_b32 s12, 0xbf559e2b
	s_mov_b32 s13, 0x3fc3ab76
	s_wait_alu 0xfffe
	s_delay_alu instid0(VALU_DEP_1) | instskip(SKIP_2) | instid1(VALU_DEP_1)
	v_mul_f64_e32 v[11:12], s[2:3], v[9:10]
	s_mov_b32 s2, 0xfca7ab0c
	s_mov_b32 s3, 0x3e928af3
	v_rndne_f64_e32 v[11:12], v[11:12]
	s_delay_alu instid0(VALU_DEP_1) | instskip(SKIP_2) | instid1(VALU_DEP_2)
	v_fma_f64 v[13:14], v[11:12], s[4:5], v[9:10]
	v_cvt_i32_f64_e32 v17, v[11:12]
	s_mov_b32 s5, 0x3fe62e42
	v_fma_f64 v[13:14], v[11:12], s[6:7], v[13:14]
	s_mov_b32 s7, 0x3c7abc9e
	s_wait_alu 0xfffe
	s_delay_alu instid0(VALU_DEP_1)
	v_fma_f64 v[15:16], v[13:14], s[10:11], s[2:3]
	s_mov_b32 s2, 0x623fde64
	s_mov_b32 s3, 0x3ec71dee
	;; [unrolled: 1-line block ×4, first 2 shown]
	s_wait_alu 0xfffe
	s_delay_alu instid0(VALU_DEP_1) | instskip(SKIP_3) | instid1(VALU_DEP_1)
	v_fma_f64 v[15:16], v[13:14], v[15:16], s[2:3]
	s_mov_b32 s2, 0x7c89e6b0
	s_mov_b32 s3, 0x3efa0199
	s_wait_alu 0xfffe
	v_fma_f64 v[15:16], v[13:14], v[15:16], s[2:3]
	s_mov_b32 s2, 0x14761f6e
	s_mov_b32 s3, 0x3f2a01a0
	s_wait_alu 0xfffe
	s_delay_alu instid0(VALU_DEP_1) | instskip(SKIP_3) | instid1(VALU_DEP_1)
	v_fma_f64 v[15:16], v[13:14], v[15:16], s[2:3]
	s_mov_b32 s2, 0x1852b7b0
	s_mov_b32 s3, 0x3f56c16c
	s_wait_alu 0xfffe
	v_fma_f64 v[15:16], v[13:14], v[15:16], s[2:3]
	s_mov_b32 s2, 0x11122322
	s_mov_b32 s3, 0x3f811111
	;; [unrolled: 9-line block ×3, first 2 shown]
	s_wait_alu 0xfffe
	s_delay_alu instid0(VALU_DEP_1) | instskip(SKIP_3) | instid1(VALU_DEP_1)
	v_fma_f64 v[15:16], v[13:14], v[15:16], s[2:3]
	s_mov_b32 s2, 11
	s_mov_b32 s3, 0x3fe00000
	s_wait_alu 0xfffe
	v_fma_f64 v[15:16], v[13:14], v[15:16], s[2:3]
	v_cmp_nlt_f64_e64 s2, 0x40900000, v[9:10]
	v_cmp_ngt_f64_e64 s3, 0xc090cc00, v[9:10]
	s_delay_alu instid0(VALU_DEP_3) | instskip(NEXT) | instid1(VALU_DEP_1)
	v_fma_f64 v[15:16], v[13:14], v[15:16], 1.0
	v_fma_f64 v[11:12], v[13:14], v[15:16], 1.0
	s_delay_alu instid0(VALU_DEP_1) | instskip(SKIP_1) | instid1(VALU_DEP_1)
	v_ldexp_f64 v[11:12], v[11:12], v17
	s_wait_alu 0xf1ff
	v_cndmask_b32_e64 v12, 0x7ff00000, v12, s2
	s_and_b32 s2, s3, s2
	s_wait_alu 0xfffe
	s_delay_alu instid0(VALU_DEP_2) | instskip(SKIP_3) | instid1(VALU_DEP_1)
	v_cndmask_b32_e64 v9, 0, v11, s2
	s_mov_b32 s2, 0x55555555
	v_cndmask_b32_e64 v10, 0, v12, s3
	s_mov_b32 s3, 0x3fe55555
	v_add_f64_e32 v[11:12], 1.0, v[9:10]
	s_delay_alu instid0(VALU_DEP_1) | instskip(SKIP_3) | instid1(VALU_DEP_3)
	v_frexp_mant_f64_e32 v[13:14], v[11:12]
	v_frexp_exp_i32_f64_e32 v17, v[11:12]
	v_add_f64_e32 v[15:16], -1.0, v[11:12]
	s_wait_alu 0xfffe
	v_cmp_gt_f64_e64 s2, s[2:3], v[13:14]
	s_delay_alu instid0(VALU_DEP_2) | instskip(SKIP_2) | instid1(VALU_DEP_3)
	v_add_f64_e64 v[13:14], v[15:16], -v[11:12]
	v_add_f64_e64 v[15:16], v[9:10], -v[15:16]
	s_wait_alu 0xf1ff
	v_subrev_co_ci_u32_e64 v69, null, 0, v17, s2
	s_delay_alu instid0(VALU_DEP_3) | instskip(SKIP_1) | instid1(VALU_DEP_2)
	v_add_f64_e32 v[13:14], 1.0, v[13:14]
	s_mov_b32 s2, 0x55555780
	v_sub_nc_u32_e32 v19, 0, v69
	s_delay_alu instid0(VALU_DEP_1) | instskip(NEXT) | instid1(VALU_DEP_3)
	v_ldexp_f64 v[11:12], v[11:12], v19
	v_add_f64_e32 v[13:14], v[15:16], v[13:14]
	s_delay_alu instid0(VALU_DEP_2) | instskip(SKIP_1) | instid1(VALU_DEP_3)
	v_add_f64_e32 v[17:18], 1.0, v[11:12]
	v_add_f64_e32 v[23:24], -1.0, v[11:12]
	v_ldexp_f64 v[13:14], v[13:14], v19
	s_delay_alu instid0(VALU_DEP_3) | instskip(NEXT) | instid1(VALU_DEP_3)
	v_add_f64_e32 v[15:16], -1.0, v[17:18]
	v_add_f64_e32 v[25:26], 1.0, v[23:24]
	s_delay_alu instid0(VALU_DEP_2) | instskip(NEXT) | instid1(VALU_DEP_2)
	v_add_f64_e64 v[15:16], v[11:12], -v[15:16]
	v_add_f64_e64 v[11:12], v[11:12], -v[25:26]
	s_delay_alu instid0(VALU_DEP_2) | instskip(NEXT) | instid1(VALU_DEP_2)
	v_add_f64_e32 v[15:16], v[13:14], v[15:16]
	v_add_f64_e32 v[11:12], v[13:14], v[11:12]
	s_delay_alu instid0(VALU_DEP_2) | instskip(NEXT) | instid1(VALU_DEP_2)
	v_add_f64_e32 v[19:20], v[17:18], v[15:16]
	v_add_f64_e32 v[25:26], v[23:24], v[11:12]
	s_delay_alu instid0(VALU_DEP_2) | instskip(SKIP_1) | instid1(VALU_DEP_2)
	v_rcp_f64_e32 v[21:22], v[19:20]
	v_add_f64_e64 v[17:18], v[19:20], -v[17:18]
	v_add_f64_e64 v[23:24], v[25:26], -v[23:24]
	s_delay_alu instid0(VALU_DEP_2) | instskip(NEXT) | instid1(TRANS32_DEP_1)
	v_add_f64_e64 v[15:16], v[15:16], -v[17:18]
	v_fma_f64 v[27:28], -v[19:20], v[21:22], 1.0
	s_delay_alu instid0(VALU_DEP_3) | instskip(NEXT) | instid1(VALU_DEP_2)
	v_add_f64_e64 v[11:12], v[11:12], -v[23:24]
	v_fma_f64 v[21:22], v[27:28], v[21:22], v[21:22]
	s_delay_alu instid0(VALU_DEP_1) | instskip(NEXT) | instid1(VALU_DEP_1)
	v_fma_f64 v[13:14], -v[19:20], v[21:22], 1.0
	v_fma_f64 v[13:14], v[13:14], v[21:22], v[21:22]
	s_delay_alu instid0(VALU_DEP_1) | instskip(NEXT) | instid1(VALU_DEP_1)
	v_mul_f64_e32 v[21:22], v[25:26], v[13:14]
	v_mul_f64_e32 v[27:28], v[19:20], v[21:22]
	s_delay_alu instid0(VALU_DEP_1) | instskip(NEXT) | instid1(VALU_DEP_1)
	v_fma_f64 v[17:18], v[21:22], v[19:20], -v[27:28]
	v_fma_f64 v[17:18], v[21:22], v[15:16], v[17:18]
	s_delay_alu instid0(VALU_DEP_1) | instskip(NEXT) | instid1(VALU_DEP_1)
	v_add_f64_e32 v[29:30], v[27:28], v[17:18]
	v_add_f64_e64 v[31:32], v[25:26], -v[29:30]
	v_add_f64_e64 v[23:24], v[29:30], -v[27:28]
	s_delay_alu instid0(VALU_DEP_2) | instskip(NEXT) | instid1(VALU_DEP_2)
	v_add_f64_e64 v[25:26], v[25:26], -v[31:32]
	v_add_f64_e64 v[17:18], v[23:24], -v[17:18]
	s_delay_alu instid0(VALU_DEP_2) | instskip(NEXT) | instid1(VALU_DEP_1)
	v_add_f64_e64 v[25:26], v[25:26], -v[29:30]
	v_add_f64_e32 v[11:12], v[11:12], v[25:26]
	s_delay_alu instid0(VALU_DEP_1) | instskip(NEXT) | instid1(VALU_DEP_1)
	v_add_f64_e32 v[11:12], v[17:18], v[11:12]
	v_add_f64_e32 v[17:18], v[31:32], v[11:12]
	s_delay_alu instid0(VALU_DEP_1) | instskip(SKIP_1) | instid1(VALU_DEP_2)
	v_mul_f64_e32 v[23:24], v[13:14], v[17:18]
	v_add_f64_e64 v[29:30], v[31:32], -v[17:18]
	v_mul_f64_e32 v[25:26], v[19:20], v[23:24]
	s_delay_alu instid0(VALU_DEP_2) | instskip(NEXT) | instid1(VALU_DEP_2)
	v_add_f64_e32 v[11:12], v[11:12], v[29:30]
	v_fma_f64 v[19:20], v[23:24], v[19:20], -v[25:26]
	s_delay_alu instid0(VALU_DEP_1) | instskip(NEXT) | instid1(VALU_DEP_1)
	v_fma_f64 v[15:16], v[23:24], v[15:16], v[19:20]
	v_add_f64_e32 v[19:20], v[25:26], v[15:16]
	s_delay_alu instid0(VALU_DEP_1) | instskip(SKIP_1) | instid1(VALU_DEP_2)
	v_add_f64_e64 v[27:28], v[17:18], -v[19:20]
	v_add_f64_e64 v[25:26], v[19:20], -v[25:26]
	;; [unrolled: 1-line block ×3, first 2 shown]
	s_delay_alu instid0(VALU_DEP_2) | instskip(NEXT) | instid1(VALU_DEP_2)
	v_add_f64_e64 v[15:16], v[25:26], -v[15:16]
	v_add_f64_e64 v[17:18], v[17:18], -v[19:20]
	s_delay_alu instid0(VALU_DEP_1) | instskip(SKIP_1) | instid1(VALU_DEP_2)
	v_add_f64_e32 v[11:12], v[11:12], v[17:18]
	v_add_f64_e32 v[17:18], v[21:22], v[23:24]
	;; [unrolled: 1-line block ×3, first 2 shown]
	s_delay_alu instid0(VALU_DEP_2) | instskip(NEXT) | instid1(VALU_DEP_2)
	v_add_f64_e64 v[15:16], v[17:18], -v[21:22]
	v_add_f64_e32 v[11:12], v[27:28], v[11:12]
	s_delay_alu instid0(VALU_DEP_2) | instskip(NEXT) | instid1(VALU_DEP_2)
	v_add_f64_e64 v[15:16], v[23:24], -v[15:16]
	v_mul_f64_e32 v[11:12], v[13:14], v[11:12]
	s_delay_alu instid0(VALU_DEP_1) | instskip(NEXT) | instid1(VALU_DEP_1)
	v_add_f64_e32 v[11:12], v[15:16], v[11:12]
	v_add_f64_e32 v[13:14], v[17:18], v[11:12]
	s_delay_alu instid0(VALU_DEP_1) | instskip(NEXT) | instid1(VALU_DEP_1)
	v_mul_f64_e32 v[15:16], v[13:14], v[13:14]
	v_fma_f64 v[19:20], v[15:16], s[12:13], s[10:11]
	s_mov_b32 s10, 0xd7f4df2e
	s_mov_b32 s11, 0x3fc7474d
	v_mul_f64_e32 v[21:22], v[13:14], v[15:16]
	s_wait_alu 0xfffe
	s_delay_alu instid0(VALU_DEP_2) | instskip(SKIP_3) | instid1(VALU_DEP_1)
	v_fma_f64 v[19:20], v[15:16], v[19:20], s[10:11]
	s_mov_b32 s10, 0x16291751
	s_mov_b32 s11, 0x3fcc71c0
	s_wait_alu 0xfffe
	v_fma_f64 v[19:20], v[15:16], v[19:20], s[10:11]
	s_mov_b32 s10, 0x9b27acf1
	s_mov_b32 s11, 0x3fd24924
	s_wait_alu 0xfffe
	s_delay_alu instid0(VALU_DEP_1) | instskip(SKIP_3) | instid1(VALU_DEP_1)
	v_fma_f64 v[19:20], v[15:16], v[19:20], s[10:11]
	s_mov_b32 s10, 0x998ef7b6
	s_mov_b32 s11, 0x3fd99999
	s_wait_alu 0xfffe
	v_fma_f64 v[19:20], v[15:16], v[19:20], s[10:11]
	s_delay_alu instid0(VALU_DEP_1)
	v_fma_f64 v[15:16], v[15:16], v[19:20], s[2:3]
	v_ldexp_f64 v[19:20], v[13:14], 1
	v_add_f64_e64 v[13:14], v[13:14], -v[17:18]
	v_cmp_nge_f64_e64 s2, -1.0, v[9:10]
	v_cmp_neq_f64_e64 s3, 0x7ff00000, v[9:10]
	v_mul_f64_e32 v[15:16], v[21:22], v[15:16]
	v_cvt_f64_i32_e32 v[21:22], v69
	v_add_f64_e64 v[11:12], v[11:12], -v[13:14]
	s_and_b32 s2, s2, s3
	s_delay_alu instid0(VALU_DEP_3) | instskip(NEXT) | instid1(VALU_DEP_3)
	v_add_f64_e32 v[17:18], v[19:20], v[15:16]
	v_mul_f64_e32 v[23:24], s[4:5], v[21:22]
	s_delay_alu instid0(VALU_DEP_3) | instskip(NEXT) | instid1(VALU_DEP_3)
	v_ldexp_f64 v[11:12], v[11:12], 1
	v_add_f64_e64 v[13:14], v[17:18], -v[19:20]
	s_delay_alu instid0(VALU_DEP_3) | instskip(SKIP_1) | instid1(VALU_DEP_3)
	v_fma_f64 v[19:20], v[21:22], s[4:5], -v[23:24]
	v_cmp_ngt_f64_e64 s4, -1.0, v[9:10]
	v_add_f64_e64 v[13:14], v[15:16], -v[13:14]
	s_delay_alu instid0(VALU_DEP_3) | instskip(NEXT) | instid1(VALU_DEP_2)
	v_fma_f64 v[15:16], v[21:22], s[6:7], v[19:20]
	v_add_f64_e32 v[11:12], v[11:12], v[13:14]
	s_delay_alu instid0(VALU_DEP_2) | instskip(NEXT) | instid1(VALU_DEP_2)
	v_add_f64_e32 v[13:14], v[23:24], v[15:16]
	v_add_f64_e32 v[19:20], v[17:18], v[11:12]
	s_delay_alu instid0(VALU_DEP_2) | instskip(NEXT) | instid1(VALU_DEP_2)
	v_add_f64_e64 v[23:24], v[13:14], -v[23:24]
	v_add_f64_e32 v[21:22], v[13:14], v[19:20]
	v_add_f64_e64 v[17:18], v[19:20], -v[17:18]
	s_delay_alu instid0(VALU_DEP_3) | instskip(NEXT) | instid1(VALU_DEP_3)
	v_add_f64_e64 v[15:16], v[15:16], -v[23:24]
	v_add_f64_e64 v[25:26], v[21:22], -v[13:14]
	s_delay_alu instid0(VALU_DEP_3) | instskip(NEXT) | instid1(VALU_DEP_2)
	v_add_f64_e64 v[11:12], v[11:12], -v[17:18]
	v_add_f64_e64 v[27:28], v[21:22], -v[25:26]
	;; [unrolled: 1-line block ×3, first 2 shown]
	s_delay_alu instid0(VALU_DEP_3) | instskip(NEXT) | instid1(VALU_DEP_3)
	v_add_f64_e32 v[19:20], v[15:16], v[11:12]
	v_add_f64_e64 v[13:14], v[13:14], -v[27:28]
	s_delay_alu instid0(VALU_DEP_1) | instskip(NEXT) | instid1(VALU_DEP_3)
	v_add_f64_e32 v[13:14], v[17:18], v[13:14]
	v_add_f64_e64 v[17:18], v[19:20], -v[15:16]
	s_delay_alu instid0(VALU_DEP_2) | instskip(NEXT) | instid1(VALU_DEP_2)
	v_add_f64_e32 v[13:14], v[19:20], v[13:14]
	v_add_f64_e64 v[19:20], v[19:20], -v[17:18]
	v_add_f64_e64 v[11:12], v[11:12], -v[17:18]
	s_delay_alu instid0(VALU_DEP_3) | instskip(NEXT) | instid1(VALU_DEP_3)
	v_add_f64_e32 v[23:24], v[21:22], v[13:14]
	v_add_f64_e64 v[15:16], v[15:16], -v[19:20]
	s_delay_alu instid0(VALU_DEP_2) | instskip(NEXT) | instid1(VALU_DEP_2)
	v_add_f64_e64 v[17:18], v[23:24], -v[21:22]
	v_add_f64_e32 v[11:12], v[11:12], v[15:16]
	s_delay_alu instid0(VALU_DEP_2) | instskip(NEXT) | instid1(VALU_DEP_1)
	v_add_f64_e64 v[13:14], v[13:14], -v[17:18]
	v_add_f64_e32 v[11:12], v[11:12], v[13:14]
	s_delay_alu instid0(VALU_DEP_1) | instskip(SKIP_1) | instid1(VALU_DEP_1)
	v_add_f64_e32 v[11:12], v[23:24], v[11:12]
	s_wait_alu 0xfffe
	v_cndmask_b32_e64 v11, 0, v11, s2
	v_cmp_neq_f64_e64 s2, -1.0, v[9:10]
	s_delay_alu instid0(VALU_DEP_3) | instskip(SKIP_1) | instid1(VALU_DEP_1)
	v_cndmask_b32_e64 v12, 0x7ff00000, v12, s3
	s_wait_alu 0xf1ff
	v_cndmask_b32_e64 v12, 0x7ff80000, v12, s4
	s_delay_alu instid0(VALU_DEP_1) | instskip(NEXT) | instid1(VALU_DEP_1)
	v_cndmask_b32_e64 v12, 0xfff00000, v12, s2
	v_add_f64_e32 v[69:70], v[7:8], v[11:12]
.LBB6_200:
	s_wait_alu 0xfffe
	s_or_b32 exec_lo, exec_lo, s8
	v_max_num_f64_e32 v[7:8], v[63:64], v[63:64]
	s_delay_alu instid0(VALU_DEP_2) | instskip(SKIP_2) | instid1(VALU_DEP_3)
	v_max_num_f64_e32 v[9:10], v[69:70], v[69:70]
	v_cmp_u_f64_e64 s3, v[69:70], v[69:70]
	v_cmp_u_f64_e64 s2, v[63:64], v[63:64]
	v_min_num_f64_e32 v[11:12], v[9:10], v[7:8]
	v_max_num_f64_e32 v[9:10], v[9:10], v[7:8]
	s_wait_alu 0xf1ff
	s_delay_alu instid0(VALU_DEP_2) | instskip(NEXT) | instid1(VALU_DEP_3)
	v_cndmask_b32_e64 v11, v11, v69, s3
	v_cndmask_b32_e64 v12, v12, v70, s3
	s_delay_alu instid0(VALU_DEP_3) | instskip(NEXT) | instid1(VALU_DEP_4)
	v_cndmask_b32_e64 v10, v10, v70, s3
	v_cndmask_b32_e64 v9, v9, v69, s3
	s_delay_alu instid0(VALU_DEP_4) | instskip(NEXT) | instid1(VALU_DEP_4)
	v_cndmask_b32_e64 v11, v11, v63, s2
	v_cndmask_b32_e64 v12, v12, v64, s2
	s_delay_alu instid0(VALU_DEP_4) | instskip(NEXT) | instid1(VALU_DEP_4)
	v_cndmask_b32_e64 v10, v10, v64, s2
	v_cndmask_b32_e64 v9, v9, v63, s2
	s_delay_alu instid0(VALU_DEP_3) | instskip(NEXT) | instid1(VALU_DEP_2)
	v_cmp_class_f64_e64 s4, v[11:12], 0x1f8
	v_cmp_neq_f64_e64 s3, v[11:12], v[9:10]
	s_or_b32 s3, s3, s4
	s_wait_alu 0xfffe
	s_and_saveexec_b32 s10, s3
	s_cbranch_execz .LBB6_202
; %bb.201:
	v_add_f64_e64 v[11:12], v[11:12], -v[9:10]
	s_mov_b32 s4, 0x652b82fe
	s_mov_b32 s5, 0x3ff71547
	;; [unrolled: 1-line block ×10, first 2 shown]
	s_wait_alu 0xfffe
	s_delay_alu instid0(VALU_DEP_1) | instskip(SKIP_3) | instid1(VALU_DEP_2)
	v_mul_f64_e32 v[13:14], s[4:5], v[11:12]
	s_mov_b32 s4, 0xfca7ab0c
	s_mov_b32 s5, 0x3e928af3
	v_cmp_nlt_f64_e64 s3, 0x40900000, v[11:12]
	v_rndne_f64_e32 v[13:14], v[13:14]
	s_delay_alu instid0(VALU_DEP_1) | instskip(SKIP_2) | instid1(VALU_DEP_2)
	v_fma_f64 v[15:16], v[13:14], s[6:7], v[11:12]
	v_cvt_i32_f64_e32 v19, v[13:14]
	s_mov_b32 s7, 0x3fe62e42
	v_fma_f64 v[15:16], v[13:14], s[8:9], v[15:16]
	s_mov_b32 s9, 0x3c7abc9e
	s_wait_alu 0xfffe
	s_delay_alu instid0(VALU_DEP_1)
	v_fma_f64 v[17:18], v[15:16], s[12:13], s[4:5]
	s_mov_b32 s4, 0x623fde64
	s_mov_b32 s5, 0x3ec71dee
	s_mov_b32 s12, 0x6b47b09a
	s_mov_b32 s13, 0x3fc38538
	s_wait_alu 0xfffe
	s_delay_alu instid0(VALU_DEP_1) | instskip(SKIP_3) | instid1(VALU_DEP_1)
	v_fma_f64 v[17:18], v[15:16], v[17:18], s[4:5]
	s_mov_b32 s4, 0x7c89e6b0
	s_mov_b32 s5, 0x3efa0199
	s_wait_alu 0xfffe
	v_fma_f64 v[17:18], v[15:16], v[17:18], s[4:5]
	s_mov_b32 s4, 0x14761f6e
	s_mov_b32 s5, 0x3f2a01a0
	s_wait_alu 0xfffe
	s_delay_alu instid0(VALU_DEP_1) | instskip(SKIP_3) | instid1(VALU_DEP_1)
	v_fma_f64 v[17:18], v[15:16], v[17:18], s[4:5]
	s_mov_b32 s4, 0x1852b7b0
	s_mov_b32 s5, 0x3f56c16c
	s_wait_alu 0xfffe
	v_fma_f64 v[17:18], v[15:16], v[17:18], s[4:5]
	s_mov_b32 s4, 0x11122322
	s_mov_b32 s5, 0x3f811111
	;; [unrolled: 9-line block ×3, first 2 shown]
	s_wait_alu 0xfffe
	s_delay_alu instid0(VALU_DEP_1) | instskip(SKIP_3) | instid1(VALU_DEP_1)
	v_fma_f64 v[17:18], v[15:16], v[17:18], s[4:5]
	s_mov_b32 s4, 11
	s_mov_b32 s5, 0x3fe00000
	s_wait_alu 0xfffe
	v_fma_f64 v[17:18], v[15:16], v[17:18], s[4:5]
	v_cmp_ngt_f64_e64 s4, 0xc090cc00, v[11:12]
	s_mov_b32 s5, 0x3fe55555
	v_fma_f64 v[17:18], v[15:16], v[17:18], 1.0
	s_delay_alu instid0(VALU_DEP_1) | instskip(NEXT) | instid1(VALU_DEP_1)
	v_fma_f64 v[13:14], v[15:16], v[17:18], 1.0
	v_ldexp_f64 v[13:14], v[13:14], v19
	s_wait_alu 0xf1ff
	s_delay_alu instid0(VALU_DEP_1) | instskip(SKIP_2) | instid1(VALU_DEP_2)
	v_cndmask_b32_e64 v14, 0x7ff00000, v14, s3
	s_and_b32 s3, s4, s3
	s_wait_alu 0xfffe
	v_cndmask_b32_e64 v11, 0, v13, s3
	s_delay_alu instid0(VALU_DEP_2) | instskip(SKIP_1) | instid1(VALU_DEP_1)
	v_cndmask_b32_e64 v12, 0, v14, s4
	s_mov_b32 s4, 0x55555555
	v_add_f64_e32 v[13:14], 1.0, v[11:12]
	s_delay_alu instid0(VALU_DEP_1) | instskip(SKIP_3) | instid1(VALU_DEP_3)
	v_frexp_mant_f64_e32 v[15:16], v[13:14]
	v_frexp_exp_i32_f64_e32 v19, v[13:14]
	v_add_f64_e32 v[17:18], -1.0, v[13:14]
	s_wait_alu 0xfffe
	v_cmp_gt_f64_e64 s3, s[4:5], v[15:16]
	s_mov_b32 s4, 0x55555780
	v_add_f64_e64 v[15:16], v[17:18], -v[13:14]
	v_add_f64_e64 v[17:18], v[11:12], -v[17:18]
	s_wait_alu 0xf1ff
	v_subrev_co_ci_u32_e64 v71, null, 0, v19, s3
	s_delay_alu instid0(VALU_DEP_3) | instskip(SKIP_1) | instid1(VALU_DEP_3)
	v_add_f64_e32 v[15:16], 1.0, v[15:16]
	v_cmp_nge_f64_e64 s3, -1.0, v[11:12]
	v_sub_nc_u32_e32 v21, 0, v71
	s_delay_alu instid0(VALU_DEP_1) | instskip(NEXT) | instid1(VALU_DEP_4)
	v_ldexp_f64 v[13:14], v[13:14], v21
	v_add_f64_e32 v[15:16], v[17:18], v[15:16]
	s_delay_alu instid0(VALU_DEP_2) | instskip(SKIP_1) | instid1(VALU_DEP_3)
	v_add_f64_e32 v[19:20], 1.0, v[13:14]
	v_add_f64_e32 v[25:26], -1.0, v[13:14]
	v_ldexp_f64 v[15:16], v[15:16], v21
	s_delay_alu instid0(VALU_DEP_3) | instskip(NEXT) | instid1(VALU_DEP_3)
	v_add_f64_e32 v[17:18], -1.0, v[19:20]
	v_add_f64_e32 v[27:28], 1.0, v[25:26]
	s_delay_alu instid0(VALU_DEP_2) | instskip(NEXT) | instid1(VALU_DEP_2)
	v_add_f64_e64 v[17:18], v[13:14], -v[17:18]
	v_add_f64_e64 v[13:14], v[13:14], -v[27:28]
	s_delay_alu instid0(VALU_DEP_2) | instskip(NEXT) | instid1(VALU_DEP_2)
	v_add_f64_e32 v[17:18], v[15:16], v[17:18]
	v_add_f64_e32 v[13:14], v[15:16], v[13:14]
	s_delay_alu instid0(VALU_DEP_2) | instskip(NEXT) | instid1(VALU_DEP_2)
	v_add_f64_e32 v[21:22], v[19:20], v[17:18]
	v_add_f64_e32 v[27:28], v[25:26], v[13:14]
	s_delay_alu instid0(VALU_DEP_2) | instskip(SKIP_1) | instid1(VALU_DEP_2)
	v_rcp_f64_e32 v[23:24], v[21:22]
	v_add_f64_e64 v[19:20], v[21:22], -v[19:20]
	v_add_f64_e64 v[25:26], v[27:28], -v[25:26]
	s_delay_alu instid0(VALU_DEP_2) | instskip(NEXT) | instid1(TRANS32_DEP_1)
	v_add_f64_e64 v[17:18], v[17:18], -v[19:20]
	v_fma_f64 v[29:30], -v[21:22], v[23:24], 1.0
	s_delay_alu instid0(VALU_DEP_3) | instskip(NEXT) | instid1(VALU_DEP_2)
	v_add_f64_e64 v[13:14], v[13:14], -v[25:26]
	v_fma_f64 v[23:24], v[29:30], v[23:24], v[23:24]
	s_delay_alu instid0(VALU_DEP_1) | instskip(NEXT) | instid1(VALU_DEP_1)
	v_fma_f64 v[15:16], -v[21:22], v[23:24], 1.0
	v_fma_f64 v[15:16], v[15:16], v[23:24], v[23:24]
	s_delay_alu instid0(VALU_DEP_1) | instskip(NEXT) | instid1(VALU_DEP_1)
	v_mul_f64_e32 v[23:24], v[27:28], v[15:16]
	v_mul_f64_e32 v[29:30], v[21:22], v[23:24]
	s_delay_alu instid0(VALU_DEP_1) | instskip(NEXT) | instid1(VALU_DEP_1)
	v_fma_f64 v[19:20], v[23:24], v[21:22], -v[29:30]
	v_fma_f64 v[19:20], v[23:24], v[17:18], v[19:20]
	s_delay_alu instid0(VALU_DEP_1) | instskip(NEXT) | instid1(VALU_DEP_1)
	v_add_f64_e32 v[31:32], v[29:30], v[19:20]
	v_add_f64_e64 v[69:70], v[27:28], -v[31:32]
	v_add_f64_e64 v[25:26], v[31:32], -v[29:30]
	s_delay_alu instid0(VALU_DEP_2) | instskip(NEXT) | instid1(VALU_DEP_2)
	v_add_f64_e64 v[27:28], v[27:28], -v[69:70]
	v_add_f64_e64 v[19:20], v[25:26], -v[19:20]
	s_delay_alu instid0(VALU_DEP_2) | instskip(NEXT) | instid1(VALU_DEP_1)
	v_add_f64_e64 v[27:28], v[27:28], -v[31:32]
	v_add_f64_e32 v[13:14], v[13:14], v[27:28]
	s_delay_alu instid0(VALU_DEP_1) | instskip(NEXT) | instid1(VALU_DEP_1)
	v_add_f64_e32 v[13:14], v[19:20], v[13:14]
	v_add_f64_e32 v[19:20], v[69:70], v[13:14]
	s_delay_alu instid0(VALU_DEP_1) | instskip(SKIP_1) | instid1(VALU_DEP_2)
	v_mul_f64_e32 v[25:26], v[15:16], v[19:20]
	v_add_f64_e64 v[31:32], v[69:70], -v[19:20]
	v_mul_f64_e32 v[27:28], v[21:22], v[25:26]
	s_delay_alu instid0(VALU_DEP_2) | instskip(NEXT) | instid1(VALU_DEP_2)
	v_add_f64_e32 v[13:14], v[13:14], v[31:32]
	v_fma_f64 v[21:22], v[25:26], v[21:22], -v[27:28]
	s_delay_alu instid0(VALU_DEP_1) | instskip(NEXT) | instid1(VALU_DEP_1)
	v_fma_f64 v[17:18], v[25:26], v[17:18], v[21:22]
	v_add_f64_e32 v[21:22], v[27:28], v[17:18]
	s_delay_alu instid0(VALU_DEP_1) | instskip(SKIP_1) | instid1(VALU_DEP_2)
	v_add_f64_e64 v[29:30], v[19:20], -v[21:22]
	v_add_f64_e64 v[27:28], v[21:22], -v[27:28]
	;; [unrolled: 1-line block ×3, first 2 shown]
	s_delay_alu instid0(VALU_DEP_2) | instskip(NEXT) | instid1(VALU_DEP_2)
	v_add_f64_e64 v[17:18], v[27:28], -v[17:18]
	v_add_f64_e64 v[19:20], v[19:20], -v[21:22]
	s_delay_alu instid0(VALU_DEP_1) | instskip(SKIP_1) | instid1(VALU_DEP_2)
	v_add_f64_e32 v[13:14], v[13:14], v[19:20]
	v_add_f64_e32 v[19:20], v[23:24], v[25:26]
	;; [unrolled: 1-line block ×3, first 2 shown]
	s_delay_alu instid0(VALU_DEP_2) | instskip(NEXT) | instid1(VALU_DEP_2)
	v_add_f64_e64 v[17:18], v[19:20], -v[23:24]
	v_add_f64_e32 v[13:14], v[29:30], v[13:14]
	s_delay_alu instid0(VALU_DEP_2) | instskip(NEXT) | instid1(VALU_DEP_2)
	v_add_f64_e64 v[17:18], v[25:26], -v[17:18]
	v_mul_f64_e32 v[13:14], v[15:16], v[13:14]
	s_delay_alu instid0(VALU_DEP_1) | instskip(NEXT) | instid1(VALU_DEP_1)
	v_add_f64_e32 v[13:14], v[17:18], v[13:14]
	v_add_f64_e32 v[15:16], v[19:20], v[13:14]
	s_delay_alu instid0(VALU_DEP_1) | instskip(NEXT) | instid1(VALU_DEP_1)
	v_mul_f64_e32 v[17:18], v[15:16], v[15:16]
	v_fma_f64 v[21:22], v[17:18], s[16:17], s[12:13]
	s_mov_b32 s12, 0xd7f4df2e
	s_mov_b32 s13, 0x3fc7474d
	v_mul_f64_e32 v[23:24], v[15:16], v[17:18]
	s_wait_alu 0xfffe
	s_delay_alu instid0(VALU_DEP_2) | instskip(SKIP_3) | instid1(VALU_DEP_1)
	v_fma_f64 v[21:22], v[17:18], v[21:22], s[12:13]
	s_mov_b32 s12, 0x16291751
	s_mov_b32 s13, 0x3fcc71c0
	s_wait_alu 0xfffe
	v_fma_f64 v[21:22], v[17:18], v[21:22], s[12:13]
	s_mov_b32 s12, 0x9b27acf1
	s_mov_b32 s13, 0x3fd24924
	s_wait_alu 0xfffe
	s_delay_alu instid0(VALU_DEP_1) | instskip(SKIP_3) | instid1(VALU_DEP_1)
	v_fma_f64 v[21:22], v[17:18], v[21:22], s[12:13]
	s_mov_b32 s12, 0x998ef7b6
	s_mov_b32 s13, 0x3fd99999
	s_wait_alu 0xfffe
	v_fma_f64 v[21:22], v[17:18], v[21:22], s[12:13]
	s_delay_alu instid0(VALU_DEP_1)
	v_fma_f64 v[17:18], v[17:18], v[21:22], s[4:5]
	v_ldexp_f64 v[21:22], v[15:16], 1
	v_add_f64_e64 v[15:16], v[15:16], -v[19:20]
	v_cmp_neq_f64_e64 s4, 0x7ff00000, v[11:12]
	v_cmp_ngt_f64_e64 s5, -1.0, v[11:12]
	v_mul_f64_e32 v[17:18], v[23:24], v[17:18]
	v_cvt_f64_i32_e32 v[23:24], v71
	v_add_f64_e64 v[13:14], v[13:14], -v[15:16]
	s_and_b32 s3, s3, s4
	s_delay_alu instid0(VALU_DEP_3) | instskip(NEXT) | instid1(VALU_DEP_3)
	v_add_f64_e32 v[19:20], v[21:22], v[17:18]
	v_mul_f64_e32 v[25:26], s[6:7], v[23:24]
	s_delay_alu instid0(VALU_DEP_3) | instskip(NEXT) | instid1(VALU_DEP_3)
	v_ldexp_f64 v[13:14], v[13:14], 1
	v_add_f64_e64 v[15:16], v[19:20], -v[21:22]
	s_delay_alu instid0(VALU_DEP_3) | instskip(NEXT) | instid1(VALU_DEP_2)
	v_fma_f64 v[21:22], v[23:24], s[6:7], -v[25:26]
	v_add_f64_e64 v[15:16], v[17:18], -v[15:16]
	s_delay_alu instid0(VALU_DEP_2) | instskip(NEXT) | instid1(VALU_DEP_2)
	v_fma_f64 v[17:18], v[23:24], s[8:9], v[21:22]
	v_add_f64_e32 v[13:14], v[13:14], v[15:16]
	s_delay_alu instid0(VALU_DEP_2) | instskip(NEXT) | instid1(VALU_DEP_2)
	v_add_f64_e32 v[15:16], v[25:26], v[17:18]
	v_add_f64_e32 v[21:22], v[19:20], v[13:14]
	s_delay_alu instid0(VALU_DEP_2) | instskip(NEXT) | instid1(VALU_DEP_2)
	v_add_f64_e64 v[25:26], v[15:16], -v[25:26]
	v_add_f64_e32 v[23:24], v[15:16], v[21:22]
	v_add_f64_e64 v[19:20], v[21:22], -v[19:20]
	s_delay_alu instid0(VALU_DEP_3) | instskip(NEXT) | instid1(VALU_DEP_3)
	v_add_f64_e64 v[17:18], v[17:18], -v[25:26]
	v_add_f64_e64 v[27:28], v[23:24], -v[15:16]
	s_delay_alu instid0(VALU_DEP_3) | instskip(NEXT) | instid1(VALU_DEP_2)
	v_add_f64_e64 v[13:14], v[13:14], -v[19:20]
	v_add_f64_e64 v[29:30], v[23:24], -v[27:28]
	;; [unrolled: 1-line block ×3, first 2 shown]
	s_delay_alu instid0(VALU_DEP_3) | instskip(NEXT) | instid1(VALU_DEP_3)
	v_add_f64_e32 v[21:22], v[17:18], v[13:14]
	v_add_f64_e64 v[15:16], v[15:16], -v[29:30]
	s_delay_alu instid0(VALU_DEP_1) | instskip(NEXT) | instid1(VALU_DEP_3)
	v_add_f64_e32 v[15:16], v[19:20], v[15:16]
	v_add_f64_e64 v[19:20], v[21:22], -v[17:18]
	s_delay_alu instid0(VALU_DEP_2) | instskip(NEXT) | instid1(VALU_DEP_2)
	v_add_f64_e32 v[15:16], v[21:22], v[15:16]
	v_add_f64_e64 v[21:22], v[21:22], -v[19:20]
	v_add_f64_e64 v[13:14], v[13:14], -v[19:20]
	s_delay_alu instid0(VALU_DEP_3) | instskip(NEXT) | instid1(VALU_DEP_3)
	v_add_f64_e32 v[25:26], v[23:24], v[15:16]
	v_add_f64_e64 v[17:18], v[17:18], -v[21:22]
	s_delay_alu instid0(VALU_DEP_2) | instskip(NEXT) | instid1(VALU_DEP_2)
	v_add_f64_e64 v[19:20], v[25:26], -v[23:24]
	v_add_f64_e32 v[13:14], v[13:14], v[17:18]
	s_delay_alu instid0(VALU_DEP_2) | instskip(NEXT) | instid1(VALU_DEP_1)
	v_add_f64_e64 v[15:16], v[15:16], -v[19:20]
	v_add_f64_e32 v[13:14], v[13:14], v[15:16]
	s_delay_alu instid0(VALU_DEP_1) | instskip(SKIP_1) | instid1(VALU_DEP_1)
	v_add_f64_e32 v[13:14], v[25:26], v[13:14]
	s_wait_alu 0xfffe
	v_cndmask_b32_e64 v13, 0, v13, s3
	v_cmp_neq_f64_e64 s3, -1.0, v[11:12]
	s_delay_alu instid0(VALU_DEP_3) | instskip(NEXT) | instid1(VALU_DEP_1)
	v_cndmask_b32_e64 v14, 0x7ff00000, v14, s4
	v_cndmask_b32_e64 v14, 0x7ff80000, v14, s5
	s_wait_alu 0xf1ff
	s_delay_alu instid0(VALU_DEP_1) | instskip(NEXT) | instid1(VALU_DEP_1)
	v_cndmask_b32_e64 v14, 0xfff00000, v14, s3
	v_add_f64_e32 v[69:70], v[9:10], v[13:14]
.LBB6_202:
	s_wait_alu 0xfffe
	s_or_b32 exec_lo, exec_lo, s10
	v_max_num_f64_e32 v[9:10], v[57:58], v[57:58]
	s_delay_alu instid0(VALU_DEP_2) | instskip(SKIP_2) | instid1(VALU_DEP_3)
	v_max_num_f64_e32 v[11:12], v[69:70], v[69:70]
	v_cmp_u_f64_e64 s4, v[69:70], v[69:70]
	v_cmp_u_f64_e64 s3, v[57:58], v[57:58]
	v_min_num_f64_e32 v[13:14], v[11:12], v[9:10]
	v_max_num_f64_e32 v[11:12], v[11:12], v[9:10]
	s_wait_alu 0xf1ff
	s_delay_alu instid0(VALU_DEP_2) | instskip(NEXT) | instid1(VALU_DEP_3)
	v_cndmask_b32_e64 v13, v13, v69, s4
	v_cndmask_b32_e64 v14, v14, v70, s4
	s_delay_alu instid0(VALU_DEP_3) | instskip(NEXT) | instid1(VALU_DEP_4)
	v_cndmask_b32_e64 v12, v12, v70, s4
	v_cndmask_b32_e64 v11, v11, v69, s4
	s_delay_alu instid0(VALU_DEP_4) | instskip(NEXT) | instid1(VALU_DEP_4)
	v_cndmask_b32_e64 v13, v13, v57, s3
	v_cndmask_b32_e64 v14, v14, v58, s3
	s_delay_alu instid0(VALU_DEP_4) | instskip(NEXT) | instid1(VALU_DEP_4)
	v_cndmask_b32_e64 v12, v12, v58, s3
	v_cndmask_b32_e64 v11, v11, v57, s3
	s_delay_alu instid0(VALU_DEP_3) | instskip(NEXT) | instid1(VALU_DEP_2)
	v_cmp_class_f64_e64 s5, v[13:14], 0x1f8
	v_cmp_neq_f64_e64 s4, v[13:14], v[11:12]
	s_or_b32 s4, s4, s5
	s_wait_alu 0xfffe
	s_and_saveexec_b32 s10, s4
	s_cbranch_execz .LBB6_204
; %bb.203:
	v_add_f64_e64 v[13:14], v[13:14], -v[11:12]
	s_mov_b32 s4, 0x652b82fe
	s_mov_b32 s5, 0x3ff71547
	;; [unrolled: 1-line block ×10, first 2 shown]
	s_wait_alu 0xfffe
	s_delay_alu instid0(VALU_DEP_1) | instskip(SKIP_2) | instid1(VALU_DEP_1)
	v_mul_f64_e32 v[15:16], s[4:5], v[13:14]
	s_mov_b32 s4, 0xfca7ab0c
	s_mov_b32 s5, 0x3e928af3
	v_rndne_f64_e32 v[15:16], v[15:16]
	s_delay_alu instid0(VALU_DEP_1) | instskip(SKIP_2) | instid1(VALU_DEP_2)
	v_fma_f64 v[17:18], v[15:16], s[6:7], v[13:14]
	v_cvt_i32_f64_e32 v21, v[15:16]
	s_mov_b32 s7, 0x3fe62e42
	v_fma_f64 v[17:18], v[15:16], s[8:9], v[17:18]
	s_mov_b32 s9, 0x3c7abc9e
	s_wait_alu 0xfffe
	s_delay_alu instid0(VALU_DEP_1)
	v_fma_f64 v[19:20], v[17:18], s[12:13], s[4:5]
	s_mov_b32 s4, 0x623fde64
	s_mov_b32 s5, 0x3ec71dee
	;; [unrolled: 1-line block ×4, first 2 shown]
	s_wait_alu 0xfffe
	s_delay_alu instid0(VALU_DEP_1) | instskip(SKIP_3) | instid1(VALU_DEP_1)
	v_fma_f64 v[19:20], v[17:18], v[19:20], s[4:5]
	s_mov_b32 s4, 0x7c89e6b0
	s_mov_b32 s5, 0x3efa0199
	s_wait_alu 0xfffe
	v_fma_f64 v[19:20], v[17:18], v[19:20], s[4:5]
	s_mov_b32 s4, 0x14761f6e
	s_mov_b32 s5, 0x3f2a01a0
	s_wait_alu 0xfffe
	s_delay_alu instid0(VALU_DEP_1) | instskip(SKIP_3) | instid1(VALU_DEP_1)
	v_fma_f64 v[19:20], v[17:18], v[19:20], s[4:5]
	s_mov_b32 s4, 0x1852b7b0
	s_mov_b32 s5, 0x3f56c16c
	s_wait_alu 0xfffe
	v_fma_f64 v[19:20], v[17:18], v[19:20], s[4:5]
	s_mov_b32 s4, 0x11122322
	s_mov_b32 s5, 0x3f811111
	s_wait_alu 0xfffe
	s_delay_alu instid0(VALU_DEP_1) | instskip(SKIP_3) | instid1(VALU_DEP_1)
	v_fma_f64 v[19:20], v[17:18], v[19:20], s[4:5]
	s_mov_b32 s4, 0x555502a1
	s_mov_b32 s5, 0x3fa55555
	s_wait_alu 0xfffe
	v_fma_f64 v[19:20], v[17:18], v[19:20], s[4:5]
	s_mov_b32 s4, 0x55555511
	s_mov_b32 s5, 0x3fc55555
	s_wait_alu 0xfffe
	s_delay_alu instid0(VALU_DEP_1) | instskip(SKIP_3) | instid1(VALU_DEP_1)
	v_fma_f64 v[19:20], v[17:18], v[19:20], s[4:5]
	s_mov_b32 s4, 11
	s_mov_b32 s5, 0x3fe00000
	s_wait_alu 0xfffe
	v_fma_f64 v[19:20], v[17:18], v[19:20], s[4:5]
	v_cmp_nlt_f64_e64 s4, 0x40900000, v[13:14]
	v_cmp_ngt_f64_e64 s5, 0xc090cc00, v[13:14]
	s_delay_alu instid0(VALU_DEP_3) | instskip(NEXT) | instid1(VALU_DEP_1)
	v_fma_f64 v[19:20], v[17:18], v[19:20], 1.0
	v_fma_f64 v[15:16], v[17:18], v[19:20], 1.0
	s_delay_alu instid0(VALU_DEP_1) | instskip(SKIP_1) | instid1(VALU_DEP_1)
	v_ldexp_f64 v[15:16], v[15:16], v21
	s_wait_alu 0xf1ff
	v_cndmask_b32_e64 v16, 0x7ff00000, v16, s4
	s_and_b32 s4, s5, s4
	s_wait_alu 0xfffe
	s_delay_alu instid0(VALU_DEP_2) | instskip(SKIP_3) | instid1(VALU_DEP_1)
	v_cndmask_b32_e64 v13, 0, v15, s4
	s_mov_b32 s4, 0x55555555
	v_cndmask_b32_e64 v14, 0, v16, s5
	s_mov_b32 s5, 0x3fe55555
	v_add_f64_e32 v[15:16], 1.0, v[13:14]
	s_delay_alu instid0(VALU_DEP_1) | instskip(SKIP_3) | instid1(VALU_DEP_3)
	v_frexp_mant_f64_e32 v[17:18], v[15:16]
	v_frexp_exp_i32_f64_e32 v21, v[15:16]
	v_add_f64_e32 v[19:20], -1.0, v[15:16]
	s_wait_alu 0xfffe
	v_cmp_gt_f64_e64 s4, s[4:5], v[17:18]
	s_delay_alu instid0(VALU_DEP_2) | instskip(SKIP_2) | instid1(VALU_DEP_3)
	v_add_f64_e64 v[17:18], v[19:20], -v[15:16]
	v_add_f64_e64 v[19:20], v[13:14], -v[19:20]
	s_wait_alu 0xf1ff
	v_subrev_co_ci_u32_e64 v73, null, 0, v21, s4
	s_delay_alu instid0(VALU_DEP_3) | instskip(SKIP_1) | instid1(VALU_DEP_2)
	v_add_f64_e32 v[17:18], 1.0, v[17:18]
	s_mov_b32 s4, 0x55555780
	v_sub_nc_u32_e32 v23, 0, v73
	s_delay_alu instid0(VALU_DEP_1) | instskip(NEXT) | instid1(VALU_DEP_3)
	v_ldexp_f64 v[15:16], v[15:16], v23
	v_add_f64_e32 v[17:18], v[19:20], v[17:18]
	s_delay_alu instid0(VALU_DEP_2) | instskip(SKIP_1) | instid1(VALU_DEP_3)
	v_add_f64_e32 v[21:22], 1.0, v[15:16]
	v_add_f64_e32 v[27:28], -1.0, v[15:16]
	v_ldexp_f64 v[17:18], v[17:18], v23
	s_delay_alu instid0(VALU_DEP_3) | instskip(NEXT) | instid1(VALU_DEP_3)
	v_add_f64_e32 v[19:20], -1.0, v[21:22]
	v_add_f64_e32 v[29:30], 1.0, v[27:28]
	s_delay_alu instid0(VALU_DEP_2) | instskip(NEXT) | instid1(VALU_DEP_2)
	v_add_f64_e64 v[19:20], v[15:16], -v[19:20]
	v_add_f64_e64 v[15:16], v[15:16], -v[29:30]
	s_delay_alu instid0(VALU_DEP_2) | instskip(NEXT) | instid1(VALU_DEP_2)
	v_add_f64_e32 v[19:20], v[17:18], v[19:20]
	v_add_f64_e32 v[15:16], v[17:18], v[15:16]
	s_delay_alu instid0(VALU_DEP_2) | instskip(NEXT) | instid1(VALU_DEP_2)
	v_add_f64_e32 v[23:24], v[21:22], v[19:20]
	v_add_f64_e32 v[29:30], v[27:28], v[15:16]
	s_delay_alu instid0(VALU_DEP_2) | instskip(SKIP_1) | instid1(VALU_DEP_2)
	v_rcp_f64_e32 v[25:26], v[23:24]
	v_add_f64_e64 v[21:22], v[23:24], -v[21:22]
	v_add_f64_e64 v[27:28], v[29:30], -v[27:28]
	s_delay_alu instid0(VALU_DEP_2) | instskip(NEXT) | instid1(TRANS32_DEP_1)
	v_add_f64_e64 v[19:20], v[19:20], -v[21:22]
	v_fma_f64 v[31:32], -v[23:24], v[25:26], 1.0
	s_delay_alu instid0(VALU_DEP_3) | instskip(NEXT) | instid1(VALU_DEP_2)
	v_add_f64_e64 v[15:16], v[15:16], -v[27:28]
	v_fma_f64 v[25:26], v[31:32], v[25:26], v[25:26]
	s_delay_alu instid0(VALU_DEP_1) | instskip(NEXT) | instid1(VALU_DEP_1)
	v_fma_f64 v[17:18], -v[23:24], v[25:26], 1.0
	v_fma_f64 v[17:18], v[17:18], v[25:26], v[25:26]
	s_delay_alu instid0(VALU_DEP_1) | instskip(NEXT) | instid1(VALU_DEP_1)
	v_mul_f64_e32 v[25:26], v[29:30], v[17:18]
	v_mul_f64_e32 v[31:32], v[23:24], v[25:26]
	s_delay_alu instid0(VALU_DEP_1) | instskip(NEXT) | instid1(VALU_DEP_1)
	v_fma_f64 v[21:22], v[25:26], v[23:24], -v[31:32]
	v_fma_f64 v[21:22], v[25:26], v[19:20], v[21:22]
	s_delay_alu instid0(VALU_DEP_1) | instskip(NEXT) | instid1(VALU_DEP_1)
	v_add_f64_e32 v[69:70], v[31:32], v[21:22]
	v_add_f64_e64 v[71:72], v[29:30], -v[69:70]
	v_add_f64_e64 v[27:28], v[69:70], -v[31:32]
	s_delay_alu instid0(VALU_DEP_2) | instskip(NEXT) | instid1(VALU_DEP_2)
	v_add_f64_e64 v[29:30], v[29:30], -v[71:72]
	v_add_f64_e64 v[21:22], v[27:28], -v[21:22]
	s_delay_alu instid0(VALU_DEP_2) | instskip(NEXT) | instid1(VALU_DEP_1)
	v_add_f64_e64 v[29:30], v[29:30], -v[69:70]
	v_add_f64_e32 v[15:16], v[15:16], v[29:30]
	s_delay_alu instid0(VALU_DEP_1) | instskip(NEXT) | instid1(VALU_DEP_1)
	v_add_f64_e32 v[15:16], v[21:22], v[15:16]
	v_add_f64_e32 v[21:22], v[71:72], v[15:16]
	s_delay_alu instid0(VALU_DEP_1) | instskip(SKIP_1) | instid1(VALU_DEP_2)
	v_mul_f64_e32 v[27:28], v[17:18], v[21:22]
	v_add_f64_e64 v[69:70], v[71:72], -v[21:22]
	v_mul_f64_e32 v[29:30], v[23:24], v[27:28]
	s_delay_alu instid0(VALU_DEP_2) | instskip(NEXT) | instid1(VALU_DEP_2)
	v_add_f64_e32 v[15:16], v[15:16], v[69:70]
	v_fma_f64 v[23:24], v[27:28], v[23:24], -v[29:30]
	s_delay_alu instid0(VALU_DEP_1) | instskip(NEXT) | instid1(VALU_DEP_1)
	v_fma_f64 v[19:20], v[27:28], v[19:20], v[23:24]
	v_add_f64_e32 v[23:24], v[29:30], v[19:20]
	s_delay_alu instid0(VALU_DEP_1) | instskip(SKIP_1) | instid1(VALU_DEP_2)
	v_add_f64_e64 v[31:32], v[21:22], -v[23:24]
	v_add_f64_e64 v[29:30], v[23:24], -v[29:30]
	;; [unrolled: 1-line block ×3, first 2 shown]
	s_delay_alu instid0(VALU_DEP_2) | instskip(NEXT) | instid1(VALU_DEP_2)
	v_add_f64_e64 v[19:20], v[29:30], -v[19:20]
	v_add_f64_e64 v[21:22], v[21:22], -v[23:24]
	s_delay_alu instid0(VALU_DEP_1) | instskip(SKIP_1) | instid1(VALU_DEP_2)
	v_add_f64_e32 v[15:16], v[15:16], v[21:22]
	v_add_f64_e32 v[21:22], v[25:26], v[27:28]
	;; [unrolled: 1-line block ×3, first 2 shown]
	s_delay_alu instid0(VALU_DEP_2) | instskip(NEXT) | instid1(VALU_DEP_2)
	v_add_f64_e64 v[19:20], v[21:22], -v[25:26]
	v_add_f64_e32 v[15:16], v[31:32], v[15:16]
	s_delay_alu instid0(VALU_DEP_2) | instskip(NEXT) | instid1(VALU_DEP_2)
	v_add_f64_e64 v[19:20], v[27:28], -v[19:20]
	v_mul_f64_e32 v[15:16], v[17:18], v[15:16]
	s_delay_alu instid0(VALU_DEP_1) | instskip(NEXT) | instid1(VALU_DEP_1)
	v_add_f64_e32 v[15:16], v[19:20], v[15:16]
	v_add_f64_e32 v[17:18], v[21:22], v[15:16]
	s_delay_alu instid0(VALU_DEP_1) | instskip(NEXT) | instid1(VALU_DEP_1)
	v_mul_f64_e32 v[19:20], v[17:18], v[17:18]
	v_fma_f64 v[23:24], v[19:20], s[16:17], s[12:13]
	s_mov_b32 s12, 0xd7f4df2e
	s_mov_b32 s13, 0x3fc7474d
	v_mul_f64_e32 v[25:26], v[17:18], v[19:20]
	s_wait_alu 0xfffe
	s_delay_alu instid0(VALU_DEP_2) | instskip(SKIP_3) | instid1(VALU_DEP_1)
	v_fma_f64 v[23:24], v[19:20], v[23:24], s[12:13]
	s_mov_b32 s12, 0x16291751
	s_mov_b32 s13, 0x3fcc71c0
	s_wait_alu 0xfffe
	v_fma_f64 v[23:24], v[19:20], v[23:24], s[12:13]
	s_mov_b32 s12, 0x9b27acf1
	s_mov_b32 s13, 0x3fd24924
	s_wait_alu 0xfffe
	s_delay_alu instid0(VALU_DEP_1) | instskip(SKIP_3) | instid1(VALU_DEP_1)
	v_fma_f64 v[23:24], v[19:20], v[23:24], s[12:13]
	s_mov_b32 s12, 0x998ef7b6
	s_mov_b32 s13, 0x3fd99999
	s_wait_alu 0xfffe
	v_fma_f64 v[23:24], v[19:20], v[23:24], s[12:13]
	s_delay_alu instid0(VALU_DEP_1)
	v_fma_f64 v[19:20], v[19:20], v[23:24], s[4:5]
	v_ldexp_f64 v[23:24], v[17:18], 1
	v_add_f64_e64 v[17:18], v[17:18], -v[21:22]
	v_cmp_nge_f64_e64 s4, -1.0, v[13:14]
	v_cmp_neq_f64_e64 s5, 0x7ff00000, v[13:14]
	v_mul_f64_e32 v[19:20], v[25:26], v[19:20]
	v_cvt_f64_i32_e32 v[25:26], v73
	v_add_f64_e64 v[15:16], v[15:16], -v[17:18]
	s_and_b32 s4, s4, s5
	s_delay_alu instid0(VALU_DEP_3) | instskip(NEXT) | instid1(VALU_DEP_3)
	v_add_f64_e32 v[21:22], v[23:24], v[19:20]
	v_mul_f64_e32 v[27:28], s[6:7], v[25:26]
	s_delay_alu instid0(VALU_DEP_3) | instskip(NEXT) | instid1(VALU_DEP_3)
	v_ldexp_f64 v[15:16], v[15:16], 1
	v_add_f64_e64 v[17:18], v[21:22], -v[23:24]
	s_delay_alu instid0(VALU_DEP_3) | instskip(SKIP_1) | instid1(VALU_DEP_3)
	v_fma_f64 v[23:24], v[25:26], s[6:7], -v[27:28]
	v_cmp_ngt_f64_e64 s6, -1.0, v[13:14]
	v_add_f64_e64 v[17:18], v[19:20], -v[17:18]
	s_delay_alu instid0(VALU_DEP_3) | instskip(NEXT) | instid1(VALU_DEP_2)
	v_fma_f64 v[19:20], v[25:26], s[8:9], v[23:24]
	v_add_f64_e32 v[15:16], v[15:16], v[17:18]
	s_delay_alu instid0(VALU_DEP_2) | instskip(NEXT) | instid1(VALU_DEP_2)
	v_add_f64_e32 v[17:18], v[27:28], v[19:20]
	v_add_f64_e32 v[23:24], v[21:22], v[15:16]
	s_delay_alu instid0(VALU_DEP_2) | instskip(NEXT) | instid1(VALU_DEP_2)
	v_add_f64_e64 v[27:28], v[17:18], -v[27:28]
	v_add_f64_e32 v[25:26], v[17:18], v[23:24]
	v_add_f64_e64 v[21:22], v[23:24], -v[21:22]
	s_delay_alu instid0(VALU_DEP_3) | instskip(NEXT) | instid1(VALU_DEP_3)
	v_add_f64_e64 v[19:20], v[19:20], -v[27:28]
	v_add_f64_e64 v[29:30], v[25:26], -v[17:18]
	s_delay_alu instid0(VALU_DEP_3) | instskip(NEXT) | instid1(VALU_DEP_2)
	v_add_f64_e64 v[15:16], v[15:16], -v[21:22]
	v_add_f64_e64 v[31:32], v[25:26], -v[29:30]
	;; [unrolled: 1-line block ×3, first 2 shown]
	s_delay_alu instid0(VALU_DEP_3) | instskip(NEXT) | instid1(VALU_DEP_3)
	v_add_f64_e32 v[23:24], v[19:20], v[15:16]
	v_add_f64_e64 v[17:18], v[17:18], -v[31:32]
	s_delay_alu instid0(VALU_DEP_1) | instskip(NEXT) | instid1(VALU_DEP_3)
	v_add_f64_e32 v[17:18], v[21:22], v[17:18]
	v_add_f64_e64 v[21:22], v[23:24], -v[19:20]
	s_delay_alu instid0(VALU_DEP_2) | instskip(NEXT) | instid1(VALU_DEP_2)
	v_add_f64_e32 v[17:18], v[23:24], v[17:18]
	v_add_f64_e64 v[23:24], v[23:24], -v[21:22]
	v_add_f64_e64 v[15:16], v[15:16], -v[21:22]
	s_delay_alu instid0(VALU_DEP_3) | instskip(NEXT) | instid1(VALU_DEP_3)
	v_add_f64_e32 v[27:28], v[25:26], v[17:18]
	v_add_f64_e64 v[19:20], v[19:20], -v[23:24]
	s_delay_alu instid0(VALU_DEP_2) | instskip(NEXT) | instid1(VALU_DEP_2)
	v_add_f64_e64 v[21:22], v[27:28], -v[25:26]
	v_add_f64_e32 v[15:16], v[15:16], v[19:20]
	s_delay_alu instid0(VALU_DEP_2) | instskip(NEXT) | instid1(VALU_DEP_1)
	v_add_f64_e64 v[17:18], v[17:18], -v[21:22]
	v_add_f64_e32 v[15:16], v[15:16], v[17:18]
	s_delay_alu instid0(VALU_DEP_1) | instskip(SKIP_1) | instid1(VALU_DEP_1)
	v_add_f64_e32 v[15:16], v[27:28], v[15:16]
	s_wait_alu 0xfffe
	v_cndmask_b32_e64 v15, 0, v15, s4
	v_cmp_neq_f64_e64 s4, -1.0, v[13:14]
	s_delay_alu instid0(VALU_DEP_3) | instskip(SKIP_1) | instid1(VALU_DEP_1)
	v_cndmask_b32_e64 v16, 0x7ff00000, v16, s5
	s_wait_alu 0xf1ff
	v_cndmask_b32_e64 v16, 0x7ff80000, v16, s6
	s_delay_alu instid0(VALU_DEP_1) | instskip(NEXT) | instid1(VALU_DEP_1)
	v_cndmask_b32_e64 v16, 0xfff00000, v16, s4
	v_add_f64_e32 v[69:70], v[11:12], v[15:16]
.LBB6_204:
	s_wait_alu 0xfffe
	s_or_b32 exec_lo, exec_lo, s10
	v_max_num_f64_e32 v[11:12], v[59:60], v[59:60]
	s_delay_alu instid0(VALU_DEP_2) | instskip(SKIP_2) | instid1(VALU_DEP_3)
	v_max_num_f64_e32 v[13:14], v[69:70], v[69:70]
	v_cmp_u_f64_e64 s5, v[69:70], v[69:70]
	v_cmp_u_f64_e64 s4, v[59:60], v[59:60]
	v_min_num_f64_e32 v[15:16], v[13:14], v[11:12]
	v_max_num_f64_e32 v[13:14], v[13:14], v[11:12]
	s_wait_alu 0xf1ff
	s_delay_alu instid0(VALU_DEP_2) | instskip(NEXT) | instid1(VALU_DEP_3)
	v_cndmask_b32_e64 v15, v15, v69, s5
	v_cndmask_b32_e64 v16, v16, v70, s5
	s_delay_alu instid0(VALU_DEP_3) | instskip(NEXT) | instid1(VALU_DEP_4)
	v_cndmask_b32_e64 v14, v14, v70, s5
	v_cndmask_b32_e64 v13, v13, v69, s5
	s_delay_alu instid0(VALU_DEP_4) | instskip(NEXT) | instid1(VALU_DEP_4)
	v_cndmask_b32_e64 v15, v15, v59, s4
	v_cndmask_b32_e64 v16, v16, v60, s4
	s_delay_alu instid0(VALU_DEP_4) | instskip(NEXT) | instid1(VALU_DEP_4)
	v_cndmask_b32_e64 v14, v14, v60, s4
	v_cndmask_b32_e64 v13, v13, v59, s4
	s_delay_alu instid0(VALU_DEP_3) | instskip(NEXT) | instid1(VALU_DEP_2)
	v_cmp_class_f64_e64 s6, v[15:16], 0x1f8
	v_cmp_neq_f64_e64 s5, v[15:16], v[13:14]
	s_or_b32 s5, s5, s6
	s_wait_alu 0xfffe
	s_and_saveexec_b32 s12, s5
	s_cbranch_execz .LBB6_206
; %bb.205:
	v_add_f64_e64 v[15:16], v[15:16], -v[13:14]
	s_mov_b32 s6, 0x652b82fe
	s_mov_b32 s7, 0x3ff71547
	;; [unrolled: 1-line block ×10, first 2 shown]
	s_wait_alu 0xfffe
	s_delay_alu instid0(VALU_DEP_1) | instskip(SKIP_3) | instid1(VALU_DEP_2)
	v_mul_f64_e32 v[17:18], s[6:7], v[15:16]
	s_mov_b32 s6, 0xfca7ab0c
	s_mov_b32 s7, 0x3e928af3
	v_cmp_nlt_f64_e64 s5, 0x40900000, v[15:16]
	v_rndne_f64_e32 v[17:18], v[17:18]
	s_delay_alu instid0(VALU_DEP_1) | instskip(SKIP_2) | instid1(VALU_DEP_2)
	v_fma_f64 v[19:20], v[17:18], s[8:9], v[15:16]
	v_cvt_i32_f64_e32 v23, v[17:18]
	s_mov_b32 s9, 0x3fe62e42
	v_fma_f64 v[19:20], v[17:18], s[10:11], v[19:20]
	s_mov_b32 s11, 0x3c7abc9e
	s_wait_alu 0xfffe
	s_delay_alu instid0(VALU_DEP_1)
	v_fma_f64 v[21:22], v[19:20], s[16:17], s[6:7]
	s_mov_b32 s6, 0x623fde64
	s_mov_b32 s7, 0x3ec71dee
	;; [unrolled: 1-line block ×4, first 2 shown]
	s_wait_alu 0xfffe
	s_delay_alu instid0(VALU_DEP_1) | instskip(SKIP_3) | instid1(VALU_DEP_1)
	v_fma_f64 v[21:22], v[19:20], v[21:22], s[6:7]
	s_mov_b32 s6, 0x7c89e6b0
	s_mov_b32 s7, 0x3efa0199
	s_wait_alu 0xfffe
	v_fma_f64 v[21:22], v[19:20], v[21:22], s[6:7]
	s_mov_b32 s6, 0x14761f6e
	s_mov_b32 s7, 0x3f2a01a0
	s_wait_alu 0xfffe
	s_delay_alu instid0(VALU_DEP_1) | instskip(SKIP_3) | instid1(VALU_DEP_1)
	v_fma_f64 v[21:22], v[19:20], v[21:22], s[6:7]
	s_mov_b32 s6, 0x1852b7b0
	s_mov_b32 s7, 0x3f56c16c
	s_wait_alu 0xfffe
	v_fma_f64 v[21:22], v[19:20], v[21:22], s[6:7]
	s_mov_b32 s6, 0x11122322
	s_mov_b32 s7, 0x3f811111
	;; [unrolled: 9-line block ×3, first 2 shown]
	s_wait_alu 0xfffe
	s_delay_alu instid0(VALU_DEP_1) | instskip(SKIP_3) | instid1(VALU_DEP_1)
	v_fma_f64 v[21:22], v[19:20], v[21:22], s[6:7]
	s_mov_b32 s6, 11
	s_mov_b32 s7, 0x3fe00000
	s_wait_alu 0xfffe
	v_fma_f64 v[21:22], v[19:20], v[21:22], s[6:7]
	v_cmp_ngt_f64_e64 s6, 0xc090cc00, v[15:16]
	s_mov_b32 s7, 0x3fe55555
	v_fma_f64 v[21:22], v[19:20], v[21:22], 1.0
	s_delay_alu instid0(VALU_DEP_1) | instskip(NEXT) | instid1(VALU_DEP_1)
	v_fma_f64 v[17:18], v[19:20], v[21:22], 1.0
	v_ldexp_f64 v[17:18], v[17:18], v23
	s_wait_alu 0xf1ff
	s_delay_alu instid0(VALU_DEP_1) | instskip(SKIP_2) | instid1(VALU_DEP_2)
	v_cndmask_b32_e64 v18, 0x7ff00000, v18, s5
	s_and_b32 s5, s6, s5
	s_wait_alu 0xfffe
	v_cndmask_b32_e64 v15, 0, v17, s5
	s_delay_alu instid0(VALU_DEP_2) | instskip(SKIP_1) | instid1(VALU_DEP_1)
	v_cndmask_b32_e64 v16, 0, v18, s6
	s_mov_b32 s6, 0x55555555
	v_add_f64_e32 v[17:18], 1.0, v[15:16]
	s_delay_alu instid0(VALU_DEP_1) | instskip(SKIP_3) | instid1(VALU_DEP_3)
	v_frexp_mant_f64_e32 v[19:20], v[17:18]
	v_frexp_exp_i32_f64_e32 v23, v[17:18]
	v_add_f64_e32 v[21:22], -1.0, v[17:18]
	s_wait_alu 0xfffe
	v_cmp_gt_f64_e64 s5, s[6:7], v[19:20]
	s_mov_b32 s6, 0x55555780
	v_add_f64_e64 v[19:20], v[21:22], -v[17:18]
	v_add_f64_e64 v[21:22], v[15:16], -v[21:22]
	s_wait_alu 0xf1ff
	v_subrev_co_ci_u32_e64 v75, null, 0, v23, s5
	s_delay_alu instid0(VALU_DEP_3) | instskip(SKIP_1) | instid1(VALU_DEP_3)
	v_add_f64_e32 v[19:20], 1.0, v[19:20]
	v_cmp_nge_f64_e64 s5, -1.0, v[15:16]
	v_sub_nc_u32_e32 v25, 0, v75
	s_delay_alu instid0(VALU_DEP_1) | instskip(NEXT) | instid1(VALU_DEP_4)
	v_ldexp_f64 v[17:18], v[17:18], v25
	v_add_f64_e32 v[19:20], v[21:22], v[19:20]
	s_delay_alu instid0(VALU_DEP_2) | instskip(SKIP_1) | instid1(VALU_DEP_3)
	v_add_f64_e32 v[23:24], 1.0, v[17:18]
	v_add_f64_e32 v[29:30], -1.0, v[17:18]
	v_ldexp_f64 v[19:20], v[19:20], v25
	s_delay_alu instid0(VALU_DEP_3) | instskip(NEXT) | instid1(VALU_DEP_3)
	v_add_f64_e32 v[21:22], -1.0, v[23:24]
	v_add_f64_e32 v[31:32], 1.0, v[29:30]
	s_delay_alu instid0(VALU_DEP_2) | instskip(NEXT) | instid1(VALU_DEP_2)
	v_add_f64_e64 v[21:22], v[17:18], -v[21:22]
	v_add_f64_e64 v[17:18], v[17:18], -v[31:32]
	s_delay_alu instid0(VALU_DEP_2) | instskip(NEXT) | instid1(VALU_DEP_2)
	v_add_f64_e32 v[21:22], v[19:20], v[21:22]
	v_add_f64_e32 v[17:18], v[19:20], v[17:18]
	s_delay_alu instid0(VALU_DEP_2) | instskip(NEXT) | instid1(VALU_DEP_2)
	v_add_f64_e32 v[25:26], v[23:24], v[21:22]
	v_add_f64_e32 v[31:32], v[29:30], v[17:18]
	s_delay_alu instid0(VALU_DEP_2) | instskip(SKIP_1) | instid1(VALU_DEP_2)
	v_rcp_f64_e32 v[27:28], v[25:26]
	v_add_f64_e64 v[23:24], v[25:26], -v[23:24]
	v_add_f64_e64 v[29:30], v[31:32], -v[29:30]
	s_delay_alu instid0(VALU_DEP_2) | instskip(NEXT) | instid1(TRANS32_DEP_1)
	v_add_f64_e64 v[21:22], v[21:22], -v[23:24]
	v_fma_f64 v[69:70], -v[25:26], v[27:28], 1.0
	s_delay_alu instid0(VALU_DEP_3) | instskip(NEXT) | instid1(VALU_DEP_2)
	v_add_f64_e64 v[17:18], v[17:18], -v[29:30]
	v_fma_f64 v[27:28], v[69:70], v[27:28], v[27:28]
	s_delay_alu instid0(VALU_DEP_1) | instskip(NEXT) | instid1(VALU_DEP_1)
	v_fma_f64 v[19:20], -v[25:26], v[27:28], 1.0
	v_fma_f64 v[19:20], v[19:20], v[27:28], v[27:28]
	s_delay_alu instid0(VALU_DEP_1) | instskip(NEXT) | instid1(VALU_DEP_1)
	v_mul_f64_e32 v[27:28], v[31:32], v[19:20]
	v_mul_f64_e32 v[69:70], v[25:26], v[27:28]
	s_delay_alu instid0(VALU_DEP_1) | instskip(NEXT) | instid1(VALU_DEP_1)
	v_fma_f64 v[23:24], v[27:28], v[25:26], -v[69:70]
	v_fma_f64 v[23:24], v[27:28], v[21:22], v[23:24]
	s_delay_alu instid0(VALU_DEP_1) | instskip(NEXT) | instid1(VALU_DEP_1)
	v_add_f64_e32 v[71:72], v[69:70], v[23:24]
	v_add_f64_e64 v[73:74], v[31:32], -v[71:72]
	v_add_f64_e64 v[29:30], v[71:72], -v[69:70]
	s_delay_alu instid0(VALU_DEP_2) | instskip(NEXT) | instid1(VALU_DEP_2)
	v_add_f64_e64 v[31:32], v[31:32], -v[73:74]
	v_add_f64_e64 v[23:24], v[29:30], -v[23:24]
	s_delay_alu instid0(VALU_DEP_2) | instskip(NEXT) | instid1(VALU_DEP_1)
	v_add_f64_e64 v[31:32], v[31:32], -v[71:72]
	v_add_f64_e32 v[17:18], v[17:18], v[31:32]
	s_delay_alu instid0(VALU_DEP_1) | instskip(NEXT) | instid1(VALU_DEP_1)
	v_add_f64_e32 v[17:18], v[23:24], v[17:18]
	v_add_f64_e32 v[23:24], v[73:74], v[17:18]
	s_delay_alu instid0(VALU_DEP_1) | instskip(SKIP_1) | instid1(VALU_DEP_2)
	v_mul_f64_e32 v[29:30], v[19:20], v[23:24]
	v_add_f64_e64 v[71:72], v[73:74], -v[23:24]
	v_mul_f64_e32 v[31:32], v[25:26], v[29:30]
	s_delay_alu instid0(VALU_DEP_2) | instskip(NEXT) | instid1(VALU_DEP_2)
	v_add_f64_e32 v[17:18], v[17:18], v[71:72]
	v_fma_f64 v[25:26], v[29:30], v[25:26], -v[31:32]
	s_delay_alu instid0(VALU_DEP_1) | instskip(NEXT) | instid1(VALU_DEP_1)
	v_fma_f64 v[21:22], v[29:30], v[21:22], v[25:26]
	v_add_f64_e32 v[25:26], v[31:32], v[21:22]
	s_delay_alu instid0(VALU_DEP_1) | instskip(SKIP_1) | instid1(VALU_DEP_2)
	v_add_f64_e64 v[69:70], v[23:24], -v[25:26]
	v_add_f64_e64 v[31:32], v[25:26], -v[31:32]
	v_add_f64_e64 v[23:24], v[23:24], -v[69:70]
	s_delay_alu instid0(VALU_DEP_2) | instskip(NEXT) | instid1(VALU_DEP_2)
	v_add_f64_e64 v[21:22], v[31:32], -v[21:22]
	v_add_f64_e64 v[23:24], v[23:24], -v[25:26]
	s_delay_alu instid0(VALU_DEP_1) | instskip(SKIP_1) | instid1(VALU_DEP_2)
	v_add_f64_e32 v[17:18], v[17:18], v[23:24]
	v_add_f64_e32 v[23:24], v[27:28], v[29:30]
	;; [unrolled: 1-line block ×3, first 2 shown]
	s_delay_alu instid0(VALU_DEP_2) | instskip(NEXT) | instid1(VALU_DEP_2)
	v_add_f64_e64 v[21:22], v[23:24], -v[27:28]
	v_add_f64_e32 v[17:18], v[69:70], v[17:18]
	s_delay_alu instid0(VALU_DEP_2) | instskip(NEXT) | instid1(VALU_DEP_2)
	v_add_f64_e64 v[21:22], v[29:30], -v[21:22]
	v_mul_f64_e32 v[17:18], v[19:20], v[17:18]
	s_delay_alu instid0(VALU_DEP_1) | instskip(NEXT) | instid1(VALU_DEP_1)
	v_add_f64_e32 v[17:18], v[21:22], v[17:18]
	v_add_f64_e32 v[19:20], v[23:24], v[17:18]
	s_delay_alu instid0(VALU_DEP_1) | instskip(NEXT) | instid1(VALU_DEP_1)
	v_mul_f64_e32 v[21:22], v[19:20], v[19:20]
	v_fma_f64 v[25:26], v[21:22], s[18:19], s[16:17]
	s_mov_b32 s16, 0xd7f4df2e
	s_mov_b32 s17, 0x3fc7474d
	v_mul_f64_e32 v[27:28], v[19:20], v[21:22]
	s_wait_alu 0xfffe
	s_delay_alu instid0(VALU_DEP_2) | instskip(SKIP_3) | instid1(VALU_DEP_1)
	v_fma_f64 v[25:26], v[21:22], v[25:26], s[16:17]
	s_mov_b32 s16, 0x16291751
	s_mov_b32 s17, 0x3fcc71c0
	s_wait_alu 0xfffe
	v_fma_f64 v[25:26], v[21:22], v[25:26], s[16:17]
	s_mov_b32 s16, 0x9b27acf1
	s_mov_b32 s17, 0x3fd24924
	s_wait_alu 0xfffe
	s_delay_alu instid0(VALU_DEP_1) | instskip(SKIP_3) | instid1(VALU_DEP_1)
	v_fma_f64 v[25:26], v[21:22], v[25:26], s[16:17]
	s_mov_b32 s16, 0x998ef7b6
	s_mov_b32 s17, 0x3fd99999
	s_wait_alu 0xfffe
	v_fma_f64 v[25:26], v[21:22], v[25:26], s[16:17]
	s_delay_alu instid0(VALU_DEP_1)
	v_fma_f64 v[21:22], v[21:22], v[25:26], s[6:7]
	v_ldexp_f64 v[25:26], v[19:20], 1
	v_add_f64_e64 v[19:20], v[19:20], -v[23:24]
	v_cmp_neq_f64_e64 s6, 0x7ff00000, v[15:16]
	v_cmp_ngt_f64_e64 s7, -1.0, v[15:16]
	v_mul_f64_e32 v[21:22], v[27:28], v[21:22]
	v_cvt_f64_i32_e32 v[27:28], v75
	v_add_f64_e64 v[17:18], v[17:18], -v[19:20]
	s_and_b32 s5, s5, s6
	s_delay_alu instid0(VALU_DEP_3) | instskip(NEXT) | instid1(VALU_DEP_3)
	v_add_f64_e32 v[23:24], v[25:26], v[21:22]
	v_mul_f64_e32 v[29:30], s[8:9], v[27:28]
	s_delay_alu instid0(VALU_DEP_3) | instskip(NEXT) | instid1(VALU_DEP_3)
	v_ldexp_f64 v[17:18], v[17:18], 1
	v_add_f64_e64 v[19:20], v[23:24], -v[25:26]
	s_delay_alu instid0(VALU_DEP_3) | instskip(NEXT) | instid1(VALU_DEP_2)
	v_fma_f64 v[25:26], v[27:28], s[8:9], -v[29:30]
	v_add_f64_e64 v[19:20], v[21:22], -v[19:20]
	s_delay_alu instid0(VALU_DEP_2) | instskip(NEXT) | instid1(VALU_DEP_2)
	v_fma_f64 v[21:22], v[27:28], s[10:11], v[25:26]
	v_add_f64_e32 v[17:18], v[17:18], v[19:20]
	s_delay_alu instid0(VALU_DEP_2) | instskip(NEXT) | instid1(VALU_DEP_2)
	v_add_f64_e32 v[19:20], v[29:30], v[21:22]
	v_add_f64_e32 v[25:26], v[23:24], v[17:18]
	s_delay_alu instid0(VALU_DEP_2) | instskip(NEXT) | instid1(VALU_DEP_2)
	v_add_f64_e64 v[29:30], v[19:20], -v[29:30]
	v_add_f64_e32 v[27:28], v[19:20], v[25:26]
	v_add_f64_e64 v[23:24], v[25:26], -v[23:24]
	s_delay_alu instid0(VALU_DEP_3) | instskip(NEXT) | instid1(VALU_DEP_3)
	v_add_f64_e64 v[21:22], v[21:22], -v[29:30]
	v_add_f64_e64 v[31:32], v[27:28], -v[19:20]
	s_delay_alu instid0(VALU_DEP_3) | instskip(NEXT) | instid1(VALU_DEP_2)
	v_add_f64_e64 v[17:18], v[17:18], -v[23:24]
	v_add_f64_e64 v[69:70], v[27:28], -v[31:32]
	;; [unrolled: 1-line block ×3, first 2 shown]
	s_delay_alu instid0(VALU_DEP_3) | instskip(NEXT) | instid1(VALU_DEP_3)
	v_add_f64_e32 v[25:26], v[21:22], v[17:18]
	v_add_f64_e64 v[19:20], v[19:20], -v[69:70]
	s_delay_alu instid0(VALU_DEP_1) | instskip(NEXT) | instid1(VALU_DEP_3)
	v_add_f64_e32 v[19:20], v[23:24], v[19:20]
	v_add_f64_e64 v[23:24], v[25:26], -v[21:22]
	s_delay_alu instid0(VALU_DEP_2) | instskip(NEXT) | instid1(VALU_DEP_2)
	v_add_f64_e32 v[19:20], v[25:26], v[19:20]
	v_add_f64_e64 v[25:26], v[25:26], -v[23:24]
	v_add_f64_e64 v[17:18], v[17:18], -v[23:24]
	s_delay_alu instid0(VALU_DEP_3) | instskip(NEXT) | instid1(VALU_DEP_3)
	v_add_f64_e32 v[29:30], v[27:28], v[19:20]
	v_add_f64_e64 v[21:22], v[21:22], -v[25:26]
	s_delay_alu instid0(VALU_DEP_2) | instskip(NEXT) | instid1(VALU_DEP_2)
	v_add_f64_e64 v[23:24], v[29:30], -v[27:28]
	v_add_f64_e32 v[17:18], v[17:18], v[21:22]
	s_delay_alu instid0(VALU_DEP_2) | instskip(NEXT) | instid1(VALU_DEP_1)
	v_add_f64_e64 v[19:20], v[19:20], -v[23:24]
	v_add_f64_e32 v[17:18], v[17:18], v[19:20]
	s_delay_alu instid0(VALU_DEP_1) | instskip(SKIP_1) | instid1(VALU_DEP_1)
	v_add_f64_e32 v[17:18], v[29:30], v[17:18]
	s_wait_alu 0xfffe
	v_cndmask_b32_e64 v17, 0, v17, s5
	v_cmp_neq_f64_e64 s5, -1.0, v[15:16]
	s_delay_alu instid0(VALU_DEP_3) | instskip(NEXT) | instid1(VALU_DEP_1)
	v_cndmask_b32_e64 v18, 0x7ff00000, v18, s6
	v_cndmask_b32_e64 v18, 0x7ff80000, v18, s7
	s_wait_alu 0xf1ff
	s_delay_alu instid0(VALU_DEP_1) | instskip(NEXT) | instid1(VALU_DEP_1)
	v_cndmask_b32_e64 v18, 0xfff00000, v18, s5
	v_add_f64_e32 v[69:70], v[13:14], v[17:18]
.LBB6_206:
	s_wait_alu 0xfffe
	s_or_b32 exec_lo, exec_lo, s12
	v_max_num_f64_e32 v[13:14], v[53:54], v[53:54]
	s_delay_alu instid0(VALU_DEP_2) | instskip(SKIP_2) | instid1(VALU_DEP_3)
	v_max_num_f64_e32 v[15:16], v[69:70], v[69:70]
	v_cmp_u_f64_e64 s6, v[69:70], v[69:70]
	v_cmp_u_f64_e64 s5, v[53:54], v[53:54]
	v_min_num_f64_e32 v[17:18], v[15:16], v[13:14]
	v_max_num_f64_e32 v[15:16], v[15:16], v[13:14]
	s_wait_alu 0xf1ff
	s_delay_alu instid0(VALU_DEP_2) | instskip(NEXT) | instid1(VALU_DEP_3)
	v_cndmask_b32_e64 v17, v17, v69, s6
	v_cndmask_b32_e64 v18, v18, v70, s6
	s_delay_alu instid0(VALU_DEP_3) | instskip(NEXT) | instid1(VALU_DEP_4)
	v_cndmask_b32_e64 v16, v16, v70, s6
	v_cndmask_b32_e64 v15, v15, v69, s6
	s_delay_alu instid0(VALU_DEP_4) | instskip(NEXT) | instid1(VALU_DEP_4)
	v_cndmask_b32_e64 v17, v17, v53, s5
	v_cndmask_b32_e64 v18, v18, v54, s5
	s_delay_alu instid0(VALU_DEP_4) | instskip(NEXT) | instid1(VALU_DEP_4)
	v_cndmask_b32_e64 v16, v16, v54, s5
	v_cndmask_b32_e64 v15, v15, v53, s5
	s_delay_alu instid0(VALU_DEP_3) | instskip(NEXT) | instid1(VALU_DEP_2)
	v_cmp_class_f64_e64 s7, v[17:18], 0x1f8
	v_cmp_neq_f64_e64 s6, v[17:18], v[15:16]
	s_or_b32 s6, s6, s7
	s_wait_alu 0xfffe
	s_and_saveexec_b32 s12, s6
	s_cbranch_execz .LBB6_208
; %bb.207:
	v_add_f64_e64 v[17:18], v[17:18], -v[15:16]
	s_mov_b32 s6, 0x652b82fe
	s_mov_b32 s7, 0x3ff71547
	;; [unrolled: 1-line block ×10, first 2 shown]
	s_wait_alu 0xfffe
	s_delay_alu instid0(VALU_DEP_1) | instskip(SKIP_2) | instid1(VALU_DEP_1)
	v_mul_f64_e32 v[19:20], s[6:7], v[17:18]
	s_mov_b32 s6, 0xfca7ab0c
	s_mov_b32 s7, 0x3e928af3
	v_rndne_f64_e32 v[19:20], v[19:20]
	s_delay_alu instid0(VALU_DEP_1) | instskip(SKIP_2) | instid1(VALU_DEP_2)
	v_fma_f64 v[21:22], v[19:20], s[8:9], v[17:18]
	v_cvt_i32_f64_e32 v25, v[19:20]
	s_mov_b32 s9, 0x3fe62e42
	v_fma_f64 v[21:22], v[19:20], s[10:11], v[21:22]
	s_mov_b32 s11, 0x3c7abc9e
	s_wait_alu 0xfffe
	s_delay_alu instid0(VALU_DEP_1)
	v_fma_f64 v[23:24], v[21:22], s[16:17], s[6:7]
	s_mov_b32 s6, 0x623fde64
	s_mov_b32 s7, 0x3ec71dee
	;; [unrolled: 1-line block ×4, first 2 shown]
	s_wait_alu 0xfffe
	s_delay_alu instid0(VALU_DEP_1) | instskip(SKIP_3) | instid1(VALU_DEP_1)
	v_fma_f64 v[23:24], v[21:22], v[23:24], s[6:7]
	s_mov_b32 s6, 0x7c89e6b0
	s_mov_b32 s7, 0x3efa0199
	s_wait_alu 0xfffe
	v_fma_f64 v[23:24], v[21:22], v[23:24], s[6:7]
	s_mov_b32 s6, 0x14761f6e
	s_mov_b32 s7, 0x3f2a01a0
	s_wait_alu 0xfffe
	s_delay_alu instid0(VALU_DEP_1) | instskip(SKIP_3) | instid1(VALU_DEP_1)
	v_fma_f64 v[23:24], v[21:22], v[23:24], s[6:7]
	s_mov_b32 s6, 0x1852b7b0
	s_mov_b32 s7, 0x3f56c16c
	s_wait_alu 0xfffe
	v_fma_f64 v[23:24], v[21:22], v[23:24], s[6:7]
	s_mov_b32 s6, 0x11122322
	s_mov_b32 s7, 0x3f811111
	;; [unrolled: 9-line block ×3, first 2 shown]
	s_wait_alu 0xfffe
	s_delay_alu instid0(VALU_DEP_1) | instskip(SKIP_3) | instid1(VALU_DEP_1)
	v_fma_f64 v[23:24], v[21:22], v[23:24], s[6:7]
	s_mov_b32 s6, 11
	s_mov_b32 s7, 0x3fe00000
	s_wait_alu 0xfffe
	v_fma_f64 v[23:24], v[21:22], v[23:24], s[6:7]
	v_cmp_nlt_f64_e64 s6, 0x40900000, v[17:18]
	v_cmp_ngt_f64_e64 s7, 0xc090cc00, v[17:18]
	s_delay_alu instid0(VALU_DEP_3) | instskip(NEXT) | instid1(VALU_DEP_1)
	v_fma_f64 v[23:24], v[21:22], v[23:24], 1.0
	v_fma_f64 v[19:20], v[21:22], v[23:24], 1.0
	s_delay_alu instid0(VALU_DEP_1) | instskip(SKIP_1) | instid1(VALU_DEP_1)
	v_ldexp_f64 v[19:20], v[19:20], v25
	s_wait_alu 0xf1ff
	v_cndmask_b32_e64 v20, 0x7ff00000, v20, s6
	s_and_b32 s6, s7, s6
	s_wait_alu 0xfffe
	s_delay_alu instid0(VALU_DEP_2) | instskip(SKIP_3) | instid1(VALU_DEP_1)
	v_cndmask_b32_e64 v17, 0, v19, s6
	s_mov_b32 s6, 0x55555555
	v_cndmask_b32_e64 v18, 0, v20, s7
	s_mov_b32 s7, 0x3fe55555
	v_add_f64_e32 v[19:20], 1.0, v[17:18]
	s_delay_alu instid0(VALU_DEP_1) | instskip(SKIP_3) | instid1(VALU_DEP_3)
	v_frexp_mant_f64_e32 v[21:22], v[19:20]
	v_frexp_exp_i32_f64_e32 v25, v[19:20]
	v_add_f64_e32 v[23:24], -1.0, v[19:20]
	s_wait_alu 0xfffe
	v_cmp_gt_f64_e64 s6, s[6:7], v[21:22]
	s_delay_alu instid0(VALU_DEP_2) | instskip(SKIP_2) | instid1(VALU_DEP_3)
	v_add_f64_e64 v[21:22], v[23:24], -v[19:20]
	v_add_f64_e64 v[23:24], v[17:18], -v[23:24]
	s_wait_alu 0xf1ff
	v_subrev_co_ci_u32_e64 v77, null, 0, v25, s6
	s_delay_alu instid0(VALU_DEP_3) | instskip(SKIP_1) | instid1(VALU_DEP_2)
	v_add_f64_e32 v[21:22], 1.0, v[21:22]
	s_mov_b32 s6, 0x55555780
	v_sub_nc_u32_e32 v27, 0, v77
	s_delay_alu instid0(VALU_DEP_1) | instskip(NEXT) | instid1(VALU_DEP_3)
	v_ldexp_f64 v[19:20], v[19:20], v27
	v_add_f64_e32 v[21:22], v[23:24], v[21:22]
	s_delay_alu instid0(VALU_DEP_2) | instskip(SKIP_1) | instid1(VALU_DEP_3)
	v_add_f64_e32 v[25:26], 1.0, v[19:20]
	v_add_f64_e32 v[31:32], -1.0, v[19:20]
	v_ldexp_f64 v[21:22], v[21:22], v27
	s_delay_alu instid0(VALU_DEP_3) | instskip(NEXT) | instid1(VALU_DEP_3)
	v_add_f64_e32 v[23:24], -1.0, v[25:26]
	v_add_f64_e32 v[69:70], 1.0, v[31:32]
	s_delay_alu instid0(VALU_DEP_2) | instskip(NEXT) | instid1(VALU_DEP_2)
	v_add_f64_e64 v[23:24], v[19:20], -v[23:24]
	v_add_f64_e64 v[19:20], v[19:20], -v[69:70]
	s_delay_alu instid0(VALU_DEP_2) | instskip(NEXT) | instid1(VALU_DEP_2)
	v_add_f64_e32 v[23:24], v[21:22], v[23:24]
	v_add_f64_e32 v[19:20], v[21:22], v[19:20]
	s_delay_alu instid0(VALU_DEP_2) | instskip(NEXT) | instid1(VALU_DEP_2)
	v_add_f64_e32 v[27:28], v[25:26], v[23:24]
	v_add_f64_e32 v[69:70], v[31:32], v[19:20]
	s_delay_alu instid0(VALU_DEP_2) | instskip(SKIP_1) | instid1(VALU_DEP_2)
	v_rcp_f64_e32 v[29:30], v[27:28]
	v_add_f64_e64 v[25:26], v[27:28], -v[25:26]
	v_add_f64_e64 v[31:32], v[69:70], -v[31:32]
	s_delay_alu instid0(VALU_DEP_2) | instskip(NEXT) | instid1(TRANS32_DEP_1)
	v_add_f64_e64 v[23:24], v[23:24], -v[25:26]
	v_fma_f64 v[71:72], -v[27:28], v[29:30], 1.0
	s_delay_alu instid0(VALU_DEP_3) | instskip(NEXT) | instid1(VALU_DEP_2)
	v_add_f64_e64 v[19:20], v[19:20], -v[31:32]
	v_fma_f64 v[29:30], v[71:72], v[29:30], v[29:30]
	s_delay_alu instid0(VALU_DEP_1) | instskip(NEXT) | instid1(VALU_DEP_1)
	v_fma_f64 v[21:22], -v[27:28], v[29:30], 1.0
	v_fma_f64 v[21:22], v[21:22], v[29:30], v[29:30]
	s_delay_alu instid0(VALU_DEP_1) | instskip(NEXT) | instid1(VALU_DEP_1)
	v_mul_f64_e32 v[29:30], v[69:70], v[21:22]
	v_mul_f64_e32 v[71:72], v[27:28], v[29:30]
	s_delay_alu instid0(VALU_DEP_1) | instskip(NEXT) | instid1(VALU_DEP_1)
	v_fma_f64 v[25:26], v[29:30], v[27:28], -v[71:72]
	v_fma_f64 v[25:26], v[29:30], v[23:24], v[25:26]
	s_delay_alu instid0(VALU_DEP_1) | instskip(NEXT) | instid1(VALU_DEP_1)
	v_add_f64_e32 v[73:74], v[71:72], v[25:26]
	v_add_f64_e64 v[75:76], v[69:70], -v[73:74]
	v_add_f64_e64 v[31:32], v[73:74], -v[71:72]
	s_delay_alu instid0(VALU_DEP_2) | instskip(NEXT) | instid1(VALU_DEP_2)
	v_add_f64_e64 v[69:70], v[69:70], -v[75:76]
	v_add_f64_e64 v[25:26], v[31:32], -v[25:26]
	s_delay_alu instid0(VALU_DEP_2) | instskip(NEXT) | instid1(VALU_DEP_1)
	v_add_f64_e64 v[69:70], v[69:70], -v[73:74]
	v_add_f64_e32 v[19:20], v[19:20], v[69:70]
	s_delay_alu instid0(VALU_DEP_1) | instskip(NEXT) | instid1(VALU_DEP_1)
	v_add_f64_e32 v[19:20], v[25:26], v[19:20]
	v_add_f64_e32 v[25:26], v[75:76], v[19:20]
	s_delay_alu instid0(VALU_DEP_1) | instskip(SKIP_1) | instid1(VALU_DEP_2)
	v_mul_f64_e32 v[31:32], v[21:22], v[25:26]
	v_add_f64_e64 v[73:74], v[75:76], -v[25:26]
	v_mul_f64_e32 v[69:70], v[27:28], v[31:32]
	s_delay_alu instid0(VALU_DEP_2) | instskip(NEXT) | instid1(VALU_DEP_2)
	v_add_f64_e32 v[19:20], v[19:20], v[73:74]
	v_fma_f64 v[27:28], v[31:32], v[27:28], -v[69:70]
	s_delay_alu instid0(VALU_DEP_1) | instskip(NEXT) | instid1(VALU_DEP_1)
	v_fma_f64 v[23:24], v[31:32], v[23:24], v[27:28]
	v_add_f64_e32 v[27:28], v[69:70], v[23:24]
	s_delay_alu instid0(VALU_DEP_1) | instskip(SKIP_1) | instid1(VALU_DEP_2)
	v_add_f64_e64 v[71:72], v[25:26], -v[27:28]
	v_add_f64_e64 v[69:70], v[27:28], -v[69:70]
	;; [unrolled: 1-line block ×3, first 2 shown]
	s_delay_alu instid0(VALU_DEP_2) | instskip(NEXT) | instid1(VALU_DEP_2)
	v_add_f64_e64 v[23:24], v[69:70], -v[23:24]
	v_add_f64_e64 v[25:26], v[25:26], -v[27:28]
	s_delay_alu instid0(VALU_DEP_1) | instskip(SKIP_1) | instid1(VALU_DEP_2)
	v_add_f64_e32 v[19:20], v[19:20], v[25:26]
	v_add_f64_e32 v[25:26], v[29:30], v[31:32]
	;; [unrolled: 1-line block ×3, first 2 shown]
	s_delay_alu instid0(VALU_DEP_2) | instskip(NEXT) | instid1(VALU_DEP_2)
	v_add_f64_e64 v[23:24], v[25:26], -v[29:30]
	v_add_f64_e32 v[19:20], v[71:72], v[19:20]
	s_delay_alu instid0(VALU_DEP_2) | instskip(NEXT) | instid1(VALU_DEP_2)
	v_add_f64_e64 v[23:24], v[31:32], -v[23:24]
	v_mul_f64_e32 v[19:20], v[21:22], v[19:20]
	s_delay_alu instid0(VALU_DEP_1) | instskip(NEXT) | instid1(VALU_DEP_1)
	v_add_f64_e32 v[19:20], v[23:24], v[19:20]
	v_add_f64_e32 v[21:22], v[25:26], v[19:20]
	s_delay_alu instid0(VALU_DEP_1) | instskip(NEXT) | instid1(VALU_DEP_1)
	v_mul_f64_e32 v[23:24], v[21:22], v[21:22]
	v_fma_f64 v[27:28], v[23:24], s[18:19], s[16:17]
	s_mov_b32 s16, 0xd7f4df2e
	s_mov_b32 s17, 0x3fc7474d
	v_mul_f64_e32 v[29:30], v[21:22], v[23:24]
	s_wait_alu 0xfffe
	s_delay_alu instid0(VALU_DEP_2) | instskip(SKIP_3) | instid1(VALU_DEP_1)
	v_fma_f64 v[27:28], v[23:24], v[27:28], s[16:17]
	s_mov_b32 s16, 0x16291751
	s_mov_b32 s17, 0x3fcc71c0
	s_wait_alu 0xfffe
	v_fma_f64 v[27:28], v[23:24], v[27:28], s[16:17]
	s_mov_b32 s16, 0x9b27acf1
	s_mov_b32 s17, 0x3fd24924
	s_wait_alu 0xfffe
	s_delay_alu instid0(VALU_DEP_1) | instskip(SKIP_3) | instid1(VALU_DEP_1)
	v_fma_f64 v[27:28], v[23:24], v[27:28], s[16:17]
	s_mov_b32 s16, 0x998ef7b6
	s_mov_b32 s17, 0x3fd99999
	s_wait_alu 0xfffe
	v_fma_f64 v[27:28], v[23:24], v[27:28], s[16:17]
	s_delay_alu instid0(VALU_DEP_1)
	v_fma_f64 v[23:24], v[23:24], v[27:28], s[6:7]
	v_ldexp_f64 v[27:28], v[21:22], 1
	v_add_f64_e64 v[21:22], v[21:22], -v[25:26]
	v_cmp_nge_f64_e64 s6, -1.0, v[17:18]
	v_cmp_neq_f64_e64 s7, 0x7ff00000, v[17:18]
	v_mul_f64_e32 v[23:24], v[29:30], v[23:24]
	v_cvt_f64_i32_e32 v[29:30], v77
	v_add_f64_e64 v[19:20], v[19:20], -v[21:22]
	s_and_b32 s6, s6, s7
	s_delay_alu instid0(VALU_DEP_3) | instskip(NEXT) | instid1(VALU_DEP_3)
	v_add_f64_e32 v[25:26], v[27:28], v[23:24]
	v_mul_f64_e32 v[31:32], s[8:9], v[29:30]
	s_delay_alu instid0(VALU_DEP_3) | instskip(NEXT) | instid1(VALU_DEP_3)
	v_ldexp_f64 v[19:20], v[19:20], 1
	v_add_f64_e64 v[21:22], v[25:26], -v[27:28]
	s_delay_alu instid0(VALU_DEP_3) | instskip(SKIP_1) | instid1(VALU_DEP_3)
	v_fma_f64 v[27:28], v[29:30], s[8:9], -v[31:32]
	v_cmp_ngt_f64_e64 s8, -1.0, v[17:18]
	v_add_f64_e64 v[21:22], v[23:24], -v[21:22]
	s_delay_alu instid0(VALU_DEP_3) | instskip(NEXT) | instid1(VALU_DEP_2)
	v_fma_f64 v[23:24], v[29:30], s[10:11], v[27:28]
	v_add_f64_e32 v[19:20], v[19:20], v[21:22]
	s_delay_alu instid0(VALU_DEP_2) | instskip(NEXT) | instid1(VALU_DEP_2)
	v_add_f64_e32 v[21:22], v[31:32], v[23:24]
	v_add_f64_e32 v[27:28], v[25:26], v[19:20]
	s_delay_alu instid0(VALU_DEP_2) | instskip(NEXT) | instid1(VALU_DEP_2)
	v_add_f64_e64 v[31:32], v[21:22], -v[31:32]
	v_add_f64_e32 v[29:30], v[21:22], v[27:28]
	v_add_f64_e64 v[25:26], v[27:28], -v[25:26]
	s_delay_alu instid0(VALU_DEP_3) | instskip(NEXT) | instid1(VALU_DEP_3)
	v_add_f64_e64 v[23:24], v[23:24], -v[31:32]
	v_add_f64_e64 v[69:70], v[29:30], -v[21:22]
	s_delay_alu instid0(VALU_DEP_3) | instskip(NEXT) | instid1(VALU_DEP_2)
	v_add_f64_e64 v[19:20], v[19:20], -v[25:26]
	v_add_f64_e64 v[71:72], v[29:30], -v[69:70]
	;; [unrolled: 1-line block ×3, first 2 shown]
	s_delay_alu instid0(VALU_DEP_3) | instskip(NEXT) | instid1(VALU_DEP_3)
	v_add_f64_e32 v[27:28], v[23:24], v[19:20]
	v_add_f64_e64 v[21:22], v[21:22], -v[71:72]
	s_delay_alu instid0(VALU_DEP_1) | instskip(NEXT) | instid1(VALU_DEP_3)
	v_add_f64_e32 v[21:22], v[25:26], v[21:22]
	v_add_f64_e64 v[25:26], v[27:28], -v[23:24]
	s_delay_alu instid0(VALU_DEP_2) | instskip(NEXT) | instid1(VALU_DEP_2)
	v_add_f64_e32 v[21:22], v[27:28], v[21:22]
	v_add_f64_e64 v[27:28], v[27:28], -v[25:26]
	v_add_f64_e64 v[19:20], v[19:20], -v[25:26]
	s_delay_alu instid0(VALU_DEP_3) | instskip(NEXT) | instid1(VALU_DEP_3)
	v_add_f64_e32 v[31:32], v[29:30], v[21:22]
	v_add_f64_e64 v[23:24], v[23:24], -v[27:28]
	s_delay_alu instid0(VALU_DEP_2) | instskip(NEXT) | instid1(VALU_DEP_2)
	v_add_f64_e64 v[25:26], v[31:32], -v[29:30]
	v_add_f64_e32 v[19:20], v[19:20], v[23:24]
	s_delay_alu instid0(VALU_DEP_2) | instskip(NEXT) | instid1(VALU_DEP_1)
	v_add_f64_e64 v[21:22], v[21:22], -v[25:26]
	v_add_f64_e32 v[19:20], v[19:20], v[21:22]
	s_delay_alu instid0(VALU_DEP_1) | instskip(SKIP_1) | instid1(VALU_DEP_1)
	v_add_f64_e32 v[19:20], v[31:32], v[19:20]
	s_wait_alu 0xfffe
	v_cndmask_b32_e64 v19, 0, v19, s6
	v_cmp_neq_f64_e64 s6, -1.0, v[17:18]
	s_delay_alu instid0(VALU_DEP_3) | instskip(SKIP_1) | instid1(VALU_DEP_1)
	v_cndmask_b32_e64 v20, 0x7ff00000, v20, s7
	s_wait_alu 0xf1ff
	v_cndmask_b32_e64 v20, 0x7ff80000, v20, s8
	s_delay_alu instid0(VALU_DEP_1) | instskip(NEXT) | instid1(VALU_DEP_1)
	v_cndmask_b32_e64 v20, 0xfff00000, v20, s6
	v_add_f64_e32 v[69:70], v[15:16], v[19:20]
.LBB6_208:
	s_wait_alu 0xfffe
	s_or_b32 exec_lo, exec_lo, s12
	v_max_num_f64_e32 v[15:16], v[55:56], v[55:56]
	s_delay_alu instid0(VALU_DEP_2) | instskip(SKIP_2) | instid1(VALU_DEP_3)
	v_max_num_f64_e32 v[17:18], v[69:70], v[69:70]
	v_cmp_u_f64_e64 s7, v[69:70], v[69:70]
	v_cmp_u_f64_e64 s6, v[55:56], v[55:56]
	v_min_num_f64_e32 v[19:20], v[17:18], v[15:16]
	v_max_num_f64_e32 v[17:18], v[17:18], v[15:16]
	s_wait_alu 0xf1ff
	s_delay_alu instid0(VALU_DEP_2) | instskip(NEXT) | instid1(VALU_DEP_3)
	v_cndmask_b32_e64 v19, v19, v69, s7
	v_cndmask_b32_e64 v20, v20, v70, s7
	s_delay_alu instid0(VALU_DEP_3) | instskip(NEXT) | instid1(VALU_DEP_4)
	v_cndmask_b32_e64 v18, v18, v70, s7
	v_cndmask_b32_e64 v17, v17, v69, s7
	s_delay_alu instid0(VALU_DEP_4) | instskip(NEXT) | instid1(VALU_DEP_4)
	v_cndmask_b32_e64 v19, v19, v55, s6
	v_cndmask_b32_e64 v20, v20, v56, s6
	s_delay_alu instid0(VALU_DEP_4) | instskip(NEXT) | instid1(VALU_DEP_4)
	v_cndmask_b32_e64 v18, v18, v56, s6
	v_cndmask_b32_e64 v17, v17, v55, s6
	s_delay_alu instid0(VALU_DEP_3) | instskip(NEXT) | instid1(VALU_DEP_2)
	v_cmp_class_f64_e64 s8, v[19:20], 0x1f8
	v_cmp_neq_f64_e64 s7, v[19:20], v[17:18]
	s_or_b32 s7, s7, s8
	s_wait_alu 0xfffe
	s_and_saveexec_b32 s14, s7
	s_cbranch_execz .LBB6_210
; %bb.209:
	v_add_f64_e64 v[19:20], v[19:20], -v[17:18]
	s_mov_b32 s8, 0x652b82fe
	s_mov_b32 s9, 0x3ff71547
	;; [unrolled: 1-line block ×10, first 2 shown]
	s_wait_alu 0xfffe
	s_delay_alu instid0(VALU_DEP_1) | instskip(SKIP_3) | instid1(VALU_DEP_2)
	v_mul_f64_e32 v[21:22], s[8:9], v[19:20]
	s_mov_b32 s8, 0xfca7ab0c
	s_mov_b32 s9, 0x3e928af3
	v_cmp_nlt_f64_e64 s7, 0x40900000, v[19:20]
	v_rndne_f64_e32 v[21:22], v[21:22]
	s_delay_alu instid0(VALU_DEP_1) | instskip(SKIP_2) | instid1(VALU_DEP_2)
	v_fma_f64 v[23:24], v[21:22], s[10:11], v[19:20]
	v_cvt_i32_f64_e32 v27, v[21:22]
	s_mov_b32 s11, 0x3fe62e42
	v_fma_f64 v[23:24], v[21:22], s[12:13], v[23:24]
	s_mov_b32 s13, 0x3c7abc9e
	s_wait_alu 0xfffe
	s_delay_alu instid0(VALU_DEP_1)
	v_fma_f64 v[25:26], v[23:24], s[16:17], s[8:9]
	s_mov_b32 s8, 0x623fde64
	s_mov_b32 s9, 0x3ec71dee
	;; [unrolled: 1-line block ×4, first 2 shown]
	s_wait_alu 0xfffe
	s_delay_alu instid0(VALU_DEP_1) | instskip(SKIP_3) | instid1(VALU_DEP_1)
	v_fma_f64 v[25:26], v[23:24], v[25:26], s[8:9]
	s_mov_b32 s8, 0x7c89e6b0
	s_mov_b32 s9, 0x3efa0199
	s_wait_alu 0xfffe
	v_fma_f64 v[25:26], v[23:24], v[25:26], s[8:9]
	s_mov_b32 s8, 0x14761f6e
	s_mov_b32 s9, 0x3f2a01a0
	s_wait_alu 0xfffe
	s_delay_alu instid0(VALU_DEP_1) | instskip(SKIP_3) | instid1(VALU_DEP_1)
	v_fma_f64 v[25:26], v[23:24], v[25:26], s[8:9]
	s_mov_b32 s8, 0x1852b7b0
	s_mov_b32 s9, 0x3f56c16c
	s_wait_alu 0xfffe
	v_fma_f64 v[25:26], v[23:24], v[25:26], s[8:9]
	s_mov_b32 s8, 0x11122322
	s_mov_b32 s9, 0x3f811111
	;; [unrolled: 9-line block ×3, first 2 shown]
	s_wait_alu 0xfffe
	s_delay_alu instid0(VALU_DEP_1) | instskip(SKIP_3) | instid1(VALU_DEP_1)
	v_fma_f64 v[25:26], v[23:24], v[25:26], s[8:9]
	s_mov_b32 s8, 11
	s_mov_b32 s9, 0x3fe00000
	s_wait_alu 0xfffe
	v_fma_f64 v[25:26], v[23:24], v[25:26], s[8:9]
	v_cmp_ngt_f64_e64 s8, 0xc090cc00, v[19:20]
	s_mov_b32 s9, 0x3fe55555
	v_fma_f64 v[25:26], v[23:24], v[25:26], 1.0
	s_delay_alu instid0(VALU_DEP_1) | instskip(NEXT) | instid1(VALU_DEP_1)
	v_fma_f64 v[21:22], v[23:24], v[25:26], 1.0
	v_ldexp_f64 v[21:22], v[21:22], v27
	s_wait_alu 0xf1ff
	s_delay_alu instid0(VALU_DEP_1) | instskip(SKIP_2) | instid1(VALU_DEP_2)
	v_cndmask_b32_e64 v22, 0x7ff00000, v22, s7
	s_and_b32 s7, s8, s7
	s_wait_alu 0xfffe
	v_cndmask_b32_e64 v19, 0, v21, s7
	s_delay_alu instid0(VALU_DEP_2) | instskip(SKIP_1) | instid1(VALU_DEP_1)
	v_cndmask_b32_e64 v20, 0, v22, s8
	s_mov_b32 s8, 0x55555555
	v_add_f64_e32 v[21:22], 1.0, v[19:20]
	s_delay_alu instid0(VALU_DEP_1) | instskip(SKIP_3) | instid1(VALU_DEP_3)
	v_frexp_mant_f64_e32 v[23:24], v[21:22]
	v_frexp_exp_i32_f64_e32 v27, v[21:22]
	v_add_f64_e32 v[25:26], -1.0, v[21:22]
	s_wait_alu 0xfffe
	v_cmp_gt_f64_e64 s7, s[8:9], v[23:24]
	s_mov_b32 s8, 0x55555780
	v_add_f64_e64 v[23:24], v[25:26], -v[21:22]
	v_add_f64_e64 v[25:26], v[19:20], -v[25:26]
	s_wait_alu 0xf1ff
	v_subrev_co_ci_u32_e64 v79, null, 0, v27, s7
	s_delay_alu instid0(VALU_DEP_3) | instskip(SKIP_1) | instid1(VALU_DEP_3)
	v_add_f64_e32 v[23:24], 1.0, v[23:24]
	v_cmp_nge_f64_e64 s7, -1.0, v[19:20]
	v_sub_nc_u32_e32 v29, 0, v79
	s_delay_alu instid0(VALU_DEP_1) | instskip(NEXT) | instid1(VALU_DEP_4)
	v_ldexp_f64 v[21:22], v[21:22], v29
	v_add_f64_e32 v[23:24], v[25:26], v[23:24]
	s_delay_alu instid0(VALU_DEP_2) | instskip(SKIP_1) | instid1(VALU_DEP_3)
	v_add_f64_e32 v[27:28], 1.0, v[21:22]
	v_add_f64_e32 v[69:70], -1.0, v[21:22]
	v_ldexp_f64 v[23:24], v[23:24], v29
	s_delay_alu instid0(VALU_DEP_3) | instskip(NEXT) | instid1(VALU_DEP_3)
	v_add_f64_e32 v[25:26], -1.0, v[27:28]
	v_add_f64_e32 v[71:72], 1.0, v[69:70]
	s_delay_alu instid0(VALU_DEP_2) | instskip(NEXT) | instid1(VALU_DEP_2)
	v_add_f64_e64 v[25:26], v[21:22], -v[25:26]
	v_add_f64_e64 v[21:22], v[21:22], -v[71:72]
	s_delay_alu instid0(VALU_DEP_2) | instskip(NEXT) | instid1(VALU_DEP_2)
	v_add_f64_e32 v[25:26], v[23:24], v[25:26]
	v_add_f64_e32 v[21:22], v[23:24], v[21:22]
	s_delay_alu instid0(VALU_DEP_2) | instskip(NEXT) | instid1(VALU_DEP_2)
	v_add_f64_e32 v[29:30], v[27:28], v[25:26]
	v_add_f64_e32 v[71:72], v[69:70], v[21:22]
	s_delay_alu instid0(VALU_DEP_2) | instskip(SKIP_1) | instid1(VALU_DEP_2)
	v_rcp_f64_e32 v[31:32], v[29:30]
	v_add_f64_e64 v[27:28], v[29:30], -v[27:28]
	v_add_f64_e64 v[69:70], v[71:72], -v[69:70]
	s_delay_alu instid0(VALU_DEP_2) | instskip(NEXT) | instid1(TRANS32_DEP_1)
	v_add_f64_e64 v[25:26], v[25:26], -v[27:28]
	v_fma_f64 v[73:74], -v[29:30], v[31:32], 1.0
	s_delay_alu instid0(VALU_DEP_3) | instskip(NEXT) | instid1(VALU_DEP_2)
	v_add_f64_e64 v[21:22], v[21:22], -v[69:70]
	v_fma_f64 v[31:32], v[73:74], v[31:32], v[31:32]
	s_delay_alu instid0(VALU_DEP_1) | instskip(NEXT) | instid1(VALU_DEP_1)
	v_fma_f64 v[23:24], -v[29:30], v[31:32], 1.0
	v_fma_f64 v[23:24], v[23:24], v[31:32], v[31:32]
	s_delay_alu instid0(VALU_DEP_1) | instskip(NEXT) | instid1(VALU_DEP_1)
	v_mul_f64_e32 v[31:32], v[71:72], v[23:24]
	v_mul_f64_e32 v[73:74], v[29:30], v[31:32]
	s_delay_alu instid0(VALU_DEP_1) | instskip(NEXT) | instid1(VALU_DEP_1)
	v_fma_f64 v[27:28], v[31:32], v[29:30], -v[73:74]
	v_fma_f64 v[27:28], v[31:32], v[25:26], v[27:28]
	s_delay_alu instid0(VALU_DEP_1) | instskip(NEXT) | instid1(VALU_DEP_1)
	v_add_f64_e32 v[75:76], v[73:74], v[27:28]
	v_add_f64_e64 v[77:78], v[71:72], -v[75:76]
	v_add_f64_e64 v[69:70], v[75:76], -v[73:74]
	s_delay_alu instid0(VALU_DEP_2) | instskip(NEXT) | instid1(VALU_DEP_2)
	v_add_f64_e64 v[71:72], v[71:72], -v[77:78]
	v_add_f64_e64 v[27:28], v[69:70], -v[27:28]
	s_delay_alu instid0(VALU_DEP_2) | instskip(NEXT) | instid1(VALU_DEP_1)
	v_add_f64_e64 v[71:72], v[71:72], -v[75:76]
	v_add_f64_e32 v[21:22], v[21:22], v[71:72]
	s_delay_alu instid0(VALU_DEP_1) | instskip(NEXT) | instid1(VALU_DEP_1)
	v_add_f64_e32 v[21:22], v[27:28], v[21:22]
	v_add_f64_e32 v[27:28], v[77:78], v[21:22]
	s_delay_alu instid0(VALU_DEP_1) | instskip(SKIP_1) | instid1(VALU_DEP_2)
	v_mul_f64_e32 v[69:70], v[23:24], v[27:28]
	v_add_f64_e64 v[75:76], v[77:78], -v[27:28]
	v_mul_f64_e32 v[71:72], v[29:30], v[69:70]
	s_delay_alu instid0(VALU_DEP_2) | instskip(NEXT) | instid1(VALU_DEP_2)
	v_add_f64_e32 v[21:22], v[21:22], v[75:76]
	v_fma_f64 v[29:30], v[69:70], v[29:30], -v[71:72]
	s_delay_alu instid0(VALU_DEP_1) | instskip(NEXT) | instid1(VALU_DEP_1)
	v_fma_f64 v[25:26], v[69:70], v[25:26], v[29:30]
	v_add_f64_e32 v[29:30], v[71:72], v[25:26]
	s_delay_alu instid0(VALU_DEP_1) | instskip(SKIP_1) | instid1(VALU_DEP_2)
	v_add_f64_e64 v[73:74], v[27:28], -v[29:30]
	v_add_f64_e64 v[71:72], v[29:30], -v[71:72]
	;; [unrolled: 1-line block ×3, first 2 shown]
	s_delay_alu instid0(VALU_DEP_2) | instskip(NEXT) | instid1(VALU_DEP_2)
	v_add_f64_e64 v[25:26], v[71:72], -v[25:26]
	v_add_f64_e64 v[27:28], v[27:28], -v[29:30]
	s_delay_alu instid0(VALU_DEP_1) | instskip(SKIP_1) | instid1(VALU_DEP_2)
	v_add_f64_e32 v[21:22], v[21:22], v[27:28]
	v_add_f64_e32 v[27:28], v[31:32], v[69:70]
	;; [unrolled: 1-line block ×3, first 2 shown]
	s_delay_alu instid0(VALU_DEP_2) | instskip(NEXT) | instid1(VALU_DEP_2)
	v_add_f64_e64 v[25:26], v[27:28], -v[31:32]
	v_add_f64_e32 v[21:22], v[73:74], v[21:22]
	s_delay_alu instid0(VALU_DEP_2) | instskip(NEXT) | instid1(VALU_DEP_2)
	v_add_f64_e64 v[25:26], v[69:70], -v[25:26]
	v_mul_f64_e32 v[21:22], v[23:24], v[21:22]
	s_delay_alu instid0(VALU_DEP_1) | instskip(NEXT) | instid1(VALU_DEP_1)
	v_add_f64_e32 v[21:22], v[25:26], v[21:22]
	v_add_f64_e32 v[23:24], v[27:28], v[21:22]
	s_delay_alu instid0(VALU_DEP_1) | instskip(NEXT) | instid1(VALU_DEP_1)
	v_mul_f64_e32 v[25:26], v[23:24], v[23:24]
	v_fma_f64 v[29:30], v[25:26], s[18:19], s[16:17]
	s_mov_b32 s16, 0xd7f4df2e
	s_mov_b32 s17, 0x3fc7474d
	v_mul_f64_e32 v[31:32], v[23:24], v[25:26]
	s_wait_alu 0xfffe
	s_delay_alu instid0(VALU_DEP_2) | instskip(SKIP_3) | instid1(VALU_DEP_1)
	v_fma_f64 v[29:30], v[25:26], v[29:30], s[16:17]
	s_mov_b32 s16, 0x16291751
	s_mov_b32 s17, 0x3fcc71c0
	s_wait_alu 0xfffe
	v_fma_f64 v[29:30], v[25:26], v[29:30], s[16:17]
	s_mov_b32 s16, 0x9b27acf1
	s_mov_b32 s17, 0x3fd24924
	s_wait_alu 0xfffe
	s_delay_alu instid0(VALU_DEP_1) | instskip(SKIP_3) | instid1(VALU_DEP_1)
	v_fma_f64 v[29:30], v[25:26], v[29:30], s[16:17]
	s_mov_b32 s16, 0x998ef7b6
	s_mov_b32 s17, 0x3fd99999
	s_wait_alu 0xfffe
	v_fma_f64 v[29:30], v[25:26], v[29:30], s[16:17]
	s_delay_alu instid0(VALU_DEP_1)
	v_fma_f64 v[25:26], v[25:26], v[29:30], s[8:9]
	v_ldexp_f64 v[29:30], v[23:24], 1
	v_add_f64_e64 v[23:24], v[23:24], -v[27:28]
	v_cmp_neq_f64_e64 s8, 0x7ff00000, v[19:20]
	v_cmp_ngt_f64_e64 s9, -1.0, v[19:20]
	v_mul_f64_e32 v[25:26], v[31:32], v[25:26]
	v_cvt_f64_i32_e32 v[31:32], v79
	v_add_f64_e64 v[21:22], v[21:22], -v[23:24]
	s_and_b32 s7, s7, s8
	s_delay_alu instid0(VALU_DEP_3) | instskip(NEXT) | instid1(VALU_DEP_3)
	v_add_f64_e32 v[27:28], v[29:30], v[25:26]
	v_mul_f64_e32 v[69:70], s[10:11], v[31:32]
	s_delay_alu instid0(VALU_DEP_3) | instskip(NEXT) | instid1(VALU_DEP_3)
	v_ldexp_f64 v[21:22], v[21:22], 1
	v_add_f64_e64 v[23:24], v[27:28], -v[29:30]
	s_delay_alu instid0(VALU_DEP_3) | instskip(NEXT) | instid1(VALU_DEP_2)
	v_fma_f64 v[29:30], v[31:32], s[10:11], -v[69:70]
	v_add_f64_e64 v[23:24], v[25:26], -v[23:24]
	s_delay_alu instid0(VALU_DEP_2) | instskip(NEXT) | instid1(VALU_DEP_2)
	v_fma_f64 v[25:26], v[31:32], s[12:13], v[29:30]
	v_add_f64_e32 v[21:22], v[21:22], v[23:24]
	s_delay_alu instid0(VALU_DEP_2) | instskip(NEXT) | instid1(VALU_DEP_2)
	v_add_f64_e32 v[23:24], v[69:70], v[25:26]
	v_add_f64_e32 v[29:30], v[27:28], v[21:22]
	s_delay_alu instid0(VALU_DEP_2) | instskip(NEXT) | instid1(VALU_DEP_2)
	v_add_f64_e64 v[69:70], v[23:24], -v[69:70]
	v_add_f64_e32 v[31:32], v[23:24], v[29:30]
	v_add_f64_e64 v[27:28], v[29:30], -v[27:28]
	s_delay_alu instid0(VALU_DEP_3) | instskip(NEXT) | instid1(VALU_DEP_3)
	v_add_f64_e64 v[25:26], v[25:26], -v[69:70]
	v_add_f64_e64 v[71:72], v[31:32], -v[23:24]
	s_delay_alu instid0(VALU_DEP_3) | instskip(NEXT) | instid1(VALU_DEP_2)
	v_add_f64_e64 v[21:22], v[21:22], -v[27:28]
	v_add_f64_e64 v[73:74], v[31:32], -v[71:72]
	;; [unrolled: 1-line block ×3, first 2 shown]
	s_delay_alu instid0(VALU_DEP_3) | instskip(NEXT) | instid1(VALU_DEP_3)
	v_add_f64_e32 v[29:30], v[25:26], v[21:22]
	v_add_f64_e64 v[23:24], v[23:24], -v[73:74]
	s_delay_alu instid0(VALU_DEP_1) | instskip(NEXT) | instid1(VALU_DEP_3)
	v_add_f64_e32 v[23:24], v[27:28], v[23:24]
	v_add_f64_e64 v[27:28], v[29:30], -v[25:26]
	s_delay_alu instid0(VALU_DEP_2) | instskip(NEXT) | instid1(VALU_DEP_2)
	v_add_f64_e32 v[23:24], v[29:30], v[23:24]
	v_add_f64_e64 v[29:30], v[29:30], -v[27:28]
	v_add_f64_e64 v[21:22], v[21:22], -v[27:28]
	s_delay_alu instid0(VALU_DEP_3) | instskip(NEXT) | instid1(VALU_DEP_3)
	v_add_f64_e32 v[69:70], v[31:32], v[23:24]
	v_add_f64_e64 v[25:26], v[25:26], -v[29:30]
	s_delay_alu instid0(VALU_DEP_2) | instskip(NEXT) | instid1(VALU_DEP_2)
	v_add_f64_e64 v[27:28], v[69:70], -v[31:32]
	v_add_f64_e32 v[21:22], v[21:22], v[25:26]
	s_delay_alu instid0(VALU_DEP_2) | instskip(NEXT) | instid1(VALU_DEP_1)
	v_add_f64_e64 v[23:24], v[23:24], -v[27:28]
	v_add_f64_e32 v[21:22], v[21:22], v[23:24]
	s_delay_alu instid0(VALU_DEP_1) | instskip(SKIP_1) | instid1(VALU_DEP_1)
	v_add_f64_e32 v[21:22], v[69:70], v[21:22]
	s_wait_alu 0xfffe
	v_cndmask_b32_e64 v21, 0, v21, s7
	v_cmp_neq_f64_e64 s7, -1.0, v[19:20]
	s_delay_alu instid0(VALU_DEP_3) | instskip(NEXT) | instid1(VALU_DEP_1)
	v_cndmask_b32_e64 v22, 0x7ff00000, v22, s8
	v_cndmask_b32_e64 v22, 0x7ff80000, v22, s9
	s_wait_alu 0xf1ff
	s_delay_alu instid0(VALU_DEP_1) | instskip(NEXT) | instid1(VALU_DEP_1)
	v_cndmask_b32_e64 v22, 0xfff00000, v22, s7
	v_add_f64_e32 v[69:70], v[17:18], v[21:22]
.LBB6_210:
	s_wait_alu 0xfffe
	s_or_b32 exec_lo, exec_lo, s14
	v_max_num_f64_e32 v[17:18], v[49:50], v[49:50]
	s_delay_alu instid0(VALU_DEP_2) | instskip(SKIP_2) | instid1(VALU_DEP_3)
	v_max_num_f64_e32 v[19:20], v[69:70], v[69:70]
	v_cmp_u_f64_e64 s8, v[69:70], v[69:70]
	v_cmp_u_f64_e64 s7, v[49:50], v[49:50]
	v_min_num_f64_e32 v[21:22], v[19:20], v[17:18]
	v_max_num_f64_e32 v[19:20], v[19:20], v[17:18]
	s_wait_alu 0xf1ff
	s_delay_alu instid0(VALU_DEP_2) | instskip(NEXT) | instid1(VALU_DEP_3)
	v_cndmask_b32_e64 v21, v21, v69, s8
	v_cndmask_b32_e64 v22, v22, v70, s8
	s_delay_alu instid0(VALU_DEP_3) | instskip(NEXT) | instid1(VALU_DEP_4)
	v_cndmask_b32_e64 v20, v20, v70, s8
	v_cndmask_b32_e64 v19, v19, v69, s8
	s_delay_alu instid0(VALU_DEP_4) | instskip(NEXT) | instid1(VALU_DEP_4)
	v_cndmask_b32_e64 v21, v21, v49, s7
	v_cndmask_b32_e64 v22, v22, v50, s7
	s_delay_alu instid0(VALU_DEP_4) | instskip(NEXT) | instid1(VALU_DEP_4)
	v_cndmask_b32_e64 v20, v20, v50, s7
	v_cndmask_b32_e64 v19, v19, v49, s7
	s_delay_alu instid0(VALU_DEP_3) | instskip(NEXT) | instid1(VALU_DEP_2)
	v_cmp_class_f64_e64 s9, v[21:22], 0x1f8
	v_cmp_neq_f64_e64 s8, v[21:22], v[19:20]
	s_or_b32 s8, s8, s9
	s_wait_alu 0xfffe
	s_and_saveexec_b32 s14, s8
	s_cbranch_execz .LBB6_212
; %bb.211:
	v_add_f64_e64 v[21:22], v[21:22], -v[19:20]
	s_mov_b32 s8, 0x652b82fe
	s_mov_b32 s9, 0x3ff71547
	;; [unrolled: 1-line block ×10, first 2 shown]
	s_wait_alu 0xfffe
	s_delay_alu instid0(VALU_DEP_1) | instskip(SKIP_2) | instid1(VALU_DEP_1)
	v_mul_f64_e32 v[23:24], s[8:9], v[21:22]
	s_mov_b32 s8, 0xfca7ab0c
	s_mov_b32 s9, 0x3e928af3
	v_rndne_f64_e32 v[23:24], v[23:24]
	s_delay_alu instid0(VALU_DEP_1) | instskip(SKIP_2) | instid1(VALU_DEP_2)
	v_fma_f64 v[25:26], v[23:24], s[10:11], v[21:22]
	v_cvt_i32_f64_e32 v29, v[23:24]
	s_mov_b32 s11, 0x3fe62e42
	v_fma_f64 v[25:26], v[23:24], s[12:13], v[25:26]
	s_mov_b32 s13, 0x3c7abc9e
	s_wait_alu 0xfffe
	s_delay_alu instid0(VALU_DEP_1)
	v_fma_f64 v[27:28], v[25:26], s[16:17], s[8:9]
	s_mov_b32 s8, 0x623fde64
	s_mov_b32 s9, 0x3ec71dee
	;; [unrolled: 1-line block ×4, first 2 shown]
	s_wait_alu 0xfffe
	s_delay_alu instid0(VALU_DEP_1) | instskip(SKIP_3) | instid1(VALU_DEP_1)
	v_fma_f64 v[27:28], v[25:26], v[27:28], s[8:9]
	s_mov_b32 s8, 0x7c89e6b0
	s_mov_b32 s9, 0x3efa0199
	s_wait_alu 0xfffe
	v_fma_f64 v[27:28], v[25:26], v[27:28], s[8:9]
	s_mov_b32 s8, 0x14761f6e
	s_mov_b32 s9, 0x3f2a01a0
	s_wait_alu 0xfffe
	s_delay_alu instid0(VALU_DEP_1) | instskip(SKIP_3) | instid1(VALU_DEP_1)
	v_fma_f64 v[27:28], v[25:26], v[27:28], s[8:9]
	s_mov_b32 s8, 0x1852b7b0
	s_mov_b32 s9, 0x3f56c16c
	s_wait_alu 0xfffe
	v_fma_f64 v[27:28], v[25:26], v[27:28], s[8:9]
	s_mov_b32 s8, 0x11122322
	s_mov_b32 s9, 0x3f811111
	;; [unrolled: 9-line block ×3, first 2 shown]
	s_wait_alu 0xfffe
	s_delay_alu instid0(VALU_DEP_1) | instskip(SKIP_3) | instid1(VALU_DEP_1)
	v_fma_f64 v[27:28], v[25:26], v[27:28], s[8:9]
	s_mov_b32 s8, 11
	s_mov_b32 s9, 0x3fe00000
	s_wait_alu 0xfffe
	v_fma_f64 v[27:28], v[25:26], v[27:28], s[8:9]
	v_cmp_nlt_f64_e64 s8, 0x40900000, v[21:22]
	v_cmp_ngt_f64_e64 s9, 0xc090cc00, v[21:22]
	s_delay_alu instid0(VALU_DEP_3) | instskip(NEXT) | instid1(VALU_DEP_1)
	v_fma_f64 v[27:28], v[25:26], v[27:28], 1.0
	v_fma_f64 v[23:24], v[25:26], v[27:28], 1.0
	s_delay_alu instid0(VALU_DEP_1) | instskip(SKIP_1) | instid1(VALU_DEP_1)
	v_ldexp_f64 v[23:24], v[23:24], v29
	s_wait_alu 0xf1ff
	v_cndmask_b32_e64 v24, 0x7ff00000, v24, s8
	s_and_b32 s8, s9, s8
	s_wait_alu 0xfffe
	s_delay_alu instid0(VALU_DEP_2) | instskip(SKIP_3) | instid1(VALU_DEP_1)
	v_cndmask_b32_e64 v21, 0, v23, s8
	s_mov_b32 s8, 0x55555555
	v_cndmask_b32_e64 v22, 0, v24, s9
	s_mov_b32 s9, 0x3fe55555
	v_add_f64_e32 v[23:24], 1.0, v[21:22]
	s_delay_alu instid0(VALU_DEP_1) | instskip(SKIP_3) | instid1(VALU_DEP_3)
	v_frexp_mant_f64_e32 v[25:26], v[23:24]
	v_frexp_exp_i32_f64_e32 v29, v[23:24]
	v_add_f64_e32 v[27:28], -1.0, v[23:24]
	s_wait_alu 0xfffe
	v_cmp_gt_f64_e64 s8, s[8:9], v[25:26]
	s_delay_alu instid0(VALU_DEP_2) | instskip(SKIP_2) | instid1(VALU_DEP_3)
	v_add_f64_e64 v[25:26], v[27:28], -v[23:24]
	v_add_f64_e64 v[27:28], v[21:22], -v[27:28]
	s_wait_alu 0xf1ff
	v_subrev_co_ci_u32_e64 v81, null, 0, v29, s8
	s_delay_alu instid0(VALU_DEP_3) | instskip(SKIP_1) | instid1(VALU_DEP_2)
	v_add_f64_e32 v[25:26], 1.0, v[25:26]
	s_mov_b32 s8, 0x55555780
	v_sub_nc_u32_e32 v31, 0, v81
	s_delay_alu instid0(VALU_DEP_1) | instskip(NEXT) | instid1(VALU_DEP_3)
	v_ldexp_f64 v[23:24], v[23:24], v31
	v_add_f64_e32 v[25:26], v[27:28], v[25:26]
	s_delay_alu instid0(VALU_DEP_2) | instskip(SKIP_1) | instid1(VALU_DEP_3)
	v_add_f64_e32 v[29:30], 1.0, v[23:24]
	v_add_f64_e32 v[71:72], -1.0, v[23:24]
	v_ldexp_f64 v[25:26], v[25:26], v31
	s_delay_alu instid0(VALU_DEP_3) | instskip(NEXT) | instid1(VALU_DEP_3)
	v_add_f64_e32 v[27:28], -1.0, v[29:30]
	v_add_f64_e32 v[73:74], 1.0, v[71:72]
	s_delay_alu instid0(VALU_DEP_2) | instskip(NEXT) | instid1(VALU_DEP_2)
	v_add_f64_e64 v[27:28], v[23:24], -v[27:28]
	v_add_f64_e64 v[23:24], v[23:24], -v[73:74]
	s_delay_alu instid0(VALU_DEP_2) | instskip(NEXT) | instid1(VALU_DEP_2)
	v_add_f64_e32 v[27:28], v[25:26], v[27:28]
	v_add_f64_e32 v[23:24], v[25:26], v[23:24]
	s_delay_alu instid0(VALU_DEP_2) | instskip(NEXT) | instid1(VALU_DEP_2)
	v_add_f64_e32 v[31:32], v[29:30], v[27:28]
	v_add_f64_e32 v[73:74], v[71:72], v[23:24]
	s_delay_alu instid0(VALU_DEP_2) | instskip(SKIP_1) | instid1(VALU_DEP_2)
	v_rcp_f64_e32 v[69:70], v[31:32]
	v_add_f64_e64 v[29:30], v[31:32], -v[29:30]
	v_add_f64_e64 v[71:72], v[73:74], -v[71:72]
	s_delay_alu instid0(VALU_DEP_2) | instskip(NEXT) | instid1(TRANS32_DEP_1)
	v_add_f64_e64 v[27:28], v[27:28], -v[29:30]
	v_fma_f64 v[75:76], -v[31:32], v[69:70], 1.0
	s_delay_alu instid0(VALU_DEP_3) | instskip(NEXT) | instid1(VALU_DEP_2)
	v_add_f64_e64 v[23:24], v[23:24], -v[71:72]
	v_fma_f64 v[69:70], v[75:76], v[69:70], v[69:70]
	s_delay_alu instid0(VALU_DEP_1) | instskip(NEXT) | instid1(VALU_DEP_1)
	v_fma_f64 v[25:26], -v[31:32], v[69:70], 1.0
	v_fma_f64 v[25:26], v[25:26], v[69:70], v[69:70]
	s_delay_alu instid0(VALU_DEP_1) | instskip(NEXT) | instid1(VALU_DEP_1)
	v_mul_f64_e32 v[69:70], v[73:74], v[25:26]
	v_mul_f64_e32 v[75:76], v[31:32], v[69:70]
	s_delay_alu instid0(VALU_DEP_1) | instskip(NEXT) | instid1(VALU_DEP_1)
	v_fma_f64 v[29:30], v[69:70], v[31:32], -v[75:76]
	v_fma_f64 v[29:30], v[69:70], v[27:28], v[29:30]
	s_delay_alu instid0(VALU_DEP_1) | instskip(NEXT) | instid1(VALU_DEP_1)
	v_add_f64_e32 v[77:78], v[75:76], v[29:30]
	v_add_f64_e64 v[79:80], v[73:74], -v[77:78]
	v_add_f64_e64 v[71:72], v[77:78], -v[75:76]
	s_delay_alu instid0(VALU_DEP_2) | instskip(NEXT) | instid1(VALU_DEP_2)
	v_add_f64_e64 v[73:74], v[73:74], -v[79:80]
	v_add_f64_e64 v[29:30], v[71:72], -v[29:30]
	s_delay_alu instid0(VALU_DEP_2) | instskip(NEXT) | instid1(VALU_DEP_1)
	v_add_f64_e64 v[73:74], v[73:74], -v[77:78]
	v_add_f64_e32 v[23:24], v[23:24], v[73:74]
	s_delay_alu instid0(VALU_DEP_1) | instskip(NEXT) | instid1(VALU_DEP_1)
	v_add_f64_e32 v[23:24], v[29:30], v[23:24]
	v_add_f64_e32 v[29:30], v[79:80], v[23:24]
	s_delay_alu instid0(VALU_DEP_1) | instskip(SKIP_1) | instid1(VALU_DEP_2)
	v_mul_f64_e32 v[71:72], v[25:26], v[29:30]
	v_add_f64_e64 v[77:78], v[79:80], -v[29:30]
	v_mul_f64_e32 v[73:74], v[31:32], v[71:72]
	s_delay_alu instid0(VALU_DEP_2) | instskip(NEXT) | instid1(VALU_DEP_2)
	v_add_f64_e32 v[23:24], v[23:24], v[77:78]
	v_fma_f64 v[31:32], v[71:72], v[31:32], -v[73:74]
	s_delay_alu instid0(VALU_DEP_1) | instskip(NEXT) | instid1(VALU_DEP_1)
	v_fma_f64 v[27:28], v[71:72], v[27:28], v[31:32]
	v_add_f64_e32 v[31:32], v[73:74], v[27:28]
	s_delay_alu instid0(VALU_DEP_1) | instskip(SKIP_1) | instid1(VALU_DEP_2)
	v_add_f64_e64 v[75:76], v[29:30], -v[31:32]
	v_add_f64_e64 v[73:74], v[31:32], -v[73:74]
	v_add_f64_e64 v[29:30], v[29:30], -v[75:76]
	s_delay_alu instid0(VALU_DEP_2) | instskip(NEXT) | instid1(VALU_DEP_2)
	v_add_f64_e64 v[27:28], v[73:74], -v[27:28]
	v_add_f64_e64 v[29:30], v[29:30], -v[31:32]
	s_delay_alu instid0(VALU_DEP_1) | instskip(SKIP_1) | instid1(VALU_DEP_2)
	v_add_f64_e32 v[23:24], v[23:24], v[29:30]
	v_add_f64_e32 v[29:30], v[69:70], v[71:72]
	v_add_f64_e32 v[23:24], v[27:28], v[23:24]
	s_delay_alu instid0(VALU_DEP_2) | instskip(NEXT) | instid1(VALU_DEP_2)
	v_add_f64_e64 v[27:28], v[29:30], -v[69:70]
	v_add_f64_e32 v[23:24], v[75:76], v[23:24]
	s_delay_alu instid0(VALU_DEP_2) | instskip(NEXT) | instid1(VALU_DEP_2)
	v_add_f64_e64 v[27:28], v[71:72], -v[27:28]
	v_mul_f64_e32 v[23:24], v[25:26], v[23:24]
	s_delay_alu instid0(VALU_DEP_1) | instskip(NEXT) | instid1(VALU_DEP_1)
	v_add_f64_e32 v[23:24], v[27:28], v[23:24]
	v_add_f64_e32 v[25:26], v[29:30], v[23:24]
	s_delay_alu instid0(VALU_DEP_1) | instskip(NEXT) | instid1(VALU_DEP_1)
	v_mul_f64_e32 v[27:28], v[25:26], v[25:26]
	v_fma_f64 v[31:32], v[27:28], s[18:19], s[16:17]
	s_mov_b32 s16, 0xd7f4df2e
	s_mov_b32 s17, 0x3fc7474d
	v_mul_f64_e32 v[69:70], v[25:26], v[27:28]
	s_wait_alu 0xfffe
	s_delay_alu instid0(VALU_DEP_2) | instskip(SKIP_3) | instid1(VALU_DEP_1)
	v_fma_f64 v[31:32], v[27:28], v[31:32], s[16:17]
	s_mov_b32 s16, 0x16291751
	s_mov_b32 s17, 0x3fcc71c0
	s_wait_alu 0xfffe
	v_fma_f64 v[31:32], v[27:28], v[31:32], s[16:17]
	s_mov_b32 s16, 0x9b27acf1
	s_mov_b32 s17, 0x3fd24924
	s_wait_alu 0xfffe
	s_delay_alu instid0(VALU_DEP_1) | instskip(SKIP_3) | instid1(VALU_DEP_1)
	v_fma_f64 v[31:32], v[27:28], v[31:32], s[16:17]
	s_mov_b32 s16, 0x998ef7b6
	s_mov_b32 s17, 0x3fd99999
	s_wait_alu 0xfffe
	v_fma_f64 v[31:32], v[27:28], v[31:32], s[16:17]
	s_delay_alu instid0(VALU_DEP_1)
	v_fma_f64 v[27:28], v[27:28], v[31:32], s[8:9]
	v_ldexp_f64 v[31:32], v[25:26], 1
	v_add_f64_e64 v[25:26], v[25:26], -v[29:30]
	v_cmp_nge_f64_e64 s8, -1.0, v[21:22]
	v_cmp_neq_f64_e64 s9, 0x7ff00000, v[21:22]
	v_mul_f64_e32 v[27:28], v[69:70], v[27:28]
	v_cvt_f64_i32_e32 v[69:70], v81
	v_add_f64_e64 v[23:24], v[23:24], -v[25:26]
	s_and_b32 s8, s8, s9
	s_delay_alu instid0(VALU_DEP_3) | instskip(NEXT) | instid1(VALU_DEP_3)
	v_add_f64_e32 v[29:30], v[31:32], v[27:28]
	v_mul_f64_e32 v[71:72], s[10:11], v[69:70]
	s_delay_alu instid0(VALU_DEP_3) | instskip(NEXT) | instid1(VALU_DEP_3)
	v_ldexp_f64 v[23:24], v[23:24], 1
	v_add_f64_e64 v[25:26], v[29:30], -v[31:32]
	s_delay_alu instid0(VALU_DEP_3) | instskip(SKIP_1) | instid1(VALU_DEP_3)
	v_fma_f64 v[31:32], v[69:70], s[10:11], -v[71:72]
	v_cmp_ngt_f64_e64 s10, -1.0, v[21:22]
	v_add_f64_e64 v[25:26], v[27:28], -v[25:26]
	s_delay_alu instid0(VALU_DEP_3) | instskip(NEXT) | instid1(VALU_DEP_2)
	v_fma_f64 v[27:28], v[69:70], s[12:13], v[31:32]
	v_add_f64_e32 v[23:24], v[23:24], v[25:26]
	s_delay_alu instid0(VALU_DEP_2) | instskip(NEXT) | instid1(VALU_DEP_2)
	v_add_f64_e32 v[25:26], v[71:72], v[27:28]
	v_add_f64_e32 v[31:32], v[29:30], v[23:24]
	s_delay_alu instid0(VALU_DEP_2) | instskip(NEXT) | instid1(VALU_DEP_2)
	v_add_f64_e64 v[71:72], v[25:26], -v[71:72]
	v_add_f64_e32 v[69:70], v[25:26], v[31:32]
	v_add_f64_e64 v[29:30], v[31:32], -v[29:30]
	s_delay_alu instid0(VALU_DEP_3) | instskip(NEXT) | instid1(VALU_DEP_3)
	v_add_f64_e64 v[27:28], v[27:28], -v[71:72]
	v_add_f64_e64 v[73:74], v[69:70], -v[25:26]
	s_delay_alu instid0(VALU_DEP_3) | instskip(NEXT) | instid1(VALU_DEP_2)
	v_add_f64_e64 v[23:24], v[23:24], -v[29:30]
	v_add_f64_e64 v[75:76], v[69:70], -v[73:74]
	;; [unrolled: 1-line block ×3, first 2 shown]
	s_delay_alu instid0(VALU_DEP_3) | instskip(NEXT) | instid1(VALU_DEP_3)
	v_add_f64_e32 v[31:32], v[27:28], v[23:24]
	v_add_f64_e64 v[25:26], v[25:26], -v[75:76]
	s_delay_alu instid0(VALU_DEP_1) | instskip(NEXT) | instid1(VALU_DEP_3)
	v_add_f64_e32 v[25:26], v[29:30], v[25:26]
	v_add_f64_e64 v[29:30], v[31:32], -v[27:28]
	s_delay_alu instid0(VALU_DEP_2) | instskip(NEXT) | instid1(VALU_DEP_2)
	v_add_f64_e32 v[25:26], v[31:32], v[25:26]
	v_add_f64_e64 v[31:32], v[31:32], -v[29:30]
	v_add_f64_e64 v[23:24], v[23:24], -v[29:30]
	s_delay_alu instid0(VALU_DEP_3) | instskip(NEXT) | instid1(VALU_DEP_3)
	v_add_f64_e32 v[71:72], v[69:70], v[25:26]
	v_add_f64_e64 v[27:28], v[27:28], -v[31:32]
	s_delay_alu instid0(VALU_DEP_2) | instskip(NEXT) | instid1(VALU_DEP_2)
	v_add_f64_e64 v[29:30], v[71:72], -v[69:70]
	v_add_f64_e32 v[23:24], v[23:24], v[27:28]
	s_delay_alu instid0(VALU_DEP_2) | instskip(NEXT) | instid1(VALU_DEP_1)
	v_add_f64_e64 v[25:26], v[25:26], -v[29:30]
	v_add_f64_e32 v[23:24], v[23:24], v[25:26]
	s_delay_alu instid0(VALU_DEP_1) | instskip(SKIP_1) | instid1(VALU_DEP_1)
	v_add_f64_e32 v[23:24], v[71:72], v[23:24]
	s_wait_alu 0xfffe
	v_cndmask_b32_e64 v23, 0, v23, s8
	v_cmp_neq_f64_e64 s8, -1.0, v[21:22]
	s_delay_alu instid0(VALU_DEP_3) | instskip(SKIP_1) | instid1(VALU_DEP_1)
	v_cndmask_b32_e64 v24, 0x7ff00000, v24, s9
	s_wait_alu 0xf1ff
	v_cndmask_b32_e64 v24, 0x7ff80000, v24, s10
	s_delay_alu instid0(VALU_DEP_1) | instskip(NEXT) | instid1(VALU_DEP_1)
	v_cndmask_b32_e64 v24, 0xfff00000, v24, s8
	v_add_f64_e32 v[69:70], v[19:20], v[23:24]
.LBB6_212:
	s_wait_alu 0xfffe
	s_or_b32 exec_lo, exec_lo, s14
	v_max_num_f64_e32 v[19:20], v[51:52], v[51:52]
	s_delay_alu instid0(VALU_DEP_2) | instskip(SKIP_2) | instid1(VALU_DEP_3)
	v_max_num_f64_e32 v[21:22], v[69:70], v[69:70]
	v_cmp_u_f64_e64 s9, v[69:70], v[69:70]
	v_cmp_u_f64_e64 s8, v[51:52], v[51:52]
	v_min_num_f64_e32 v[23:24], v[21:22], v[19:20]
	v_max_num_f64_e32 v[21:22], v[21:22], v[19:20]
	s_wait_alu 0xf1ff
	s_delay_alu instid0(VALU_DEP_2) | instskip(NEXT) | instid1(VALU_DEP_3)
	v_cndmask_b32_e64 v23, v23, v69, s9
	v_cndmask_b32_e64 v24, v24, v70, s9
	s_delay_alu instid0(VALU_DEP_3) | instskip(NEXT) | instid1(VALU_DEP_4)
	v_cndmask_b32_e64 v22, v22, v70, s9
	v_cndmask_b32_e64 v21, v21, v69, s9
	s_delay_alu instid0(VALU_DEP_4) | instskip(NEXT) | instid1(VALU_DEP_4)
	v_cndmask_b32_e64 v23, v23, v51, s8
	v_cndmask_b32_e64 v24, v24, v52, s8
	s_delay_alu instid0(VALU_DEP_4) | instskip(NEXT) | instid1(VALU_DEP_4)
	v_cndmask_b32_e64 v22, v22, v52, s8
	v_cndmask_b32_e64 v21, v21, v51, s8
	s_delay_alu instid0(VALU_DEP_3) | instskip(NEXT) | instid1(VALU_DEP_2)
	v_cmp_class_f64_e64 s10, v[23:24], 0x1f8
	v_cmp_neq_f64_e64 s9, v[23:24], v[21:22]
	s_or_b32 s9, s9, s10
	s_wait_alu 0xfffe
	s_and_saveexec_b32 s14, s9
	s_cbranch_execz .LBB6_214
; %bb.213:
	v_add_f64_e64 v[23:24], v[23:24], -v[21:22]
	s_mov_b32 s10, 0x652b82fe
	s_mov_b32 s11, 0x3ff71547
	;; [unrolled: 1-line block ×10, first 2 shown]
	s_wait_alu 0xfffe
	s_delay_alu instid0(VALU_DEP_1) | instskip(SKIP_3) | instid1(VALU_DEP_2)
	v_mul_f64_e32 v[25:26], s[10:11], v[23:24]
	s_mov_b32 s10, 0xfca7ab0c
	s_mov_b32 s11, 0x3e928af3
	v_cmp_nlt_f64_e64 s9, 0x40900000, v[23:24]
	v_rndne_f64_e32 v[25:26], v[25:26]
	s_delay_alu instid0(VALU_DEP_1) | instskip(SKIP_2) | instid1(VALU_DEP_2)
	v_fma_f64 v[27:28], v[25:26], s[12:13], v[23:24]
	v_cvt_i32_f64_e32 v31, v[25:26]
	s_mov_b32 s13, 0x3fe62e42
	v_fma_f64 v[27:28], v[25:26], s[16:17], v[27:28]
	s_mov_b32 s17, 0x3c7abc9e
	s_wait_alu 0xfffe
	s_delay_alu instid0(VALU_DEP_1)
	v_fma_f64 v[29:30], v[27:28], s[18:19], s[10:11]
	s_mov_b32 s10, 0x623fde64
	s_mov_b32 s11, 0x3ec71dee
	;; [unrolled: 1-line block ×4, first 2 shown]
	s_wait_alu 0xfffe
	s_delay_alu instid0(VALU_DEP_1) | instskip(SKIP_3) | instid1(VALU_DEP_1)
	v_fma_f64 v[29:30], v[27:28], v[29:30], s[10:11]
	s_mov_b32 s10, 0x7c89e6b0
	s_mov_b32 s11, 0x3efa0199
	s_wait_alu 0xfffe
	v_fma_f64 v[29:30], v[27:28], v[29:30], s[10:11]
	s_mov_b32 s10, 0x14761f6e
	s_mov_b32 s11, 0x3f2a01a0
	s_wait_alu 0xfffe
	s_delay_alu instid0(VALU_DEP_1) | instskip(SKIP_3) | instid1(VALU_DEP_1)
	v_fma_f64 v[29:30], v[27:28], v[29:30], s[10:11]
	s_mov_b32 s10, 0x1852b7b0
	s_mov_b32 s11, 0x3f56c16c
	s_wait_alu 0xfffe
	v_fma_f64 v[29:30], v[27:28], v[29:30], s[10:11]
	s_mov_b32 s10, 0x11122322
	s_mov_b32 s11, 0x3f811111
	;; [unrolled: 9-line block ×3, first 2 shown]
	s_wait_alu 0xfffe
	s_delay_alu instid0(VALU_DEP_1) | instskip(SKIP_3) | instid1(VALU_DEP_1)
	v_fma_f64 v[29:30], v[27:28], v[29:30], s[10:11]
	s_mov_b32 s10, 11
	s_mov_b32 s11, 0x3fe00000
	s_wait_alu 0xfffe
	v_fma_f64 v[29:30], v[27:28], v[29:30], s[10:11]
	v_cmp_ngt_f64_e64 s10, 0xc090cc00, v[23:24]
	s_mov_b32 s11, 0x3fe55555
	v_fma_f64 v[29:30], v[27:28], v[29:30], 1.0
	s_delay_alu instid0(VALU_DEP_1) | instskip(NEXT) | instid1(VALU_DEP_1)
	v_fma_f64 v[25:26], v[27:28], v[29:30], 1.0
	v_ldexp_f64 v[25:26], v[25:26], v31
	s_wait_alu 0xf1ff
	s_delay_alu instid0(VALU_DEP_1) | instskip(SKIP_2) | instid1(VALU_DEP_2)
	v_cndmask_b32_e64 v26, 0x7ff00000, v26, s9
	s_and_b32 s9, s10, s9
	s_wait_alu 0xfffe
	v_cndmask_b32_e64 v23, 0, v25, s9
	s_delay_alu instid0(VALU_DEP_2) | instskip(SKIP_1) | instid1(VALU_DEP_1)
	v_cndmask_b32_e64 v24, 0, v26, s10
	s_mov_b32 s10, 0x55555555
	v_add_f64_e32 v[25:26], 1.0, v[23:24]
	s_delay_alu instid0(VALU_DEP_1) | instskip(SKIP_3) | instid1(VALU_DEP_3)
	v_frexp_mant_f64_e32 v[27:28], v[25:26]
	v_frexp_exp_i32_f64_e32 v31, v[25:26]
	v_add_f64_e32 v[29:30], -1.0, v[25:26]
	s_wait_alu 0xfffe
	v_cmp_gt_f64_e64 s9, s[10:11], v[27:28]
	s_mov_b32 s10, 0x55555780
	v_add_f64_e64 v[27:28], v[29:30], -v[25:26]
	v_add_f64_e64 v[29:30], v[23:24], -v[29:30]
	s_wait_alu 0xf1ff
	v_subrev_co_ci_u32_e64 v101, null, 0, v31, s9
	s_delay_alu instid0(VALU_DEP_3) | instskip(SKIP_1) | instid1(VALU_DEP_3)
	v_add_f64_e32 v[27:28], 1.0, v[27:28]
	v_cmp_nge_f64_e64 s9, -1.0, v[23:24]
	v_sub_nc_u32_e32 v69, 0, v101
	s_delay_alu instid0(VALU_DEP_1) | instskip(NEXT) | instid1(VALU_DEP_4)
	v_ldexp_f64 v[25:26], v[25:26], v69
	v_add_f64_e32 v[27:28], v[29:30], v[27:28]
	s_delay_alu instid0(VALU_DEP_2) | instskip(SKIP_1) | instid1(VALU_DEP_3)
	v_add_f64_e32 v[31:32], 1.0, v[25:26]
	v_add_f64_e32 v[73:74], -1.0, v[25:26]
	v_ldexp_f64 v[27:28], v[27:28], v69
	s_delay_alu instid0(VALU_DEP_3) | instskip(NEXT) | instid1(VALU_DEP_3)
	v_add_f64_e32 v[29:30], -1.0, v[31:32]
	v_add_f64_e32 v[75:76], 1.0, v[73:74]
	s_delay_alu instid0(VALU_DEP_2) | instskip(NEXT) | instid1(VALU_DEP_2)
	v_add_f64_e64 v[29:30], v[25:26], -v[29:30]
	v_add_f64_e64 v[25:26], v[25:26], -v[75:76]
	s_delay_alu instid0(VALU_DEP_2) | instskip(NEXT) | instid1(VALU_DEP_2)
	v_add_f64_e32 v[29:30], v[27:28], v[29:30]
	v_add_f64_e32 v[25:26], v[27:28], v[25:26]
	s_delay_alu instid0(VALU_DEP_2) | instskip(NEXT) | instid1(VALU_DEP_2)
	v_add_f64_e32 v[69:70], v[31:32], v[29:30]
	v_add_f64_e32 v[75:76], v[73:74], v[25:26]
	s_delay_alu instid0(VALU_DEP_2) | instskip(SKIP_1) | instid1(VALU_DEP_2)
	v_rcp_f64_e32 v[71:72], v[69:70]
	v_add_f64_e64 v[31:32], v[69:70], -v[31:32]
	v_add_f64_e64 v[73:74], v[75:76], -v[73:74]
	s_delay_alu instid0(VALU_DEP_2) | instskip(NEXT) | instid1(TRANS32_DEP_1)
	v_add_f64_e64 v[29:30], v[29:30], -v[31:32]
	v_fma_f64 v[77:78], -v[69:70], v[71:72], 1.0
	s_delay_alu instid0(VALU_DEP_3) | instskip(NEXT) | instid1(VALU_DEP_2)
	v_add_f64_e64 v[25:26], v[25:26], -v[73:74]
	v_fma_f64 v[71:72], v[77:78], v[71:72], v[71:72]
	s_delay_alu instid0(VALU_DEP_1) | instskip(NEXT) | instid1(VALU_DEP_1)
	v_fma_f64 v[27:28], -v[69:70], v[71:72], 1.0
	v_fma_f64 v[27:28], v[27:28], v[71:72], v[71:72]
	s_delay_alu instid0(VALU_DEP_1) | instskip(NEXT) | instid1(VALU_DEP_1)
	v_mul_f64_e32 v[71:72], v[75:76], v[27:28]
	v_mul_f64_e32 v[77:78], v[69:70], v[71:72]
	s_delay_alu instid0(VALU_DEP_1) | instskip(NEXT) | instid1(VALU_DEP_1)
	v_fma_f64 v[31:32], v[71:72], v[69:70], -v[77:78]
	v_fma_f64 v[31:32], v[71:72], v[29:30], v[31:32]
	s_delay_alu instid0(VALU_DEP_1) | instskip(NEXT) | instid1(VALU_DEP_1)
	v_add_f64_e32 v[79:80], v[77:78], v[31:32]
	v_add_f64_e64 v[81:82], v[75:76], -v[79:80]
	v_add_f64_e64 v[73:74], v[79:80], -v[77:78]
	s_delay_alu instid0(VALU_DEP_2) | instskip(NEXT) | instid1(VALU_DEP_2)
	v_add_f64_e64 v[75:76], v[75:76], -v[81:82]
	v_add_f64_e64 v[31:32], v[73:74], -v[31:32]
	s_delay_alu instid0(VALU_DEP_2) | instskip(NEXT) | instid1(VALU_DEP_1)
	v_add_f64_e64 v[75:76], v[75:76], -v[79:80]
	v_add_f64_e32 v[25:26], v[25:26], v[75:76]
	s_delay_alu instid0(VALU_DEP_1) | instskip(NEXT) | instid1(VALU_DEP_1)
	v_add_f64_e32 v[25:26], v[31:32], v[25:26]
	v_add_f64_e32 v[31:32], v[81:82], v[25:26]
	s_delay_alu instid0(VALU_DEP_1) | instskip(SKIP_1) | instid1(VALU_DEP_2)
	v_mul_f64_e32 v[73:74], v[27:28], v[31:32]
	v_add_f64_e64 v[79:80], v[81:82], -v[31:32]
	v_mul_f64_e32 v[75:76], v[69:70], v[73:74]
	s_delay_alu instid0(VALU_DEP_2) | instskip(NEXT) | instid1(VALU_DEP_2)
	v_add_f64_e32 v[25:26], v[25:26], v[79:80]
	v_fma_f64 v[69:70], v[73:74], v[69:70], -v[75:76]
	s_delay_alu instid0(VALU_DEP_1) | instskip(NEXT) | instid1(VALU_DEP_1)
	v_fma_f64 v[29:30], v[73:74], v[29:30], v[69:70]
	v_add_f64_e32 v[69:70], v[75:76], v[29:30]
	s_delay_alu instid0(VALU_DEP_1) | instskip(SKIP_1) | instid1(VALU_DEP_2)
	v_add_f64_e64 v[77:78], v[31:32], -v[69:70]
	v_add_f64_e64 v[75:76], v[69:70], -v[75:76]
	v_add_f64_e64 v[31:32], v[31:32], -v[77:78]
	s_delay_alu instid0(VALU_DEP_2) | instskip(NEXT) | instid1(VALU_DEP_2)
	v_add_f64_e64 v[29:30], v[75:76], -v[29:30]
	v_add_f64_e64 v[31:32], v[31:32], -v[69:70]
	s_delay_alu instid0(VALU_DEP_1) | instskip(SKIP_1) | instid1(VALU_DEP_2)
	v_add_f64_e32 v[25:26], v[25:26], v[31:32]
	v_add_f64_e32 v[31:32], v[71:72], v[73:74]
	v_add_f64_e32 v[25:26], v[29:30], v[25:26]
	s_delay_alu instid0(VALU_DEP_2) | instskip(NEXT) | instid1(VALU_DEP_2)
	v_add_f64_e64 v[29:30], v[31:32], -v[71:72]
	v_add_f64_e32 v[25:26], v[77:78], v[25:26]
	s_delay_alu instid0(VALU_DEP_2) | instskip(NEXT) | instid1(VALU_DEP_2)
	v_add_f64_e64 v[29:30], v[73:74], -v[29:30]
	v_mul_f64_e32 v[25:26], v[27:28], v[25:26]
	s_delay_alu instid0(VALU_DEP_1) | instskip(NEXT) | instid1(VALU_DEP_1)
	v_add_f64_e32 v[25:26], v[29:30], v[25:26]
	v_add_f64_e32 v[27:28], v[31:32], v[25:26]
	s_delay_alu instid0(VALU_DEP_1) | instskip(NEXT) | instid1(VALU_DEP_1)
	v_mul_f64_e32 v[29:30], v[27:28], v[27:28]
	v_fma_f64 v[69:70], v[29:30], s[20:21], s[18:19]
	s_mov_b32 s18, 0xd7f4df2e
	s_mov_b32 s19, 0x3fc7474d
	v_mul_f64_e32 v[71:72], v[27:28], v[29:30]
	s_wait_alu 0xfffe
	s_delay_alu instid0(VALU_DEP_2) | instskip(SKIP_3) | instid1(VALU_DEP_1)
	v_fma_f64 v[69:70], v[29:30], v[69:70], s[18:19]
	s_mov_b32 s18, 0x16291751
	s_mov_b32 s19, 0x3fcc71c0
	s_wait_alu 0xfffe
	v_fma_f64 v[69:70], v[29:30], v[69:70], s[18:19]
	s_mov_b32 s18, 0x9b27acf1
	s_mov_b32 s19, 0x3fd24924
	s_wait_alu 0xfffe
	s_delay_alu instid0(VALU_DEP_1) | instskip(SKIP_3) | instid1(VALU_DEP_1)
	v_fma_f64 v[69:70], v[29:30], v[69:70], s[18:19]
	s_mov_b32 s18, 0x998ef7b6
	s_mov_b32 s19, 0x3fd99999
	s_wait_alu 0xfffe
	v_fma_f64 v[69:70], v[29:30], v[69:70], s[18:19]
	s_delay_alu instid0(VALU_DEP_1)
	v_fma_f64 v[29:30], v[29:30], v[69:70], s[10:11]
	v_ldexp_f64 v[69:70], v[27:28], 1
	v_add_f64_e64 v[27:28], v[27:28], -v[31:32]
	v_cmp_neq_f64_e64 s10, 0x7ff00000, v[23:24]
	v_cmp_ngt_f64_e64 s11, -1.0, v[23:24]
	v_mul_f64_e32 v[29:30], v[71:72], v[29:30]
	v_cvt_f64_i32_e32 v[71:72], v101
	v_add_f64_e64 v[25:26], v[25:26], -v[27:28]
	s_and_b32 s9, s9, s10
	s_delay_alu instid0(VALU_DEP_3) | instskip(NEXT) | instid1(VALU_DEP_3)
	v_add_f64_e32 v[31:32], v[69:70], v[29:30]
	v_mul_f64_e32 v[73:74], s[12:13], v[71:72]
	s_delay_alu instid0(VALU_DEP_3) | instskip(NEXT) | instid1(VALU_DEP_3)
	v_ldexp_f64 v[25:26], v[25:26], 1
	v_add_f64_e64 v[27:28], v[31:32], -v[69:70]
	s_delay_alu instid0(VALU_DEP_3) | instskip(NEXT) | instid1(VALU_DEP_2)
	v_fma_f64 v[69:70], v[71:72], s[12:13], -v[73:74]
	v_add_f64_e64 v[27:28], v[29:30], -v[27:28]
	s_delay_alu instid0(VALU_DEP_2) | instskip(NEXT) | instid1(VALU_DEP_2)
	v_fma_f64 v[29:30], v[71:72], s[16:17], v[69:70]
	v_add_f64_e32 v[25:26], v[25:26], v[27:28]
	s_delay_alu instid0(VALU_DEP_2) | instskip(NEXT) | instid1(VALU_DEP_2)
	v_add_f64_e32 v[27:28], v[73:74], v[29:30]
	v_add_f64_e32 v[69:70], v[31:32], v[25:26]
	s_delay_alu instid0(VALU_DEP_2) | instskip(NEXT) | instid1(VALU_DEP_2)
	v_add_f64_e64 v[73:74], v[27:28], -v[73:74]
	v_add_f64_e32 v[71:72], v[27:28], v[69:70]
	v_add_f64_e64 v[31:32], v[69:70], -v[31:32]
	s_delay_alu instid0(VALU_DEP_3) | instskip(NEXT) | instid1(VALU_DEP_3)
	v_add_f64_e64 v[29:30], v[29:30], -v[73:74]
	v_add_f64_e64 v[75:76], v[71:72], -v[27:28]
	s_delay_alu instid0(VALU_DEP_3) | instskip(NEXT) | instid1(VALU_DEP_2)
	v_add_f64_e64 v[25:26], v[25:26], -v[31:32]
	v_add_f64_e64 v[77:78], v[71:72], -v[75:76]
	;; [unrolled: 1-line block ×3, first 2 shown]
	s_delay_alu instid0(VALU_DEP_3) | instskip(NEXT) | instid1(VALU_DEP_3)
	v_add_f64_e32 v[69:70], v[29:30], v[25:26]
	v_add_f64_e64 v[27:28], v[27:28], -v[77:78]
	s_delay_alu instid0(VALU_DEP_1) | instskip(NEXT) | instid1(VALU_DEP_3)
	v_add_f64_e32 v[27:28], v[31:32], v[27:28]
	v_add_f64_e64 v[31:32], v[69:70], -v[29:30]
	s_delay_alu instid0(VALU_DEP_2) | instskip(NEXT) | instid1(VALU_DEP_2)
	v_add_f64_e32 v[27:28], v[69:70], v[27:28]
	v_add_f64_e64 v[69:70], v[69:70], -v[31:32]
	v_add_f64_e64 v[25:26], v[25:26], -v[31:32]
	s_delay_alu instid0(VALU_DEP_3) | instskip(NEXT) | instid1(VALU_DEP_3)
	v_add_f64_e32 v[73:74], v[71:72], v[27:28]
	v_add_f64_e64 v[29:30], v[29:30], -v[69:70]
	s_delay_alu instid0(VALU_DEP_2) | instskip(NEXT) | instid1(VALU_DEP_2)
	v_add_f64_e64 v[31:32], v[73:74], -v[71:72]
	v_add_f64_e32 v[25:26], v[25:26], v[29:30]
	s_delay_alu instid0(VALU_DEP_2) | instskip(NEXT) | instid1(VALU_DEP_1)
	v_add_f64_e64 v[27:28], v[27:28], -v[31:32]
	v_add_f64_e32 v[25:26], v[25:26], v[27:28]
	s_delay_alu instid0(VALU_DEP_1) | instskip(SKIP_1) | instid1(VALU_DEP_1)
	v_add_f64_e32 v[25:26], v[73:74], v[25:26]
	s_wait_alu 0xfffe
	v_cndmask_b32_e64 v25, 0, v25, s9
	v_cmp_neq_f64_e64 s9, -1.0, v[23:24]
	s_delay_alu instid0(VALU_DEP_3) | instskip(NEXT) | instid1(VALU_DEP_1)
	v_cndmask_b32_e64 v26, 0x7ff00000, v26, s10
	v_cndmask_b32_e64 v26, 0x7ff80000, v26, s11
	s_wait_alu 0xf1ff
	s_delay_alu instid0(VALU_DEP_1) | instskip(NEXT) | instid1(VALU_DEP_1)
	v_cndmask_b32_e64 v26, 0xfff00000, v26, s9
	v_add_f64_e32 v[69:70], v[21:22], v[25:26]
.LBB6_214:
	s_wait_alu 0xfffe
	s_or_b32 exec_lo, exec_lo, s14
	v_max_num_f64_e32 v[21:22], v[45:46], v[45:46]
	s_delay_alu instid0(VALU_DEP_2) | instskip(SKIP_2) | instid1(VALU_DEP_3)
	v_max_num_f64_e32 v[23:24], v[69:70], v[69:70]
	v_cmp_u_f64_e64 s10, v[69:70], v[69:70]
	v_cmp_u_f64_e64 s9, v[45:46], v[45:46]
	v_min_num_f64_e32 v[25:26], v[23:24], v[21:22]
	v_max_num_f64_e32 v[23:24], v[23:24], v[21:22]
	s_wait_alu 0xf1ff
	s_delay_alu instid0(VALU_DEP_2) | instskip(NEXT) | instid1(VALU_DEP_3)
	v_cndmask_b32_e64 v25, v25, v69, s10
	v_cndmask_b32_e64 v26, v26, v70, s10
	s_delay_alu instid0(VALU_DEP_3) | instskip(NEXT) | instid1(VALU_DEP_4)
	v_cndmask_b32_e64 v24, v24, v70, s10
	v_cndmask_b32_e64 v23, v23, v69, s10
	s_delay_alu instid0(VALU_DEP_4) | instskip(NEXT) | instid1(VALU_DEP_4)
	v_cndmask_b32_e64 v25, v25, v45, s9
	v_cndmask_b32_e64 v26, v26, v46, s9
	s_delay_alu instid0(VALU_DEP_4) | instskip(NEXT) | instid1(VALU_DEP_4)
	v_cndmask_b32_e64 v24, v24, v46, s9
	v_cndmask_b32_e64 v23, v23, v45, s9
	s_delay_alu instid0(VALU_DEP_3) | instskip(NEXT) | instid1(VALU_DEP_2)
	v_cmp_class_f64_e64 s11, v[25:26], 0x1f8
	v_cmp_neq_f64_e64 s10, v[25:26], v[23:24]
	s_or_b32 s10, s10, s11
	s_wait_alu 0xfffe
	s_and_saveexec_b32 s14, s10
	s_cbranch_execz .LBB6_216
; %bb.215:
	v_add_f64_e64 v[25:26], v[25:26], -v[23:24]
	s_mov_b32 s10, 0x652b82fe
	s_mov_b32 s11, 0x3ff71547
	;; [unrolled: 1-line block ×10, first 2 shown]
	s_wait_alu 0xfffe
	s_delay_alu instid0(VALU_DEP_1) | instskip(SKIP_2) | instid1(VALU_DEP_1)
	v_mul_f64_e32 v[27:28], s[10:11], v[25:26]
	s_mov_b32 s10, 0xfca7ab0c
	s_mov_b32 s11, 0x3e928af3
	v_rndne_f64_e32 v[27:28], v[27:28]
	s_delay_alu instid0(VALU_DEP_1) | instskip(SKIP_2) | instid1(VALU_DEP_2)
	v_fma_f64 v[29:30], v[27:28], s[12:13], v[25:26]
	v_cvt_i32_f64_e32 v69, v[27:28]
	s_mov_b32 s13, 0x3fe62e42
	v_fma_f64 v[29:30], v[27:28], s[16:17], v[29:30]
	s_mov_b32 s17, 0x3c7abc9e
	s_wait_alu 0xfffe
	s_delay_alu instid0(VALU_DEP_1)
	v_fma_f64 v[31:32], v[29:30], s[18:19], s[10:11]
	s_mov_b32 s10, 0x623fde64
	s_mov_b32 s11, 0x3ec71dee
	;; [unrolled: 1-line block ×4, first 2 shown]
	s_wait_alu 0xfffe
	s_delay_alu instid0(VALU_DEP_1) | instskip(SKIP_3) | instid1(VALU_DEP_1)
	v_fma_f64 v[31:32], v[29:30], v[31:32], s[10:11]
	s_mov_b32 s10, 0x7c89e6b0
	s_mov_b32 s11, 0x3efa0199
	s_wait_alu 0xfffe
	v_fma_f64 v[31:32], v[29:30], v[31:32], s[10:11]
	s_mov_b32 s10, 0x14761f6e
	s_mov_b32 s11, 0x3f2a01a0
	s_wait_alu 0xfffe
	s_delay_alu instid0(VALU_DEP_1) | instskip(SKIP_3) | instid1(VALU_DEP_1)
	v_fma_f64 v[31:32], v[29:30], v[31:32], s[10:11]
	s_mov_b32 s10, 0x1852b7b0
	s_mov_b32 s11, 0x3f56c16c
	s_wait_alu 0xfffe
	v_fma_f64 v[31:32], v[29:30], v[31:32], s[10:11]
	s_mov_b32 s10, 0x11122322
	s_mov_b32 s11, 0x3f811111
	;; [unrolled: 9-line block ×3, first 2 shown]
	s_wait_alu 0xfffe
	s_delay_alu instid0(VALU_DEP_1) | instskip(SKIP_3) | instid1(VALU_DEP_1)
	v_fma_f64 v[31:32], v[29:30], v[31:32], s[10:11]
	s_mov_b32 s10, 11
	s_mov_b32 s11, 0x3fe00000
	s_wait_alu 0xfffe
	v_fma_f64 v[31:32], v[29:30], v[31:32], s[10:11]
	v_cmp_nlt_f64_e64 s10, 0x40900000, v[25:26]
	v_cmp_ngt_f64_e64 s11, 0xc090cc00, v[25:26]
	s_delay_alu instid0(VALU_DEP_3) | instskip(NEXT) | instid1(VALU_DEP_1)
	v_fma_f64 v[31:32], v[29:30], v[31:32], 1.0
	v_fma_f64 v[27:28], v[29:30], v[31:32], 1.0
	s_delay_alu instid0(VALU_DEP_1) | instskip(SKIP_1) | instid1(VALU_DEP_1)
	v_ldexp_f64 v[27:28], v[27:28], v69
	s_wait_alu 0xf1ff
	v_cndmask_b32_e64 v28, 0x7ff00000, v28, s10
	s_and_b32 s10, s11, s10
	s_wait_alu 0xfffe
	s_delay_alu instid0(VALU_DEP_2) | instskip(SKIP_3) | instid1(VALU_DEP_1)
	v_cndmask_b32_e64 v25, 0, v27, s10
	s_mov_b32 s10, 0x55555555
	v_cndmask_b32_e64 v26, 0, v28, s11
	s_mov_b32 s11, 0x3fe55555
	v_add_f64_e32 v[27:28], 1.0, v[25:26]
	s_delay_alu instid0(VALU_DEP_1) | instskip(SKIP_3) | instid1(VALU_DEP_3)
	v_frexp_mant_f64_e32 v[29:30], v[27:28]
	v_frexp_exp_i32_f64_e32 v69, v[27:28]
	v_add_f64_e32 v[31:32], -1.0, v[27:28]
	s_wait_alu 0xfffe
	v_cmp_gt_f64_e64 s10, s[10:11], v[29:30]
	s_delay_alu instid0(VALU_DEP_2) | instskip(SKIP_2) | instid1(VALU_DEP_3)
	v_add_f64_e64 v[29:30], v[31:32], -v[27:28]
	v_add_f64_e64 v[31:32], v[25:26], -v[31:32]
	s_wait_alu 0xf1ff
	v_subrev_co_ci_u32_e64 v103, null, 0, v69, s10
	s_delay_alu instid0(VALU_DEP_3) | instskip(SKIP_1) | instid1(VALU_DEP_2)
	v_add_f64_e32 v[29:30], 1.0, v[29:30]
	s_mov_b32 s10, 0x55555780
	v_sub_nc_u32_e32 v71, 0, v103
	s_delay_alu instid0(VALU_DEP_1) | instskip(NEXT) | instid1(VALU_DEP_3)
	v_ldexp_f64 v[27:28], v[27:28], v71
	v_add_f64_e32 v[29:30], v[31:32], v[29:30]
	s_delay_alu instid0(VALU_DEP_2) | instskip(SKIP_1) | instid1(VALU_DEP_3)
	v_add_f64_e32 v[69:70], 1.0, v[27:28]
	v_add_f64_e32 v[75:76], -1.0, v[27:28]
	v_ldexp_f64 v[29:30], v[29:30], v71
	s_delay_alu instid0(VALU_DEP_3) | instskip(NEXT) | instid1(VALU_DEP_3)
	v_add_f64_e32 v[31:32], -1.0, v[69:70]
	v_add_f64_e32 v[77:78], 1.0, v[75:76]
	s_delay_alu instid0(VALU_DEP_2) | instskip(NEXT) | instid1(VALU_DEP_2)
	v_add_f64_e64 v[31:32], v[27:28], -v[31:32]
	v_add_f64_e64 v[27:28], v[27:28], -v[77:78]
	s_delay_alu instid0(VALU_DEP_2) | instskip(NEXT) | instid1(VALU_DEP_2)
	v_add_f64_e32 v[31:32], v[29:30], v[31:32]
	v_add_f64_e32 v[27:28], v[29:30], v[27:28]
	s_delay_alu instid0(VALU_DEP_2) | instskip(NEXT) | instid1(VALU_DEP_2)
	v_add_f64_e32 v[71:72], v[69:70], v[31:32]
	v_add_f64_e32 v[77:78], v[75:76], v[27:28]
	s_delay_alu instid0(VALU_DEP_2) | instskip(SKIP_1) | instid1(VALU_DEP_2)
	v_rcp_f64_e32 v[73:74], v[71:72]
	v_add_f64_e64 v[69:70], v[71:72], -v[69:70]
	v_add_f64_e64 v[75:76], v[77:78], -v[75:76]
	s_delay_alu instid0(VALU_DEP_2) | instskip(NEXT) | instid1(TRANS32_DEP_1)
	v_add_f64_e64 v[31:32], v[31:32], -v[69:70]
	v_fma_f64 v[79:80], -v[71:72], v[73:74], 1.0
	s_delay_alu instid0(VALU_DEP_3) | instskip(NEXT) | instid1(VALU_DEP_2)
	v_add_f64_e64 v[27:28], v[27:28], -v[75:76]
	v_fma_f64 v[73:74], v[79:80], v[73:74], v[73:74]
	s_delay_alu instid0(VALU_DEP_1) | instskip(NEXT) | instid1(VALU_DEP_1)
	v_fma_f64 v[29:30], -v[71:72], v[73:74], 1.0
	v_fma_f64 v[29:30], v[29:30], v[73:74], v[73:74]
	s_delay_alu instid0(VALU_DEP_1) | instskip(NEXT) | instid1(VALU_DEP_1)
	v_mul_f64_e32 v[73:74], v[77:78], v[29:30]
	v_mul_f64_e32 v[79:80], v[71:72], v[73:74]
	s_delay_alu instid0(VALU_DEP_1) | instskip(NEXT) | instid1(VALU_DEP_1)
	v_fma_f64 v[69:70], v[73:74], v[71:72], -v[79:80]
	v_fma_f64 v[69:70], v[73:74], v[31:32], v[69:70]
	s_delay_alu instid0(VALU_DEP_1) | instskip(NEXT) | instid1(VALU_DEP_1)
	v_add_f64_e32 v[81:82], v[79:80], v[69:70]
	v_add_f64_e64 v[101:102], v[77:78], -v[81:82]
	v_add_f64_e64 v[75:76], v[81:82], -v[79:80]
	s_delay_alu instid0(VALU_DEP_2) | instskip(NEXT) | instid1(VALU_DEP_2)
	v_add_f64_e64 v[77:78], v[77:78], -v[101:102]
	v_add_f64_e64 v[69:70], v[75:76], -v[69:70]
	s_delay_alu instid0(VALU_DEP_2) | instskip(NEXT) | instid1(VALU_DEP_1)
	v_add_f64_e64 v[77:78], v[77:78], -v[81:82]
	v_add_f64_e32 v[27:28], v[27:28], v[77:78]
	s_delay_alu instid0(VALU_DEP_1) | instskip(NEXT) | instid1(VALU_DEP_1)
	v_add_f64_e32 v[27:28], v[69:70], v[27:28]
	v_add_f64_e32 v[69:70], v[101:102], v[27:28]
	s_delay_alu instid0(VALU_DEP_1) | instskip(SKIP_1) | instid1(VALU_DEP_2)
	v_mul_f64_e32 v[75:76], v[29:30], v[69:70]
	v_add_f64_e64 v[81:82], v[101:102], -v[69:70]
	v_mul_f64_e32 v[77:78], v[71:72], v[75:76]
	s_delay_alu instid0(VALU_DEP_2) | instskip(NEXT) | instid1(VALU_DEP_2)
	v_add_f64_e32 v[27:28], v[27:28], v[81:82]
	v_fma_f64 v[71:72], v[75:76], v[71:72], -v[77:78]
	s_delay_alu instid0(VALU_DEP_1) | instskip(NEXT) | instid1(VALU_DEP_1)
	v_fma_f64 v[31:32], v[75:76], v[31:32], v[71:72]
	v_add_f64_e32 v[71:72], v[77:78], v[31:32]
	s_delay_alu instid0(VALU_DEP_1) | instskip(SKIP_1) | instid1(VALU_DEP_2)
	v_add_f64_e64 v[79:80], v[69:70], -v[71:72]
	v_add_f64_e64 v[77:78], v[71:72], -v[77:78]
	;; [unrolled: 1-line block ×3, first 2 shown]
	s_delay_alu instid0(VALU_DEP_2) | instskip(NEXT) | instid1(VALU_DEP_2)
	v_add_f64_e64 v[31:32], v[77:78], -v[31:32]
	v_add_f64_e64 v[69:70], v[69:70], -v[71:72]
	s_delay_alu instid0(VALU_DEP_1) | instskip(SKIP_1) | instid1(VALU_DEP_2)
	v_add_f64_e32 v[27:28], v[27:28], v[69:70]
	v_add_f64_e32 v[69:70], v[73:74], v[75:76]
	;; [unrolled: 1-line block ×3, first 2 shown]
	s_delay_alu instid0(VALU_DEP_2) | instskip(NEXT) | instid1(VALU_DEP_2)
	v_add_f64_e64 v[31:32], v[69:70], -v[73:74]
	v_add_f64_e32 v[27:28], v[79:80], v[27:28]
	s_delay_alu instid0(VALU_DEP_2) | instskip(NEXT) | instid1(VALU_DEP_2)
	v_add_f64_e64 v[31:32], v[75:76], -v[31:32]
	v_mul_f64_e32 v[27:28], v[29:30], v[27:28]
	s_delay_alu instid0(VALU_DEP_1) | instskip(NEXT) | instid1(VALU_DEP_1)
	v_add_f64_e32 v[27:28], v[31:32], v[27:28]
	v_add_f64_e32 v[29:30], v[69:70], v[27:28]
	s_delay_alu instid0(VALU_DEP_1) | instskip(NEXT) | instid1(VALU_DEP_1)
	v_mul_f64_e32 v[31:32], v[29:30], v[29:30]
	v_fma_f64 v[71:72], v[31:32], s[20:21], s[18:19]
	s_mov_b32 s18, 0xd7f4df2e
	s_mov_b32 s19, 0x3fc7474d
	v_mul_f64_e32 v[73:74], v[29:30], v[31:32]
	s_wait_alu 0xfffe
	s_delay_alu instid0(VALU_DEP_2) | instskip(SKIP_3) | instid1(VALU_DEP_1)
	v_fma_f64 v[71:72], v[31:32], v[71:72], s[18:19]
	s_mov_b32 s18, 0x16291751
	s_mov_b32 s19, 0x3fcc71c0
	s_wait_alu 0xfffe
	v_fma_f64 v[71:72], v[31:32], v[71:72], s[18:19]
	s_mov_b32 s18, 0x9b27acf1
	s_mov_b32 s19, 0x3fd24924
	s_wait_alu 0xfffe
	s_delay_alu instid0(VALU_DEP_1) | instskip(SKIP_3) | instid1(VALU_DEP_1)
	v_fma_f64 v[71:72], v[31:32], v[71:72], s[18:19]
	s_mov_b32 s18, 0x998ef7b6
	s_mov_b32 s19, 0x3fd99999
	s_wait_alu 0xfffe
	v_fma_f64 v[71:72], v[31:32], v[71:72], s[18:19]
	s_delay_alu instid0(VALU_DEP_1)
	v_fma_f64 v[31:32], v[31:32], v[71:72], s[10:11]
	v_ldexp_f64 v[71:72], v[29:30], 1
	v_add_f64_e64 v[29:30], v[29:30], -v[69:70]
	v_cmp_nge_f64_e64 s10, -1.0, v[25:26]
	v_cmp_neq_f64_e64 s11, 0x7ff00000, v[25:26]
	v_mul_f64_e32 v[31:32], v[73:74], v[31:32]
	v_cvt_f64_i32_e32 v[73:74], v103
	v_add_f64_e64 v[27:28], v[27:28], -v[29:30]
	s_and_b32 s10, s10, s11
	s_delay_alu instid0(VALU_DEP_3) | instskip(NEXT) | instid1(VALU_DEP_3)
	v_add_f64_e32 v[69:70], v[71:72], v[31:32]
	v_mul_f64_e32 v[75:76], s[12:13], v[73:74]
	s_delay_alu instid0(VALU_DEP_3) | instskip(NEXT) | instid1(VALU_DEP_3)
	v_ldexp_f64 v[27:28], v[27:28], 1
	v_add_f64_e64 v[29:30], v[69:70], -v[71:72]
	s_delay_alu instid0(VALU_DEP_3) | instskip(SKIP_1) | instid1(VALU_DEP_3)
	v_fma_f64 v[71:72], v[73:74], s[12:13], -v[75:76]
	v_cmp_ngt_f64_e64 s12, -1.0, v[25:26]
	v_add_f64_e64 v[29:30], v[31:32], -v[29:30]
	s_delay_alu instid0(VALU_DEP_3) | instskip(NEXT) | instid1(VALU_DEP_2)
	v_fma_f64 v[31:32], v[73:74], s[16:17], v[71:72]
	v_add_f64_e32 v[27:28], v[27:28], v[29:30]
	s_delay_alu instid0(VALU_DEP_2) | instskip(NEXT) | instid1(VALU_DEP_2)
	v_add_f64_e32 v[29:30], v[75:76], v[31:32]
	v_add_f64_e32 v[71:72], v[69:70], v[27:28]
	s_delay_alu instid0(VALU_DEP_2) | instskip(NEXT) | instid1(VALU_DEP_2)
	v_add_f64_e64 v[75:76], v[29:30], -v[75:76]
	v_add_f64_e32 v[73:74], v[29:30], v[71:72]
	v_add_f64_e64 v[69:70], v[71:72], -v[69:70]
	s_delay_alu instid0(VALU_DEP_3) | instskip(NEXT) | instid1(VALU_DEP_3)
	v_add_f64_e64 v[31:32], v[31:32], -v[75:76]
	v_add_f64_e64 v[77:78], v[73:74], -v[29:30]
	s_delay_alu instid0(VALU_DEP_3) | instskip(NEXT) | instid1(VALU_DEP_2)
	v_add_f64_e64 v[27:28], v[27:28], -v[69:70]
	v_add_f64_e64 v[79:80], v[73:74], -v[77:78]
	;; [unrolled: 1-line block ×3, first 2 shown]
	s_delay_alu instid0(VALU_DEP_3) | instskip(NEXT) | instid1(VALU_DEP_3)
	v_add_f64_e32 v[71:72], v[31:32], v[27:28]
	v_add_f64_e64 v[29:30], v[29:30], -v[79:80]
	s_delay_alu instid0(VALU_DEP_1) | instskip(NEXT) | instid1(VALU_DEP_3)
	v_add_f64_e32 v[29:30], v[69:70], v[29:30]
	v_add_f64_e64 v[69:70], v[71:72], -v[31:32]
	s_delay_alu instid0(VALU_DEP_2) | instskip(NEXT) | instid1(VALU_DEP_2)
	v_add_f64_e32 v[29:30], v[71:72], v[29:30]
	v_add_f64_e64 v[71:72], v[71:72], -v[69:70]
	v_add_f64_e64 v[27:28], v[27:28], -v[69:70]
	s_delay_alu instid0(VALU_DEP_3) | instskip(NEXT) | instid1(VALU_DEP_3)
	v_add_f64_e32 v[75:76], v[73:74], v[29:30]
	v_add_f64_e64 v[31:32], v[31:32], -v[71:72]
	s_delay_alu instid0(VALU_DEP_2) | instskip(NEXT) | instid1(VALU_DEP_2)
	v_add_f64_e64 v[69:70], v[75:76], -v[73:74]
	v_add_f64_e32 v[27:28], v[27:28], v[31:32]
	s_delay_alu instid0(VALU_DEP_2) | instskip(NEXT) | instid1(VALU_DEP_1)
	v_add_f64_e64 v[29:30], v[29:30], -v[69:70]
	v_add_f64_e32 v[27:28], v[27:28], v[29:30]
	s_delay_alu instid0(VALU_DEP_1) | instskip(SKIP_1) | instid1(VALU_DEP_1)
	v_add_f64_e32 v[27:28], v[75:76], v[27:28]
	s_wait_alu 0xfffe
	v_cndmask_b32_e64 v27, 0, v27, s10
	v_cmp_neq_f64_e64 s10, -1.0, v[25:26]
	s_delay_alu instid0(VALU_DEP_3) | instskip(SKIP_1) | instid1(VALU_DEP_1)
	v_cndmask_b32_e64 v28, 0x7ff00000, v28, s11
	s_wait_alu 0xf1ff
	v_cndmask_b32_e64 v28, 0x7ff80000, v28, s12
	s_delay_alu instid0(VALU_DEP_1) | instskip(NEXT) | instid1(VALU_DEP_1)
	v_cndmask_b32_e64 v28, 0xfff00000, v28, s10
	v_add_f64_e32 v[69:70], v[23:24], v[27:28]
.LBB6_216:
	s_wait_alu 0xfffe
	s_or_b32 exec_lo, exec_lo, s14
	v_max_num_f64_e32 v[23:24], v[47:48], v[47:48]
	s_delay_alu instid0(VALU_DEP_2) | instskip(SKIP_2) | instid1(VALU_DEP_3)
	v_max_num_f64_e32 v[25:26], v[69:70], v[69:70]
	v_cmp_u_f64_e64 s11, v[69:70], v[69:70]
	v_cmp_u_f64_e64 s10, v[47:48], v[47:48]
	v_min_num_f64_e32 v[27:28], v[25:26], v[23:24]
	v_max_num_f64_e32 v[25:26], v[25:26], v[23:24]
	s_wait_alu 0xf1ff
	s_delay_alu instid0(VALU_DEP_2) | instskip(NEXT) | instid1(VALU_DEP_3)
	v_cndmask_b32_e64 v27, v27, v69, s11
	v_cndmask_b32_e64 v28, v28, v70, s11
	s_delay_alu instid0(VALU_DEP_3) | instskip(NEXT) | instid1(VALU_DEP_4)
	v_cndmask_b32_e64 v26, v26, v70, s11
	v_cndmask_b32_e64 v25, v25, v69, s11
	s_delay_alu instid0(VALU_DEP_4) | instskip(NEXT) | instid1(VALU_DEP_4)
	v_cndmask_b32_e64 v27, v27, v47, s10
	v_cndmask_b32_e64 v28, v28, v48, s10
	s_delay_alu instid0(VALU_DEP_4) | instskip(NEXT) | instid1(VALU_DEP_4)
	v_cndmask_b32_e64 v26, v26, v48, s10
	v_cndmask_b32_e64 v25, v25, v47, s10
	s_delay_alu instid0(VALU_DEP_3) | instskip(NEXT) | instid1(VALU_DEP_2)
	v_cmp_class_f64_e64 s12, v[27:28], 0x1f8
	v_cmp_neq_f64_e64 s11, v[27:28], v[25:26]
	s_or_b32 s11, s11, s12
	s_wait_alu 0xfffe
	s_and_saveexec_b32 s14, s11
	s_cbranch_execz .LBB6_218
; %bb.217:
	v_add_f64_e64 v[27:28], v[27:28], -v[25:26]
	s_mov_b32 s12, 0x652b82fe
	s_mov_b32 s13, 0x3ff71547
	;; [unrolled: 1-line block ×10, first 2 shown]
	s_wait_alu 0xfffe
	s_delay_alu instid0(VALU_DEP_1) | instskip(SKIP_3) | instid1(VALU_DEP_2)
	v_mul_f64_e32 v[29:30], s[12:13], v[27:28]
	s_mov_b32 s12, 0xfca7ab0c
	s_mov_b32 s13, 0x3e928af3
	v_cmp_nlt_f64_e64 s11, 0x40900000, v[27:28]
	v_rndne_f64_e32 v[29:30], v[29:30]
	s_delay_alu instid0(VALU_DEP_1) | instskip(SKIP_2) | instid1(VALU_DEP_2)
	v_fma_f64 v[31:32], v[29:30], s[16:17], v[27:28]
	v_cvt_i32_f64_e32 v71, v[29:30]
	s_mov_b32 s17, 0x3fe62e42
	v_fma_f64 v[31:32], v[29:30], s[18:19], v[31:32]
	s_mov_b32 s19, 0x3c7abc9e
	s_wait_alu 0xfffe
	s_delay_alu instid0(VALU_DEP_1)
	v_fma_f64 v[69:70], v[31:32], s[20:21], s[12:13]
	s_mov_b32 s12, 0x623fde64
	s_mov_b32 s13, 0x3ec71dee
	;; [unrolled: 1-line block ×4, first 2 shown]
	s_wait_alu 0xfffe
	s_delay_alu instid0(VALU_DEP_1) | instskip(SKIP_3) | instid1(VALU_DEP_1)
	v_fma_f64 v[69:70], v[31:32], v[69:70], s[12:13]
	s_mov_b32 s12, 0x7c89e6b0
	s_mov_b32 s13, 0x3efa0199
	s_wait_alu 0xfffe
	v_fma_f64 v[69:70], v[31:32], v[69:70], s[12:13]
	s_mov_b32 s12, 0x14761f6e
	s_mov_b32 s13, 0x3f2a01a0
	s_wait_alu 0xfffe
	s_delay_alu instid0(VALU_DEP_1) | instskip(SKIP_3) | instid1(VALU_DEP_1)
	v_fma_f64 v[69:70], v[31:32], v[69:70], s[12:13]
	s_mov_b32 s12, 0x1852b7b0
	s_mov_b32 s13, 0x3f56c16c
	s_wait_alu 0xfffe
	v_fma_f64 v[69:70], v[31:32], v[69:70], s[12:13]
	s_mov_b32 s12, 0x11122322
	s_mov_b32 s13, 0x3f811111
	;; [unrolled: 9-line block ×3, first 2 shown]
	s_wait_alu 0xfffe
	s_delay_alu instid0(VALU_DEP_1) | instskip(SKIP_3) | instid1(VALU_DEP_1)
	v_fma_f64 v[69:70], v[31:32], v[69:70], s[12:13]
	s_mov_b32 s12, 11
	s_mov_b32 s13, 0x3fe00000
	s_wait_alu 0xfffe
	v_fma_f64 v[69:70], v[31:32], v[69:70], s[12:13]
	v_cmp_ngt_f64_e64 s12, 0xc090cc00, v[27:28]
	s_mov_b32 s13, 0x3fe55555
	v_fma_f64 v[69:70], v[31:32], v[69:70], 1.0
	s_delay_alu instid0(VALU_DEP_1) | instskip(NEXT) | instid1(VALU_DEP_1)
	v_fma_f64 v[29:30], v[31:32], v[69:70], 1.0
	v_ldexp_f64 v[29:30], v[29:30], v71
	s_wait_alu 0xf1ff
	s_delay_alu instid0(VALU_DEP_1) | instskip(SKIP_2) | instid1(VALU_DEP_2)
	v_cndmask_b32_e64 v30, 0x7ff00000, v30, s11
	s_and_b32 s11, s12, s11
	s_wait_alu 0xfffe
	v_cndmask_b32_e64 v27, 0, v29, s11
	s_delay_alu instid0(VALU_DEP_2) | instskip(SKIP_1) | instid1(VALU_DEP_1)
	v_cndmask_b32_e64 v28, 0, v30, s12
	s_mov_b32 s12, 0x55555555
	v_add_f64_e32 v[29:30], 1.0, v[27:28]
	s_delay_alu instid0(VALU_DEP_1) | instskip(SKIP_3) | instid1(VALU_DEP_3)
	v_frexp_mant_f64_e32 v[31:32], v[29:30]
	v_frexp_exp_i32_f64_e32 v71, v[29:30]
	v_add_f64_e32 v[69:70], -1.0, v[29:30]
	s_wait_alu 0xfffe
	v_cmp_gt_f64_e64 s11, s[12:13], v[31:32]
	s_mov_b32 s12, 0x55555780
	v_add_f64_e64 v[31:32], v[69:70], -v[29:30]
	v_add_f64_e64 v[69:70], v[27:28], -v[69:70]
	s_wait_alu 0xf1ff
	v_subrev_co_ci_u32_e64 v105, null, 0, v71, s11
	s_delay_alu instid0(VALU_DEP_3) | instskip(SKIP_1) | instid1(VALU_DEP_3)
	v_add_f64_e32 v[31:32], 1.0, v[31:32]
	v_cmp_nge_f64_e64 s11, -1.0, v[27:28]
	v_sub_nc_u32_e32 v73, 0, v105
	s_delay_alu instid0(VALU_DEP_1) | instskip(NEXT) | instid1(VALU_DEP_4)
	v_ldexp_f64 v[29:30], v[29:30], v73
	v_add_f64_e32 v[31:32], v[69:70], v[31:32]
	s_delay_alu instid0(VALU_DEP_2) | instskip(SKIP_1) | instid1(VALU_DEP_3)
	v_add_f64_e32 v[71:72], 1.0, v[29:30]
	v_add_f64_e32 v[77:78], -1.0, v[29:30]
	v_ldexp_f64 v[31:32], v[31:32], v73
	s_delay_alu instid0(VALU_DEP_3) | instskip(NEXT) | instid1(VALU_DEP_3)
	v_add_f64_e32 v[69:70], -1.0, v[71:72]
	v_add_f64_e32 v[79:80], 1.0, v[77:78]
	s_delay_alu instid0(VALU_DEP_2) | instskip(NEXT) | instid1(VALU_DEP_2)
	v_add_f64_e64 v[69:70], v[29:30], -v[69:70]
	v_add_f64_e64 v[29:30], v[29:30], -v[79:80]
	s_delay_alu instid0(VALU_DEP_2) | instskip(NEXT) | instid1(VALU_DEP_2)
	v_add_f64_e32 v[69:70], v[31:32], v[69:70]
	v_add_f64_e32 v[29:30], v[31:32], v[29:30]
	s_delay_alu instid0(VALU_DEP_2) | instskip(NEXT) | instid1(VALU_DEP_2)
	v_add_f64_e32 v[73:74], v[71:72], v[69:70]
	v_add_f64_e32 v[79:80], v[77:78], v[29:30]
	s_delay_alu instid0(VALU_DEP_2) | instskip(SKIP_1) | instid1(VALU_DEP_2)
	v_rcp_f64_e32 v[75:76], v[73:74]
	v_add_f64_e64 v[71:72], v[73:74], -v[71:72]
	v_add_f64_e64 v[77:78], v[79:80], -v[77:78]
	s_delay_alu instid0(VALU_DEP_2) | instskip(NEXT) | instid1(TRANS32_DEP_1)
	v_add_f64_e64 v[69:70], v[69:70], -v[71:72]
	v_fma_f64 v[81:82], -v[73:74], v[75:76], 1.0
	s_delay_alu instid0(VALU_DEP_3) | instskip(NEXT) | instid1(VALU_DEP_2)
	v_add_f64_e64 v[29:30], v[29:30], -v[77:78]
	v_fma_f64 v[75:76], v[81:82], v[75:76], v[75:76]
	s_delay_alu instid0(VALU_DEP_1) | instskip(NEXT) | instid1(VALU_DEP_1)
	v_fma_f64 v[31:32], -v[73:74], v[75:76], 1.0
	v_fma_f64 v[31:32], v[31:32], v[75:76], v[75:76]
	s_delay_alu instid0(VALU_DEP_1) | instskip(NEXT) | instid1(VALU_DEP_1)
	v_mul_f64_e32 v[75:76], v[79:80], v[31:32]
	v_mul_f64_e32 v[81:82], v[73:74], v[75:76]
	s_delay_alu instid0(VALU_DEP_1) | instskip(NEXT) | instid1(VALU_DEP_1)
	v_fma_f64 v[71:72], v[75:76], v[73:74], -v[81:82]
	v_fma_f64 v[71:72], v[75:76], v[69:70], v[71:72]
	s_delay_alu instid0(VALU_DEP_1) | instskip(NEXT) | instid1(VALU_DEP_1)
	v_add_f64_e32 v[101:102], v[81:82], v[71:72]
	v_add_f64_e64 v[103:104], v[79:80], -v[101:102]
	v_add_f64_e64 v[77:78], v[101:102], -v[81:82]
	s_delay_alu instid0(VALU_DEP_2) | instskip(NEXT) | instid1(VALU_DEP_2)
	v_add_f64_e64 v[79:80], v[79:80], -v[103:104]
	v_add_f64_e64 v[71:72], v[77:78], -v[71:72]
	s_delay_alu instid0(VALU_DEP_2) | instskip(NEXT) | instid1(VALU_DEP_1)
	v_add_f64_e64 v[79:80], v[79:80], -v[101:102]
	v_add_f64_e32 v[29:30], v[29:30], v[79:80]
	s_delay_alu instid0(VALU_DEP_1) | instskip(NEXT) | instid1(VALU_DEP_1)
	v_add_f64_e32 v[29:30], v[71:72], v[29:30]
	v_add_f64_e32 v[71:72], v[103:104], v[29:30]
	s_delay_alu instid0(VALU_DEP_1) | instskip(SKIP_1) | instid1(VALU_DEP_2)
	v_mul_f64_e32 v[77:78], v[31:32], v[71:72]
	v_add_f64_e64 v[101:102], v[103:104], -v[71:72]
	v_mul_f64_e32 v[79:80], v[73:74], v[77:78]
	s_delay_alu instid0(VALU_DEP_2) | instskip(NEXT) | instid1(VALU_DEP_2)
	v_add_f64_e32 v[29:30], v[29:30], v[101:102]
	v_fma_f64 v[73:74], v[77:78], v[73:74], -v[79:80]
	s_delay_alu instid0(VALU_DEP_1) | instskip(NEXT) | instid1(VALU_DEP_1)
	v_fma_f64 v[69:70], v[77:78], v[69:70], v[73:74]
	v_add_f64_e32 v[73:74], v[79:80], v[69:70]
	s_delay_alu instid0(VALU_DEP_1) | instskip(SKIP_1) | instid1(VALU_DEP_2)
	v_add_f64_e64 v[81:82], v[71:72], -v[73:74]
	v_add_f64_e64 v[79:80], v[73:74], -v[79:80]
	;; [unrolled: 1-line block ×3, first 2 shown]
	s_delay_alu instid0(VALU_DEP_2) | instskip(NEXT) | instid1(VALU_DEP_2)
	v_add_f64_e64 v[69:70], v[79:80], -v[69:70]
	v_add_f64_e64 v[71:72], v[71:72], -v[73:74]
	s_delay_alu instid0(VALU_DEP_1) | instskip(SKIP_1) | instid1(VALU_DEP_2)
	v_add_f64_e32 v[29:30], v[29:30], v[71:72]
	v_add_f64_e32 v[71:72], v[75:76], v[77:78]
	;; [unrolled: 1-line block ×3, first 2 shown]
	s_delay_alu instid0(VALU_DEP_2) | instskip(NEXT) | instid1(VALU_DEP_2)
	v_add_f64_e64 v[69:70], v[71:72], -v[75:76]
	v_add_f64_e32 v[29:30], v[81:82], v[29:30]
	s_delay_alu instid0(VALU_DEP_2) | instskip(NEXT) | instid1(VALU_DEP_2)
	v_add_f64_e64 v[69:70], v[77:78], -v[69:70]
	v_mul_f64_e32 v[29:30], v[31:32], v[29:30]
	s_delay_alu instid0(VALU_DEP_1) | instskip(NEXT) | instid1(VALU_DEP_1)
	v_add_f64_e32 v[29:30], v[69:70], v[29:30]
	v_add_f64_e32 v[31:32], v[71:72], v[29:30]
	s_delay_alu instid0(VALU_DEP_1) | instskip(NEXT) | instid1(VALU_DEP_1)
	v_mul_f64_e32 v[69:70], v[31:32], v[31:32]
	v_fma_f64 v[73:74], v[69:70], s[24:25], s[20:21]
	s_mov_b32 s20, 0xd7f4df2e
	s_mov_b32 s21, 0x3fc7474d
	v_mul_f64_e32 v[75:76], v[31:32], v[69:70]
	s_wait_alu 0xfffe
	s_delay_alu instid0(VALU_DEP_2) | instskip(SKIP_3) | instid1(VALU_DEP_1)
	v_fma_f64 v[73:74], v[69:70], v[73:74], s[20:21]
	s_mov_b32 s20, 0x16291751
	s_mov_b32 s21, 0x3fcc71c0
	s_wait_alu 0xfffe
	v_fma_f64 v[73:74], v[69:70], v[73:74], s[20:21]
	s_mov_b32 s20, 0x9b27acf1
	s_mov_b32 s21, 0x3fd24924
	s_wait_alu 0xfffe
	s_delay_alu instid0(VALU_DEP_1) | instskip(SKIP_3) | instid1(VALU_DEP_1)
	v_fma_f64 v[73:74], v[69:70], v[73:74], s[20:21]
	s_mov_b32 s20, 0x998ef7b6
	s_mov_b32 s21, 0x3fd99999
	s_wait_alu 0xfffe
	v_fma_f64 v[73:74], v[69:70], v[73:74], s[20:21]
	s_delay_alu instid0(VALU_DEP_1)
	v_fma_f64 v[69:70], v[69:70], v[73:74], s[12:13]
	v_ldexp_f64 v[73:74], v[31:32], 1
	v_add_f64_e64 v[31:32], v[31:32], -v[71:72]
	v_cmp_neq_f64_e64 s12, 0x7ff00000, v[27:28]
	v_cmp_ngt_f64_e64 s13, -1.0, v[27:28]
	v_mul_f64_e32 v[69:70], v[75:76], v[69:70]
	v_cvt_f64_i32_e32 v[75:76], v105
	v_add_f64_e64 v[29:30], v[29:30], -v[31:32]
	s_and_b32 s11, s11, s12
	s_delay_alu instid0(VALU_DEP_3) | instskip(NEXT) | instid1(VALU_DEP_3)
	v_add_f64_e32 v[71:72], v[73:74], v[69:70]
	v_mul_f64_e32 v[77:78], s[16:17], v[75:76]
	s_delay_alu instid0(VALU_DEP_3) | instskip(NEXT) | instid1(VALU_DEP_3)
	v_ldexp_f64 v[29:30], v[29:30], 1
	v_add_f64_e64 v[31:32], v[71:72], -v[73:74]
	s_delay_alu instid0(VALU_DEP_3) | instskip(NEXT) | instid1(VALU_DEP_2)
	v_fma_f64 v[73:74], v[75:76], s[16:17], -v[77:78]
	v_add_f64_e64 v[31:32], v[69:70], -v[31:32]
	s_delay_alu instid0(VALU_DEP_2) | instskip(NEXT) | instid1(VALU_DEP_2)
	v_fma_f64 v[69:70], v[75:76], s[18:19], v[73:74]
	v_add_f64_e32 v[29:30], v[29:30], v[31:32]
	s_delay_alu instid0(VALU_DEP_2) | instskip(NEXT) | instid1(VALU_DEP_2)
	v_add_f64_e32 v[31:32], v[77:78], v[69:70]
	v_add_f64_e32 v[73:74], v[71:72], v[29:30]
	s_delay_alu instid0(VALU_DEP_2) | instskip(NEXT) | instid1(VALU_DEP_2)
	v_add_f64_e64 v[77:78], v[31:32], -v[77:78]
	v_add_f64_e32 v[75:76], v[31:32], v[73:74]
	v_add_f64_e64 v[71:72], v[73:74], -v[71:72]
	s_delay_alu instid0(VALU_DEP_3) | instskip(NEXT) | instid1(VALU_DEP_3)
	v_add_f64_e64 v[69:70], v[69:70], -v[77:78]
	v_add_f64_e64 v[79:80], v[75:76], -v[31:32]
	s_delay_alu instid0(VALU_DEP_3) | instskip(NEXT) | instid1(VALU_DEP_2)
	v_add_f64_e64 v[29:30], v[29:30], -v[71:72]
	v_add_f64_e64 v[81:82], v[75:76], -v[79:80]
	;; [unrolled: 1-line block ×3, first 2 shown]
	s_delay_alu instid0(VALU_DEP_3) | instskip(NEXT) | instid1(VALU_DEP_3)
	v_add_f64_e32 v[73:74], v[69:70], v[29:30]
	v_add_f64_e64 v[31:32], v[31:32], -v[81:82]
	s_delay_alu instid0(VALU_DEP_1) | instskip(NEXT) | instid1(VALU_DEP_3)
	v_add_f64_e32 v[31:32], v[71:72], v[31:32]
	v_add_f64_e64 v[71:72], v[73:74], -v[69:70]
	s_delay_alu instid0(VALU_DEP_2) | instskip(NEXT) | instid1(VALU_DEP_2)
	v_add_f64_e32 v[31:32], v[73:74], v[31:32]
	v_add_f64_e64 v[73:74], v[73:74], -v[71:72]
	v_add_f64_e64 v[29:30], v[29:30], -v[71:72]
	s_delay_alu instid0(VALU_DEP_3) | instskip(NEXT) | instid1(VALU_DEP_3)
	v_add_f64_e32 v[77:78], v[75:76], v[31:32]
	v_add_f64_e64 v[69:70], v[69:70], -v[73:74]
	s_delay_alu instid0(VALU_DEP_2) | instskip(NEXT) | instid1(VALU_DEP_2)
	v_add_f64_e64 v[71:72], v[77:78], -v[75:76]
	v_add_f64_e32 v[29:30], v[29:30], v[69:70]
	s_delay_alu instid0(VALU_DEP_2) | instskip(NEXT) | instid1(VALU_DEP_1)
	v_add_f64_e64 v[31:32], v[31:32], -v[71:72]
	v_add_f64_e32 v[29:30], v[29:30], v[31:32]
	s_delay_alu instid0(VALU_DEP_1) | instskip(SKIP_1) | instid1(VALU_DEP_1)
	v_add_f64_e32 v[29:30], v[77:78], v[29:30]
	s_wait_alu 0xfffe
	v_cndmask_b32_e64 v29, 0, v29, s11
	v_cmp_neq_f64_e64 s11, -1.0, v[27:28]
	s_delay_alu instid0(VALU_DEP_3) | instskip(NEXT) | instid1(VALU_DEP_1)
	v_cndmask_b32_e64 v30, 0x7ff00000, v30, s12
	v_cndmask_b32_e64 v30, 0x7ff80000, v30, s13
	s_wait_alu 0xf1ff
	s_delay_alu instid0(VALU_DEP_1) | instskip(NEXT) | instid1(VALU_DEP_1)
	v_cndmask_b32_e64 v30, 0xfff00000, v30, s11
	v_add_f64_e32 v[69:70], v[25:26], v[29:30]
.LBB6_218:
	s_wait_alu 0xfffe
	s_or_b32 exec_lo, exec_lo, s14
	v_max_num_f64_e32 v[25:26], v[41:42], v[41:42]
	s_delay_alu instid0(VALU_DEP_2) | instskip(SKIP_2) | instid1(VALU_DEP_3)
	v_max_num_f64_e32 v[27:28], v[69:70], v[69:70]
	v_cmp_u_f64_e64 s12, v[69:70], v[69:70]
	v_cmp_u_f64_e64 s11, v[41:42], v[41:42]
	v_min_num_f64_e32 v[29:30], v[27:28], v[25:26]
	v_max_num_f64_e32 v[27:28], v[27:28], v[25:26]
	s_wait_alu 0xf1ff
	s_delay_alu instid0(VALU_DEP_2) | instskip(NEXT) | instid1(VALU_DEP_3)
	v_cndmask_b32_e64 v29, v29, v69, s12
	v_cndmask_b32_e64 v30, v30, v70, s12
	s_delay_alu instid0(VALU_DEP_3) | instskip(NEXT) | instid1(VALU_DEP_4)
	v_cndmask_b32_e64 v28, v28, v70, s12
	v_cndmask_b32_e64 v27, v27, v69, s12
	s_delay_alu instid0(VALU_DEP_4) | instskip(NEXT) | instid1(VALU_DEP_4)
	v_cndmask_b32_e64 v29, v29, v41, s11
	v_cndmask_b32_e64 v30, v30, v42, s11
	s_delay_alu instid0(VALU_DEP_4) | instskip(NEXT) | instid1(VALU_DEP_4)
	v_cndmask_b32_e64 v28, v28, v42, s11
	v_cndmask_b32_e64 v27, v27, v41, s11
	s_delay_alu instid0(VALU_DEP_3) | instskip(NEXT) | instid1(VALU_DEP_2)
	v_cmp_class_f64_e64 s13, v[29:30], 0x1f8
	v_cmp_neq_f64_e64 s12, v[29:30], v[27:28]
	s_or_b32 s12, s12, s13
	s_wait_alu 0xfffe
	s_and_saveexec_b32 s20, s12
	s_cbranch_execz .LBB6_220
; %bb.219:
	v_add_f64_e64 v[29:30], v[29:30], -v[27:28]
	s_mov_b32 s12, 0x652b82fe
	s_mov_b32 s13, 0x3ff71547
	;; [unrolled: 1-line block ×10, first 2 shown]
	s_wait_alu 0xfffe
	s_delay_alu instid0(VALU_DEP_1) | instskip(SKIP_2) | instid1(VALU_DEP_1)
	v_mul_f64_e32 v[31:32], s[12:13], v[29:30]
	s_mov_b32 s12, 0xfca7ab0c
	s_mov_b32 s13, 0x3e928af3
	v_rndne_f64_e32 v[31:32], v[31:32]
	s_delay_alu instid0(VALU_DEP_1) | instskip(SKIP_2) | instid1(VALU_DEP_2)
	v_fma_f64 v[69:70], v[31:32], s[16:17], v[29:30]
	v_cvt_i32_f64_e32 v73, v[31:32]
	s_mov_b32 s17, 0x3fe62e42
	v_fma_f64 v[69:70], v[31:32], s[18:19], v[69:70]
	s_mov_b32 s19, 0x3c7abc9e
	s_wait_alu 0xfffe
	s_delay_alu instid0(VALU_DEP_1)
	v_fma_f64 v[71:72], v[69:70], s[24:25], s[12:13]
	s_mov_b32 s12, 0x623fde64
	s_mov_b32 s13, 0x3ec71dee
	;; [unrolled: 1-line block ×4, first 2 shown]
	s_wait_alu 0xfffe
	s_delay_alu instid0(VALU_DEP_1) | instskip(SKIP_3) | instid1(VALU_DEP_1)
	v_fma_f64 v[71:72], v[69:70], v[71:72], s[12:13]
	s_mov_b32 s12, 0x7c89e6b0
	s_mov_b32 s13, 0x3efa0199
	s_wait_alu 0xfffe
	v_fma_f64 v[71:72], v[69:70], v[71:72], s[12:13]
	s_mov_b32 s12, 0x14761f6e
	s_mov_b32 s13, 0x3f2a01a0
	s_wait_alu 0xfffe
	s_delay_alu instid0(VALU_DEP_1) | instskip(SKIP_3) | instid1(VALU_DEP_1)
	v_fma_f64 v[71:72], v[69:70], v[71:72], s[12:13]
	s_mov_b32 s12, 0x1852b7b0
	s_mov_b32 s13, 0x3f56c16c
	s_wait_alu 0xfffe
	v_fma_f64 v[71:72], v[69:70], v[71:72], s[12:13]
	s_mov_b32 s12, 0x11122322
	s_mov_b32 s13, 0x3f811111
	;; [unrolled: 9-line block ×3, first 2 shown]
	s_wait_alu 0xfffe
	s_delay_alu instid0(VALU_DEP_1) | instskip(SKIP_3) | instid1(VALU_DEP_1)
	v_fma_f64 v[71:72], v[69:70], v[71:72], s[12:13]
	s_mov_b32 s12, 11
	s_mov_b32 s13, 0x3fe00000
	s_wait_alu 0xfffe
	v_fma_f64 v[71:72], v[69:70], v[71:72], s[12:13]
	v_cmp_nlt_f64_e64 s12, 0x40900000, v[29:30]
	v_cmp_ngt_f64_e64 s13, 0xc090cc00, v[29:30]
	s_delay_alu instid0(VALU_DEP_3) | instskip(NEXT) | instid1(VALU_DEP_1)
	v_fma_f64 v[71:72], v[69:70], v[71:72], 1.0
	v_fma_f64 v[31:32], v[69:70], v[71:72], 1.0
	s_delay_alu instid0(VALU_DEP_1) | instskip(SKIP_1) | instid1(VALU_DEP_1)
	v_ldexp_f64 v[31:32], v[31:32], v73
	s_wait_alu 0xf1ff
	v_cndmask_b32_e64 v32, 0x7ff00000, v32, s12
	s_and_b32 s12, s13, s12
	s_wait_alu 0xfffe
	s_delay_alu instid0(VALU_DEP_2) | instskip(SKIP_3) | instid1(VALU_DEP_1)
	v_cndmask_b32_e64 v29, 0, v31, s12
	s_mov_b32 s12, 0x55555555
	v_cndmask_b32_e64 v30, 0, v32, s13
	s_mov_b32 s13, 0x3fe55555
	v_add_f64_e32 v[31:32], 1.0, v[29:30]
	v_cmp_ngt_f64_e64 s14, -1.0, v[29:30]
	s_delay_alu instid0(VALU_DEP_2) | instskip(SKIP_3) | instid1(VALU_DEP_3)
	v_frexp_mant_f64_e32 v[69:70], v[31:32]
	v_frexp_exp_i32_f64_e32 v73, v[31:32]
	v_add_f64_e32 v[71:72], -1.0, v[31:32]
	s_wait_alu 0xfffe
	v_cmp_gt_f64_e64 s12, s[12:13], v[69:70]
	s_delay_alu instid0(VALU_DEP_2) | instskip(SKIP_2) | instid1(VALU_DEP_3)
	v_add_f64_e64 v[69:70], v[71:72], -v[31:32]
	v_add_f64_e64 v[71:72], v[29:30], -v[71:72]
	s_wait_alu 0xf1ff
	v_subrev_co_ci_u32_e64 v107, null, 0, v73, s12
	s_delay_alu instid0(VALU_DEP_3) | instskip(SKIP_1) | instid1(VALU_DEP_2)
	v_add_f64_e32 v[69:70], 1.0, v[69:70]
	s_mov_b32 s12, 0x55555780
	v_sub_nc_u32_e32 v75, 0, v107
	s_delay_alu instid0(VALU_DEP_1) | instskip(NEXT) | instid1(VALU_DEP_3)
	v_ldexp_f64 v[31:32], v[31:32], v75
	v_add_f64_e32 v[69:70], v[71:72], v[69:70]
	s_delay_alu instid0(VALU_DEP_2) | instskip(SKIP_1) | instid1(VALU_DEP_3)
	v_add_f64_e32 v[73:74], 1.0, v[31:32]
	v_add_f64_e32 v[79:80], -1.0, v[31:32]
	v_ldexp_f64 v[69:70], v[69:70], v75
	s_delay_alu instid0(VALU_DEP_3) | instskip(NEXT) | instid1(VALU_DEP_3)
	v_add_f64_e32 v[71:72], -1.0, v[73:74]
	v_add_f64_e32 v[81:82], 1.0, v[79:80]
	s_delay_alu instid0(VALU_DEP_2) | instskip(NEXT) | instid1(VALU_DEP_2)
	v_add_f64_e64 v[71:72], v[31:32], -v[71:72]
	v_add_f64_e64 v[31:32], v[31:32], -v[81:82]
	s_delay_alu instid0(VALU_DEP_2) | instskip(NEXT) | instid1(VALU_DEP_2)
	v_add_f64_e32 v[71:72], v[69:70], v[71:72]
	v_add_f64_e32 v[31:32], v[69:70], v[31:32]
	s_delay_alu instid0(VALU_DEP_2) | instskip(NEXT) | instid1(VALU_DEP_2)
	v_add_f64_e32 v[75:76], v[73:74], v[71:72]
	v_add_f64_e32 v[81:82], v[79:80], v[31:32]
	s_delay_alu instid0(VALU_DEP_2) | instskip(SKIP_1) | instid1(VALU_DEP_2)
	v_rcp_f64_e32 v[77:78], v[75:76]
	v_add_f64_e64 v[73:74], v[75:76], -v[73:74]
	v_add_f64_e64 v[79:80], v[81:82], -v[79:80]
	s_delay_alu instid0(VALU_DEP_2) | instskip(NEXT) | instid1(TRANS32_DEP_1)
	v_add_f64_e64 v[71:72], v[71:72], -v[73:74]
	v_fma_f64 v[101:102], -v[75:76], v[77:78], 1.0
	s_delay_alu instid0(VALU_DEP_3) | instskip(NEXT) | instid1(VALU_DEP_2)
	v_add_f64_e64 v[31:32], v[31:32], -v[79:80]
	v_fma_f64 v[77:78], v[101:102], v[77:78], v[77:78]
	s_delay_alu instid0(VALU_DEP_1) | instskip(NEXT) | instid1(VALU_DEP_1)
	v_fma_f64 v[69:70], -v[75:76], v[77:78], 1.0
	v_fma_f64 v[69:70], v[69:70], v[77:78], v[77:78]
	s_delay_alu instid0(VALU_DEP_1) | instskip(NEXT) | instid1(VALU_DEP_1)
	v_mul_f64_e32 v[77:78], v[81:82], v[69:70]
	v_mul_f64_e32 v[101:102], v[75:76], v[77:78]
	s_delay_alu instid0(VALU_DEP_1) | instskip(NEXT) | instid1(VALU_DEP_1)
	v_fma_f64 v[73:74], v[77:78], v[75:76], -v[101:102]
	v_fma_f64 v[73:74], v[77:78], v[71:72], v[73:74]
	s_delay_alu instid0(VALU_DEP_1) | instskip(NEXT) | instid1(VALU_DEP_1)
	v_add_f64_e32 v[103:104], v[101:102], v[73:74]
	v_add_f64_e64 v[105:106], v[81:82], -v[103:104]
	v_add_f64_e64 v[79:80], v[103:104], -v[101:102]
	s_delay_alu instid0(VALU_DEP_2) | instskip(NEXT) | instid1(VALU_DEP_2)
	v_add_f64_e64 v[81:82], v[81:82], -v[105:106]
	v_add_f64_e64 v[73:74], v[79:80], -v[73:74]
	s_delay_alu instid0(VALU_DEP_2) | instskip(NEXT) | instid1(VALU_DEP_1)
	v_add_f64_e64 v[81:82], v[81:82], -v[103:104]
	v_add_f64_e32 v[31:32], v[31:32], v[81:82]
	s_delay_alu instid0(VALU_DEP_1) | instskip(NEXT) | instid1(VALU_DEP_1)
	v_add_f64_e32 v[31:32], v[73:74], v[31:32]
	v_add_f64_e32 v[73:74], v[105:106], v[31:32]
	s_delay_alu instid0(VALU_DEP_1) | instskip(SKIP_1) | instid1(VALU_DEP_2)
	v_mul_f64_e32 v[79:80], v[69:70], v[73:74]
	v_add_f64_e64 v[103:104], v[105:106], -v[73:74]
	v_mul_f64_e32 v[81:82], v[75:76], v[79:80]
	s_delay_alu instid0(VALU_DEP_2) | instskip(NEXT) | instid1(VALU_DEP_2)
	v_add_f64_e32 v[31:32], v[31:32], v[103:104]
	v_fma_f64 v[75:76], v[79:80], v[75:76], -v[81:82]
	s_delay_alu instid0(VALU_DEP_1) | instskip(NEXT) | instid1(VALU_DEP_1)
	v_fma_f64 v[71:72], v[79:80], v[71:72], v[75:76]
	v_add_f64_e32 v[75:76], v[81:82], v[71:72]
	s_delay_alu instid0(VALU_DEP_1) | instskip(SKIP_1) | instid1(VALU_DEP_2)
	v_add_f64_e64 v[101:102], v[73:74], -v[75:76]
	v_add_f64_e64 v[81:82], v[75:76], -v[81:82]
	;; [unrolled: 1-line block ×3, first 2 shown]
	s_delay_alu instid0(VALU_DEP_2) | instskip(NEXT) | instid1(VALU_DEP_2)
	v_add_f64_e64 v[71:72], v[81:82], -v[71:72]
	v_add_f64_e64 v[73:74], v[73:74], -v[75:76]
	s_delay_alu instid0(VALU_DEP_1) | instskip(SKIP_1) | instid1(VALU_DEP_2)
	v_add_f64_e32 v[31:32], v[31:32], v[73:74]
	v_add_f64_e32 v[73:74], v[77:78], v[79:80]
	;; [unrolled: 1-line block ×3, first 2 shown]
	s_delay_alu instid0(VALU_DEP_2) | instskip(NEXT) | instid1(VALU_DEP_2)
	v_add_f64_e64 v[71:72], v[73:74], -v[77:78]
	v_add_f64_e32 v[31:32], v[101:102], v[31:32]
	s_delay_alu instid0(VALU_DEP_2) | instskip(NEXT) | instid1(VALU_DEP_2)
	v_add_f64_e64 v[71:72], v[79:80], -v[71:72]
	v_mul_f64_e32 v[31:32], v[69:70], v[31:32]
	s_delay_alu instid0(VALU_DEP_1) | instskip(NEXT) | instid1(VALU_DEP_1)
	v_add_f64_e32 v[31:32], v[71:72], v[31:32]
	v_add_f64_e32 v[69:70], v[73:74], v[31:32]
	s_delay_alu instid0(VALU_DEP_1) | instskip(NEXT) | instid1(VALU_DEP_1)
	v_mul_f64_e32 v[71:72], v[69:70], v[69:70]
	v_fma_f64 v[75:76], v[71:72], s[36:37], s[24:25]
	s_mov_b32 s24, 0xd7f4df2e
	s_mov_b32 s25, 0x3fc7474d
	v_mul_f64_e32 v[77:78], v[69:70], v[71:72]
	s_wait_alu 0xfffe
	s_delay_alu instid0(VALU_DEP_2) | instskip(SKIP_3) | instid1(VALU_DEP_1)
	v_fma_f64 v[75:76], v[71:72], v[75:76], s[24:25]
	s_mov_b32 s24, 0x16291751
	s_mov_b32 s25, 0x3fcc71c0
	s_wait_alu 0xfffe
	v_fma_f64 v[75:76], v[71:72], v[75:76], s[24:25]
	s_mov_b32 s24, 0x9b27acf1
	s_mov_b32 s25, 0x3fd24924
	s_wait_alu 0xfffe
	s_delay_alu instid0(VALU_DEP_1) | instskip(SKIP_3) | instid1(VALU_DEP_1)
	v_fma_f64 v[75:76], v[71:72], v[75:76], s[24:25]
	s_mov_b32 s24, 0x998ef7b6
	s_mov_b32 s25, 0x3fd99999
	s_wait_alu 0xfffe
	v_fma_f64 v[75:76], v[71:72], v[75:76], s[24:25]
	s_delay_alu instid0(VALU_DEP_1)
	v_fma_f64 v[71:72], v[71:72], v[75:76], s[12:13]
	v_ldexp_f64 v[75:76], v[69:70], 1
	v_add_f64_e64 v[69:70], v[69:70], -v[73:74]
	v_cmp_nge_f64_e64 s12, -1.0, v[29:30]
	v_cmp_neq_f64_e64 s13, 0x7ff00000, v[29:30]
	v_mul_f64_e32 v[71:72], v[77:78], v[71:72]
	v_cvt_f64_i32_e32 v[77:78], v107
	v_add_f64_e64 v[31:32], v[31:32], -v[69:70]
	s_and_b32 s12, s12, s13
	s_delay_alu instid0(VALU_DEP_3) | instskip(NEXT) | instid1(VALU_DEP_3)
	v_add_f64_e32 v[73:74], v[75:76], v[71:72]
	v_mul_f64_e32 v[79:80], s[16:17], v[77:78]
	s_delay_alu instid0(VALU_DEP_3) | instskip(NEXT) | instid1(VALU_DEP_3)
	v_ldexp_f64 v[31:32], v[31:32], 1
	v_add_f64_e64 v[69:70], v[73:74], -v[75:76]
	s_delay_alu instid0(VALU_DEP_3) | instskip(NEXT) | instid1(VALU_DEP_2)
	v_fma_f64 v[75:76], v[77:78], s[16:17], -v[79:80]
	v_add_f64_e64 v[69:70], v[71:72], -v[69:70]
	s_delay_alu instid0(VALU_DEP_2) | instskip(NEXT) | instid1(VALU_DEP_2)
	v_fma_f64 v[71:72], v[77:78], s[18:19], v[75:76]
	v_add_f64_e32 v[31:32], v[31:32], v[69:70]
	s_delay_alu instid0(VALU_DEP_2) | instskip(NEXT) | instid1(VALU_DEP_2)
	v_add_f64_e32 v[69:70], v[79:80], v[71:72]
	v_add_f64_e32 v[75:76], v[73:74], v[31:32]
	s_delay_alu instid0(VALU_DEP_2) | instskip(NEXT) | instid1(VALU_DEP_2)
	v_add_f64_e64 v[79:80], v[69:70], -v[79:80]
	v_add_f64_e32 v[77:78], v[69:70], v[75:76]
	v_add_f64_e64 v[73:74], v[75:76], -v[73:74]
	s_delay_alu instid0(VALU_DEP_3) | instskip(NEXT) | instid1(VALU_DEP_3)
	v_add_f64_e64 v[71:72], v[71:72], -v[79:80]
	v_add_f64_e64 v[81:82], v[77:78], -v[69:70]
	s_delay_alu instid0(VALU_DEP_3) | instskip(NEXT) | instid1(VALU_DEP_2)
	v_add_f64_e64 v[31:32], v[31:32], -v[73:74]
	v_add_f64_e64 v[101:102], v[77:78], -v[81:82]
	;; [unrolled: 1-line block ×3, first 2 shown]
	s_delay_alu instid0(VALU_DEP_3) | instskip(NEXT) | instid1(VALU_DEP_3)
	v_add_f64_e32 v[75:76], v[71:72], v[31:32]
	v_add_f64_e64 v[69:70], v[69:70], -v[101:102]
	s_delay_alu instid0(VALU_DEP_1) | instskip(NEXT) | instid1(VALU_DEP_3)
	v_add_f64_e32 v[69:70], v[73:74], v[69:70]
	v_add_f64_e64 v[73:74], v[75:76], -v[71:72]
	s_delay_alu instid0(VALU_DEP_2) | instskip(NEXT) | instid1(VALU_DEP_2)
	v_add_f64_e32 v[69:70], v[75:76], v[69:70]
	v_add_f64_e64 v[75:76], v[75:76], -v[73:74]
	v_add_f64_e64 v[31:32], v[31:32], -v[73:74]
	s_delay_alu instid0(VALU_DEP_3) | instskip(NEXT) | instid1(VALU_DEP_3)
	v_add_f64_e32 v[79:80], v[77:78], v[69:70]
	v_add_f64_e64 v[71:72], v[71:72], -v[75:76]
	s_delay_alu instid0(VALU_DEP_2) | instskip(NEXT) | instid1(VALU_DEP_2)
	v_add_f64_e64 v[73:74], v[79:80], -v[77:78]
	v_add_f64_e32 v[31:32], v[31:32], v[71:72]
	s_delay_alu instid0(VALU_DEP_2) | instskip(NEXT) | instid1(VALU_DEP_1)
	v_add_f64_e64 v[69:70], v[69:70], -v[73:74]
	v_add_f64_e32 v[31:32], v[31:32], v[69:70]
	s_delay_alu instid0(VALU_DEP_1) | instskip(SKIP_1) | instid1(VALU_DEP_1)
	v_add_f64_e32 v[31:32], v[79:80], v[31:32]
	s_wait_alu 0xfffe
	v_cndmask_b32_e64 v31, 0, v31, s12
	v_cmp_neq_f64_e64 s12, -1.0, v[29:30]
	s_delay_alu instid0(VALU_DEP_3) | instskip(NEXT) | instid1(VALU_DEP_1)
	v_cndmask_b32_e64 v32, 0x7ff00000, v32, s13
	v_cndmask_b32_e64 v32, 0x7ff80000, v32, s14
	s_wait_alu 0xf1ff
	s_delay_alu instid0(VALU_DEP_1) | instskip(NEXT) | instid1(VALU_DEP_1)
	v_cndmask_b32_e64 v32, 0xfff00000, v32, s12
	v_add_f64_e32 v[69:70], v[27:28], v[31:32]
.LBB6_220:
	s_wait_alu 0xfffe
	s_or_b32 exec_lo, exec_lo, s20
	v_max_num_f64_e32 v[27:28], v[43:44], v[43:44]
	s_delay_alu instid0(VALU_DEP_2) | instskip(SKIP_2) | instid1(VALU_DEP_3)
	v_max_num_f64_e32 v[29:30], v[69:70], v[69:70]
	v_cmp_u_f64_e64 s13, v[69:70], v[69:70]
	v_cmp_u_f64_e64 s12, v[43:44], v[43:44]
	v_min_num_f64_e32 v[31:32], v[29:30], v[27:28]
	v_max_num_f64_e32 v[29:30], v[29:30], v[27:28]
	s_wait_alu 0xf1ff
	s_delay_alu instid0(VALU_DEP_2) | instskip(NEXT) | instid1(VALU_DEP_3)
	v_cndmask_b32_e64 v31, v31, v69, s13
	v_cndmask_b32_e64 v32, v32, v70, s13
	s_delay_alu instid0(VALU_DEP_3) | instskip(NEXT) | instid1(VALU_DEP_4)
	v_cndmask_b32_e64 v30, v30, v70, s13
	v_cndmask_b32_e64 v29, v29, v69, s13
	s_delay_alu instid0(VALU_DEP_4) | instskip(NEXT) | instid1(VALU_DEP_4)
	v_cndmask_b32_e64 v31, v31, v43, s12
	v_cndmask_b32_e64 v32, v32, v44, s12
	s_delay_alu instid0(VALU_DEP_4) | instskip(NEXT) | instid1(VALU_DEP_4)
	v_cndmask_b32_e64 v30, v30, v44, s12
	v_cndmask_b32_e64 v29, v29, v43, s12
	s_delay_alu instid0(VALU_DEP_3) | instskip(NEXT) | instid1(VALU_DEP_2)
	v_cmp_class_f64_e64 s14, v[31:32], 0x1f8
	v_cmp_neq_f64_e64 s13, v[31:32], v[29:30]
	s_or_b32 s13, s13, s14
	s_wait_alu 0xfffe
	s_and_saveexec_b32 s24, s13
	s_cbranch_execz .LBB6_222
; %bb.221:
	v_add_f64_e64 v[31:32], v[31:32], -v[29:30]
	s_mov_b32 s16, 0x652b82fe
	s_mov_b32 s17, 0x3ff71547
	;; [unrolled: 1-line block ×10, first 2 shown]
	s_wait_alu 0xfffe
	s_delay_alu instid0(VALU_DEP_1) | instskip(SKIP_4) | instid1(VALU_DEP_3)
	v_mul_f64_e32 v[69:70], s[16:17], v[31:32]
	s_mov_b32 s17, 0xbfe62e42
	s_mov_b32 s16, 0xfefa39ef
	v_cmp_nlt_f64_e64 s13, 0x40900000, v[31:32]
	v_cmp_ngt_f64_e64 s14, 0xc090cc00, v[31:32]
	v_rndne_f64_e32 v[69:70], v[69:70]
	s_wait_alu 0xfffe
	s_delay_alu instid0(VALU_DEP_1) | instskip(SKIP_2) | instid1(VALU_DEP_2)
	v_fma_f64 v[71:72], v[69:70], s[16:17], v[31:32]
	v_cvt_i32_f64_e32 v75, v[69:70]
	s_mov_b32 s17, 0x3fe62e42
	v_fma_f64 v[71:72], v[69:70], s[18:19], v[71:72]
	s_mov_b32 s19, 0x3c7abc9e
	s_delay_alu instid0(VALU_DEP_1)
	v_fma_f64 v[73:74], v[71:72], s[36:37], s[20:21]
	s_mov_b32 s20, 0x623fde64
	s_mov_b32 s21, 0x3ec71dee
	;; [unrolled: 1-line block ×4, first 2 shown]
	s_wait_alu 0xfffe
	s_delay_alu instid0(VALU_DEP_1) | instskip(SKIP_3) | instid1(VALU_DEP_1)
	v_fma_f64 v[73:74], v[71:72], v[73:74], s[20:21]
	s_mov_b32 s20, 0x7c89e6b0
	s_mov_b32 s21, 0x3efa0199
	s_wait_alu 0xfffe
	v_fma_f64 v[73:74], v[71:72], v[73:74], s[20:21]
	s_mov_b32 s20, 0x14761f6e
	s_mov_b32 s21, 0x3f2a01a0
	s_wait_alu 0xfffe
	s_delay_alu instid0(VALU_DEP_1) | instskip(SKIP_3) | instid1(VALU_DEP_1)
	v_fma_f64 v[73:74], v[71:72], v[73:74], s[20:21]
	s_mov_b32 s20, 0x1852b7b0
	s_mov_b32 s21, 0x3f56c16c
	s_wait_alu 0xfffe
	v_fma_f64 v[73:74], v[71:72], v[73:74], s[20:21]
	s_mov_b32 s20, 0x11122322
	s_mov_b32 s21, 0x3f811111
	;; [unrolled: 9-line block ×4, first 2 shown]
	s_delay_alu instid0(VALU_DEP_1) | instskip(NEXT) | instid1(VALU_DEP_1)
	v_fma_f64 v[73:74], v[71:72], v[73:74], 1.0
	v_fma_f64 v[69:70], v[71:72], v[73:74], 1.0
	s_delay_alu instid0(VALU_DEP_1) | instskip(SKIP_1) | instid1(VALU_DEP_1)
	v_ldexp_f64 v[69:70], v[69:70], v75
	s_wait_alu 0xf1ff
	v_cndmask_b32_e64 v70, 0x7ff00000, v70, s13
	s_and_b32 s13, s14, s13
	s_wait_alu 0xfffe
	s_delay_alu instid0(VALU_DEP_2) | instskip(NEXT) | instid1(VALU_DEP_2)
	v_cndmask_b32_e64 v31, 0, v69, s13
	v_cndmask_b32_e64 v32, 0, v70, s14
	s_delay_alu instid0(VALU_DEP_1) | instskip(SKIP_1) | instid1(VALU_DEP_2)
	v_add_f64_e32 v[69:70], 1.0, v[31:32]
	v_cmp_neq_f64_e64 s14, 0x7ff00000, v[31:32]
	v_frexp_mant_f64_e32 v[71:72], v[69:70]
	v_frexp_exp_i32_f64_e32 v75, v[69:70]
	v_add_f64_e32 v[73:74], -1.0, v[69:70]
	s_delay_alu instid0(VALU_DEP_3)
	v_cmp_gt_f64_e64 s13, s[20:21], v[71:72]
	s_mov_b32 s20, 0x55555780
	v_add_f64_e64 v[71:72], v[73:74], -v[69:70]
	v_add_f64_e64 v[73:74], v[31:32], -v[73:74]
	s_wait_alu 0xf1ff
	v_subrev_co_ci_u32_e64 v109, null, 0, v75, s13
	s_delay_alu instid0(VALU_DEP_3) | instskip(SKIP_1) | instid1(VALU_DEP_3)
	v_add_f64_e32 v[71:72], 1.0, v[71:72]
	v_cmp_nge_f64_e64 s13, -1.0, v[31:32]
	v_sub_nc_u32_e32 v77, 0, v109
	s_delay_alu instid0(VALU_DEP_1) | instskip(NEXT) | instid1(VALU_DEP_4)
	v_ldexp_f64 v[69:70], v[69:70], v77
	v_add_f64_e32 v[71:72], v[73:74], v[71:72]
	s_and_b32 s13, s13, s14
	s_delay_alu instid0(VALU_DEP_2) | instskip(SKIP_1) | instid1(VALU_DEP_3)
	v_add_f64_e32 v[75:76], 1.0, v[69:70]
	v_add_f64_e32 v[81:82], -1.0, v[69:70]
	v_ldexp_f64 v[71:72], v[71:72], v77
	s_delay_alu instid0(VALU_DEP_3) | instskip(NEXT) | instid1(VALU_DEP_3)
	v_add_f64_e32 v[73:74], -1.0, v[75:76]
	v_add_f64_e32 v[101:102], 1.0, v[81:82]
	s_delay_alu instid0(VALU_DEP_2) | instskip(NEXT) | instid1(VALU_DEP_2)
	v_add_f64_e64 v[73:74], v[69:70], -v[73:74]
	v_add_f64_e64 v[69:70], v[69:70], -v[101:102]
	s_delay_alu instid0(VALU_DEP_2) | instskip(NEXT) | instid1(VALU_DEP_2)
	v_add_f64_e32 v[73:74], v[71:72], v[73:74]
	v_add_f64_e32 v[69:70], v[71:72], v[69:70]
	s_delay_alu instid0(VALU_DEP_2) | instskip(NEXT) | instid1(VALU_DEP_2)
	v_add_f64_e32 v[77:78], v[75:76], v[73:74]
	v_add_f64_e32 v[101:102], v[81:82], v[69:70]
	s_delay_alu instid0(VALU_DEP_2) | instskip(SKIP_1) | instid1(VALU_DEP_2)
	v_rcp_f64_e32 v[79:80], v[77:78]
	v_add_f64_e64 v[75:76], v[77:78], -v[75:76]
	v_add_f64_e64 v[81:82], v[101:102], -v[81:82]
	s_delay_alu instid0(VALU_DEP_2) | instskip(NEXT) | instid1(TRANS32_DEP_1)
	v_add_f64_e64 v[73:74], v[73:74], -v[75:76]
	v_fma_f64 v[103:104], -v[77:78], v[79:80], 1.0
	s_delay_alu instid0(VALU_DEP_3) | instskip(NEXT) | instid1(VALU_DEP_2)
	v_add_f64_e64 v[69:70], v[69:70], -v[81:82]
	v_fma_f64 v[79:80], v[103:104], v[79:80], v[79:80]
	s_delay_alu instid0(VALU_DEP_1) | instskip(NEXT) | instid1(VALU_DEP_1)
	v_fma_f64 v[71:72], -v[77:78], v[79:80], 1.0
	v_fma_f64 v[71:72], v[71:72], v[79:80], v[79:80]
	s_delay_alu instid0(VALU_DEP_1) | instskip(NEXT) | instid1(VALU_DEP_1)
	v_mul_f64_e32 v[79:80], v[101:102], v[71:72]
	v_mul_f64_e32 v[103:104], v[77:78], v[79:80]
	s_delay_alu instid0(VALU_DEP_1) | instskip(NEXT) | instid1(VALU_DEP_1)
	v_fma_f64 v[75:76], v[79:80], v[77:78], -v[103:104]
	v_fma_f64 v[75:76], v[79:80], v[73:74], v[75:76]
	s_delay_alu instid0(VALU_DEP_1) | instskip(NEXT) | instid1(VALU_DEP_1)
	v_add_f64_e32 v[105:106], v[103:104], v[75:76]
	v_add_f64_e64 v[107:108], v[101:102], -v[105:106]
	v_add_f64_e64 v[81:82], v[105:106], -v[103:104]
	s_delay_alu instid0(VALU_DEP_2) | instskip(NEXT) | instid1(VALU_DEP_2)
	v_add_f64_e64 v[101:102], v[101:102], -v[107:108]
	v_add_f64_e64 v[75:76], v[81:82], -v[75:76]
	s_delay_alu instid0(VALU_DEP_2) | instskip(NEXT) | instid1(VALU_DEP_1)
	v_add_f64_e64 v[101:102], v[101:102], -v[105:106]
	v_add_f64_e32 v[69:70], v[69:70], v[101:102]
	s_delay_alu instid0(VALU_DEP_1) | instskip(NEXT) | instid1(VALU_DEP_1)
	v_add_f64_e32 v[69:70], v[75:76], v[69:70]
	v_add_f64_e32 v[75:76], v[107:108], v[69:70]
	s_delay_alu instid0(VALU_DEP_1) | instskip(SKIP_1) | instid1(VALU_DEP_2)
	v_mul_f64_e32 v[81:82], v[71:72], v[75:76]
	v_add_f64_e64 v[105:106], v[107:108], -v[75:76]
	v_mul_f64_e32 v[101:102], v[77:78], v[81:82]
	s_delay_alu instid0(VALU_DEP_2) | instskip(NEXT) | instid1(VALU_DEP_2)
	v_add_f64_e32 v[69:70], v[69:70], v[105:106]
	v_fma_f64 v[77:78], v[81:82], v[77:78], -v[101:102]
	s_delay_alu instid0(VALU_DEP_1) | instskip(NEXT) | instid1(VALU_DEP_1)
	v_fma_f64 v[73:74], v[81:82], v[73:74], v[77:78]
	v_add_f64_e32 v[77:78], v[101:102], v[73:74]
	s_delay_alu instid0(VALU_DEP_1) | instskip(SKIP_1) | instid1(VALU_DEP_2)
	v_add_f64_e64 v[103:104], v[75:76], -v[77:78]
	v_add_f64_e64 v[101:102], v[77:78], -v[101:102]
	;; [unrolled: 1-line block ×3, first 2 shown]
	s_delay_alu instid0(VALU_DEP_2) | instskip(NEXT) | instid1(VALU_DEP_2)
	v_add_f64_e64 v[73:74], v[101:102], -v[73:74]
	v_add_f64_e64 v[75:76], v[75:76], -v[77:78]
	s_delay_alu instid0(VALU_DEP_1) | instskip(SKIP_1) | instid1(VALU_DEP_2)
	v_add_f64_e32 v[69:70], v[69:70], v[75:76]
	v_add_f64_e32 v[75:76], v[79:80], v[81:82]
	;; [unrolled: 1-line block ×3, first 2 shown]
	s_delay_alu instid0(VALU_DEP_2) | instskip(NEXT) | instid1(VALU_DEP_2)
	v_add_f64_e64 v[73:74], v[75:76], -v[79:80]
	v_add_f64_e32 v[69:70], v[103:104], v[69:70]
	s_delay_alu instid0(VALU_DEP_2) | instskip(NEXT) | instid1(VALU_DEP_2)
	v_add_f64_e64 v[73:74], v[81:82], -v[73:74]
	v_mul_f64_e32 v[69:70], v[71:72], v[69:70]
	s_delay_alu instid0(VALU_DEP_1) | instskip(NEXT) | instid1(VALU_DEP_1)
	v_add_f64_e32 v[69:70], v[73:74], v[69:70]
	v_add_f64_e32 v[71:72], v[75:76], v[69:70]
	s_delay_alu instid0(VALU_DEP_1) | instskip(NEXT) | instid1(VALU_DEP_1)
	v_mul_f64_e32 v[73:74], v[71:72], v[71:72]
	v_fma_f64 v[77:78], v[73:74], s[38:39], s[36:37]
	s_mov_b32 s36, 0xd7f4df2e
	s_mov_b32 s37, 0x3fc7474d
	v_mul_f64_e32 v[79:80], v[71:72], v[73:74]
	s_wait_alu 0xfffe
	s_delay_alu instid0(VALU_DEP_2) | instskip(SKIP_3) | instid1(VALU_DEP_1)
	v_fma_f64 v[77:78], v[73:74], v[77:78], s[36:37]
	s_mov_b32 s36, 0x16291751
	s_mov_b32 s37, 0x3fcc71c0
	s_wait_alu 0xfffe
	v_fma_f64 v[77:78], v[73:74], v[77:78], s[36:37]
	s_mov_b32 s36, 0x9b27acf1
	s_mov_b32 s37, 0x3fd24924
	s_wait_alu 0xfffe
	s_delay_alu instid0(VALU_DEP_1) | instskip(SKIP_3) | instid1(VALU_DEP_1)
	v_fma_f64 v[77:78], v[73:74], v[77:78], s[36:37]
	s_mov_b32 s36, 0x998ef7b6
	s_mov_b32 s37, 0x3fd99999
	s_wait_alu 0xfffe
	v_fma_f64 v[77:78], v[73:74], v[77:78], s[36:37]
	s_delay_alu instid0(VALU_DEP_1) | instskip(SKIP_2) | instid1(VALU_DEP_3)
	v_fma_f64 v[73:74], v[73:74], v[77:78], s[20:21]
	v_ldexp_f64 v[77:78], v[71:72], 1
	v_add_f64_e64 v[71:72], v[71:72], -v[75:76]
	v_mul_f64_e32 v[73:74], v[79:80], v[73:74]
	v_cvt_f64_i32_e32 v[79:80], v109
	s_delay_alu instid0(VALU_DEP_3) | instskip(NEXT) | instid1(VALU_DEP_3)
	v_add_f64_e64 v[69:70], v[69:70], -v[71:72]
	v_add_f64_e32 v[75:76], v[77:78], v[73:74]
	s_delay_alu instid0(VALU_DEP_3) | instskip(NEXT) | instid1(VALU_DEP_3)
	v_mul_f64_e32 v[81:82], s[16:17], v[79:80]
	v_ldexp_f64 v[69:70], v[69:70], 1
	s_delay_alu instid0(VALU_DEP_3) | instskip(NEXT) | instid1(VALU_DEP_3)
	v_add_f64_e64 v[71:72], v[75:76], -v[77:78]
	v_fma_f64 v[77:78], v[79:80], s[16:17], -v[81:82]
	v_cmp_ngt_f64_e64 s16, -1.0, v[31:32]
	s_delay_alu instid0(VALU_DEP_3) | instskip(NEXT) | instid1(VALU_DEP_3)
	v_add_f64_e64 v[71:72], v[73:74], -v[71:72]
	v_fma_f64 v[73:74], v[79:80], s[18:19], v[77:78]
	s_delay_alu instid0(VALU_DEP_2) | instskip(NEXT) | instid1(VALU_DEP_2)
	v_add_f64_e32 v[69:70], v[69:70], v[71:72]
	v_add_f64_e32 v[71:72], v[81:82], v[73:74]
	s_delay_alu instid0(VALU_DEP_2) | instskip(NEXT) | instid1(VALU_DEP_2)
	v_add_f64_e32 v[77:78], v[75:76], v[69:70]
	v_add_f64_e64 v[81:82], v[71:72], -v[81:82]
	s_delay_alu instid0(VALU_DEP_2) | instskip(SKIP_1) | instid1(VALU_DEP_3)
	v_add_f64_e32 v[79:80], v[71:72], v[77:78]
	v_add_f64_e64 v[75:76], v[77:78], -v[75:76]
	v_add_f64_e64 v[73:74], v[73:74], -v[81:82]
	s_delay_alu instid0(VALU_DEP_3) | instskip(NEXT) | instid1(VALU_DEP_3)
	v_add_f64_e64 v[101:102], v[79:80], -v[71:72]
	v_add_f64_e64 v[69:70], v[69:70], -v[75:76]
	s_delay_alu instid0(VALU_DEP_2) | instskip(SKIP_1) | instid1(VALU_DEP_3)
	v_add_f64_e64 v[103:104], v[79:80], -v[101:102]
	v_add_f64_e64 v[75:76], v[77:78], -v[101:102]
	v_add_f64_e32 v[77:78], v[73:74], v[69:70]
	s_delay_alu instid0(VALU_DEP_3) | instskip(NEXT) | instid1(VALU_DEP_1)
	v_add_f64_e64 v[71:72], v[71:72], -v[103:104]
	v_add_f64_e32 v[71:72], v[75:76], v[71:72]
	s_delay_alu instid0(VALU_DEP_3) | instskip(NEXT) | instid1(VALU_DEP_2)
	v_add_f64_e64 v[75:76], v[77:78], -v[73:74]
	v_add_f64_e32 v[71:72], v[77:78], v[71:72]
	s_delay_alu instid0(VALU_DEP_2) | instskip(SKIP_1) | instid1(VALU_DEP_3)
	v_add_f64_e64 v[77:78], v[77:78], -v[75:76]
	v_add_f64_e64 v[69:70], v[69:70], -v[75:76]
	v_add_f64_e32 v[81:82], v[79:80], v[71:72]
	s_delay_alu instid0(VALU_DEP_3) | instskip(NEXT) | instid1(VALU_DEP_2)
	v_add_f64_e64 v[73:74], v[73:74], -v[77:78]
	v_add_f64_e64 v[75:76], v[81:82], -v[79:80]
	s_delay_alu instid0(VALU_DEP_2) | instskip(NEXT) | instid1(VALU_DEP_2)
	v_add_f64_e32 v[69:70], v[69:70], v[73:74]
	v_add_f64_e64 v[71:72], v[71:72], -v[75:76]
	s_delay_alu instid0(VALU_DEP_1) | instskip(NEXT) | instid1(VALU_DEP_1)
	v_add_f64_e32 v[69:70], v[69:70], v[71:72]
	v_add_f64_e32 v[69:70], v[81:82], v[69:70]
	s_delay_alu instid0(VALU_DEP_1) | instskip(SKIP_1) | instid1(VALU_DEP_3)
	v_cndmask_b32_e64 v69, 0, v69, s13
	v_cmp_neq_f64_e64 s13, -1.0, v[31:32]
	v_cndmask_b32_e64 v70, 0x7ff00000, v70, s14
	s_wait_alu 0xf1ff
	s_delay_alu instid0(VALU_DEP_1) | instskip(NEXT) | instid1(VALU_DEP_1)
	v_cndmask_b32_e64 v70, 0x7ff80000, v70, s16
	v_cndmask_b32_e64 v70, 0xfff00000, v70, s13
	s_delay_alu instid0(VALU_DEP_1)
	v_add_f64_e32 v[69:70], v[29:30], v[69:70]
.LBB6_222:
	s_wait_alu 0xfffe
	s_or_b32 exec_lo, exec_lo, s24
	v_max_num_f64_e32 v[29:30], v[37:38], v[37:38]
	s_delay_alu instid0(VALU_DEP_2) | instskip(SKIP_2) | instid1(VALU_DEP_3)
	v_max_num_f64_e32 v[31:32], v[69:70], v[69:70]
	v_cmp_u_f64_e64 s14, v[69:70], v[69:70]
	v_cmp_u_f64_e64 s13, v[37:38], v[37:38]
	v_min_num_f64_e32 v[71:72], v[31:32], v[29:30]
	v_max_num_f64_e32 v[31:32], v[31:32], v[29:30]
	s_wait_alu 0xf1ff
	s_delay_alu instid0(VALU_DEP_2) | instskip(NEXT) | instid1(VALU_DEP_3)
	v_cndmask_b32_e64 v71, v71, v69, s14
	v_cndmask_b32_e64 v72, v72, v70, s14
	s_delay_alu instid0(VALU_DEP_3) | instskip(NEXT) | instid1(VALU_DEP_4)
	v_cndmask_b32_e64 v32, v32, v70, s14
	v_cndmask_b32_e64 v31, v31, v69, s14
	s_delay_alu instid0(VALU_DEP_4) | instskip(NEXT) | instid1(VALU_DEP_4)
	v_cndmask_b32_e64 v71, v71, v37, s13
	v_cndmask_b32_e64 v72, v72, v38, s13
	s_delay_alu instid0(VALU_DEP_4) | instskip(NEXT) | instid1(VALU_DEP_4)
	v_cndmask_b32_e64 v32, v32, v38, s13
	v_cndmask_b32_e64 v31, v31, v37, s13
	s_delay_alu instid0(VALU_DEP_3) | instskip(NEXT) | instid1(VALU_DEP_2)
	v_cmp_class_f64_e64 s16, v[71:72], 0x1f8
	v_cmp_neq_f64_e64 s14, v[71:72], v[31:32]
	s_or_b32 s14, s14, s16
	s_wait_alu 0xfffe
	s_and_saveexec_b32 s24, s14
	s_cbranch_execz .LBB6_224
; %bb.223:
	v_add_f64_e64 v[69:70], v[71:72], -v[31:32]
	s_mov_b32 s16, 0x652b82fe
	s_mov_b32 s17, 0x3ff71547
	;; [unrolled: 1-line block ×10, first 2 shown]
	s_wait_alu 0xfffe
	s_delay_alu instid0(VALU_DEP_1) | instskip(SKIP_3) | instid1(VALU_DEP_2)
	v_mul_f64_e32 v[71:72], s[16:17], v[69:70]
	s_mov_b32 s16, 0xfca7ab0c
	s_mov_b32 s17, 0x3e928af3
	v_cmp_nlt_f64_e64 s14, 0x40900000, v[69:70]
	v_rndne_f64_e32 v[71:72], v[71:72]
	s_delay_alu instid0(VALU_DEP_1) | instskip(SKIP_2) | instid1(VALU_DEP_2)
	v_fma_f64 v[73:74], v[71:72], s[18:19], v[69:70]
	v_cvt_i32_f64_e32 v77, v[71:72]
	s_mov_b32 s19, 0x3fe62e42
	v_fma_f64 v[73:74], v[71:72], s[20:21], v[73:74]
	s_mov_b32 s21, 0x3c7abc9e
	s_wait_alu 0xfffe
	s_delay_alu instid0(VALU_DEP_1)
	v_fma_f64 v[75:76], v[73:74], s[36:37], s[16:17]
	s_mov_b32 s16, 0x623fde64
	s_mov_b32 s17, 0x3ec71dee
	;; [unrolled: 1-line block ×4, first 2 shown]
	s_wait_alu 0xfffe
	s_delay_alu instid0(VALU_DEP_1) | instskip(SKIP_3) | instid1(VALU_DEP_1)
	v_fma_f64 v[75:76], v[73:74], v[75:76], s[16:17]
	s_mov_b32 s16, 0x7c89e6b0
	s_mov_b32 s17, 0x3efa0199
	s_wait_alu 0xfffe
	v_fma_f64 v[75:76], v[73:74], v[75:76], s[16:17]
	s_mov_b32 s16, 0x14761f6e
	s_mov_b32 s17, 0x3f2a01a0
	s_wait_alu 0xfffe
	s_delay_alu instid0(VALU_DEP_1) | instskip(SKIP_3) | instid1(VALU_DEP_1)
	v_fma_f64 v[75:76], v[73:74], v[75:76], s[16:17]
	s_mov_b32 s16, 0x1852b7b0
	s_mov_b32 s17, 0x3f56c16c
	s_wait_alu 0xfffe
	v_fma_f64 v[75:76], v[73:74], v[75:76], s[16:17]
	s_mov_b32 s16, 0x11122322
	s_mov_b32 s17, 0x3f811111
	;; [unrolled: 9-line block ×3, first 2 shown]
	s_wait_alu 0xfffe
	s_delay_alu instid0(VALU_DEP_1) | instskip(SKIP_3) | instid1(VALU_DEP_1)
	v_fma_f64 v[75:76], v[73:74], v[75:76], s[16:17]
	s_mov_b32 s16, 11
	s_mov_b32 s17, 0x3fe00000
	s_wait_alu 0xfffe
	v_fma_f64 v[75:76], v[73:74], v[75:76], s[16:17]
	v_cmp_ngt_f64_e64 s16, 0xc090cc00, v[69:70]
	s_mov_b32 s17, 0x3fe55555
	v_fma_f64 v[75:76], v[73:74], v[75:76], 1.0
	s_delay_alu instid0(VALU_DEP_1) | instskip(NEXT) | instid1(VALU_DEP_1)
	v_fma_f64 v[71:72], v[73:74], v[75:76], 1.0
	v_ldexp_f64 v[71:72], v[71:72], v77
	s_wait_alu 0xf1ff
	s_delay_alu instid0(VALU_DEP_1) | instskip(SKIP_2) | instid1(VALU_DEP_2)
	v_cndmask_b32_e64 v72, 0x7ff00000, v72, s14
	s_and_b32 s14, s16, s14
	s_wait_alu 0xfffe
	v_cndmask_b32_e64 v69, 0, v71, s14
	s_delay_alu instid0(VALU_DEP_2) | instskip(SKIP_1) | instid1(VALU_DEP_1)
	v_cndmask_b32_e64 v70, 0, v72, s16
	s_mov_b32 s16, 0x55555555
	v_add_f64_e32 v[71:72], 1.0, v[69:70]
	s_delay_alu instid0(VALU_DEP_1) | instskip(SKIP_3) | instid1(VALU_DEP_3)
	v_frexp_mant_f64_e32 v[73:74], v[71:72]
	v_frexp_exp_i32_f64_e32 v77, v[71:72]
	v_add_f64_e32 v[75:76], -1.0, v[71:72]
	s_wait_alu 0xfffe
	v_cmp_gt_f64_e64 s14, s[16:17], v[73:74]
	s_mov_b32 s16, 0x55555780
	v_add_f64_e64 v[73:74], v[75:76], -v[71:72]
	v_add_f64_e64 v[75:76], v[69:70], -v[75:76]
	s_wait_alu 0xf1ff
	v_subrev_co_ci_u32_e64 v111, null, 0, v77, s14
	s_delay_alu instid0(VALU_DEP_3) | instskip(SKIP_1) | instid1(VALU_DEP_3)
	v_add_f64_e32 v[73:74], 1.0, v[73:74]
	v_cmp_nge_f64_e64 s14, -1.0, v[69:70]
	v_sub_nc_u32_e32 v79, 0, v111
	s_delay_alu instid0(VALU_DEP_1) | instskip(NEXT) | instid1(VALU_DEP_4)
	v_ldexp_f64 v[71:72], v[71:72], v79
	v_add_f64_e32 v[73:74], v[75:76], v[73:74]
	s_delay_alu instid0(VALU_DEP_2) | instskip(SKIP_1) | instid1(VALU_DEP_3)
	v_add_f64_e32 v[77:78], 1.0, v[71:72]
	v_add_f64_e32 v[101:102], -1.0, v[71:72]
	v_ldexp_f64 v[73:74], v[73:74], v79
	s_delay_alu instid0(VALU_DEP_3) | instskip(NEXT) | instid1(VALU_DEP_3)
	v_add_f64_e32 v[75:76], -1.0, v[77:78]
	v_add_f64_e32 v[103:104], 1.0, v[101:102]
	s_delay_alu instid0(VALU_DEP_2) | instskip(NEXT) | instid1(VALU_DEP_2)
	v_add_f64_e64 v[75:76], v[71:72], -v[75:76]
	v_add_f64_e64 v[71:72], v[71:72], -v[103:104]
	s_delay_alu instid0(VALU_DEP_2) | instskip(NEXT) | instid1(VALU_DEP_2)
	v_add_f64_e32 v[75:76], v[73:74], v[75:76]
	v_add_f64_e32 v[71:72], v[73:74], v[71:72]
	s_delay_alu instid0(VALU_DEP_2) | instskip(NEXT) | instid1(VALU_DEP_2)
	v_add_f64_e32 v[79:80], v[77:78], v[75:76]
	v_add_f64_e32 v[103:104], v[101:102], v[71:72]
	s_delay_alu instid0(VALU_DEP_2) | instskip(SKIP_1) | instid1(VALU_DEP_2)
	v_rcp_f64_e32 v[81:82], v[79:80]
	v_add_f64_e64 v[77:78], v[79:80], -v[77:78]
	v_add_f64_e64 v[101:102], v[103:104], -v[101:102]
	s_delay_alu instid0(VALU_DEP_2) | instskip(NEXT) | instid1(TRANS32_DEP_1)
	v_add_f64_e64 v[75:76], v[75:76], -v[77:78]
	v_fma_f64 v[105:106], -v[79:80], v[81:82], 1.0
	s_delay_alu instid0(VALU_DEP_3) | instskip(NEXT) | instid1(VALU_DEP_2)
	v_add_f64_e64 v[71:72], v[71:72], -v[101:102]
	v_fma_f64 v[81:82], v[105:106], v[81:82], v[81:82]
	s_delay_alu instid0(VALU_DEP_1) | instskip(NEXT) | instid1(VALU_DEP_1)
	v_fma_f64 v[73:74], -v[79:80], v[81:82], 1.0
	v_fma_f64 v[73:74], v[73:74], v[81:82], v[81:82]
	s_delay_alu instid0(VALU_DEP_1) | instskip(NEXT) | instid1(VALU_DEP_1)
	v_mul_f64_e32 v[81:82], v[103:104], v[73:74]
	v_mul_f64_e32 v[105:106], v[79:80], v[81:82]
	s_delay_alu instid0(VALU_DEP_1) | instskip(NEXT) | instid1(VALU_DEP_1)
	v_fma_f64 v[77:78], v[81:82], v[79:80], -v[105:106]
	v_fma_f64 v[77:78], v[81:82], v[75:76], v[77:78]
	s_delay_alu instid0(VALU_DEP_1) | instskip(NEXT) | instid1(VALU_DEP_1)
	v_add_f64_e32 v[107:108], v[105:106], v[77:78]
	v_add_f64_e64 v[109:110], v[103:104], -v[107:108]
	v_add_f64_e64 v[101:102], v[107:108], -v[105:106]
	s_delay_alu instid0(VALU_DEP_2) | instskip(NEXT) | instid1(VALU_DEP_2)
	v_add_f64_e64 v[103:104], v[103:104], -v[109:110]
	v_add_f64_e64 v[77:78], v[101:102], -v[77:78]
	s_delay_alu instid0(VALU_DEP_2) | instskip(NEXT) | instid1(VALU_DEP_1)
	v_add_f64_e64 v[103:104], v[103:104], -v[107:108]
	v_add_f64_e32 v[71:72], v[71:72], v[103:104]
	s_delay_alu instid0(VALU_DEP_1) | instskip(NEXT) | instid1(VALU_DEP_1)
	v_add_f64_e32 v[71:72], v[77:78], v[71:72]
	v_add_f64_e32 v[77:78], v[109:110], v[71:72]
	s_delay_alu instid0(VALU_DEP_1) | instskip(SKIP_1) | instid1(VALU_DEP_2)
	v_mul_f64_e32 v[101:102], v[73:74], v[77:78]
	v_add_f64_e64 v[107:108], v[109:110], -v[77:78]
	v_mul_f64_e32 v[103:104], v[79:80], v[101:102]
	s_delay_alu instid0(VALU_DEP_2) | instskip(NEXT) | instid1(VALU_DEP_2)
	v_add_f64_e32 v[71:72], v[71:72], v[107:108]
	v_fma_f64 v[79:80], v[101:102], v[79:80], -v[103:104]
	s_delay_alu instid0(VALU_DEP_1) | instskip(NEXT) | instid1(VALU_DEP_1)
	v_fma_f64 v[75:76], v[101:102], v[75:76], v[79:80]
	v_add_f64_e32 v[79:80], v[103:104], v[75:76]
	s_delay_alu instid0(VALU_DEP_1) | instskip(SKIP_1) | instid1(VALU_DEP_2)
	v_add_f64_e64 v[105:106], v[77:78], -v[79:80]
	v_add_f64_e64 v[103:104], v[79:80], -v[103:104]
	;; [unrolled: 1-line block ×3, first 2 shown]
	s_delay_alu instid0(VALU_DEP_2) | instskip(NEXT) | instid1(VALU_DEP_2)
	v_add_f64_e64 v[75:76], v[103:104], -v[75:76]
	v_add_f64_e64 v[77:78], v[77:78], -v[79:80]
	s_delay_alu instid0(VALU_DEP_1) | instskip(SKIP_1) | instid1(VALU_DEP_2)
	v_add_f64_e32 v[71:72], v[71:72], v[77:78]
	v_add_f64_e32 v[77:78], v[81:82], v[101:102]
	;; [unrolled: 1-line block ×3, first 2 shown]
	s_delay_alu instid0(VALU_DEP_2) | instskip(NEXT) | instid1(VALU_DEP_2)
	v_add_f64_e64 v[75:76], v[77:78], -v[81:82]
	v_add_f64_e32 v[71:72], v[105:106], v[71:72]
	s_delay_alu instid0(VALU_DEP_2) | instskip(NEXT) | instid1(VALU_DEP_2)
	v_add_f64_e64 v[75:76], v[101:102], -v[75:76]
	v_mul_f64_e32 v[71:72], v[73:74], v[71:72]
	s_delay_alu instid0(VALU_DEP_1) | instskip(NEXT) | instid1(VALU_DEP_1)
	v_add_f64_e32 v[71:72], v[75:76], v[71:72]
	v_add_f64_e32 v[73:74], v[77:78], v[71:72]
	s_delay_alu instid0(VALU_DEP_1) | instskip(NEXT) | instid1(VALU_DEP_1)
	v_mul_f64_e32 v[75:76], v[73:74], v[73:74]
	v_fma_f64 v[79:80], v[75:76], s[38:39], s[36:37]
	s_mov_b32 s36, 0xd7f4df2e
	s_mov_b32 s37, 0x3fc7474d
	v_mul_f64_e32 v[81:82], v[73:74], v[75:76]
	s_wait_alu 0xfffe
	s_delay_alu instid0(VALU_DEP_2) | instskip(SKIP_3) | instid1(VALU_DEP_1)
	v_fma_f64 v[79:80], v[75:76], v[79:80], s[36:37]
	s_mov_b32 s36, 0x16291751
	s_mov_b32 s37, 0x3fcc71c0
	s_wait_alu 0xfffe
	v_fma_f64 v[79:80], v[75:76], v[79:80], s[36:37]
	s_mov_b32 s36, 0x9b27acf1
	s_mov_b32 s37, 0x3fd24924
	s_wait_alu 0xfffe
	s_delay_alu instid0(VALU_DEP_1) | instskip(SKIP_3) | instid1(VALU_DEP_1)
	v_fma_f64 v[79:80], v[75:76], v[79:80], s[36:37]
	s_mov_b32 s36, 0x998ef7b6
	s_mov_b32 s37, 0x3fd99999
	s_wait_alu 0xfffe
	v_fma_f64 v[79:80], v[75:76], v[79:80], s[36:37]
	s_delay_alu instid0(VALU_DEP_1)
	v_fma_f64 v[75:76], v[75:76], v[79:80], s[16:17]
	v_ldexp_f64 v[79:80], v[73:74], 1
	v_add_f64_e64 v[73:74], v[73:74], -v[77:78]
	v_cmp_neq_f64_e64 s16, 0x7ff00000, v[69:70]
	v_cmp_ngt_f64_e64 s17, -1.0, v[69:70]
	v_mul_f64_e32 v[75:76], v[81:82], v[75:76]
	v_cvt_f64_i32_e32 v[81:82], v111
	v_add_f64_e64 v[71:72], v[71:72], -v[73:74]
	s_and_b32 s14, s14, s16
	s_delay_alu instid0(VALU_DEP_3) | instskip(NEXT) | instid1(VALU_DEP_3)
	v_add_f64_e32 v[77:78], v[79:80], v[75:76]
	v_mul_f64_e32 v[101:102], s[18:19], v[81:82]
	s_delay_alu instid0(VALU_DEP_3) | instskip(NEXT) | instid1(VALU_DEP_3)
	v_ldexp_f64 v[71:72], v[71:72], 1
	v_add_f64_e64 v[73:74], v[77:78], -v[79:80]
	s_delay_alu instid0(VALU_DEP_3) | instskip(NEXT) | instid1(VALU_DEP_2)
	v_fma_f64 v[79:80], v[81:82], s[18:19], -v[101:102]
	v_add_f64_e64 v[73:74], v[75:76], -v[73:74]
	s_delay_alu instid0(VALU_DEP_2) | instskip(NEXT) | instid1(VALU_DEP_2)
	v_fma_f64 v[75:76], v[81:82], s[20:21], v[79:80]
	v_add_f64_e32 v[71:72], v[71:72], v[73:74]
	s_delay_alu instid0(VALU_DEP_2) | instskip(NEXT) | instid1(VALU_DEP_2)
	v_add_f64_e32 v[73:74], v[101:102], v[75:76]
	v_add_f64_e32 v[79:80], v[77:78], v[71:72]
	s_delay_alu instid0(VALU_DEP_2) | instskip(NEXT) | instid1(VALU_DEP_2)
	v_add_f64_e64 v[101:102], v[73:74], -v[101:102]
	v_add_f64_e32 v[81:82], v[73:74], v[79:80]
	v_add_f64_e64 v[77:78], v[79:80], -v[77:78]
	s_delay_alu instid0(VALU_DEP_3) | instskip(NEXT) | instid1(VALU_DEP_3)
	v_add_f64_e64 v[75:76], v[75:76], -v[101:102]
	v_add_f64_e64 v[103:104], v[81:82], -v[73:74]
	s_delay_alu instid0(VALU_DEP_3) | instskip(NEXT) | instid1(VALU_DEP_2)
	v_add_f64_e64 v[71:72], v[71:72], -v[77:78]
	v_add_f64_e64 v[105:106], v[81:82], -v[103:104]
	;; [unrolled: 1-line block ×3, first 2 shown]
	s_delay_alu instid0(VALU_DEP_3) | instskip(NEXT) | instid1(VALU_DEP_3)
	v_add_f64_e32 v[79:80], v[75:76], v[71:72]
	v_add_f64_e64 v[73:74], v[73:74], -v[105:106]
	s_delay_alu instid0(VALU_DEP_1) | instskip(NEXT) | instid1(VALU_DEP_3)
	v_add_f64_e32 v[73:74], v[77:78], v[73:74]
	v_add_f64_e64 v[77:78], v[79:80], -v[75:76]
	s_delay_alu instid0(VALU_DEP_2) | instskip(NEXT) | instid1(VALU_DEP_2)
	v_add_f64_e32 v[73:74], v[79:80], v[73:74]
	v_add_f64_e64 v[79:80], v[79:80], -v[77:78]
	v_add_f64_e64 v[71:72], v[71:72], -v[77:78]
	s_delay_alu instid0(VALU_DEP_3) | instskip(NEXT) | instid1(VALU_DEP_3)
	v_add_f64_e32 v[101:102], v[81:82], v[73:74]
	v_add_f64_e64 v[75:76], v[75:76], -v[79:80]
	s_delay_alu instid0(VALU_DEP_2) | instskip(NEXT) | instid1(VALU_DEP_2)
	v_add_f64_e64 v[77:78], v[101:102], -v[81:82]
	v_add_f64_e32 v[71:72], v[71:72], v[75:76]
	s_delay_alu instid0(VALU_DEP_2) | instskip(NEXT) | instid1(VALU_DEP_1)
	v_add_f64_e64 v[73:74], v[73:74], -v[77:78]
	v_add_f64_e32 v[71:72], v[71:72], v[73:74]
	s_delay_alu instid0(VALU_DEP_1) | instskip(SKIP_1) | instid1(VALU_DEP_1)
	v_add_f64_e32 v[71:72], v[101:102], v[71:72]
	s_wait_alu 0xfffe
	v_cndmask_b32_e64 v71, 0, v71, s14
	v_cmp_neq_f64_e64 s14, -1.0, v[69:70]
	s_delay_alu instid0(VALU_DEP_3) | instskip(NEXT) | instid1(VALU_DEP_1)
	v_cndmask_b32_e64 v72, 0x7ff00000, v72, s16
	v_cndmask_b32_e64 v72, 0x7ff80000, v72, s17
	s_wait_alu 0xf1ff
	s_delay_alu instid0(VALU_DEP_1) | instskip(NEXT) | instid1(VALU_DEP_1)
	v_cndmask_b32_e64 v72, 0xfff00000, v72, s14
	v_add_f64_e32 v[69:70], v[31:32], v[71:72]
.LBB6_224:
	s_wait_alu 0xfffe
	s_or_b32 exec_lo, exec_lo, s24
	v_max_num_f64_e32 v[31:32], v[39:40], v[39:40]
	s_delay_alu instid0(VALU_DEP_2) | instskip(SKIP_2) | instid1(VALU_DEP_3)
	v_max_num_f64_e32 v[71:72], v[69:70], v[69:70]
	v_cmp_u_f64_e64 s16, v[69:70], v[69:70]
	v_cmp_u_f64_e64 s14, v[39:40], v[39:40]
	v_min_num_f64_e32 v[73:74], v[71:72], v[31:32]
	v_max_num_f64_e32 v[71:72], v[71:72], v[31:32]
	s_wait_alu 0xf1ff
	s_delay_alu instid0(VALU_DEP_2) | instskip(NEXT) | instid1(VALU_DEP_3)
	v_cndmask_b32_e64 v73, v73, v69, s16
	v_cndmask_b32_e64 v74, v74, v70, s16
	s_delay_alu instid0(VALU_DEP_3) | instskip(NEXT) | instid1(VALU_DEP_4)
	v_cndmask_b32_e64 v72, v72, v70, s16
	v_cndmask_b32_e64 v71, v71, v69, s16
	s_delay_alu instid0(VALU_DEP_4) | instskip(NEXT) | instid1(VALU_DEP_4)
	v_cndmask_b32_e64 v73, v73, v39, s14
	v_cndmask_b32_e64 v74, v74, v40, s14
	s_delay_alu instid0(VALU_DEP_4) | instskip(NEXT) | instid1(VALU_DEP_4)
	v_cndmask_b32_e64 v72, v72, v40, s14
	v_cndmask_b32_e64 v71, v71, v39, s14
	s_delay_alu instid0(VALU_DEP_3) | instskip(NEXT) | instid1(VALU_DEP_2)
	v_cmp_class_f64_e64 s17, v[73:74], 0x1f8
	v_cmp_neq_f64_e64 s16, v[73:74], v[71:72]
	s_or_b32 s16, s16, s17
	s_wait_alu 0xfffe
	s_and_saveexec_b32 s24, s16
	s_cbranch_execz .LBB6_226
; %bb.225:
	v_add_f64_e64 v[69:70], v[73:74], -v[71:72]
	s_mov_b32 s16, 0x652b82fe
	s_mov_b32 s17, 0x3ff71547
	s_mov_b32 s19, 0xbfe62e42
	s_mov_b32 s18, 0xfefa39ef
	s_mov_b32 s21, 0xbc7abc9e
	s_mov_b32 s20, 0x3b39803f
	s_mov_b32 s36, 0x6a5dcb37
	s_mov_b32 s37, 0x3e5ade15
	s_mov_b32 s38, 0xbf559e2b
	s_mov_b32 s39, 0x3fc3ab76
	s_wait_alu 0xfffe
	s_delay_alu instid0(VALU_DEP_1) | instskip(SKIP_2) | instid1(VALU_DEP_1)
	v_mul_f64_e32 v[73:74], s[16:17], v[69:70]
	s_mov_b32 s16, 0xfca7ab0c
	s_mov_b32 s17, 0x3e928af3
	v_rndne_f64_e32 v[73:74], v[73:74]
	s_delay_alu instid0(VALU_DEP_1) | instskip(SKIP_2) | instid1(VALU_DEP_2)
	v_fma_f64 v[75:76], v[73:74], s[18:19], v[69:70]
	v_cvt_i32_f64_e32 v79, v[73:74]
	s_mov_b32 s19, 0x3fe62e42
	v_fma_f64 v[75:76], v[73:74], s[20:21], v[75:76]
	s_mov_b32 s21, 0x3c7abc9e
	s_wait_alu 0xfffe
	s_delay_alu instid0(VALU_DEP_1)
	v_fma_f64 v[77:78], v[75:76], s[36:37], s[16:17]
	s_mov_b32 s16, 0x623fde64
	s_mov_b32 s17, 0x3ec71dee
	;; [unrolled: 1-line block ×4, first 2 shown]
	s_wait_alu 0xfffe
	s_delay_alu instid0(VALU_DEP_1) | instskip(SKIP_3) | instid1(VALU_DEP_1)
	v_fma_f64 v[77:78], v[75:76], v[77:78], s[16:17]
	s_mov_b32 s16, 0x7c89e6b0
	s_mov_b32 s17, 0x3efa0199
	s_wait_alu 0xfffe
	v_fma_f64 v[77:78], v[75:76], v[77:78], s[16:17]
	s_mov_b32 s16, 0x14761f6e
	s_mov_b32 s17, 0x3f2a01a0
	s_wait_alu 0xfffe
	s_delay_alu instid0(VALU_DEP_1) | instskip(SKIP_3) | instid1(VALU_DEP_1)
	v_fma_f64 v[77:78], v[75:76], v[77:78], s[16:17]
	s_mov_b32 s16, 0x1852b7b0
	s_mov_b32 s17, 0x3f56c16c
	s_wait_alu 0xfffe
	v_fma_f64 v[77:78], v[75:76], v[77:78], s[16:17]
	s_mov_b32 s16, 0x11122322
	s_mov_b32 s17, 0x3f811111
	;; [unrolled: 9-line block ×3, first 2 shown]
	s_wait_alu 0xfffe
	s_delay_alu instid0(VALU_DEP_1) | instskip(SKIP_3) | instid1(VALU_DEP_1)
	v_fma_f64 v[77:78], v[75:76], v[77:78], s[16:17]
	s_mov_b32 s16, 11
	s_mov_b32 s17, 0x3fe00000
	s_wait_alu 0xfffe
	v_fma_f64 v[77:78], v[75:76], v[77:78], s[16:17]
	v_cmp_nlt_f64_e64 s16, 0x40900000, v[69:70]
	v_cmp_ngt_f64_e64 s17, 0xc090cc00, v[69:70]
	s_delay_alu instid0(VALU_DEP_3) | instskip(NEXT) | instid1(VALU_DEP_1)
	v_fma_f64 v[77:78], v[75:76], v[77:78], 1.0
	v_fma_f64 v[73:74], v[75:76], v[77:78], 1.0
	s_delay_alu instid0(VALU_DEP_1) | instskip(SKIP_1) | instid1(VALU_DEP_1)
	v_ldexp_f64 v[73:74], v[73:74], v79
	s_wait_alu 0xf1ff
	v_cndmask_b32_e64 v74, 0x7ff00000, v74, s16
	s_and_b32 s16, s17, s16
	s_wait_alu 0xfffe
	s_delay_alu instid0(VALU_DEP_2) | instskip(SKIP_3) | instid1(VALU_DEP_1)
	v_cndmask_b32_e64 v69, 0, v73, s16
	s_mov_b32 s16, 0x55555555
	v_cndmask_b32_e64 v70, 0, v74, s17
	s_mov_b32 s17, 0x3fe55555
	v_add_f64_e32 v[73:74], 1.0, v[69:70]
	s_delay_alu instid0(VALU_DEP_1) | instskip(SKIP_3) | instid1(VALU_DEP_3)
	v_frexp_mant_f64_e32 v[75:76], v[73:74]
	v_frexp_exp_i32_f64_e32 v79, v[73:74]
	v_add_f64_e32 v[77:78], -1.0, v[73:74]
	s_wait_alu 0xfffe
	v_cmp_gt_f64_e64 s16, s[16:17], v[75:76]
	s_delay_alu instid0(VALU_DEP_2) | instskip(SKIP_2) | instid1(VALU_DEP_3)
	v_add_f64_e64 v[75:76], v[77:78], -v[73:74]
	v_add_f64_e64 v[77:78], v[69:70], -v[77:78]
	s_wait_alu 0xf1ff
	v_subrev_co_ci_u32_e64 v113, null, 0, v79, s16
	s_delay_alu instid0(VALU_DEP_3) | instskip(SKIP_1) | instid1(VALU_DEP_2)
	v_add_f64_e32 v[75:76], 1.0, v[75:76]
	s_mov_b32 s16, 0x55555780
	v_sub_nc_u32_e32 v81, 0, v113
	s_delay_alu instid0(VALU_DEP_1) | instskip(NEXT) | instid1(VALU_DEP_3)
	v_ldexp_f64 v[73:74], v[73:74], v81
	v_add_f64_e32 v[75:76], v[77:78], v[75:76]
	s_delay_alu instid0(VALU_DEP_2) | instskip(SKIP_1) | instid1(VALU_DEP_3)
	v_add_f64_e32 v[79:80], 1.0, v[73:74]
	v_add_f64_e32 v[103:104], -1.0, v[73:74]
	v_ldexp_f64 v[75:76], v[75:76], v81
	s_delay_alu instid0(VALU_DEP_3) | instskip(NEXT) | instid1(VALU_DEP_3)
	v_add_f64_e32 v[77:78], -1.0, v[79:80]
	v_add_f64_e32 v[105:106], 1.0, v[103:104]
	s_delay_alu instid0(VALU_DEP_2) | instskip(NEXT) | instid1(VALU_DEP_2)
	v_add_f64_e64 v[77:78], v[73:74], -v[77:78]
	v_add_f64_e64 v[73:74], v[73:74], -v[105:106]
	s_delay_alu instid0(VALU_DEP_2) | instskip(NEXT) | instid1(VALU_DEP_2)
	v_add_f64_e32 v[77:78], v[75:76], v[77:78]
	v_add_f64_e32 v[73:74], v[75:76], v[73:74]
	s_delay_alu instid0(VALU_DEP_2) | instskip(NEXT) | instid1(VALU_DEP_2)
	v_add_f64_e32 v[81:82], v[79:80], v[77:78]
	v_add_f64_e32 v[105:106], v[103:104], v[73:74]
	s_delay_alu instid0(VALU_DEP_2) | instskip(SKIP_1) | instid1(VALU_DEP_2)
	v_rcp_f64_e32 v[101:102], v[81:82]
	v_add_f64_e64 v[79:80], v[81:82], -v[79:80]
	v_add_f64_e64 v[103:104], v[105:106], -v[103:104]
	s_delay_alu instid0(VALU_DEP_2) | instskip(NEXT) | instid1(TRANS32_DEP_1)
	v_add_f64_e64 v[77:78], v[77:78], -v[79:80]
	v_fma_f64 v[107:108], -v[81:82], v[101:102], 1.0
	s_delay_alu instid0(VALU_DEP_3) | instskip(NEXT) | instid1(VALU_DEP_2)
	v_add_f64_e64 v[73:74], v[73:74], -v[103:104]
	v_fma_f64 v[101:102], v[107:108], v[101:102], v[101:102]
	s_delay_alu instid0(VALU_DEP_1) | instskip(NEXT) | instid1(VALU_DEP_1)
	v_fma_f64 v[75:76], -v[81:82], v[101:102], 1.0
	v_fma_f64 v[75:76], v[75:76], v[101:102], v[101:102]
	s_delay_alu instid0(VALU_DEP_1) | instskip(NEXT) | instid1(VALU_DEP_1)
	v_mul_f64_e32 v[101:102], v[105:106], v[75:76]
	v_mul_f64_e32 v[107:108], v[81:82], v[101:102]
	s_delay_alu instid0(VALU_DEP_1) | instskip(NEXT) | instid1(VALU_DEP_1)
	v_fma_f64 v[79:80], v[101:102], v[81:82], -v[107:108]
	v_fma_f64 v[79:80], v[101:102], v[77:78], v[79:80]
	s_delay_alu instid0(VALU_DEP_1) | instskip(NEXT) | instid1(VALU_DEP_1)
	v_add_f64_e32 v[109:110], v[107:108], v[79:80]
	v_add_f64_e64 v[111:112], v[105:106], -v[109:110]
	v_add_f64_e64 v[103:104], v[109:110], -v[107:108]
	s_delay_alu instid0(VALU_DEP_2) | instskip(NEXT) | instid1(VALU_DEP_2)
	v_add_f64_e64 v[105:106], v[105:106], -v[111:112]
	v_add_f64_e64 v[79:80], v[103:104], -v[79:80]
	s_delay_alu instid0(VALU_DEP_2) | instskip(NEXT) | instid1(VALU_DEP_1)
	v_add_f64_e64 v[105:106], v[105:106], -v[109:110]
	v_add_f64_e32 v[73:74], v[73:74], v[105:106]
	s_delay_alu instid0(VALU_DEP_1) | instskip(NEXT) | instid1(VALU_DEP_1)
	v_add_f64_e32 v[73:74], v[79:80], v[73:74]
	v_add_f64_e32 v[79:80], v[111:112], v[73:74]
	s_delay_alu instid0(VALU_DEP_1) | instskip(SKIP_1) | instid1(VALU_DEP_2)
	v_mul_f64_e32 v[103:104], v[75:76], v[79:80]
	v_add_f64_e64 v[109:110], v[111:112], -v[79:80]
	v_mul_f64_e32 v[105:106], v[81:82], v[103:104]
	s_delay_alu instid0(VALU_DEP_2) | instskip(NEXT) | instid1(VALU_DEP_2)
	v_add_f64_e32 v[73:74], v[73:74], v[109:110]
	v_fma_f64 v[81:82], v[103:104], v[81:82], -v[105:106]
	s_delay_alu instid0(VALU_DEP_1) | instskip(NEXT) | instid1(VALU_DEP_1)
	v_fma_f64 v[77:78], v[103:104], v[77:78], v[81:82]
	v_add_f64_e32 v[81:82], v[105:106], v[77:78]
	s_delay_alu instid0(VALU_DEP_1) | instskip(SKIP_1) | instid1(VALU_DEP_2)
	v_add_f64_e64 v[107:108], v[79:80], -v[81:82]
	v_add_f64_e64 v[105:106], v[81:82], -v[105:106]
	;; [unrolled: 1-line block ×3, first 2 shown]
	s_delay_alu instid0(VALU_DEP_2) | instskip(NEXT) | instid1(VALU_DEP_2)
	v_add_f64_e64 v[77:78], v[105:106], -v[77:78]
	v_add_f64_e64 v[79:80], v[79:80], -v[81:82]
	s_delay_alu instid0(VALU_DEP_1) | instskip(SKIP_1) | instid1(VALU_DEP_2)
	v_add_f64_e32 v[73:74], v[73:74], v[79:80]
	v_add_f64_e32 v[79:80], v[101:102], v[103:104]
	;; [unrolled: 1-line block ×3, first 2 shown]
	s_delay_alu instid0(VALU_DEP_2) | instskip(NEXT) | instid1(VALU_DEP_2)
	v_add_f64_e64 v[77:78], v[79:80], -v[101:102]
	v_add_f64_e32 v[73:74], v[107:108], v[73:74]
	s_delay_alu instid0(VALU_DEP_2) | instskip(NEXT) | instid1(VALU_DEP_2)
	v_add_f64_e64 v[77:78], v[103:104], -v[77:78]
	v_mul_f64_e32 v[73:74], v[75:76], v[73:74]
	s_delay_alu instid0(VALU_DEP_1) | instskip(NEXT) | instid1(VALU_DEP_1)
	v_add_f64_e32 v[73:74], v[77:78], v[73:74]
	v_add_f64_e32 v[75:76], v[79:80], v[73:74]
	s_delay_alu instid0(VALU_DEP_1) | instskip(NEXT) | instid1(VALU_DEP_1)
	v_mul_f64_e32 v[77:78], v[75:76], v[75:76]
	v_fma_f64 v[81:82], v[77:78], s[38:39], s[36:37]
	s_mov_b32 s36, 0xd7f4df2e
	s_mov_b32 s37, 0x3fc7474d
	v_mul_f64_e32 v[101:102], v[75:76], v[77:78]
	s_wait_alu 0xfffe
	s_delay_alu instid0(VALU_DEP_2) | instskip(SKIP_3) | instid1(VALU_DEP_1)
	v_fma_f64 v[81:82], v[77:78], v[81:82], s[36:37]
	s_mov_b32 s36, 0x16291751
	s_mov_b32 s37, 0x3fcc71c0
	s_wait_alu 0xfffe
	v_fma_f64 v[81:82], v[77:78], v[81:82], s[36:37]
	s_mov_b32 s36, 0x9b27acf1
	s_mov_b32 s37, 0x3fd24924
	s_wait_alu 0xfffe
	s_delay_alu instid0(VALU_DEP_1) | instskip(SKIP_3) | instid1(VALU_DEP_1)
	v_fma_f64 v[81:82], v[77:78], v[81:82], s[36:37]
	s_mov_b32 s36, 0x998ef7b6
	s_mov_b32 s37, 0x3fd99999
	s_wait_alu 0xfffe
	v_fma_f64 v[81:82], v[77:78], v[81:82], s[36:37]
	s_delay_alu instid0(VALU_DEP_1)
	v_fma_f64 v[77:78], v[77:78], v[81:82], s[16:17]
	v_ldexp_f64 v[81:82], v[75:76], 1
	v_add_f64_e64 v[75:76], v[75:76], -v[79:80]
	v_cmp_nge_f64_e64 s16, -1.0, v[69:70]
	v_cmp_neq_f64_e64 s17, 0x7ff00000, v[69:70]
	v_mul_f64_e32 v[77:78], v[101:102], v[77:78]
	v_cvt_f64_i32_e32 v[101:102], v113
	v_add_f64_e64 v[73:74], v[73:74], -v[75:76]
	s_and_b32 s16, s16, s17
	s_delay_alu instid0(VALU_DEP_3) | instskip(NEXT) | instid1(VALU_DEP_3)
	v_add_f64_e32 v[79:80], v[81:82], v[77:78]
	v_mul_f64_e32 v[103:104], s[18:19], v[101:102]
	s_delay_alu instid0(VALU_DEP_3) | instskip(NEXT) | instid1(VALU_DEP_3)
	v_ldexp_f64 v[73:74], v[73:74], 1
	v_add_f64_e64 v[75:76], v[79:80], -v[81:82]
	s_delay_alu instid0(VALU_DEP_3) | instskip(SKIP_1) | instid1(VALU_DEP_3)
	v_fma_f64 v[81:82], v[101:102], s[18:19], -v[103:104]
	v_cmp_ngt_f64_e64 s18, -1.0, v[69:70]
	v_add_f64_e64 v[75:76], v[77:78], -v[75:76]
	s_delay_alu instid0(VALU_DEP_3) | instskip(NEXT) | instid1(VALU_DEP_2)
	v_fma_f64 v[77:78], v[101:102], s[20:21], v[81:82]
	v_add_f64_e32 v[73:74], v[73:74], v[75:76]
	s_delay_alu instid0(VALU_DEP_2) | instskip(NEXT) | instid1(VALU_DEP_2)
	v_add_f64_e32 v[75:76], v[103:104], v[77:78]
	v_add_f64_e32 v[81:82], v[79:80], v[73:74]
	s_delay_alu instid0(VALU_DEP_2) | instskip(NEXT) | instid1(VALU_DEP_2)
	v_add_f64_e64 v[103:104], v[75:76], -v[103:104]
	v_add_f64_e32 v[101:102], v[75:76], v[81:82]
	v_add_f64_e64 v[79:80], v[81:82], -v[79:80]
	s_delay_alu instid0(VALU_DEP_3) | instskip(NEXT) | instid1(VALU_DEP_3)
	v_add_f64_e64 v[77:78], v[77:78], -v[103:104]
	v_add_f64_e64 v[105:106], v[101:102], -v[75:76]
	s_delay_alu instid0(VALU_DEP_3) | instskip(NEXT) | instid1(VALU_DEP_2)
	v_add_f64_e64 v[73:74], v[73:74], -v[79:80]
	v_add_f64_e64 v[107:108], v[101:102], -v[105:106]
	;; [unrolled: 1-line block ×3, first 2 shown]
	s_delay_alu instid0(VALU_DEP_3) | instskip(NEXT) | instid1(VALU_DEP_3)
	v_add_f64_e32 v[81:82], v[77:78], v[73:74]
	v_add_f64_e64 v[75:76], v[75:76], -v[107:108]
	s_delay_alu instid0(VALU_DEP_1) | instskip(NEXT) | instid1(VALU_DEP_3)
	v_add_f64_e32 v[75:76], v[79:80], v[75:76]
	v_add_f64_e64 v[79:80], v[81:82], -v[77:78]
	s_delay_alu instid0(VALU_DEP_2) | instskip(NEXT) | instid1(VALU_DEP_2)
	v_add_f64_e32 v[75:76], v[81:82], v[75:76]
	v_add_f64_e64 v[81:82], v[81:82], -v[79:80]
	v_add_f64_e64 v[73:74], v[73:74], -v[79:80]
	s_delay_alu instid0(VALU_DEP_3) | instskip(NEXT) | instid1(VALU_DEP_3)
	v_add_f64_e32 v[103:104], v[101:102], v[75:76]
	v_add_f64_e64 v[77:78], v[77:78], -v[81:82]
	s_delay_alu instid0(VALU_DEP_2) | instskip(NEXT) | instid1(VALU_DEP_2)
	v_add_f64_e64 v[79:80], v[103:104], -v[101:102]
	v_add_f64_e32 v[73:74], v[73:74], v[77:78]
	s_delay_alu instid0(VALU_DEP_2) | instskip(NEXT) | instid1(VALU_DEP_1)
	v_add_f64_e64 v[75:76], v[75:76], -v[79:80]
	v_add_f64_e32 v[73:74], v[73:74], v[75:76]
	s_delay_alu instid0(VALU_DEP_1) | instskip(SKIP_1) | instid1(VALU_DEP_1)
	v_add_f64_e32 v[73:74], v[103:104], v[73:74]
	s_wait_alu 0xfffe
	v_cndmask_b32_e64 v73, 0, v73, s16
	v_cmp_neq_f64_e64 s16, -1.0, v[69:70]
	s_delay_alu instid0(VALU_DEP_3) | instskip(SKIP_1) | instid1(VALU_DEP_1)
	v_cndmask_b32_e64 v74, 0x7ff00000, v74, s17
	s_wait_alu 0xf1ff
	v_cndmask_b32_e64 v74, 0x7ff80000, v74, s18
	s_delay_alu instid0(VALU_DEP_1) | instskip(NEXT) | instid1(VALU_DEP_1)
	v_cndmask_b32_e64 v74, 0xfff00000, v74, s16
	v_add_f64_e32 v[69:70], v[71:72], v[73:74]
.LBB6_226:
	s_wait_alu 0xfffe
	s_or_b32 exec_lo, exec_lo, s24
	v_mbcnt_lo_u32_b32 v77, -1, 0
	s_delay_alu instid0(VALU_DEP_2) | instskip(NEXT) | instid1(VALU_DEP_3)
	v_mov_b32_dpp v71, v69 row_shr:1 row_mask:0xf bank_mask:0xf
	v_mov_b32_dpp v72, v70 row_shr:1 row_mask:0xf bank_mask:0xf
	v_mov_b32_e32 v73, v69
	s_mov_b32 s24, exec_lo
	v_dual_mov_b32 v74, v70 :: v_dual_and_b32 v75, 15, v77
	s_delay_alu instid0(VALU_DEP_1)
	v_cmpx_ne_u32_e32 0, v75
	s_cbranch_execz .LBB6_230
; %bb.227:
	v_max_num_f64_e32 v[73:74], v[71:72], v[71:72]
	v_max_num_f64_e32 v[78:79], v[69:70], v[69:70]
	v_cmp_u_f64_e64 s16, v[71:72], v[71:72]
	v_cmp_u_f64_e64 s17, v[69:70], v[69:70]
	s_delay_alu instid0(VALU_DEP_3) | instskip(SKIP_2) | instid1(VALU_DEP_2)
	v_min_num_f64_e32 v[80:81], v[73:74], v[78:79]
	v_max_num_f64_e32 v[73:74], v[73:74], v[78:79]
	s_wait_alu 0xf1ff
	v_cndmask_b32_e64 v76, v81, v72, s16
	s_delay_alu instid0(VALU_DEP_3) | instskip(NEXT) | instid1(VALU_DEP_3)
	v_cndmask_b32_e64 v78, v80, v71, s16
	v_cndmask_b32_e64 v79, v74, v72, s16
	s_delay_alu instid0(VALU_DEP_4) | instskip(NEXT) | instid1(VALU_DEP_4)
	v_cndmask_b32_e64 v80, v73, v71, s16
	v_cndmask_b32_e64 v74, v76, v70, s17
	s_delay_alu instid0(VALU_DEP_4) | instskip(NEXT) | instid1(VALU_DEP_4)
	v_cndmask_b32_e64 v73, v78, v69, s17
	v_cndmask_b32_e64 v70, v79, v70, s17
	s_delay_alu instid0(VALU_DEP_4) | instskip(NEXT) | instid1(VALU_DEP_3)
	v_cndmask_b32_e64 v69, v80, v69, s17
	v_cmp_class_f64_e64 s17, v[73:74], 0x1f8
	s_delay_alu instid0(VALU_DEP_2)
	v_cmp_neq_f64_e64 s16, v[73:74], v[69:70]
	s_or_b32 s16, s16, s17
	s_wait_alu 0xfffe
	s_and_saveexec_b32 s25, s16
	s_cbranch_execz .LBB6_229
; %bb.228:
	v_add_f64_e64 v[71:72], v[73:74], -v[69:70]
	s_mov_b32 s16, 0x652b82fe
	s_mov_b32 s17, 0x3ff71547
	;; [unrolled: 1-line block ×10, first 2 shown]
	s_wait_alu 0xfffe
	s_delay_alu instid0(VALU_DEP_1) | instskip(SKIP_2) | instid1(VALU_DEP_1)
	v_mul_f64_e32 v[73:74], s[16:17], v[71:72]
	s_mov_b32 s16, 0xfca7ab0c
	s_mov_b32 s17, 0x3e928af3
	v_rndne_f64_e32 v[73:74], v[73:74]
	s_delay_alu instid0(VALU_DEP_1) | instskip(SKIP_2) | instid1(VALU_DEP_2)
	v_fma_f64 v[78:79], v[73:74], s[18:19], v[71:72]
	v_cvt_i32_f64_e32 v76, v[73:74]
	s_mov_b32 s19, 0x3fe62e42
	v_fma_f64 v[78:79], v[73:74], s[20:21], v[78:79]
	s_mov_b32 s21, 0x3c7abc9e
	s_wait_alu 0xfffe
	s_delay_alu instid0(VALU_DEP_1)
	v_fma_f64 v[80:81], v[78:79], s[36:37], s[16:17]
	s_mov_b32 s16, 0x623fde64
	s_mov_b32 s17, 0x3ec71dee
	;; [unrolled: 1-line block ×4, first 2 shown]
	s_wait_alu 0xfffe
	s_delay_alu instid0(VALU_DEP_1) | instskip(SKIP_3) | instid1(VALU_DEP_1)
	v_fma_f64 v[80:81], v[78:79], v[80:81], s[16:17]
	s_mov_b32 s16, 0x7c89e6b0
	s_mov_b32 s17, 0x3efa0199
	s_wait_alu 0xfffe
	v_fma_f64 v[80:81], v[78:79], v[80:81], s[16:17]
	s_mov_b32 s16, 0x14761f6e
	s_mov_b32 s17, 0x3f2a01a0
	s_wait_alu 0xfffe
	s_delay_alu instid0(VALU_DEP_1) | instskip(SKIP_3) | instid1(VALU_DEP_1)
	v_fma_f64 v[80:81], v[78:79], v[80:81], s[16:17]
	s_mov_b32 s16, 0x1852b7b0
	s_mov_b32 s17, 0x3f56c16c
	s_wait_alu 0xfffe
	v_fma_f64 v[80:81], v[78:79], v[80:81], s[16:17]
	s_mov_b32 s16, 0x11122322
	s_mov_b32 s17, 0x3f811111
	;; [unrolled: 9-line block ×3, first 2 shown]
	s_wait_alu 0xfffe
	s_delay_alu instid0(VALU_DEP_1) | instskip(SKIP_3) | instid1(VALU_DEP_1)
	v_fma_f64 v[80:81], v[78:79], v[80:81], s[16:17]
	s_mov_b32 s16, 11
	s_mov_b32 s17, 0x3fe00000
	s_wait_alu 0xfffe
	v_fma_f64 v[80:81], v[78:79], v[80:81], s[16:17]
	v_cmp_nlt_f64_e64 s16, 0x40900000, v[71:72]
	v_cmp_ngt_f64_e64 s17, 0xc090cc00, v[71:72]
	s_delay_alu instid0(VALU_DEP_3) | instskip(NEXT) | instid1(VALU_DEP_1)
	v_fma_f64 v[80:81], v[78:79], v[80:81], 1.0
	v_fma_f64 v[73:74], v[78:79], v[80:81], 1.0
	s_delay_alu instid0(VALU_DEP_1) | instskip(SKIP_1) | instid1(VALU_DEP_1)
	v_ldexp_f64 v[73:74], v[73:74], v76
	s_wait_alu 0xf1ff
	v_cndmask_b32_e64 v74, 0x7ff00000, v74, s16
	s_and_b32 s16, s17, s16
	s_wait_alu 0xfffe
	s_delay_alu instid0(VALU_DEP_2) | instskip(SKIP_3) | instid1(VALU_DEP_1)
	v_cndmask_b32_e64 v71, 0, v73, s16
	s_mov_b32 s16, 0x55555555
	v_cndmask_b32_e64 v72, 0, v74, s17
	s_mov_b32 s17, 0x3fe55555
	v_add_f64_e32 v[73:74], 1.0, v[71:72]
	s_delay_alu instid0(VALU_DEP_1) | instskip(SKIP_3) | instid1(VALU_DEP_3)
	v_frexp_mant_f64_e32 v[78:79], v[73:74]
	v_frexp_exp_i32_f64_e32 v76, v[73:74]
	v_add_f64_e32 v[80:81], -1.0, v[73:74]
	s_wait_alu 0xfffe
	v_cmp_gt_f64_e64 s16, s[16:17], v[78:79]
	s_delay_alu instid0(VALU_DEP_2) | instskip(SKIP_2) | instid1(VALU_DEP_3)
	v_add_f64_e64 v[78:79], v[80:81], -v[73:74]
	v_add_f64_e64 v[80:81], v[71:72], -v[80:81]
	s_wait_alu 0xf1ff
	v_subrev_co_ci_u32_e64 v76, null, 0, v76, s16
	s_delay_alu instid0(VALU_DEP_3) | instskip(SKIP_1) | instid1(VALU_DEP_2)
	v_add_f64_e32 v[78:79], 1.0, v[78:79]
	s_mov_b32 s16, 0x55555780
	v_sub_nc_u32_e32 v82, 0, v76
	s_delay_alu instid0(VALU_DEP_1) | instskip(NEXT) | instid1(VALU_DEP_3)
	v_ldexp_f64 v[73:74], v[73:74], v82
	v_add_f64_e32 v[78:79], v[80:81], v[78:79]
	s_delay_alu instid0(VALU_DEP_2) | instskip(SKIP_1) | instid1(VALU_DEP_3)
	v_add_f64_e32 v[101:102], 1.0, v[73:74]
	v_add_f64_e32 v[107:108], -1.0, v[73:74]
	v_ldexp_f64 v[78:79], v[78:79], v82
	s_delay_alu instid0(VALU_DEP_3) | instskip(NEXT) | instid1(VALU_DEP_3)
	v_add_f64_e32 v[80:81], -1.0, v[101:102]
	v_add_f64_e32 v[109:110], 1.0, v[107:108]
	s_delay_alu instid0(VALU_DEP_2) | instskip(NEXT) | instid1(VALU_DEP_2)
	v_add_f64_e64 v[80:81], v[73:74], -v[80:81]
	v_add_f64_e64 v[73:74], v[73:74], -v[109:110]
	s_delay_alu instid0(VALU_DEP_2) | instskip(NEXT) | instid1(VALU_DEP_2)
	v_add_f64_e32 v[80:81], v[78:79], v[80:81]
	v_add_f64_e32 v[73:74], v[78:79], v[73:74]
	s_delay_alu instid0(VALU_DEP_2) | instskip(NEXT) | instid1(VALU_DEP_2)
	v_add_f64_e32 v[103:104], v[101:102], v[80:81]
	v_add_f64_e32 v[109:110], v[107:108], v[73:74]
	s_delay_alu instid0(VALU_DEP_2) | instskip(SKIP_1) | instid1(VALU_DEP_2)
	v_rcp_f64_e32 v[105:106], v[103:104]
	v_add_f64_e64 v[101:102], v[103:104], -v[101:102]
	v_add_f64_e64 v[107:108], v[109:110], -v[107:108]
	s_delay_alu instid0(VALU_DEP_2) | instskip(NEXT) | instid1(TRANS32_DEP_1)
	v_add_f64_e64 v[80:81], v[80:81], -v[101:102]
	v_fma_f64 v[111:112], -v[103:104], v[105:106], 1.0
	s_delay_alu instid0(VALU_DEP_3) | instskip(NEXT) | instid1(VALU_DEP_2)
	v_add_f64_e64 v[73:74], v[73:74], -v[107:108]
	v_fma_f64 v[105:106], v[111:112], v[105:106], v[105:106]
	s_delay_alu instid0(VALU_DEP_1) | instskip(NEXT) | instid1(VALU_DEP_1)
	v_fma_f64 v[78:79], -v[103:104], v[105:106], 1.0
	v_fma_f64 v[78:79], v[78:79], v[105:106], v[105:106]
	s_delay_alu instid0(VALU_DEP_1) | instskip(NEXT) | instid1(VALU_DEP_1)
	v_mul_f64_e32 v[105:106], v[109:110], v[78:79]
	v_mul_f64_e32 v[111:112], v[103:104], v[105:106]
	s_delay_alu instid0(VALU_DEP_1) | instskip(NEXT) | instid1(VALU_DEP_1)
	v_fma_f64 v[101:102], v[105:106], v[103:104], -v[111:112]
	v_fma_f64 v[101:102], v[105:106], v[80:81], v[101:102]
	s_delay_alu instid0(VALU_DEP_1) | instskip(NEXT) | instid1(VALU_DEP_1)
	v_add_f64_e32 v[113:114], v[111:112], v[101:102]
	v_add_f64_e64 v[115:116], v[109:110], -v[113:114]
	v_add_f64_e64 v[107:108], v[113:114], -v[111:112]
	s_delay_alu instid0(VALU_DEP_2) | instskip(NEXT) | instid1(VALU_DEP_2)
	v_add_f64_e64 v[109:110], v[109:110], -v[115:116]
	v_add_f64_e64 v[101:102], v[107:108], -v[101:102]
	s_delay_alu instid0(VALU_DEP_2) | instskip(NEXT) | instid1(VALU_DEP_1)
	v_add_f64_e64 v[109:110], v[109:110], -v[113:114]
	v_add_f64_e32 v[73:74], v[73:74], v[109:110]
	s_delay_alu instid0(VALU_DEP_1) | instskip(NEXT) | instid1(VALU_DEP_1)
	v_add_f64_e32 v[73:74], v[101:102], v[73:74]
	v_add_f64_e32 v[101:102], v[115:116], v[73:74]
	s_delay_alu instid0(VALU_DEP_1) | instskip(SKIP_1) | instid1(VALU_DEP_2)
	v_mul_f64_e32 v[107:108], v[78:79], v[101:102]
	v_add_f64_e64 v[113:114], v[115:116], -v[101:102]
	v_mul_f64_e32 v[109:110], v[103:104], v[107:108]
	s_delay_alu instid0(VALU_DEP_2) | instskip(NEXT) | instid1(VALU_DEP_2)
	v_add_f64_e32 v[73:74], v[73:74], v[113:114]
	v_fma_f64 v[103:104], v[107:108], v[103:104], -v[109:110]
	s_delay_alu instid0(VALU_DEP_1) | instskip(NEXT) | instid1(VALU_DEP_1)
	v_fma_f64 v[80:81], v[107:108], v[80:81], v[103:104]
	v_add_f64_e32 v[103:104], v[109:110], v[80:81]
	s_delay_alu instid0(VALU_DEP_1) | instskip(SKIP_1) | instid1(VALU_DEP_2)
	v_add_f64_e64 v[111:112], v[101:102], -v[103:104]
	v_add_f64_e64 v[109:110], v[103:104], -v[109:110]
	;; [unrolled: 1-line block ×3, first 2 shown]
	s_delay_alu instid0(VALU_DEP_2) | instskip(NEXT) | instid1(VALU_DEP_2)
	v_add_f64_e64 v[80:81], v[109:110], -v[80:81]
	v_add_f64_e64 v[101:102], v[101:102], -v[103:104]
	s_delay_alu instid0(VALU_DEP_1) | instskip(SKIP_1) | instid1(VALU_DEP_2)
	v_add_f64_e32 v[73:74], v[73:74], v[101:102]
	v_add_f64_e32 v[101:102], v[105:106], v[107:108]
	;; [unrolled: 1-line block ×3, first 2 shown]
	s_delay_alu instid0(VALU_DEP_2) | instskip(NEXT) | instid1(VALU_DEP_2)
	v_add_f64_e64 v[80:81], v[101:102], -v[105:106]
	v_add_f64_e32 v[73:74], v[111:112], v[73:74]
	s_delay_alu instid0(VALU_DEP_2) | instskip(NEXT) | instid1(VALU_DEP_2)
	v_add_f64_e64 v[80:81], v[107:108], -v[80:81]
	v_mul_f64_e32 v[73:74], v[78:79], v[73:74]
	s_delay_alu instid0(VALU_DEP_1) | instskip(NEXT) | instid1(VALU_DEP_1)
	v_add_f64_e32 v[73:74], v[80:81], v[73:74]
	v_add_f64_e32 v[78:79], v[101:102], v[73:74]
	s_delay_alu instid0(VALU_DEP_1) | instskip(NEXT) | instid1(VALU_DEP_1)
	v_mul_f64_e32 v[80:81], v[78:79], v[78:79]
	v_fma_f64 v[103:104], v[80:81], s[38:39], s[36:37]
	s_mov_b32 s36, 0xd7f4df2e
	s_mov_b32 s37, 0x3fc7474d
	v_mul_f64_e32 v[105:106], v[78:79], v[80:81]
	s_wait_alu 0xfffe
	s_delay_alu instid0(VALU_DEP_2) | instskip(SKIP_3) | instid1(VALU_DEP_1)
	v_fma_f64 v[103:104], v[80:81], v[103:104], s[36:37]
	s_mov_b32 s36, 0x16291751
	s_mov_b32 s37, 0x3fcc71c0
	s_wait_alu 0xfffe
	v_fma_f64 v[103:104], v[80:81], v[103:104], s[36:37]
	s_mov_b32 s36, 0x9b27acf1
	s_mov_b32 s37, 0x3fd24924
	s_wait_alu 0xfffe
	s_delay_alu instid0(VALU_DEP_1) | instskip(SKIP_3) | instid1(VALU_DEP_1)
	v_fma_f64 v[103:104], v[80:81], v[103:104], s[36:37]
	s_mov_b32 s36, 0x998ef7b6
	s_mov_b32 s37, 0x3fd99999
	s_wait_alu 0xfffe
	v_fma_f64 v[103:104], v[80:81], v[103:104], s[36:37]
	s_delay_alu instid0(VALU_DEP_1)
	v_fma_f64 v[80:81], v[80:81], v[103:104], s[16:17]
	v_ldexp_f64 v[103:104], v[78:79], 1
	v_add_f64_e64 v[78:79], v[78:79], -v[101:102]
	v_cmp_nge_f64_e64 s16, -1.0, v[71:72]
	v_cmp_neq_f64_e64 s17, 0x7ff00000, v[71:72]
	v_mul_f64_e32 v[80:81], v[105:106], v[80:81]
	v_cvt_f64_i32_e32 v[105:106], v76
	v_add_f64_e64 v[73:74], v[73:74], -v[78:79]
	s_and_b32 s16, s16, s17
	s_delay_alu instid0(VALU_DEP_3) | instskip(NEXT) | instid1(VALU_DEP_3)
	v_add_f64_e32 v[101:102], v[103:104], v[80:81]
	v_mul_f64_e32 v[107:108], s[18:19], v[105:106]
	s_delay_alu instid0(VALU_DEP_3) | instskip(NEXT) | instid1(VALU_DEP_3)
	v_ldexp_f64 v[73:74], v[73:74], 1
	v_add_f64_e64 v[78:79], v[101:102], -v[103:104]
	s_delay_alu instid0(VALU_DEP_3) | instskip(SKIP_1) | instid1(VALU_DEP_3)
	v_fma_f64 v[103:104], v[105:106], s[18:19], -v[107:108]
	v_cmp_ngt_f64_e64 s18, -1.0, v[71:72]
	v_add_f64_e64 v[78:79], v[80:81], -v[78:79]
	s_delay_alu instid0(VALU_DEP_3) | instskip(NEXT) | instid1(VALU_DEP_2)
	v_fma_f64 v[80:81], v[105:106], s[20:21], v[103:104]
	v_add_f64_e32 v[73:74], v[73:74], v[78:79]
	s_delay_alu instid0(VALU_DEP_2) | instskip(NEXT) | instid1(VALU_DEP_2)
	v_add_f64_e32 v[78:79], v[107:108], v[80:81]
	v_add_f64_e32 v[103:104], v[101:102], v[73:74]
	s_delay_alu instid0(VALU_DEP_2) | instskip(NEXT) | instid1(VALU_DEP_2)
	v_add_f64_e64 v[107:108], v[78:79], -v[107:108]
	v_add_f64_e32 v[105:106], v[78:79], v[103:104]
	v_add_f64_e64 v[101:102], v[103:104], -v[101:102]
	s_delay_alu instid0(VALU_DEP_3) | instskip(NEXT) | instid1(VALU_DEP_3)
	v_add_f64_e64 v[80:81], v[80:81], -v[107:108]
	v_add_f64_e64 v[109:110], v[105:106], -v[78:79]
	s_delay_alu instid0(VALU_DEP_3) | instskip(NEXT) | instid1(VALU_DEP_2)
	v_add_f64_e64 v[73:74], v[73:74], -v[101:102]
	v_add_f64_e64 v[111:112], v[105:106], -v[109:110]
	;; [unrolled: 1-line block ×3, first 2 shown]
	s_delay_alu instid0(VALU_DEP_3) | instskip(NEXT) | instid1(VALU_DEP_3)
	v_add_f64_e32 v[103:104], v[80:81], v[73:74]
	v_add_f64_e64 v[78:79], v[78:79], -v[111:112]
	s_delay_alu instid0(VALU_DEP_1) | instskip(NEXT) | instid1(VALU_DEP_3)
	v_add_f64_e32 v[78:79], v[101:102], v[78:79]
	v_add_f64_e64 v[101:102], v[103:104], -v[80:81]
	s_delay_alu instid0(VALU_DEP_2) | instskip(NEXT) | instid1(VALU_DEP_2)
	v_add_f64_e32 v[78:79], v[103:104], v[78:79]
	v_add_f64_e64 v[103:104], v[103:104], -v[101:102]
	v_add_f64_e64 v[73:74], v[73:74], -v[101:102]
	s_delay_alu instid0(VALU_DEP_3) | instskip(NEXT) | instid1(VALU_DEP_3)
	v_add_f64_e32 v[107:108], v[105:106], v[78:79]
	v_add_f64_e64 v[80:81], v[80:81], -v[103:104]
	s_delay_alu instid0(VALU_DEP_2) | instskip(NEXT) | instid1(VALU_DEP_2)
	v_add_f64_e64 v[101:102], v[107:108], -v[105:106]
	v_add_f64_e32 v[73:74], v[73:74], v[80:81]
	s_delay_alu instid0(VALU_DEP_2) | instskip(NEXT) | instid1(VALU_DEP_1)
	v_add_f64_e64 v[78:79], v[78:79], -v[101:102]
	v_add_f64_e32 v[73:74], v[73:74], v[78:79]
	s_delay_alu instid0(VALU_DEP_1) | instskip(SKIP_1) | instid1(VALU_DEP_1)
	v_add_f64_e32 v[73:74], v[107:108], v[73:74]
	s_wait_alu 0xfffe
	v_cndmask_b32_e64 v73, 0, v73, s16
	v_cmp_neq_f64_e64 s16, -1.0, v[71:72]
	s_delay_alu instid0(VALU_DEP_3) | instskip(SKIP_1) | instid1(VALU_DEP_1)
	v_cndmask_b32_e64 v74, 0x7ff00000, v74, s17
	s_wait_alu 0xf1ff
	v_cndmask_b32_e64 v74, 0x7ff80000, v74, s18
	s_delay_alu instid0(VALU_DEP_1) | instskip(NEXT) | instid1(VALU_DEP_1)
	v_cndmask_b32_e64 v74, 0xfff00000, v74, s16
	v_add_f64_e32 v[71:72], v[69:70], v[73:74]
.LBB6_229:
	s_wait_alu 0xfffe
	s_or_b32 exec_lo, exec_lo, s25
	s_delay_alu instid0(VALU_DEP_1)
	v_dual_mov_b32 v73, v71 :: v_dual_mov_b32 v74, v72
	v_dual_mov_b32 v69, v71 :: v_dual_mov_b32 v70, v72
.LBB6_230:
	s_wait_alu 0xfffe
	s_or_b32 exec_lo, exec_lo, s24
	s_delay_alu instid0(VALU_DEP_2)
	v_mov_b32_dpp v71, v73 row_shr:2 row_mask:0xf bank_mask:0xf
	v_mov_b32_dpp v72, v74 row_shr:2 row_mask:0xf bank_mask:0xf
	s_mov_b32 s24, exec_lo
	v_cmpx_lt_u32_e32 1, v75
	s_cbranch_execz .LBB6_234
; %bb.231:
	s_delay_alu instid0(VALU_DEP_2) | instskip(SKIP_3) | instid1(VALU_DEP_3)
	v_max_num_f64_e32 v[73:74], v[71:72], v[71:72]
	v_max_num_f64_e32 v[78:79], v[69:70], v[69:70]
	v_cmp_u_f64_e64 s16, v[71:72], v[71:72]
	v_cmp_u_f64_e64 s17, v[69:70], v[69:70]
	v_min_num_f64_e32 v[80:81], v[73:74], v[78:79]
	v_max_num_f64_e32 v[73:74], v[73:74], v[78:79]
	s_wait_alu 0xf1ff
	s_delay_alu instid0(VALU_DEP_2) | instskip(NEXT) | instid1(VALU_DEP_3)
	v_cndmask_b32_e64 v76, v81, v72, s16
	v_cndmask_b32_e64 v78, v80, v71, s16
	s_delay_alu instid0(VALU_DEP_3) | instskip(NEXT) | instid1(VALU_DEP_4)
	v_cndmask_b32_e64 v79, v74, v72, s16
	v_cndmask_b32_e64 v80, v73, v71, s16
	s_delay_alu instid0(VALU_DEP_4) | instskip(NEXT) | instid1(VALU_DEP_4)
	v_cndmask_b32_e64 v74, v76, v70, s17
	v_cndmask_b32_e64 v73, v78, v69, s17
	s_delay_alu instid0(VALU_DEP_4) | instskip(NEXT) | instid1(VALU_DEP_4)
	v_cndmask_b32_e64 v70, v79, v70, s17
	v_cndmask_b32_e64 v69, v80, v69, s17
	s_delay_alu instid0(VALU_DEP_3) | instskip(NEXT) | instid1(VALU_DEP_2)
	v_cmp_class_f64_e64 s17, v[73:74], 0x1f8
	v_cmp_neq_f64_e64 s16, v[73:74], v[69:70]
	s_or_b32 s16, s16, s17
	s_wait_alu 0xfffe
	s_and_saveexec_b32 s25, s16
	s_cbranch_execz .LBB6_233
; %bb.232:
	v_add_f64_e64 v[71:72], v[73:74], -v[69:70]
	s_mov_b32 s16, 0x652b82fe
	s_mov_b32 s17, 0x3ff71547
	;; [unrolled: 1-line block ×10, first 2 shown]
	s_wait_alu 0xfffe
	s_delay_alu instid0(VALU_DEP_1) | instskip(SKIP_2) | instid1(VALU_DEP_1)
	v_mul_f64_e32 v[73:74], s[16:17], v[71:72]
	s_mov_b32 s16, 0xfca7ab0c
	s_mov_b32 s17, 0x3e928af3
	v_rndne_f64_e32 v[73:74], v[73:74]
	s_delay_alu instid0(VALU_DEP_1) | instskip(SKIP_2) | instid1(VALU_DEP_2)
	v_fma_f64 v[78:79], v[73:74], s[18:19], v[71:72]
	v_cvt_i32_f64_e32 v76, v[73:74]
	s_mov_b32 s19, 0x3fe62e42
	v_fma_f64 v[78:79], v[73:74], s[20:21], v[78:79]
	s_mov_b32 s21, 0x3c7abc9e
	s_wait_alu 0xfffe
	s_delay_alu instid0(VALU_DEP_1)
	v_fma_f64 v[80:81], v[78:79], s[36:37], s[16:17]
	s_mov_b32 s16, 0x623fde64
	s_mov_b32 s17, 0x3ec71dee
	;; [unrolled: 1-line block ×4, first 2 shown]
	s_wait_alu 0xfffe
	s_delay_alu instid0(VALU_DEP_1) | instskip(SKIP_3) | instid1(VALU_DEP_1)
	v_fma_f64 v[80:81], v[78:79], v[80:81], s[16:17]
	s_mov_b32 s16, 0x7c89e6b0
	s_mov_b32 s17, 0x3efa0199
	s_wait_alu 0xfffe
	v_fma_f64 v[80:81], v[78:79], v[80:81], s[16:17]
	s_mov_b32 s16, 0x14761f6e
	s_mov_b32 s17, 0x3f2a01a0
	s_wait_alu 0xfffe
	s_delay_alu instid0(VALU_DEP_1) | instskip(SKIP_3) | instid1(VALU_DEP_1)
	v_fma_f64 v[80:81], v[78:79], v[80:81], s[16:17]
	s_mov_b32 s16, 0x1852b7b0
	s_mov_b32 s17, 0x3f56c16c
	s_wait_alu 0xfffe
	v_fma_f64 v[80:81], v[78:79], v[80:81], s[16:17]
	s_mov_b32 s16, 0x11122322
	s_mov_b32 s17, 0x3f811111
	;; [unrolled: 9-line block ×3, first 2 shown]
	s_wait_alu 0xfffe
	s_delay_alu instid0(VALU_DEP_1) | instskip(SKIP_3) | instid1(VALU_DEP_1)
	v_fma_f64 v[80:81], v[78:79], v[80:81], s[16:17]
	s_mov_b32 s16, 11
	s_mov_b32 s17, 0x3fe00000
	s_wait_alu 0xfffe
	v_fma_f64 v[80:81], v[78:79], v[80:81], s[16:17]
	v_cmp_nlt_f64_e64 s16, 0x40900000, v[71:72]
	v_cmp_ngt_f64_e64 s17, 0xc090cc00, v[71:72]
	s_delay_alu instid0(VALU_DEP_3) | instskip(NEXT) | instid1(VALU_DEP_1)
	v_fma_f64 v[80:81], v[78:79], v[80:81], 1.0
	v_fma_f64 v[73:74], v[78:79], v[80:81], 1.0
	s_delay_alu instid0(VALU_DEP_1) | instskip(SKIP_1) | instid1(VALU_DEP_1)
	v_ldexp_f64 v[73:74], v[73:74], v76
	s_wait_alu 0xf1ff
	v_cndmask_b32_e64 v74, 0x7ff00000, v74, s16
	s_and_b32 s16, s17, s16
	s_wait_alu 0xfffe
	s_delay_alu instid0(VALU_DEP_2) | instskip(SKIP_3) | instid1(VALU_DEP_1)
	v_cndmask_b32_e64 v71, 0, v73, s16
	s_mov_b32 s16, 0x55555555
	v_cndmask_b32_e64 v72, 0, v74, s17
	s_mov_b32 s17, 0x3fe55555
	v_add_f64_e32 v[73:74], 1.0, v[71:72]
	s_delay_alu instid0(VALU_DEP_1) | instskip(SKIP_3) | instid1(VALU_DEP_3)
	v_frexp_mant_f64_e32 v[78:79], v[73:74]
	v_frexp_exp_i32_f64_e32 v76, v[73:74]
	v_add_f64_e32 v[80:81], -1.0, v[73:74]
	s_wait_alu 0xfffe
	v_cmp_gt_f64_e64 s16, s[16:17], v[78:79]
	s_delay_alu instid0(VALU_DEP_2) | instskip(SKIP_2) | instid1(VALU_DEP_3)
	v_add_f64_e64 v[78:79], v[80:81], -v[73:74]
	v_add_f64_e64 v[80:81], v[71:72], -v[80:81]
	s_wait_alu 0xf1ff
	v_subrev_co_ci_u32_e64 v76, null, 0, v76, s16
	s_delay_alu instid0(VALU_DEP_3) | instskip(SKIP_1) | instid1(VALU_DEP_2)
	v_add_f64_e32 v[78:79], 1.0, v[78:79]
	s_mov_b32 s16, 0x55555780
	v_sub_nc_u32_e32 v82, 0, v76
	s_delay_alu instid0(VALU_DEP_1) | instskip(NEXT) | instid1(VALU_DEP_3)
	v_ldexp_f64 v[73:74], v[73:74], v82
	v_add_f64_e32 v[78:79], v[80:81], v[78:79]
	s_delay_alu instid0(VALU_DEP_2) | instskip(SKIP_1) | instid1(VALU_DEP_3)
	v_add_f64_e32 v[101:102], 1.0, v[73:74]
	v_add_f64_e32 v[107:108], -1.0, v[73:74]
	v_ldexp_f64 v[78:79], v[78:79], v82
	s_delay_alu instid0(VALU_DEP_3) | instskip(NEXT) | instid1(VALU_DEP_3)
	v_add_f64_e32 v[80:81], -1.0, v[101:102]
	v_add_f64_e32 v[109:110], 1.0, v[107:108]
	s_delay_alu instid0(VALU_DEP_2) | instskip(NEXT) | instid1(VALU_DEP_2)
	v_add_f64_e64 v[80:81], v[73:74], -v[80:81]
	v_add_f64_e64 v[73:74], v[73:74], -v[109:110]
	s_delay_alu instid0(VALU_DEP_2) | instskip(NEXT) | instid1(VALU_DEP_2)
	v_add_f64_e32 v[80:81], v[78:79], v[80:81]
	v_add_f64_e32 v[73:74], v[78:79], v[73:74]
	s_delay_alu instid0(VALU_DEP_2) | instskip(NEXT) | instid1(VALU_DEP_2)
	v_add_f64_e32 v[103:104], v[101:102], v[80:81]
	v_add_f64_e32 v[109:110], v[107:108], v[73:74]
	s_delay_alu instid0(VALU_DEP_2) | instskip(SKIP_1) | instid1(VALU_DEP_2)
	v_rcp_f64_e32 v[105:106], v[103:104]
	v_add_f64_e64 v[101:102], v[103:104], -v[101:102]
	v_add_f64_e64 v[107:108], v[109:110], -v[107:108]
	s_delay_alu instid0(VALU_DEP_2) | instskip(NEXT) | instid1(TRANS32_DEP_1)
	v_add_f64_e64 v[80:81], v[80:81], -v[101:102]
	v_fma_f64 v[111:112], -v[103:104], v[105:106], 1.0
	s_delay_alu instid0(VALU_DEP_3) | instskip(NEXT) | instid1(VALU_DEP_2)
	v_add_f64_e64 v[73:74], v[73:74], -v[107:108]
	v_fma_f64 v[105:106], v[111:112], v[105:106], v[105:106]
	s_delay_alu instid0(VALU_DEP_1) | instskip(NEXT) | instid1(VALU_DEP_1)
	v_fma_f64 v[78:79], -v[103:104], v[105:106], 1.0
	v_fma_f64 v[78:79], v[78:79], v[105:106], v[105:106]
	s_delay_alu instid0(VALU_DEP_1) | instskip(NEXT) | instid1(VALU_DEP_1)
	v_mul_f64_e32 v[105:106], v[109:110], v[78:79]
	v_mul_f64_e32 v[111:112], v[103:104], v[105:106]
	s_delay_alu instid0(VALU_DEP_1) | instskip(NEXT) | instid1(VALU_DEP_1)
	v_fma_f64 v[101:102], v[105:106], v[103:104], -v[111:112]
	v_fma_f64 v[101:102], v[105:106], v[80:81], v[101:102]
	s_delay_alu instid0(VALU_DEP_1) | instskip(NEXT) | instid1(VALU_DEP_1)
	v_add_f64_e32 v[113:114], v[111:112], v[101:102]
	v_add_f64_e64 v[115:116], v[109:110], -v[113:114]
	v_add_f64_e64 v[107:108], v[113:114], -v[111:112]
	s_delay_alu instid0(VALU_DEP_2) | instskip(NEXT) | instid1(VALU_DEP_2)
	v_add_f64_e64 v[109:110], v[109:110], -v[115:116]
	v_add_f64_e64 v[101:102], v[107:108], -v[101:102]
	s_delay_alu instid0(VALU_DEP_2) | instskip(NEXT) | instid1(VALU_DEP_1)
	v_add_f64_e64 v[109:110], v[109:110], -v[113:114]
	v_add_f64_e32 v[73:74], v[73:74], v[109:110]
	s_delay_alu instid0(VALU_DEP_1) | instskip(NEXT) | instid1(VALU_DEP_1)
	v_add_f64_e32 v[73:74], v[101:102], v[73:74]
	v_add_f64_e32 v[101:102], v[115:116], v[73:74]
	s_delay_alu instid0(VALU_DEP_1) | instskip(SKIP_1) | instid1(VALU_DEP_2)
	v_mul_f64_e32 v[107:108], v[78:79], v[101:102]
	v_add_f64_e64 v[113:114], v[115:116], -v[101:102]
	v_mul_f64_e32 v[109:110], v[103:104], v[107:108]
	s_delay_alu instid0(VALU_DEP_2) | instskip(NEXT) | instid1(VALU_DEP_2)
	v_add_f64_e32 v[73:74], v[73:74], v[113:114]
	v_fma_f64 v[103:104], v[107:108], v[103:104], -v[109:110]
	s_delay_alu instid0(VALU_DEP_1) | instskip(NEXT) | instid1(VALU_DEP_1)
	v_fma_f64 v[80:81], v[107:108], v[80:81], v[103:104]
	v_add_f64_e32 v[103:104], v[109:110], v[80:81]
	s_delay_alu instid0(VALU_DEP_1) | instskip(SKIP_1) | instid1(VALU_DEP_2)
	v_add_f64_e64 v[111:112], v[101:102], -v[103:104]
	v_add_f64_e64 v[109:110], v[103:104], -v[109:110]
	;; [unrolled: 1-line block ×3, first 2 shown]
	s_delay_alu instid0(VALU_DEP_2) | instskip(NEXT) | instid1(VALU_DEP_2)
	v_add_f64_e64 v[80:81], v[109:110], -v[80:81]
	v_add_f64_e64 v[101:102], v[101:102], -v[103:104]
	s_delay_alu instid0(VALU_DEP_1) | instskip(SKIP_1) | instid1(VALU_DEP_2)
	v_add_f64_e32 v[73:74], v[73:74], v[101:102]
	v_add_f64_e32 v[101:102], v[105:106], v[107:108]
	;; [unrolled: 1-line block ×3, first 2 shown]
	s_delay_alu instid0(VALU_DEP_2) | instskip(NEXT) | instid1(VALU_DEP_2)
	v_add_f64_e64 v[80:81], v[101:102], -v[105:106]
	v_add_f64_e32 v[73:74], v[111:112], v[73:74]
	s_delay_alu instid0(VALU_DEP_2) | instskip(NEXT) | instid1(VALU_DEP_2)
	v_add_f64_e64 v[80:81], v[107:108], -v[80:81]
	v_mul_f64_e32 v[73:74], v[78:79], v[73:74]
	s_delay_alu instid0(VALU_DEP_1) | instskip(NEXT) | instid1(VALU_DEP_1)
	v_add_f64_e32 v[73:74], v[80:81], v[73:74]
	v_add_f64_e32 v[78:79], v[101:102], v[73:74]
	s_delay_alu instid0(VALU_DEP_1) | instskip(NEXT) | instid1(VALU_DEP_1)
	v_mul_f64_e32 v[80:81], v[78:79], v[78:79]
	v_fma_f64 v[103:104], v[80:81], s[38:39], s[36:37]
	s_mov_b32 s36, 0xd7f4df2e
	s_mov_b32 s37, 0x3fc7474d
	v_mul_f64_e32 v[105:106], v[78:79], v[80:81]
	s_wait_alu 0xfffe
	s_delay_alu instid0(VALU_DEP_2) | instskip(SKIP_3) | instid1(VALU_DEP_1)
	v_fma_f64 v[103:104], v[80:81], v[103:104], s[36:37]
	s_mov_b32 s36, 0x16291751
	s_mov_b32 s37, 0x3fcc71c0
	s_wait_alu 0xfffe
	v_fma_f64 v[103:104], v[80:81], v[103:104], s[36:37]
	s_mov_b32 s36, 0x9b27acf1
	s_mov_b32 s37, 0x3fd24924
	s_wait_alu 0xfffe
	s_delay_alu instid0(VALU_DEP_1) | instskip(SKIP_3) | instid1(VALU_DEP_1)
	v_fma_f64 v[103:104], v[80:81], v[103:104], s[36:37]
	s_mov_b32 s36, 0x998ef7b6
	s_mov_b32 s37, 0x3fd99999
	s_wait_alu 0xfffe
	v_fma_f64 v[103:104], v[80:81], v[103:104], s[36:37]
	s_delay_alu instid0(VALU_DEP_1)
	v_fma_f64 v[80:81], v[80:81], v[103:104], s[16:17]
	v_ldexp_f64 v[103:104], v[78:79], 1
	v_add_f64_e64 v[78:79], v[78:79], -v[101:102]
	v_cmp_nge_f64_e64 s16, -1.0, v[71:72]
	v_cmp_neq_f64_e64 s17, 0x7ff00000, v[71:72]
	v_mul_f64_e32 v[80:81], v[105:106], v[80:81]
	v_cvt_f64_i32_e32 v[105:106], v76
	v_add_f64_e64 v[73:74], v[73:74], -v[78:79]
	s_and_b32 s16, s16, s17
	s_delay_alu instid0(VALU_DEP_3) | instskip(NEXT) | instid1(VALU_DEP_3)
	v_add_f64_e32 v[101:102], v[103:104], v[80:81]
	v_mul_f64_e32 v[107:108], s[18:19], v[105:106]
	s_delay_alu instid0(VALU_DEP_3) | instskip(NEXT) | instid1(VALU_DEP_3)
	v_ldexp_f64 v[73:74], v[73:74], 1
	v_add_f64_e64 v[78:79], v[101:102], -v[103:104]
	s_delay_alu instid0(VALU_DEP_3) | instskip(SKIP_1) | instid1(VALU_DEP_3)
	v_fma_f64 v[103:104], v[105:106], s[18:19], -v[107:108]
	v_cmp_ngt_f64_e64 s18, -1.0, v[71:72]
	v_add_f64_e64 v[78:79], v[80:81], -v[78:79]
	s_delay_alu instid0(VALU_DEP_3) | instskip(NEXT) | instid1(VALU_DEP_2)
	v_fma_f64 v[80:81], v[105:106], s[20:21], v[103:104]
	v_add_f64_e32 v[73:74], v[73:74], v[78:79]
	s_delay_alu instid0(VALU_DEP_2) | instskip(NEXT) | instid1(VALU_DEP_2)
	v_add_f64_e32 v[78:79], v[107:108], v[80:81]
	v_add_f64_e32 v[103:104], v[101:102], v[73:74]
	s_delay_alu instid0(VALU_DEP_2) | instskip(NEXT) | instid1(VALU_DEP_2)
	v_add_f64_e64 v[107:108], v[78:79], -v[107:108]
	v_add_f64_e32 v[105:106], v[78:79], v[103:104]
	v_add_f64_e64 v[101:102], v[103:104], -v[101:102]
	s_delay_alu instid0(VALU_DEP_3) | instskip(NEXT) | instid1(VALU_DEP_3)
	v_add_f64_e64 v[80:81], v[80:81], -v[107:108]
	v_add_f64_e64 v[109:110], v[105:106], -v[78:79]
	s_delay_alu instid0(VALU_DEP_3) | instskip(NEXT) | instid1(VALU_DEP_2)
	v_add_f64_e64 v[73:74], v[73:74], -v[101:102]
	v_add_f64_e64 v[111:112], v[105:106], -v[109:110]
	v_add_f64_e64 v[101:102], v[103:104], -v[109:110]
	s_delay_alu instid0(VALU_DEP_3) | instskip(NEXT) | instid1(VALU_DEP_3)
	v_add_f64_e32 v[103:104], v[80:81], v[73:74]
	v_add_f64_e64 v[78:79], v[78:79], -v[111:112]
	s_delay_alu instid0(VALU_DEP_1) | instskip(NEXT) | instid1(VALU_DEP_3)
	v_add_f64_e32 v[78:79], v[101:102], v[78:79]
	v_add_f64_e64 v[101:102], v[103:104], -v[80:81]
	s_delay_alu instid0(VALU_DEP_2) | instskip(NEXT) | instid1(VALU_DEP_2)
	v_add_f64_e32 v[78:79], v[103:104], v[78:79]
	v_add_f64_e64 v[103:104], v[103:104], -v[101:102]
	v_add_f64_e64 v[73:74], v[73:74], -v[101:102]
	s_delay_alu instid0(VALU_DEP_3) | instskip(NEXT) | instid1(VALU_DEP_3)
	v_add_f64_e32 v[107:108], v[105:106], v[78:79]
	v_add_f64_e64 v[80:81], v[80:81], -v[103:104]
	s_delay_alu instid0(VALU_DEP_2) | instskip(NEXT) | instid1(VALU_DEP_2)
	v_add_f64_e64 v[101:102], v[107:108], -v[105:106]
	v_add_f64_e32 v[73:74], v[73:74], v[80:81]
	s_delay_alu instid0(VALU_DEP_2) | instskip(NEXT) | instid1(VALU_DEP_1)
	v_add_f64_e64 v[78:79], v[78:79], -v[101:102]
	v_add_f64_e32 v[73:74], v[73:74], v[78:79]
	s_delay_alu instid0(VALU_DEP_1) | instskip(SKIP_1) | instid1(VALU_DEP_1)
	v_add_f64_e32 v[73:74], v[107:108], v[73:74]
	s_wait_alu 0xfffe
	v_cndmask_b32_e64 v73, 0, v73, s16
	v_cmp_neq_f64_e64 s16, -1.0, v[71:72]
	s_delay_alu instid0(VALU_DEP_3) | instskip(SKIP_1) | instid1(VALU_DEP_1)
	v_cndmask_b32_e64 v74, 0x7ff00000, v74, s17
	s_wait_alu 0xf1ff
	v_cndmask_b32_e64 v74, 0x7ff80000, v74, s18
	s_delay_alu instid0(VALU_DEP_1) | instskip(NEXT) | instid1(VALU_DEP_1)
	v_cndmask_b32_e64 v74, 0xfff00000, v74, s16
	v_add_f64_e32 v[71:72], v[69:70], v[73:74]
.LBB6_233:
	s_wait_alu 0xfffe
	s_or_b32 exec_lo, exec_lo, s25
	s_delay_alu instid0(VALU_DEP_1)
	v_dual_mov_b32 v69, v71 :: v_dual_mov_b32 v70, v72
	v_dual_mov_b32 v73, v71 :: v_dual_mov_b32 v74, v72
.LBB6_234:
	s_wait_alu 0xfffe
	s_or_b32 exec_lo, exec_lo, s24
	s_delay_alu instid0(VALU_DEP_1) | instskip(NEXT) | instid1(VALU_DEP_2)
	v_mov_b32_dpp v71, v73 row_shr:4 row_mask:0xf bank_mask:0xf
	v_mov_b32_dpp v72, v74 row_shr:4 row_mask:0xf bank_mask:0xf
	s_mov_b32 s24, exec_lo
	v_cmpx_lt_u32_e32 3, v75
	s_cbranch_execz .LBB6_238
; %bb.235:
	s_delay_alu instid0(VALU_DEP_2) | instskip(SKIP_3) | instid1(VALU_DEP_3)
	v_max_num_f64_e32 v[73:74], v[71:72], v[71:72]
	v_max_num_f64_e32 v[78:79], v[69:70], v[69:70]
	v_cmp_u_f64_e64 s16, v[71:72], v[71:72]
	v_cmp_u_f64_e64 s17, v[69:70], v[69:70]
	v_min_num_f64_e32 v[80:81], v[73:74], v[78:79]
	v_max_num_f64_e32 v[73:74], v[73:74], v[78:79]
	s_wait_alu 0xf1ff
	s_delay_alu instid0(VALU_DEP_2) | instskip(NEXT) | instid1(VALU_DEP_3)
	v_cndmask_b32_e64 v76, v81, v72, s16
	v_cndmask_b32_e64 v78, v80, v71, s16
	s_delay_alu instid0(VALU_DEP_3) | instskip(NEXT) | instid1(VALU_DEP_4)
	v_cndmask_b32_e64 v79, v74, v72, s16
	v_cndmask_b32_e64 v80, v73, v71, s16
	s_delay_alu instid0(VALU_DEP_4) | instskip(NEXT) | instid1(VALU_DEP_4)
	v_cndmask_b32_e64 v74, v76, v70, s17
	v_cndmask_b32_e64 v73, v78, v69, s17
	s_delay_alu instid0(VALU_DEP_4) | instskip(NEXT) | instid1(VALU_DEP_4)
	v_cndmask_b32_e64 v70, v79, v70, s17
	v_cndmask_b32_e64 v69, v80, v69, s17
	s_delay_alu instid0(VALU_DEP_3) | instskip(NEXT) | instid1(VALU_DEP_2)
	v_cmp_class_f64_e64 s17, v[73:74], 0x1f8
	v_cmp_neq_f64_e64 s16, v[73:74], v[69:70]
	s_or_b32 s16, s16, s17
	s_wait_alu 0xfffe
	s_and_saveexec_b32 s25, s16
	s_cbranch_execz .LBB6_237
; %bb.236:
	v_add_f64_e64 v[71:72], v[73:74], -v[69:70]
	s_mov_b32 s16, 0x652b82fe
	s_mov_b32 s17, 0x3ff71547
	s_mov_b32 s19, 0xbfe62e42
	s_mov_b32 s18, 0xfefa39ef
	s_mov_b32 s21, 0xbc7abc9e
	s_mov_b32 s20, 0x3b39803f
	s_mov_b32 s36, 0x6a5dcb37
	s_mov_b32 s37, 0x3e5ade15
	s_mov_b32 s38, 0xbf559e2b
	s_mov_b32 s39, 0x3fc3ab76
	s_wait_alu 0xfffe
	s_delay_alu instid0(VALU_DEP_1) | instskip(SKIP_2) | instid1(VALU_DEP_1)
	v_mul_f64_e32 v[73:74], s[16:17], v[71:72]
	s_mov_b32 s16, 0xfca7ab0c
	s_mov_b32 s17, 0x3e928af3
	v_rndne_f64_e32 v[73:74], v[73:74]
	s_delay_alu instid0(VALU_DEP_1) | instskip(SKIP_2) | instid1(VALU_DEP_2)
	v_fma_f64 v[78:79], v[73:74], s[18:19], v[71:72]
	v_cvt_i32_f64_e32 v76, v[73:74]
	s_mov_b32 s19, 0x3fe62e42
	v_fma_f64 v[78:79], v[73:74], s[20:21], v[78:79]
	s_mov_b32 s21, 0x3c7abc9e
	s_wait_alu 0xfffe
	s_delay_alu instid0(VALU_DEP_1)
	v_fma_f64 v[80:81], v[78:79], s[36:37], s[16:17]
	s_mov_b32 s16, 0x623fde64
	s_mov_b32 s17, 0x3ec71dee
	;; [unrolled: 1-line block ×4, first 2 shown]
	s_wait_alu 0xfffe
	s_delay_alu instid0(VALU_DEP_1) | instskip(SKIP_3) | instid1(VALU_DEP_1)
	v_fma_f64 v[80:81], v[78:79], v[80:81], s[16:17]
	s_mov_b32 s16, 0x7c89e6b0
	s_mov_b32 s17, 0x3efa0199
	s_wait_alu 0xfffe
	v_fma_f64 v[80:81], v[78:79], v[80:81], s[16:17]
	s_mov_b32 s16, 0x14761f6e
	s_mov_b32 s17, 0x3f2a01a0
	s_wait_alu 0xfffe
	s_delay_alu instid0(VALU_DEP_1) | instskip(SKIP_3) | instid1(VALU_DEP_1)
	v_fma_f64 v[80:81], v[78:79], v[80:81], s[16:17]
	s_mov_b32 s16, 0x1852b7b0
	s_mov_b32 s17, 0x3f56c16c
	s_wait_alu 0xfffe
	v_fma_f64 v[80:81], v[78:79], v[80:81], s[16:17]
	s_mov_b32 s16, 0x11122322
	s_mov_b32 s17, 0x3f811111
	;; [unrolled: 9-line block ×3, first 2 shown]
	s_wait_alu 0xfffe
	s_delay_alu instid0(VALU_DEP_1) | instskip(SKIP_3) | instid1(VALU_DEP_1)
	v_fma_f64 v[80:81], v[78:79], v[80:81], s[16:17]
	s_mov_b32 s16, 11
	s_mov_b32 s17, 0x3fe00000
	s_wait_alu 0xfffe
	v_fma_f64 v[80:81], v[78:79], v[80:81], s[16:17]
	v_cmp_nlt_f64_e64 s16, 0x40900000, v[71:72]
	v_cmp_ngt_f64_e64 s17, 0xc090cc00, v[71:72]
	s_delay_alu instid0(VALU_DEP_3) | instskip(NEXT) | instid1(VALU_DEP_1)
	v_fma_f64 v[80:81], v[78:79], v[80:81], 1.0
	v_fma_f64 v[73:74], v[78:79], v[80:81], 1.0
	s_delay_alu instid0(VALU_DEP_1) | instskip(SKIP_1) | instid1(VALU_DEP_1)
	v_ldexp_f64 v[73:74], v[73:74], v76
	s_wait_alu 0xf1ff
	v_cndmask_b32_e64 v74, 0x7ff00000, v74, s16
	s_and_b32 s16, s17, s16
	s_wait_alu 0xfffe
	s_delay_alu instid0(VALU_DEP_2) | instskip(SKIP_3) | instid1(VALU_DEP_1)
	v_cndmask_b32_e64 v71, 0, v73, s16
	s_mov_b32 s16, 0x55555555
	v_cndmask_b32_e64 v72, 0, v74, s17
	s_mov_b32 s17, 0x3fe55555
	v_add_f64_e32 v[73:74], 1.0, v[71:72]
	s_delay_alu instid0(VALU_DEP_1) | instskip(SKIP_3) | instid1(VALU_DEP_3)
	v_frexp_mant_f64_e32 v[78:79], v[73:74]
	v_frexp_exp_i32_f64_e32 v76, v[73:74]
	v_add_f64_e32 v[80:81], -1.0, v[73:74]
	s_wait_alu 0xfffe
	v_cmp_gt_f64_e64 s16, s[16:17], v[78:79]
	s_delay_alu instid0(VALU_DEP_2) | instskip(SKIP_2) | instid1(VALU_DEP_3)
	v_add_f64_e64 v[78:79], v[80:81], -v[73:74]
	v_add_f64_e64 v[80:81], v[71:72], -v[80:81]
	s_wait_alu 0xf1ff
	v_subrev_co_ci_u32_e64 v76, null, 0, v76, s16
	s_delay_alu instid0(VALU_DEP_3) | instskip(SKIP_1) | instid1(VALU_DEP_2)
	v_add_f64_e32 v[78:79], 1.0, v[78:79]
	s_mov_b32 s16, 0x55555780
	v_sub_nc_u32_e32 v82, 0, v76
	s_delay_alu instid0(VALU_DEP_1) | instskip(NEXT) | instid1(VALU_DEP_3)
	v_ldexp_f64 v[73:74], v[73:74], v82
	v_add_f64_e32 v[78:79], v[80:81], v[78:79]
	s_delay_alu instid0(VALU_DEP_2) | instskip(SKIP_1) | instid1(VALU_DEP_3)
	v_add_f64_e32 v[101:102], 1.0, v[73:74]
	v_add_f64_e32 v[107:108], -1.0, v[73:74]
	v_ldexp_f64 v[78:79], v[78:79], v82
	s_delay_alu instid0(VALU_DEP_3) | instskip(NEXT) | instid1(VALU_DEP_3)
	v_add_f64_e32 v[80:81], -1.0, v[101:102]
	v_add_f64_e32 v[109:110], 1.0, v[107:108]
	s_delay_alu instid0(VALU_DEP_2) | instskip(NEXT) | instid1(VALU_DEP_2)
	v_add_f64_e64 v[80:81], v[73:74], -v[80:81]
	v_add_f64_e64 v[73:74], v[73:74], -v[109:110]
	s_delay_alu instid0(VALU_DEP_2) | instskip(NEXT) | instid1(VALU_DEP_2)
	v_add_f64_e32 v[80:81], v[78:79], v[80:81]
	v_add_f64_e32 v[73:74], v[78:79], v[73:74]
	s_delay_alu instid0(VALU_DEP_2) | instskip(NEXT) | instid1(VALU_DEP_2)
	v_add_f64_e32 v[103:104], v[101:102], v[80:81]
	v_add_f64_e32 v[109:110], v[107:108], v[73:74]
	s_delay_alu instid0(VALU_DEP_2) | instskip(SKIP_1) | instid1(VALU_DEP_2)
	v_rcp_f64_e32 v[105:106], v[103:104]
	v_add_f64_e64 v[101:102], v[103:104], -v[101:102]
	v_add_f64_e64 v[107:108], v[109:110], -v[107:108]
	s_delay_alu instid0(VALU_DEP_2) | instskip(NEXT) | instid1(TRANS32_DEP_1)
	v_add_f64_e64 v[80:81], v[80:81], -v[101:102]
	v_fma_f64 v[111:112], -v[103:104], v[105:106], 1.0
	s_delay_alu instid0(VALU_DEP_3) | instskip(NEXT) | instid1(VALU_DEP_2)
	v_add_f64_e64 v[73:74], v[73:74], -v[107:108]
	v_fma_f64 v[105:106], v[111:112], v[105:106], v[105:106]
	s_delay_alu instid0(VALU_DEP_1) | instskip(NEXT) | instid1(VALU_DEP_1)
	v_fma_f64 v[78:79], -v[103:104], v[105:106], 1.0
	v_fma_f64 v[78:79], v[78:79], v[105:106], v[105:106]
	s_delay_alu instid0(VALU_DEP_1) | instskip(NEXT) | instid1(VALU_DEP_1)
	v_mul_f64_e32 v[105:106], v[109:110], v[78:79]
	v_mul_f64_e32 v[111:112], v[103:104], v[105:106]
	s_delay_alu instid0(VALU_DEP_1) | instskip(NEXT) | instid1(VALU_DEP_1)
	v_fma_f64 v[101:102], v[105:106], v[103:104], -v[111:112]
	v_fma_f64 v[101:102], v[105:106], v[80:81], v[101:102]
	s_delay_alu instid0(VALU_DEP_1) | instskip(NEXT) | instid1(VALU_DEP_1)
	v_add_f64_e32 v[113:114], v[111:112], v[101:102]
	v_add_f64_e64 v[115:116], v[109:110], -v[113:114]
	v_add_f64_e64 v[107:108], v[113:114], -v[111:112]
	s_delay_alu instid0(VALU_DEP_2) | instskip(NEXT) | instid1(VALU_DEP_2)
	v_add_f64_e64 v[109:110], v[109:110], -v[115:116]
	v_add_f64_e64 v[101:102], v[107:108], -v[101:102]
	s_delay_alu instid0(VALU_DEP_2) | instskip(NEXT) | instid1(VALU_DEP_1)
	v_add_f64_e64 v[109:110], v[109:110], -v[113:114]
	v_add_f64_e32 v[73:74], v[73:74], v[109:110]
	s_delay_alu instid0(VALU_DEP_1) | instskip(NEXT) | instid1(VALU_DEP_1)
	v_add_f64_e32 v[73:74], v[101:102], v[73:74]
	v_add_f64_e32 v[101:102], v[115:116], v[73:74]
	s_delay_alu instid0(VALU_DEP_1) | instskip(SKIP_1) | instid1(VALU_DEP_2)
	v_mul_f64_e32 v[107:108], v[78:79], v[101:102]
	v_add_f64_e64 v[113:114], v[115:116], -v[101:102]
	v_mul_f64_e32 v[109:110], v[103:104], v[107:108]
	s_delay_alu instid0(VALU_DEP_2) | instskip(NEXT) | instid1(VALU_DEP_2)
	v_add_f64_e32 v[73:74], v[73:74], v[113:114]
	v_fma_f64 v[103:104], v[107:108], v[103:104], -v[109:110]
	s_delay_alu instid0(VALU_DEP_1) | instskip(NEXT) | instid1(VALU_DEP_1)
	v_fma_f64 v[80:81], v[107:108], v[80:81], v[103:104]
	v_add_f64_e32 v[103:104], v[109:110], v[80:81]
	s_delay_alu instid0(VALU_DEP_1) | instskip(SKIP_1) | instid1(VALU_DEP_2)
	v_add_f64_e64 v[111:112], v[101:102], -v[103:104]
	v_add_f64_e64 v[109:110], v[103:104], -v[109:110]
	;; [unrolled: 1-line block ×3, first 2 shown]
	s_delay_alu instid0(VALU_DEP_2) | instskip(NEXT) | instid1(VALU_DEP_2)
	v_add_f64_e64 v[80:81], v[109:110], -v[80:81]
	v_add_f64_e64 v[101:102], v[101:102], -v[103:104]
	s_delay_alu instid0(VALU_DEP_1) | instskip(SKIP_1) | instid1(VALU_DEP_2)
	v_add_f64_e32 v[73:74], v[73:74], v[101:102]
	v_add_f64_e32 v[101:102], v[105:106], v[107:108]
	;; [unrolled: 1-line block ×3, first 2 shown]
	s_delay_alu instid0(VALU_DEP_2) | instskip(NEXT) | instid1(VALU_DEP_2)
	v_add_f64_e64 v[80:81], v[101:102], -v[105:106]
	v_add_f64_e32 v[73:74], v[111:112], v[73:74]
	s_delay_alu instid0(VALU_DEP_2) | instskip(NEXT) | instid1(VALU_DEP_2)
	v_add_f64_e64 v[80:81], v[107:108], -v[80:81]
	v_mul_f64_e32 v[73:74], v[78:79], v[73:74]
	s_delay_alu instid0(VALU_DEP_1) | instskip(NEXT) | instid1(VALU_DEP_1)
	v_add_f64_e32 v[73:74], v[80:81], v[73:74]
	v_add_f64_e32 v[78:79], v[101:102], v[73:74]
	s_delay_alu instid0(VALU_DEP_1) | instskip(NEXT) | instid1(VALU_DEP_1)
	v_mul_f64_e32 v[80:81], v[78:79], v[78:79]
	v_fma_f64 v[103:104], v[80:81], s[38:39], s[36:37]
	s_mov_b32 s36, 0xd7f4df2e
	s_mov_b32 s37, 0x3fc7474d
	v_mul_f64_e32 v[105:106], v[78:79], v[80:81]
	s_wait_alu 0xfffe
	s_delay_alu instid0(VALU_DEP_2) | instskip(SKIP_3) | instid1(VALU_DEP_1)
	v_fma_f64 v[103:104], v[80:81], v[103:104], s[36:37]
	s_mov_b32 s36, 0x16291751
	s_mov_b32 s37, 0x3fcc71c0
	s_wait_alu 0xfffe
	v_fma_f64 v[103:104], v[80:81], v[103:104], s[36:37]
	s_mov_b32 s36, 0x9b27acf1
	s_mov_b32 s37, 0x3fd24924
	s_wait_alu 0xfffe
	s_delay_alu instid0(VALU_DEP_1) | instskip(SKIP_3) | instid1(VALU_DEP_1)
	v_fma_f64 v[103:104], v[80:81], v[103:104], s[36:37]
	s_mov_b32 s36, 0x998ef7b6
	s_mov_b32 s37, 0x3fd99999
	s_wait_alu 0xfffe
	v_fma_f64 v[103:104], v[80:81], v[103:104], s[36:37]
	s_delay_alu instid0(VALU_DEP_1)
	v_fma_f64 v[80:81], v[80:81], v[103:104], s[16:17]
	v_ldexp_f64 v[103:104], v[78:79], 1
	v_add_f64_e64 v[78:79], v[78:79], -v[101:102]
	v_cmp_nge_f64_e64 s16, -1.0, v[71:72]
	v_cmp_neq_f64_e64 s17, 0x7ff00000, v[71:72]
	v_mul_f64_e32 v[80:81], v[105:106], v[80:81]
	v_cvt_f64_i32_e32 v[105:106], v76
	v_add_f64_e64 v[73:74], v[73:74], -v[78:79]
	s_and_b32 s16, s16, s17
	s_delay_alu instid0(VALU_DEP_3) | instskip(NEXT) | instid1(VALU_DEP_3)
	v_add_f64_e32 v[101:102], v[103:104], v[80:81]
	v_mul_f64_e32 v[107:108], s[18:19], v[105:106]
	s_delay_alu instid0(VALU_DEP_3) | instskip(NEXT) | instid1(VALU_DEP_3)
	v_ldexp_f64 v[73:74], v[73:74], 1
	v_add_f64_e64 v[78:79], v[101:102], -v[103:104]
	s_delay_alu instid0(VALU_DEP_3) | instskip(SKIP_1) | instid1(VALU_DEP_3)
	v_fma_f64 v[103:104], v[105:106], s[18:19], -v[107:108]
	v_cmp_ngt_f64_e64 s18, -1.0, v[71:72]
	v_add_f64_e64 v[78:79], v[80:81], -v[78:79]
	s_delay_alu instid0(VALU_DEP_3) | instskip(NEXT) | instid1(VALU_DEP_2)
	v_fma_f64 v[80:81], v[105:106], s[20:21], v[103:104]
	v_add_f64_e32 v[73:74], v[73:74], v[78:79]
	s_delay_alu instid0(VALU_DEP_2) | instskip(NEXT) | instid1(VALU_DEP_2)
	v_add_f64_e32 v[78:79], v[107:108], v[80:81]
	v_add_f64_e32 v[103:104], v[101:102], v[73:74]
	s_delay_alu instid0(VALU_DEP_2) | instskip(NEXT) | instid1(VALU_DEP_2)
	v_add_f64_e64 v[107:108], v[78:79], -v[107:108]
	v_add_f64_e32 v[105:106], v[78:79], v[103:104]
	v_add_f64_e64 v[101:102], v[103:104], -v[101:102]
	s_delay_alu instid0(VALU_DEP_3) | instskip(NEXT) | instid1(VALU_DEP_3)
	v_add_f64_e64 v[80:81], v[80:81], -v[107:108]
	v_add_f64_e64 v[109:110], v[105:106], -v[78:79]
	s_delay_alu instid0(VALU_DEP_3) | instskip(NEXT) | instid1(VALU_DEP_2)
	v_add_f64_e64 v[73:74], v[73:74], -v[101:102]
	v_add_f64_e64 v[111:112], v[105:106], -v[109:110]
	;; [unrolled: 1-line block ×3, first 2 shown]
	s_delay_alu instid0(VALU_DEP_3) | instskip(NEXT) | instid1(VALU_DEP_3)
	v_add_f64_e32 v[103:104], v[80:81], v[73:74]
	v_add_f64_e64 v[78:79], v[78:79], -v[111:112]
	s_delay_alu instid0(VALU_DEP_1) | instskip(NEXT) | instid1(VALU_DEP_3)
	v_add_f64_e32 v[78:79], v[101:102], v[78:79]
	v_add_f64_e64 v[101:102], v[103:104], -v[80:81]
	s_delay_alu instid0(VALU_DEP_2) | instskip(NEXT) | instid1(VALU_DEP_2)
	v_add_f64_e32 v[78:79], v[103:104], v[78:79]
	v_add_f64_e64 v[103:104], v[103:104], -v[101:102]
	v_add_f64_e64 v[73:74], v[73:74], -v[101:102]
	s_delay_alu instid0(VALU_DEP_3) | instskip(NEXT) | instid1(VALU_DEP_3)
	v_add_f64_e32 v[107:108], v[105:106], v[78:79]
	v_add_f64_e64 v[80:81], v[80:81], -v[103:104]
	s_delay_alu instid0(VALU_DEP_2) | instskip(NEXT) | instid1(VALU_DEP_2)
	v_add_f64_e64 v[101:102], v[107:108], -v[105:106]
	v_add_f64_e32 v[73:74], v[73:74], v[80:81]
	s_delay_alu instid0(VALU_DEP_2) | instskip(NEXT) | instid1(VALU_DEP_1)
	v_add_f64_e64 v[78:79], v[78:79], -v[101:102]
	v_add_f64_e32 v[73:74], v[73:74], v[78:79]
	s_delay_alu instid0(VALU_DEP_1) | instskip(SKIP_1) | instid1(VALU_DEP_1)
	v_add_f64_e32 v[73:74], v[107:108], v[73:74]
	s_wait_alu 0xfffe
	v_cndmask_b32_e64 v73, 0, v73, s16
	v_cmp_neq_f64_e64 s16, -1.0, v[71:72]
	s_delay_alu instid0(VALU_DEP_3) | instskip(SKIP_1) | instid1(VALU_DEP_1)
	v_cndmask_b32_e64 v74, 0x7ff00000, v74, s17
	s_wait_alu 0xf1ff
	v_cndmask_b32_e64 v74, 0x7ff80000, v74, s18
	s_delay_alu instid0(VALU_DEP_1) | instskip(NEXT) | instid1(VALU_DEP_1)
	v_cndmask_b32_e64 v74, 0xfff00000, v74, s16
	v_add_f64_e32 v[71:72], v[69:70], v[73:74]
.LBB6_237:
	s_wait_alu 0xfffe
	s_or_b32 exec_lo, exec_lo, s25
	s_delay_alu instid0(VALU_DEP_1)
	v_dual_mov_b32 v69, v71 :: v_dual_mov_b32 v70, v72
	v_dual_mov_b32 v73, v71 :: v_dual_mov_b32 v74, v72
.LBB6_238:
	s_wait_alu 0xfffe
	s_or_b32 exec_lo, exec_lo, s24
	s_delay_alu instid0(VALU_DEP_1) | instskip(NEXT) | instid1(VALU_DEP_2)
	v_mov_b32_dpp v71, v73 row_shr:8 row_mask:0xf bank_mask:0xf
	v_mov_b32_dpp v72, v74 row_shr:8 row_mask:0xf bank_mask:0xf
	s_mov_b32 s24, exec_lo
	v_cmpx_lt_u32_e32 7, v75
	s_cbranch_execz .LBB6_242
; %bb.239:
	s_delay_alu instid0(VALU_DEP_2) | instskip(SKIP_3) | instid1(VALU_DEP_3)
	v_max_num_f64_e32 v[73:74], v[71:72], v[71:72]
	v_max_num_f64_e32 v[75:76], v[69:70], v[69:70]
	v_cmp_u_f64_e64 s16, v[71:72], v[71:72]
	v_cmp_u_f64_e64 s17, v[69:70], v[69:70]
	v_min_num_f64_e32 v[78:79], v[73:74], v[75:76]
	v_max_num_f64_e32 v[73:74], v[73:74], v[75:76]
	s_wait_alu 0xf1ff
	s_delay_alu instid0(VALU_DEP_2) | instskip(NEXT) | instid1(VALU_DEP_3)
	v_cndmask_b32_e64 v75, v79, v72, s16
	v_cndmask_b32_e64 v76, v78, v71, s16
	s_delay_alu instid0(VALU_DEP_3) | instskip(NEXT) | instid1(VALU_DEP_4)
	v_cndmask_b32_e64 v78, v74, v72, s16
	v_cndmask_b32_e64 v79, v73, v71, s16
	s_delay_alu instid0(VALU_DEP_4) | instskip(NEXT) | instid1(VALU_DEP_4)
	v_cndmask_b32_e64 v74, v75, v70, s17
	v_cndmask_b32_e64 v73, v76, v69, s17
	s_delay_alu instid0(VALU_DEP_4) | instskip(NEXT) | instid1(VALU_DEP_4)
	v_cndmask_b32_e64 v70, v78, v70, s17
	v_cndmask_b32_e64 v69, v79, v69, s17
	s_delay_alu instid0(VALU_DEP_3) | instskip(NEXT) | instid1(VALU_DEP_2)
	v_cmp_class_f64_e64 s17, v[73:74], 0x1f8
	v_cmp_neq_f64_e64 s16, v[73:74], v[69:70]
	s_or_b32 s16, s16, s17
	s_wait_alu 0xfffe
	s_and_saveexec_b32 s25, s16
	s_cbranch_execz .LBB6_241
; %bb.240:
	v_add_f64_e64 v[71:72], v[73:74], -v[69:70]
	s_mov_b32 s16, 0x652b82fe
	s_mov_b32 s17, 0x3ff71547
	;; [unrolled: 1-line block ×10, first 2 shown]
	s_wait_alu 0xfffe
	s_delay_alu instid0(VALU_DEP_1) | instskip(SKIP_2) | instid1(VALU_DEP_1)
	v_mul_f64_e32 v[73:74], s[16:17], v[71:72]
	s_mov_b32 s16, 0xfca7ab0c
	s_mov_b32 s17, 0x3e928af3
	v_rndne_f64_e32 v[73:74], v[73:74]
	s_delay_alu instid0(VALU_DEP_1) | instskip(SKIP_2) | instid1(VALU_DEP_2)
	v_fma_f64 v[75:76], v[73:74], s[18:19], v[71:72]
	v_cvt_i32_f64_e32 v80, v[73:74]
	s_mov_b32 s19, 0x3fe62e42
	v_fma_f64 v[75:76], v[73:74], s[20:21], v[75:76]
	s_mov_b32 s21, 0x3c7abc9e
	s_wait_alu 0xfffe
	s_delay_alu instid0(VALU_DEP_1)
	v_fma_f64 v[78:79], v[75:76], s[36:37], s[16:17]
	s_mov_b32 s16, 0x623fde64
	s_mov_b32 s17, 0x3ec71dee
	;; [unrolled: 1-line block ×4, first 2 shown]
	s_wait_alu 0xfffe
	s_delay_alu instid0(VALU_DEP_1) | instskip(SKIP_3) | instid1(VALU_DEP_1)
	v_fma_f64 v[78:79], v[75:76], v[78:79], s[16:17]
	s_mov_b32 s16, 0x7c89e6b0
	s_mov_b32 s17, 0x3efa0199
	s_wait_alu 0xfffe
	v_fma_f64 v[78:79], v[75:76], v[78:79], s[16:17]
	s_mov_b32 s16, 0x14761f6e
	s_mov_b32 s17, 0x3f2a01a0
	s_wait_alu 0xfffe
	s_delay_alu instid0(VALU_DEP_1) | instskip(SKIP_3) | instid1(VALU_DEP_1)
	v_fma_f64 v[78:79], v[75:76], v[78:79], s[16:17]
	s_mov_b32 s16, 0x1852b7b0
	s_mov_b32 s17, 0x3f56c16c
	s_wait_alu 0xfffe
	v_fma_f64 v[78:79], v[75:76], v[78:79], s[16:17]
	s_mov_b32 s16, 0x11122322
	s_mov_b32 s17, 0x3f811111
	;; [unrolled: 9-line block ×3, first 2 shown]
	s_wait_alu 0xfffe
	s_delay_alu instid0(VALU_DEP_1) | instskip(SKIP_3) | instid1(VALU_DEP_1)
	v_fma_f64 v[78:79], v[75:76], v[78:79], s[16:17]
	s_mov_b32 s16, 11
	s_mov_b32 s17, 0x3fe00000
	s_wait_alu 0xfffe
	v_fma_f64 v[78:79], v[75:76], v[78:79], s[16:17]
	v_cmp_nlt_f64_e64 s16, 0x40900000, v[71:72]
	v_cmp_ngt_f64_e64 s17, 0xc090cc00, v[71:72]
	s_delay_alu instid0(VALU_DEP_3) | instskip(NEXT) | instid1(VALU_DEP_1)
	v_fma_f64 v[78:79], v[75:76], v[78:79], 1.0
	v_fma_f64 v[73:74], v[75:76], v[78:79], 1.0
	s_delay_alu instid0(VALU_DEP_1) | instskip(SKIP_1) | instid1(VALU_DEP_1)
	v_ldexp_f64 v[73:74], v[73:74], v80
	s_wait_alu 0xf1ff
	v_cndmask_b32_e64 v74, 0x7ff00000, v74, s16
	s_and_b32 s16, s17, s16
	s_wait_alu 0xfffe
	s_delay_alu instid0(VALU_DEP_2) | instskip(SKIP_3) | instid1(VALU_DEP_1)
	v_cndmask_b32_e64 v71, 0, v73, s16
	s_mov_b32 s16, 0x55555555
	v_cndmask_b32_e64 v72, 0, v74, s17
	s_mov_b32 s17, 0x3fe55555
	v_add_f64_e32 v[73:74], 1.0, v[71:72]
	s_delay_alu instid0(VALU_DEP_1) | instskip(SKIP_3) | instid1(VALU_DEP_3)
	v_frexp_mant_f64_e32 v[75:76], v[73:74]
	v_frexp_exp_i32_f64_e32 v80, v[73:74]
	v_add_f64_e32 v[78:79], -1.0, v[73:74]
	s_wait_alu 0xfffe
	v_cmp_gt_f64_e64 s16, s[16:17], v[75:76]
	s_delay_alu instid0(VALU_DEP_2) | instskip(SKIP_2) | instid1(VALU_DEP_3)
	v_add_f64_e64 v[75:76], v[78:79], -v[73:74]
	v_add_f64_e64 v[78:79], v[71:72], -v[78:79]
	s_wait_alu 0xf1ff
	v_subrev_co_ci_u32_e64 v82, null, 0, v80, s16
	s_delay_alu instid0(VALU_DEP_3) | instskip(SKIP_1) | instid1(VALU_DEP_2)
	v_add_f64_e32 v[75:76], 1.0, v[75:76]
	s_mov_b32 s16, 0x55555780
	v_sub_nc_u32_e32 v101, 0, v82
	s_delay_alu instid0(VALU_DEP_1) | instskip(NEXT) | instid1(VALU_DEP_3)
	v_ldexp_f64 v[73:74], v[73:74], v101
	v_add_f64_e32 v[75:76], v[78:79], v[75:76]
	s_delay_alu instid0(VALU_DEP_2) | instskip(SKIP_1) | instid1(VALU_DEP_3)
	v_add_f64_e32 v[80:81], 1.0, v[73:74]
	v_add_f64_e32 v[105:106], -1.0, v[73:74]
	v_ldexp_f64 v[75:76], v[75:76], v101
	s_delay_alu instid0(VALU_DEP_3) | instskip(NEXT) | instid1(VALU_DEP_3)
	v_add_f64_e32 v[78:79], -1.0, v[80:81]
	v_add_f64_e32 v[107:108], 1.0, v[105:106]
	s_delay_alu instid0(VALU_DEP_2) | instskip(NEXT) | instid1(VALU_DEP_2)
	v_add_f64_e64 v[78:79], v[73:74], -v[78:79]
	v_add_f64_e64 v[73:74], v[73:74], -v[107:108]
	s_delay_alu instid0(VALU_DEP_2) | instskip(NEXT) | instid1(VALU_DEP_2)
	v_add_f64_e32 v[78:79], v[75:76], v[78:79]
	v_add_f64_e32 v[73:74], v[75:76], v[73:74]
	s_delay_alu instid0(VALU_DEP_2) | instskip(NEXT) | instid1(VALU_DEP_2)
	v_add_f64_e32 v[101:102], v[80:81], v[78:79]
	v_add_f64_e32 v[107:108], v[105:106], v[73:74]
	s_delay_alu instid0(VALU_DEP_2) | instskip(SKIP_1) | instid1(VALU_DEP_2)
	v_rcp_f64_e32 v[103:104], v[101:102]
	v_add_f64_e64 v[80:81], v[101:102], -v[80:81]
	v_add_f64_e64 v[105:106], v[107:108], -v[105:106]
	s_delay_alu instid0(VALU_DEP_2) | instskip(NEXT) | instid1(TRANS32_DEP_1)
	v_add_f64_e64 v[78:79], v[78:79], -v[80:81]
	v_fma_f64 v[109:110], -v[101:102], v[103:104], 1.0
	s_delay_alu instid0(VALU_DEP_3) | instskip(NEXT) | instid1(VALU_DEP_2)
	v_add_f64_e64 v[73:74], v[73:74], -v[105:106]
	v_fma_f64 v[103:104], v[109:110], v[103:104], v[103:104]
	s_delay_alu instid0(VALU_DEP_1) | instskip(NEXT) | instid1(VALU_DEP_1)
	v_fma_f64 v[75:76], -v[101:102], v[103:104], 1.0
	v_fma_f64 v[75:76], v[75:76], v[103:104], v[103:104]
	s_delay_alu instid0(VALU_DEP_1) | instskip(NEXT) | instid1(VALU_DEP_1)
	v_mul_f64_e32 v[103:104], v[107:108], v[75:76]
	v_mul_f64_e32 v[109:110], v[101:102], v[103:104]
	s_delay_alu instid0(VALU_DEP_1) | instskip(NEXT) | instid1(VALU_DEP_1)
	v_fma_f64 v[80:81], v[103:104], v[101:102], -v[109:110]
	v_fma_f64 v[80:81], v[103:104], v[78:79], v[80:81]
	s_delay_alu instid0(VALU_DEP_1) | instskip(NEXT) | instid1(VALU_DEP_1)
	v_add_f64_e32 v[111:112], v[109:110], v[80:81]
	v_add_f64_e64 v[113:114], v[107:108], -v[111:112]
	v_add_f64_e64 v[105:106], v[111:112], -v[109:110]
	s_delay_alu instid0(VALU_DEP_2) | instskip(NEXT) | instid1(VALU_DEP_2)
	v_add_f64_e64 v[107:108], v[107:108], -v[113:114]
	v_add_f64_e64 v[80:81], v[105:106], -v[80:81]
	s_delay_alu instid0(VALU_DEP_2) | instskip(NEXT) | instid1(VALU_DEP_1)
	v_add_f64_e64 v[107:108], v[107:108], -v[111:112]
	v_add_f64_e32 v[73:74], v[73:74], v[107:108]
	s_delay_alu instid0(VALU_DEP_1) | instskip(NEXT) | instid1(VALU_DEP_1)
	v_add_f64_e32 v[73:74], v[80:81], v[73:74]
	v_add_f64_e32 v[80:81], v[113:114], v[73:74]
	s_delay_alu instid0(VALU_DEP_1) | instskip(SKIP_1) | instid1(VALU_DEP_2)
	v_mul_f64_e32 v[105:106], v[75:76], v[80:81]
	v_add_f64_e64 v[111:112], v[113:114], -v[80:81]
	v_mul_f64_e32 v[107:108], v[101:102], v[105:106]
	s_delay_alu instid0(VALU_DEP_2) | instskip(NEXT) | instid1(VALU_DEP_2)
	v_add_f64_e32 v[73:74], v[73:74], v[111:112]
	v_fma_f64 v[101:102], v[105:106], v[101:102], -v[107:108]
	s_delay_alu instid0(VALU_DEP_1) | instskip(NEXT) | instid1(VALU_DEP_1)
	v_fma_f64 v[78:79], v[105:106], v[78:79], v[101:102]
	v_add_f64_e32 v[101:102], v[107:108], v[78:79]
	s_delay_alu instid0(VALU_DEP_1) | instskip(SKIP_1) | instid1(VALU_DEP_2)
	v_add_f64_e64 v[109:110], v[80:81], -v[101:102]
	v_add_f64_e64 v[107:108], v[101:102], -v[107:108]
	;; [unrolled: 1-line block ×3, first 2 shown]
	s_delay_alu instid0(VALU_DEP_2) | instskip(NEXT) | instid1(VALU_DEP_2)
	v_add_f64_e64 v[78:79], v[107:108], -v[78:79]
	v_add_f64_e64 v[80:81], v[80:81], -v[101:102]
	s_delay_alu instid0(VALU_DEP_1) | instskip(SKIP_1) | instid1(VALU_DEP_2)
	v_add_f64_e32 v[73:74], v[73:74], v[80:81]
	v_add_f64_e32 v[80:81], v[103:104], v[105:106]
	;; [unrolled: 1-line block ×3, first 2 shown]
	s_delay_alu instid0(VALU_DEP_2) | instskip(NEXT) | instid1(VALU_DEP_2)
	v_add_f64_e64 v[78:79], v[80:81], -v[103:104]
	v_add_f64_e32 v[73:74], v[109:110], v[73:74]
	s_delay_alu instid0(VALU_DEP_2) | instskip(NEXT) | instid1(VALU_DEP_2)
	v_add_f64_e64 v[78:79], v[105:106], -v[78:79]
	v_mul_f64_e32 v[73:74], v[75:76], v[73:74]
	s_delay_alu instid0(VALU_DEP_1) | instskip(NEXT) | instid1(VALU_DEP_1)
	v_add_f64_e32 v[73:74], v[78:79], v[73:74]
	v_add_f64_e32 v[75:76], v[80:81], v[73:74]
	s_delay_alu instid0(VALU_DEP_1) | instskip(NEXT) | instid1(VALU_DEP_1)
	v_mul_f64_e32 v[78:79], v[75:76], v[75:76]
	v_fma_f64 v[101:102], v[78:79], s[38:39], s[36:37]
	s_mov_b32 s36, 0xd7f4df2e
	s_mov_b32 s37, 0x3fc7474d
	v_mul_f64_e32 v[103:104], v[75:76], v[78:79]
	s_wait_alu 0xfffe
	s_delay_alu instid0(VALU_DEP_2) | instskip(SKIP_3) | instid1(VALU_DEP_1)
	v_fma_f64 v[101:102], v[78:79], v[101:102], s[36:37]
	s_mov_b32 s36, 0x16291751
	s_mov_b32 s37, 0x3fcc71c0
	s_wait_alu 0xfffe
	v_fma_f64 v[101:102], v[78:79], v[101:102], s[36:37]
	s_mov_b32 s36, 0x9b27acf1
	s_mov_b32 s37, 0x3fd24924
	s_wait_alu 0xfffe
	s_delay_alu instid0(VALU_DEP_1) | instskip(SKIP_3) | instid1(VALU_DEP_1)
	v_fma_f64 v[101:102], v[78:79], v[101:102], s[36:37]
	s_mov_b32 s36, 0x998ef7b6
	s_mov_b32 s37, 0x3fd99999
	s_wait_alu 0xfffe
	v_fma_f64 v[101:102], v[78:79], v[101:102], s[36:37]
	s_delay_alu instid0(VALU_DEP_1)
	v_fma_f64 v[78:79], v[78:79], v[101:102], s[16:17]
	v_ldexp_f64 v[101:102], v[75:76], 1
	v_add_f64_e64 v[75:76], v[75:76], -v[80:81]
	v_cmp_nge_f64_e64 s16, -1.0, v[71:72]
	v_cmp_neq_f64_e64 s17, 0x7ff00000, v[71:72]
	v_mul_f64_e32 v[78:79], v[103:104], v[78:79]
	v_cvt_f64_i32_e32 v[103:104], v82
	v_add_f64_e64 v[73:74], v[73:74], -v[75:76]
	s_and_b32 s16, s16, s17
	s_delay_alu instid0(VALU_DEP_3) | instskip(NEXT) | instid1(VALU_DEP_3)
	v_add_f64_e32 v[80:81], v[101:102], v[78:79]
	v_mul_f64_e32 v[105:106], s[18:19], v[103:104]
	s_delay_alu instid0(VALU_DEP_3) | instskip(NEXT) | instid1(VALU_DEP_3)
	v_ldexp_f64 v[73:74], v[73:74], 1
	v_add_f64_e64 v[75:76], v[80:81], -v[101:102]
	s_delay_alu instid0(VALU_DEP_3) | instskip(SKIP_1) | instid1(VALU_DEP_3)
	v_fma_f64 v[101:102], v[103:104], s[18:19], -v[105:106]
	v_cmp_ngt_f64_e64 s18, -1.0, v[71:72]
	v_add_f64_e64 v[75:76], v[78:79], -v[75:76]
	s_delay_alu instid0(VALU_DEP_3) | instskip(NEXT) | instid1(VALU_DEP_2)
	v_fma_f64 v[78:79], v[103:104], s[20:21], v[101:102]
	v_add_f64_e32 v[73:74], v[73:74], v[75:76]
	s_delay_alu instid0(VALU_DEP_2) | instskip(NEXT) | instid1(VALU_DEP_2)
	v_add_f64_e32 v[75:76], v[105:106], v[78:79]
	v_add_f64_e32 v[101:102], v[80:81], v[73:74]
	s_delay_alu instid0(VALU_DEP_2) | instskip(NEXT) | instid1(VALU_DEP_2)
	v_add_f64_e64 v[105:106], v[75:76], -v[105:106]
	v_add_f64_e32 v[103:104], v[75:76], v[101:102]
	v_add_f64_e64 v[80:81], v[101:102], -v[80:81]
	s_delay_alu instid0(VALU_DEP_3) | instskip(NEXT) | instid1(VALU_DEP_3)
	v_add_f64_e64 v[78:79], v[78:79], -v[105:106]
	v_add_f64_e64 v[107:108], v[103:104], -v[75:76]
	s_delay_alu instid0(VALU_DEP_3) | instskip(NEXT) | instid1(VALU_DEP_2)
	v_add_f64_e64 v[73:74], v[73:74], -v[80:81]
	v_add_f64_e64 v[109:110], v[103:104], -v[107:108]
	;; [unrolled: 1-line block ×3, first 2 shown]
	s_delay_alu instid0(VALU_DEP_3) | instskip(NEXT) | instid1(VALU_DEP_3)
	v_add_f64_e32 v[101:102], v[78:79], v[73:74]
	v_add_f64_e64 v[75:76], v[75:76], -v[109:110]
	s_delay_alu instid0(VALU_DEP_1) | instskip(NEXT) | instid1(VALU_DEP_3)
	v_add_f64_e32 v[75:76], v[80:81], v[75:76]
	v_add_f64_e64 v[80:81], v[101:102], -v[78:79]
	s_delay_alu instid0(VALU_DEP_2) | instskip(NEXT) | instid1(VALU_DEP_2)
	v_add_f64_e32 v[75:76], v[101:102], v[75:76]
	v_add_f64_e64 v[101:102], v[101:102], -v[80:81]
	v_add_f64_e64 v[73:74], v[73:74], -v[80:81]
	s_delay_alu instid0(VALU_DEP_3) | instskip(NEXT) | instid1(VALU_DEP_3)
	v_add_f64_e32 v[105:106], v[103:104], v[75:76]
	v_add_f64_e64 v[78:79], v[78:79], -v[101:102]
	s_delay_alu instid0(VALU_DEP_2) | instskip(NEXT) | instid1(VALU_DEP_2)
	v_add_f64_e64 v[80:81], v[105:106], -v[103:104]
	v_add_f64_e32 v[73:74], v[73:74], v[78:79]
	s_delay_alu instid0(VALU_DEP_2) | instskip(NEXT) | instid1(VALU_DEP_1)
	v_add_f64_e64 v[75:76], v[75:76], -v[80:81]
	v_add_f64_e32 v[73:74], v[73:74], v[75:76]
	s_delay_alu instid0(VALU_DEP_1) | instskip(SKIP_1) | instid1(VALU_DEP_1)
	v_add_f64_e32 v[73:74], v[105:106], v[73:74]
	s_wait_alu 0xfffe
	v_cndmask_b32_e64 v73, 0, v73, s16
	v_cmp_neq_f64_e64 s16, -1.0, v[71:72]
	s_delay_alu instid0(VALU_DEP_3) | instskip(SKIP_1) | instid1(VALU_DEP_1)
	v_cndmask_b32_e64 v74, 0x7ff00000, v74, s17
	s_wait_alu 0xf1ff
	v_cndmask_b32_e64 v74, 0x7ff80000, v74, s18
	s_delay_alu instid0(VALU_DEP_1) | instskip(NEXT) | instid1(VALU_DEP_1)
	v_cndmask_b32_e64 v74, 0xfff00000, v74, s16
	v_add_f64_e32 v[71:72], v[69:70], v[73:74]
.LBB6_241:
	s_wait_alu 0xfffe
	s_or_b32 exec_lo, exec_lo, s25
	s_delay_alu instid0(VALU_DEP_1)
	v_dual_mov_b32 v73, v71 :: v_dual_mov_b32 v74, v72
	v_dual_mov_b32 v69, v71 :: v_dual_mov_b32 v70, v72
.LBB6_242:
	s_wait_alu 0xfffe
	s_or_b32 exec_lo, exec_lo, s24
	ds_swizzle_b32 v71, v73 offset:swizzle(BROADCAST,32,15)
	ds_swizzle_b32 v72, v74 offset:swizzle(BROADCAST,32,15)
	v_and_b32_e32 v73, 16, v77
	s_mov_b32 s24, exec_lo
	s_delay_alu instid0(VALU_DEP_1)
	v_cmpx_ne_u32_e32 0, v73
	s_cbranch_execz .LBB6_246
; %bb.243:
	s_wait_dscnt 0x0
	v_max_num_f64_e32 v[73:74], v[71:72], v[71:72]
	v_max_num_f64_e32 v[75:76], v[69:70], v[69:70]
	v_cmp_u_f64_e64 s16, v[71:72], v[71:72]
	v_cmp_u_f64_e64 s17, v[69:70], v[69:70]
	s_delay_alu instid0(VALU_DEP_3) | instskip(SKIP_2) | instid1(VALU_DEP_2)
	v_min_num_f64_e32 v[78:79], v[73:74], v[75:76]
	v_max_num_f64_e32 v[73:74], v[73:74], v[75:76]
	s_wait_alu 0xf1ff
	v_cndmask_b32_e64 v75, v79, v72, s16
	s_delay_alu instid0(VALU_DEP_3) | instskip(NEXT) | instid1(VALU_DEP_3)
	v_cndmask_b32_e64 v76, v78, v71, s16
	v_cndmask_b32_e64 v78, v74, v72, s16
	s_delay_alu instid0(VALU_DEP_4) | instskip(NEXT) | instid1(VALU_DEP_4)
	v_cndmask_b32_e64 v79, v73, v71, s16
	v_cndmask_b32_e64 v74, v75, v70, s17
	s_delay_alu instid0(VALU_DEP_4) | instskip(NEXT) | instid1(VALU_DEP_4)
	v_cndmask_b32_e64 v73, v76, v69, s17
	v_cndmask_b32_e64 v70, v78, v70, s17
	s_delay_alu instid0(VALU_DEP_4) | instskip(NEXT) | instid1(VALU_DEP_3)
	v_cndmask_b32_e64 v69, v79, v69, s17
	v_cmp_class_f64_e64 s17, v[73:74], 0x1f8
	s_delay_alu instid0(VALU_DEP_2)
	v_cmp_neq_f64_e64 s16, v[73:74], v[69:70]
	s_or_b32 s16, s16, s17
	s_wait_alu 0xfffe
	s_and_saveexec_b32 s25, s16
	s_cbranch_execz .LBB6_245
; %bb.244:
	v_add_f64_e64 v[71:72], v[73:74], -v[69:70]
	s_mov_b32 s16, 0x652b82fe
	s_mov_b32 s17, 0x3ff71547
	;; [unrolled: 1-line block ×10, first 2 shown]
	s_wait_alu 0xfffe
	s_delay_alu instid0(VALU_DEP_1) | instskip(SKIP_2) | instid1(VALU_DEP_1)
	v_mul_f64_e32 v[73:74], s[16:17], v[71:72]
	s_mov_b32 s16, 0xfca7ab0c
	s_mov_b32 s17, 0x3e928af3
	v_rndne_f64_e32 v[73:74], v[73:74]
	s_delay_alu instid0(VALU_DEP_1) | instskip(SKIP_2) | instid1(VALU_DEP_2)
	v_fma_f64 v[75:76], v[73:74], s[18:19], v[71:72]
	v_cvt_i32_f64_e32 v80, v[73:74]
	s_mov_b32 s19, 0x3fe62e42
	v_fma_f64 v[75:76], v[73:74], s[20:21], v[75:76]
	s_mov_b32 s21, 0x3c7abc9e
	s_wait_alu 0xfffe
	s_delay_alu instid0(VALU_DEP_1)
	v_fma_f64 v[78:79], v[75:76], s[36:37], s[16:17]
	s_mov_b32 s16, 0x623fde64
	s_mov_b32 s17, 0x3ec71dee
	;; [unrolled: 1-line block ×4, first 2 shown]
	s_wait_alu 0xfffe
	s_delay_alu instid0(VALU_DEP_1) | instskip(SKIP_3) | instid1(VALU_DEP_1)
	v_fma_f64 v[78:79], v[75:76], v[78:79], s[16:17]
	s_mov_b32 s16, 0x7c89e6b0
	s_mov_b32 s17, 0x3efa0199
	s_wait_alu 0xfffe
	v_fma_f64 v[78:79], v[75:76], v[78:79], s[16:17]
	s_mov_b32 s16, 0x14761f6e
	s_mov_b32 s17, 0x3f2a01a0
	s_wait_alu 0xfffe
	s_delay_alu instid0(VALU_DEP_1) | instskip(SKIP_3) | instid1(VALU_DEP_1)
	v_fma_f64 v[78:79], v[75:76], v[78:79], s[16:17]
	s_mov_b32 s16, 0x1852b7b0
	s_mov_b32 s17, 0x3f56c16c
	s_wait_alu 0xfffe
	v_fma_f64 v[78:79], v[75:76], v[78:79], s[16:17]
	s_mov_b32 s16, 0x11122322
	s_mov_b32 s17, 0x3f811111
	;; [unrolled: 9-line block ×3, first 2 shown]
	s_wait_alu 0xfffe
	s_delay_alu instid0(VALU_DEP_1) | instskip(SKIP_3) | instid1(VALU_DEP_1)
	v_fma_f64 v[78:79], v[75:76], v[78:79], s[16:17]
	s_mov_b32 s16, 11
	s_mov_b32 s17, 0x3fe00000
	s_wait_alu 0xfffe
	v_fma_f64 v[78:79], v[75:76], v[78:79], s[16:17]
	v_cmp_nlt_f64_e64 s16, 0x40900000, v[71:72]
	v_cmp_ngt_f64_e64 s17, 0xc090cc00, v[71:72]
	s_delay_alu instid0(VALU_DEP_3) | instskip(NEXT) | instid1(VALU_DEP_1)
	v_fma_f64 v[78:79], v[75:76], v[78:79], 1.0
	v_fma_f64 v[73:74], v[75:76], v[78:79], 1.0
	s_delay_alu instid0(VALU_DEP_1) | instskip(SKIP_1) | instid1(VALU_DEP_1)
	v_ldexp_f64 v[73:74], v[73:74], v80
	s_wait_alu 0xf1ff
	v_cndmask_b32_e64 v74, 0x7ff00000, v74, s16
	s_and_b32 s16, s17, s16
	s_wait_alu 0xfffe
	s_delay_alu instid0(VALU_DEP_2) | instskip(SKIP_3) | instid1(VALU_DEP_1)
	v_cndmask_b32_e64 v71, 0, v73, s16
	s_mov_b32 s16, 0x55555555
	v_cndmask_b32_e64 v72, 0, v74, s17
	s_mov_b32 s17, 0x3fe55555
	v_add_f64_e32 v[73:74], 1.0, v[71:72]
	s_delay_alu instid0(VALU_DEP_1) | instskip(SKIP_3) | instid1(VALU_DEP_3)
	v_frexp_mant_f64_e32 v[75:76], v[73:74]
	v_frexp_exp_i32_f64_e32 v80, v[73:74]
	v_add_f64_e32 v[78:79], -1.0, v[73:74]
	s_wait_alu 0xfffe
	v_cmp_gt_f64_e64 s16, s[16:17], v[75:76]
	s_delay_alu instid0(VALU_DEP_2) | instskip(SKIP_2) | instid1(VALU_DEP_3)
	v_add_f64_e64 v[75:76], v[78:79], -v[73:74]
	v_add_f64_e64 v[78:79], v[71:72], -v[78:79]
	s_wait_alu 0xf1ff
	v_subrev_co_ci_u32_e64 v82, null, 0, v80, s16
	s_delay_alu instid0(VALU_DEP_3) | instskip(SKIP_1) | instid1(VALU_DEP_2)
	v_add_f64_e32 v[75:76], 1.0, v[75:76]
	s_mov_b32 s16, 0x55555780
	v_sub_nc_u32_e32 v101, 0, v82
	s_delay_alu instid0(VALU_DEP_1) | instskip(NEXT) | instid1(VALU_DEP_3)
	v_ldexp_f64 v[73:74], v[73:74], v101
	v_add_f64_e32 v[75:76], v[78:79], v[75:76]
	s_delay_alu instid0(VALU_DEP_2) | instskip(SKIP_1) | instid1(VALU_DEP_3)
	v_add_f64_e32 v[80:81], 1.0, v[73:74]
	v_add_f64_e32 v[105:106], -1.0, v[73:74]
	v_ldexp_f64 v[75:76], v[75:76], v101
	s_delay_alu instid0(VALU_DEP_3) | instskip(NEXT) | instid1(VALU_DEP_3)
	v_add_f64_e32 v[78:79], -1.0, v[80:81]
	v_add_f64_e32 v[107:108], 1.0, v[105:106]
	s_delay_alu instid0(VALU_DEP_2) | instskip(NEXT) | instid1(VALU_DEP_2)
	v_add_f64_e64 v[78:79], v[73:74], -v[78:79]
	v_add_f64_e64 v[73:74], v[73:74], -v[107:108]
	s_delay_alu instid0(VALU_DEP_2) | instskip(NEXT) | instid1(VALU_DEP_2)
	v_add_f64_e32 v[78:79], v[75:76], v[78:79]
	v_add_f64_e32 v[73:74], v[75:76], v[73:74]
	s_delay_alu instid0(VALU_DEP_2) | instskip(NEXT) | instid1(VALU_DEP_2)
	v_add_f64_e32 v[101:102], v[80:81], v[78:79]
	v_add_f64_e32 v[107:108], v[105:106], v[73:74]
	s_delay_alu instid0(VALU_DEP_2) | instskip(SKIP_1) | instid1(VALU_DEP_2)
	v_rcp_f64_e32 v[103:104], v[101:102]
	v_add_f64_e64 v[80:81], v[101:102], -v[80:81]
	v_add_f64_e64 v[105:106], v[107:108], -v[105:106]
	s_delay_alu instid0(VALU_DEP_2) | instskip(NEXT) | instid1(TRANS32_DEP_1)
	v_add_f64_e64 v[78:79], v[78:79], -v[80:81]
	v_fma_f64 v[109:110], -v[101:102], v[103:104], 1.0
	s_delay_alu instid0(VALU_DEP_3) | instskip(NEXT) | instid1(VALU_DEP_2)
	v_add_f64_e64 v[73:74], v[73:74], -v[105:106]
	v_fma_f64 v[103:104], v[109:110], v[103:104], v[103:104]
	s_delay_alu instid0(VALU_DEP_1) | instskip(NEXT) | instid1(VALU_DEP_1)
	v_fma_f64 v[75:76], -v[101:102], v[103:104], 1.0
	v_fma_f64 v[75:76], v[75:76], v[103:104], v[103:104]
	s_delay_alu instid0(VALU_DEP_1) | instskip(NEXT) | instid1(VALU_DEP_1)
	v_mul_f64_e32 v[103:104], v[107:108], v[75:76]
	v_mul_f64_e32 v[109:110], v[101:102], v[103:104]
	s_delay_alu instid0(VALU_DEP_1) | instskip(NEXT) | instid1(VALU_DEP_1)
	v_fma_f64 v[80:81], v[103:104], v[101:102], -v[109:110]
	v_fma_f64 v[80:81], v[103:104], v[78:79], v[80:81]
	s_delay_alu instid0(VALU_DEP_1) | instskip(NEXT) | instid1(VALU_DEP_1)
	v_add_f64_e32 v[111:112], v[109:110], v[80:81]
	v_add_f64_e64 v[113:114], v[107:108], -v[111:112]
	v_add_f64_e64 v[105:106], v[111:112], -v[109:110]
	s_delay_alu instid0(VALU_DEP_2) | instskip(NEXT) | instid1(VALU_DEP_2)
	v_add_f64_e64 v[107:108], v[107:108], -v[113:114]
	v_add_f64_e64 v[80:81], v[105:106], -v[80:81]
	s_delay_alu instid0(VALU_DEP_2) | instskip(NEXT) | instid1(VALU_DEP_1)
	v_add_f64_e64 v[107:108], v[107:108], -v[111:112]
	v_add_f64_e32 v[73:74], v[73:74], v[107:108]
	s_delay_alu instid0(VALU_DEP_1) | instskip(NEXT) | instid1(VALU_DEP_1)
	v_add_f64_e32 v[73:74], v[80:81], v[73:74]
	v_add_f64_e32 v[80:81], v[113:114], v[73:74]
	s_delay_alu instid0(VALU_DEP_1) | instskip(SKIP_1) | instid1(VALU_DEP_2)
	v_mul_f64_e32 v[105:106], v[75:76], v[80:81]
	v_add_f64_e64 v[111:112], v[113:114], -v[80:81]
	v_mul_f64_e32 v[107:108], v[101:102], v[105:106]
	s_delay_alu instid0(VALU_DEP_2) | instskip(NEXT) | instid1(VALU_DEP_2)
	v_add_f64_e32 v[73:74], v[73:74], v[111:112]
	v_fma_f64 v[101:102], v[105:106], v[101:102], -v[107:108]
	s_delay_alu instid0(VALU_DEP_1) | instskip(NEXT) | instid1(VALU_DEP_1)
	v_fma_f64 v[78:79], v[105:106], v[78:79], v[101:102]
	v_add_f64_e32 v[101:102], v[107:108], v[78:79]
	s_delay_alu instid0(VALU_DEP_1) | instskip(SKIP_1) | instid1(VALU_DEP_2)
	v_add_f64_e64 v[109:110], v[80:81], -v[101:102]
	v_add_f64_e64 v[107:108], v[101:102], -v[107:108]
	;; [unrolled: 1-line block ×3, first 2 shown]
	s_delay_alu instid0(VALU_DEP_2) | instskip(NEXT) | instid1(VALU_DEP_2)
	v_add_f64_e64 v[78:79], v[107:108], -v[78:79]
	v_add_f64_e64 v[80:81], v[80:81], -v[101:102]
	s_delay_alu instid0(VALU_DEP_1) | instskip(SKIP_1) | instid1(VALU_DEP_2)
	v_add_f64_e32 v[73:74], v[73:74], v[80:81]
	v_add_f64_e32 v[80:81], v[103:104], v[105:106]
	;; [unrolled: 1-line block ×3, first 2 shown]
	s_delay_alu instid0(VALU_DEP_2) | instskip(NEXT) | instid1(VALU_DEP_2)
	v_add_f64_e64 v[78:79], v[80:81], -v[103:104]
	v_add_f64_e32 v[73:74], v[109:110], v[73:74]
	s_delay_alu instid0(VALU_DEP_2) | instskip(NEXT) | instid1(VALU_DEP_2)
	v_add_f64_e64 v[78:79], v[105:106], -v[78:79]
	v_mul_f64_e32 v[73:74], v[75:76], v[73:74]
	s_delay_alu instid0(VALU_DEP_1) | instskip(NEXT) | instid1(VALU_DEP_1)
	v_add_f64_e32 v[73:74], v[78:79], v[73:74]
	v_add_f64_e32 v[75:76], v[80:81], v[73:74]
	s_delay_alu instid0(VALU_DEP_1) | instskip(NEXT) | instid1(VALU_DEP_1)
	v_mul_f64_e32 v[78:79], v[75:76], v[75:76]
	v_fma_f64 v[101:102], v[78:79], s[38:39], s[36:37]
	s_mov_b32 s36, 0xd7f4df2e
	s_mov_b32 s37, 0x3fc7474d
	v_mul_f64_e32 v[103:104], v[75:76], v[78:79]
	s_wait_alu 0xfffe
	s_delay_alu instid0(VALU_DEP_2) | instskip(SKIP_3) | instid1(VALU_DEP_1)
	v_fma_f64 v[101:102], v[78:79], v[101:102], s[36:37]
	s_mov_b32 s36, 0x16291751
	s_mov_b32 s37, 0x3fcc71c0
	s_wait_alu 0xfffe
	v_fma_f64 v[101:102], v[78:79], v[101:102], s[36:37]
	s_mov_b32 s36, 0x9b27acf1
	s_mov_b32 s37, 0x3fd24924
	s_wait_alu 0xfffe
	s_delay_alu instid0(VALU_DEP_1) | instskip(SKIP_3) | instid1(VALU_DEP_1)
	v_fma_f64 v[101:102], v[78:79], v[101:102], s[36:37]
	s_mov_b32 s36, 0x998ef7b6
	s_mov_b32 s37, 0x3fd99999
	s_wait_alu 0xfffe
	v_fma_f64 v[101:102], v[78:79], v[101:102], s[36:37]
	s_delay_alu instid0(VALU_DEP_1)
	v_fma_f64 v[78:79], v[78:79], v[101:102], s[16:17]
	v_ldexp_f64 v[101:102], v[75:76], 1
	v_add_f64_e64 v[75:76], v[75:76], -v[80:81]
	v_cmp_nge_f64_e64 s16, -1.0, v[71:72]
	v_cmp_neq_f64_e64 s17, 0x7ff00000, v[71:72]
	v_mul_f64_e32 v[78:79], v[103:104], v[78:79]
	v_cvt_f64_i32_e32 v[103:104], v82
	v_add_f64_e64 v[73:74], v[73:74], -v[75:76]
	s_and_b32 s16, s16, s17
	s_delay_alu instid0(VALU_DEP_3) | instskip(NEXT) | instid1(VALU_DEP_3)
	v_add_f64_e32 v[80:81], v[101:102], v[78:79]
	v_mul_f64_e32 v[105:106], s[18:19], v[103:104]
	s_delay_alu instid0(VALU_DEP_3) | instskip(NEXT) | instid1(VALU_DEP_3)
	v_ldexp_f64 v[73:74], v[73:74], 1
	v_add_f64_e64 v[75:76], v[80:81], -v[101:102]
	s_delay_alu instid0(VALU_DEP_3) | instskip(SKIP_1) | instid1(VALU_DEP_3)
	v_fma_f64 v[101:102], v[103:104], s[18:19], -v[105:106]
	v_cmp_ngt_f64_e64 s18, -1.0, v[71:72]
	v_add_f64_e64 v[75:76], v[78:79], -v[75:76]
	s_delay_alu instid0(VALU_DEP_3) | instskip(NEXT) | instid1(VALU_DEP_2)
	v_fma_f64 v[78:79], v[103:104], s[20:21], v[101:102]
	v_add_f64_e32 v[73:74], v[73:74], v[75:76]
	s_delay_alu instid0(VALU_DEP_2) | instskip(NEXT) | instid1(VALU_DEP_2)
	v_add_f64_e32 v[75:76], v[105:106], v[78:79]
	v_add_f64_e32 v[101:102], v[80:81], v[73:74]
	s_delay_alu instid0(VALU_DEP_2) | instskip(NEXT) | instid1(VALU_DEP_2)
	v_add_f64_e64 v[105:106], v[75:76], -v[105:106]
	v_add_f64_e32 v[103:104], v[75:76], v[101:102]
	v_add_f64_e64 v[80:81], v[101:102], -v[80:81]
	s_delay_alu instid0(VALU_DEP_3) | instskip(NEXT) | instid1(VALU_DEP_3)
	v_add_f64_e64 v[78:79], v[78:79], -v[105:106]
	v_add_f64_e64 v[107:108], v[103:104], -v[75:76]
	s_delay_alu instid0(VALU_DEP_3) | instskip(NEXT) | instid1(VALU_DEP_2)
	v_add_f64_e64 v[73:74], v[73:74], -v[80:81]
	v_add_f64_e64 v[109:110], v[103:104], -v[107:108]
	;; [unrolled: 1-line block ×3, first 2 shown]
	s_delay_alu instid0(VALU_DEP_3) | instskip(NEXT) | instid1(VALU_DEP_3)
	v_add_f64_e32 v[101:102], v[78:79], v[73:74]
	v_add_f64_e64 v[75:76], v[75:76], -v[109:110]
	s_delay_alu instid0(VALU_DEP_1) | instskip(NEXT) | instid1(VALU_DEP_3)
	v_add_f64_e32 v[75:76], v[80:81], v[75:76]
	v_add_f64_e64 v[80:81], v[101:102], -v[78:79]
	s_delay_alu instid0(VALU_DEP_2) | instskip(NEXT) | instid1(VALU_DEP_2)
	v_add_f64_e32 v[75:76], v[101:102], v[75:76]
	v_add_f64_e64 v[101:102], v[101:102], -v[80:81]
	v_add_f64_e64 v[73:74], v[73:74], -v[80:81]
	s_delay_alu instid0(VALU_DEP_3) | instskip(NEXT) | instid1(VALU_DEP_3)
	v_add_f64_e32 v[105:106], v[103:104], v[75:76]
	v_add_f64_e64 v[78:79], v[78:79], -v[101:102]
	s_delay_alu instid0(VALU_DEP_2) | instskip(NEXT) | instid1(VALU_DEP_2)
	v_add_f64_e64 v[80:81], v[105:106], -v[103:104]
	v_add_f64_e32 v[73:74], v[73:74], v[78:79]
	s_delay_alu instid0(VALU_DEP_2) | instskip(NEXT) | instid1(VALU_DEP_1)
	v_add_f64_e64 v[75:76], v[75:76], -v[80:81]
	v_add_f64_e32 v[73:74], v[73:74], v[75:76]
	s_delay_alu instid0(VALU_DEP_1) | instskip(SKIP_1) | instid1(VALU_DEP_1)
	v_add_f64_e32 v[73:74], v[105:106], v[73:74]
	s_wait_alu 0xfffe
	v_cndmask_b32_e64 v73, 0, v73, s16
	v_cmp_neq_f64_e64 s16, -1.0, v[71:72]
	s_delay_alu instid0(VALU_DEP_3) | instskip(SKIP_1) | instid1(VALU_DEP_1)
	v_cndmask_b32_e64 v74, 0x7ff00000, v74, s17
	s_wait_alu 0xf1ff
	v_cndmask_b32_e64 v74, 0x7ff80000, v74, s18
	s_delay_alu instid0(VALU_DEP_1) | instskip(NEXT) | instid1(VALU_DEP_1)
	v_cndmask_b32_e64 v74, 0xfff00000, v74, s16
	v_add_f64_e32 v[71:72], v[69:70], v[73:74]
.LBB6_245:
	s_wait_alu 0xfffe
	s_or_b32 exec_lo, exec_lo, s25
	s_delay_alu instid0(VALU_DEP_1)
	v_dual_mov_b32 v69, v71 :: v_dual_mov_b32 v70, v72
.LBB6_246:
	s_wait_alu 0xfffe
	s_or_b32 exec_lo, exec_lo, s24
	s_wait_dscnt 0x1
	v_or_b32_e32 v71, 31, v0
	v_lshrrev_b32_e32 v78, 5, v0
	s_mov_b32 s17, exec_lo
	s_delay_alu instid0(VALU_DEP_2)
	v_cmpx_eq_u32_e64 v0, v71
; %bb.247:
	s_delay_alu instid0(VALU_DEP_2)
	v_lshlrev_b32_e32 v71, 3, v78
	ds_store_b64 v71, v[69:70]
; %bb.248:
	s_wait_alu 0xfffe
	s_or_b32 exec_lo, exec_lo, s17
	s_delay_alu instid0(SALU_CYCLE_1)
	s_mov_b32 s24, exec_lo
	s_wait_loadcnt_dscnt 0x0
	s_barrier_signal -1
	s_barrier_wait -1
	global_inv scope:SCOPE_SE
	v_cmpx_gt_u32_e32 8, v0
	s_cbranch_execz .LBB6_262
; %bb.249:
	ds_load_b64 v[71:72], v98
	v_and_b32_e32 v79, 7, v77
	s_mov_b32 s25, exec_lo
	s_wait_dscnt 0x0
	v_mov_b32_dpp v73, v71 row_shr:1 row_mask:0xf bank_mask:0xf
	v_mov_b32_dpp v74, v72 row_shr:1 row_mask:0xf bank_mask:0xf
	v_dual_mov_b32 v75, v71 :: v_dual_mov_b32 v76, v72
	v_cmpx_ne_u32_e32 0, v79
	s_cbranch_execz .LBB6_253
; %bb.250:
	s_delay_alu instid0(VALU_DEP_3) | instskip(SKIP_3) | instid1(VALU_DEP_3)
	v_max_num_f64_e32 v[75:76], v[73:74], v[73:74]
	v_max_num_f64_e32 v[80:81], v[71:72], v[71:72]
	v_cmp_u_f64_e64 s16, v[73:74], v[73:74]
	v_cmp_u_f64_e64 s17, v[71:72], v[71:72]
	v_min_num_f64_e32 v[101:102], v[75:76], v[80:81]
	v_max_num_f64_e32 v[75:76], v[75:76], v[80:81]
	s_wait_alu 0xf1ff
	s_delay_alu instid0(VALU_DEP_2) | instskip(NEXT) | instid1(VALU_DEP_3)
	v_cndmask_b32_e64 v80, v102, v74, s16
	v_cndmask_b32_e64 v81, v101, v73, s16
	s_delay_alu instid0(VALU_DEP_3) | instskip(NEXT) | instid1(VALU_DEP_4)
	v_cndmask_b32_e64 v82, v76, v74, s16
	v_cndmask_b32_e64 v101, v75, v73, s16
	s_delay_alu instid0(VALU_DEP_4) | instskip(NEXT) | instid1(VALU_DEP_4)
	v_cndmask_b32_e64 v76, v80, v72, s17
	v_cndmask_b32_e64 v75, v81, v71, s17
	s_delay_alu instid0(VALU_DEP_4) | instskip(NEXT) | instid1(VALU_DEP_4)
	v_cndmask_b32_e64 v72, v82, v72, s17
	v_cndmask_b32_e64 v71, v101, v71, s17
	s_delay_alu instid0(VALU_DEP_3) | instskip(NEXT) | instid1(VALU_DEP_2)
	v_cmp_class_f64_e64 s17, v[75:76], 0x1f8
	v_cmp_neq_f64_e64 s16, v[75:76], v[71:72]
	s_or_b32 s16, s16, s17
	s_wait_alu 0xfffe
	s_and_saveexec_b32 s36, s16
	s_cbranch_execz .LBB6_252
; %bb.251:
	v_add_f64_e64 v[73:74], v[75:76], -v[71:72]
	s_mov_b32 s16, 0x652b82fe
	s_mov_b32 s17, 0x3ff71547
	;; [unrolled: 1-line block ×10, first 2 shown]
	s_wait_alu 0xfffe
	s_delay_alu instid0(VALU_DEP_1) | instskip(SKIP_2) | instid1(VALU_DEP_1)
	v_mul_f64_e32 v[75:76], s[16:17], v[73:74]
	s_mov_b32 s16, 0xfca7ab0c
	s_mov_b32 s17, 0x3e928af3
	v_rndne_f64_e32 v[75:76], v[75:76]
	s_delay_alu instid0(VALU_DEP_1) | instskip(SKIP_2) | instid1(VALU_DEP_2)
	v_fma_f64 v[80:81], v[75:76], s[18:19], v[73:74]
	v_cvt_i32_f64_e32 v82, v[75:76]
	s_mov_b32 s19, 0x3fe62e42
	v_fma_f64 v[80:81], v[75:76], s[20:21], v[80:81]
	s_mov_b32 s21, 0x3c7abc9e
	s_wait_alu 0xfffe
	s_delay_alu instid0(VALU_DEP_1)
	v_fma_f64 v[101:102], v[80:81], s[38:39], s[16:17]
	s_mov_b32 s16, 0x623fde64
	s_mov_b32 s17, 0x3ec71dee
	s_mov_b32 s38, 0x6b47b09a
	s_mov_b32 s39, 0x3fc38538
	s_wait_alu 0xfffe
	s_delay_alu instid0(VALU_DEP_1) | instskip(SKIP_3) | instid1(VALU_DEP_1)
	v_fma_f64 v[101:102], v[80:81], v[101:102], s[16:17]
	s_mov_b32 s16, 0x7c89e6b0
	s_mov_b32 s17, 0x3efa0199
	s_wait_alu 0xfffe
	v_fma_f64 v[101:102], v[80:81], v[101:102], s[16:17]
	s_mov_b32 s16, 0x14761f6e
	s_mov_b32 s17, 0x3f2a01a0
	s_wait_alu 0xfffe
	s_delay_alu instid0(VALU_DEP_1) | instskip(SKIP_3) | instid1(VALU_DEP_1)
	v_fma_f64 v[101:102], v[80:81], v[101:102], s[16:17]
	s_mov_b32 s16, 0x1852b7b0
	s_mov_b32 s17, 0x3f56c16c
	s_wait_alu 0xfffe
	v_fma_f64 v[101:102], v[80:81], v[101:102], s[16:17]
	s_mov_b32 s16, 0x11122322
	s_mov_b32 s17, 0x3f811111
	;; [unrolled: 9-line block ×3, first 2 shown]
	s_wait_alu 0xfffe
	s_delay_alu instid0(VALU_DEP_1) | instskip(SKIP_3) | instid1(VALU_DEP_1)
	v_fma_f64 v[101:102], v[80:81], v[101:102], s[16:17]
	s_mov_b32 s16, 11
	s_mov_b32 s17, 0x3fe00000
	s_wait_alu 0xfffe
	v_fma_f64 v[101:102], v[80:81], v[101:102], s[16:17]
	v_cmp_nlt_f64_e64 s16, 0x40900000, v[73:74]
	v_cmp_ngt_f64_e64 s17, 0xc090cc00, v[73:74]
	s_delay_alu instid0(VALU_DEP_3) | instskip(NEXT) | instid1(VALU_DEP_1)
	v_fma_f64 v[101:102], v[80:81], v[101:102], 1.0
	v_fma_f64 v[75:76], v[80:81], v[101:102], 1.0
	s_delay_alu instid0(VALU_DEP_1) | instskip(SKIP_1) | instid1(VALU_DEP_1)
	v_ldexp_f64 v[75:76], v[75:76], v82
	s_wait_alu 0xf1ff
	v_cndmask_b32_e64 v76, 0x7ff00000, v76, s16
	s_and_b32 s16, s17, s16
	s_wait_alu 0xfffe
	s_delay_alu instid0(VALU_DEP_2) | instskip(SKIP_3) | instid1(VALU_DEP_1)
	v_cndmask_b32_e64 v73, 0, v75, s16
	s_mov_b32 s16, 0x55555555
	v_cndmask_b32_e64 v74, 0, v76, s17
	s_mov_b32 s17, 0x3fe55555
	v_add_f64_e32 v[75:76], 1.0, v[73:74]
	s_delay_alu instid0(VALU_DEP_1) | instskip(SKIP_3) | instid1(VALU_DEP_3)
	v_frexp_mant_f64_e32 v[80:81], v[75:76]
	v_frexp_exp_i32_f64_e32 v82, v[75:76]
	v_add_f64_e32 v[101:102], -1.0, v[75:76]
	s_wait_alu 0xfffe
	v_cmp_gt_f64_e64 s16, s[16:17], v[80:81]
	s_delay_alu instid0(VALU_DEP_2) | instskip(SKIP_2) | instid1(VALU_DEP_3)
	v_add_f64_e64 v[80:81], v[101:102], -v[75:76]
	v_add_f64_e64 v[101:102], v[73:74], -v[101:102]
	s_wait_alu 0xf1ff
	v_subrev_co_ci_u32_e64 v82, null, 0, v82, s16
	s_delay_alu instid0(VALU_DEP_3) | instskip(SKIP_1) | instid1(VALU_DEP_2)
	v_add_f64_e32 v[80:81], 1.0, v[80:81]
	s_mov_b32 s16, 0x55555780
	v_sub_nc_u32_e32 v105, 0, v82
	s_delay_alu instid0(VALU_DEP_1) | instskip(NEXT) | instid1(VALU_DEP_3)
	v_ldexp_f64 v[75:76], v[75:76], v105
	v_add_f64_e32 v[80:81], v[101:102], v[80:81]
	s_delay_alu instid0(VALU_DEP_2) | instskip(SKIP_1) | instid1(VALU_DEP_3)
	v_add_f64_e32 v[103:104], 1.0, v[75:76]
	v_add_f64_e32 v[109:110], -1.0, v[75:76]
	v_ldexp_f64 v[80:81], v[80:81], v105
	s_delay_alu instid0(VALU_DEP_3) | instskip(NEXT) | instid1(VALU_DEP_3)
	v_add_f64_e32 v[101:102], -1.0, v[103:104]
	v_add_f64_e32 v[111:112], 1.0, v[109:110]
	s_delay_alu instid0(VALU_DEP_2) | instskip(NEXT) | instid1(VALU_DEP_2)
	v_add_f64_e64 v[101:102], v[75:76], -v[101:102]
	v_add_f64_e64 v[75:76], v[75:76], -v[111:112]
	s_delay_alu instid0(VALU_DEP_2) | instskip(NEXT) | instid1(VALU_DEP_2)
	v_add_f64_e32 v[101:102], v[80:81], v[101:102]
	v_add_f64_e32 v[75:76], v[80:81], v[75:76]
	s_delay_alu instid0(VALU_DEP_2) | instskip(NEXT) | instid1(VALU_DEP_2)
	v_add_f64_e32 v[105:106], v[103:104], v[101:102]
	v_add_f64_e32 v[111:112], v[109:110], v[75:76]
	s_delay_alu instid0(VALU_DEP_2) | instskip(SKIP_1) | instid1(VALU_DEP_2)
	v_rcp_f64_e32 v[107:108], v[105:106]
	v_add_f64_e64 v[103:104], v[105:106], -v[103:104]
	v_add_f64_e64 v[109:110], v[111:112], -v[109:110]
	s_delay_alu instid0(VALU_DEP_2) | instskip(NEXT) | instid1(TRANS32_DEP_1)
	v_add_f64_e64 v[101:102], v[101:102], -v[103:104]
	v_fma_f64 v[113:114], -v[105:106], v[107:108], 1.0
	s_delay_alu instid0(VALU_DEP_3) | instskip(NEXT) | instid1(VALU_DEP_2)
	v_add_f64_e64 v[75:76], v[75:76], -v[109:110]
	v_fma_f64 v[107:108], v[113:114], v[107:108], v[107:108]
	s_delay_alu instid0(VALU_DEP_1) | instskip(NEXT) | instid1(VALU_DEP_1)
	v_fma_f64 v[80:81], -v[105:106], v[107:108], 1.0
	v_fma_f64 v[80:81], v[80:81], v[107:108], v[107:108]
	s_delay_alu instid0(VALU_DEP_1) | instskip(NEXT) | instid1(VALU_DEP_1)
	v_mul_f64_e32 v[107:108], v[111:112], v[80:81]
	v_mul_f64_e32 v[113:114], v[105:106], v[107:108]
	s_delay_alu instid0(VALU_DEP_1) | instskip(NEXT) | instid1(VALU_DEP_1)
	v_fma_f64 v[103:104], v[107:108], v[105:106], -v[113:114]
	v_fma_f64 v[103:104], v[107:108], v[101:102], v[103:104]
	s_delay_alu instid0(VALU_DEP_1) | instskip(NEXT) | instid1(VALU_DEP_1)
	v_add_f64_e32 v[115:116], v[113:114], v[103:104]
	v_add_f64_e64 v[117:118], v[111:112], -v[115:116]
	v_add_f64_e64 v[109:110], v[115:116], -v[113:114]
	s_delay_alu instid0(VALU_DEP_2) | instskip(NEXT) | instid1(VALU_DEP_2)
	v_add_f64_e64 v[111:112], v[111:112], -v[117:118]
	v_add_f64_e64 v[103:104], v[109:110], -v[103:104]
	s_delay_alu instid0(VALU_DEP_2) | instskip(NEXT) | instid1(VALU_DEP_1)
	v_add_f64_e64 v[111:112], v[111:112], -v[115:116]
	v_add_f64_e32 v[75:76], v[75:76], v[111:112]
	s_delay_alu instid0(VALU_DEP_1) | instskip(NEXT) | instid1(VALU_DEP_1)
	v_add_f64_e32 v[75:76], v[103:104], v[75:76]
	v_add_f64_e32 v[103:104], v[117:118], v[75:76]
	s_delay_alu instid0(VALU_DEP_1) | instskip(SKIP_1) | instid1(VALU_DEP_2)
	v_mul_f64_e32 v[109:110], v[80:81], v[103:104]
	v_add_f64_e64 v[115:116], v[117:118], -v[103:104]
	v_mul_f64_e32 v[111:112], v[105:106], v[109:110]
	s_delay_alu instid0(VALU_DEP_2) | instskip(NEXT) | instid1(VALU_DEP_2)
	v_add_f64_e32 v[75:76], v[75:76], v[115:116]
	v_fma_f64 v[105:106], v[109:110], v[105:106], -v[111:112]
	s_delay_alu instid0(VALU_DEP_1) | instskip(NEXT) | instid1(VALU_DEP_1)
	v_fma_f64 v[101:102], v[109:110], v[101:102], v[105:106]
	v_add_f64_e32 v[105:106], v[111:112], v[101:102]
	s_delay_alu instid0(VALU_DEP_1) | instskip(SKIP_1) | instid1(VALU_DEP_2)
	v_add_f64_e64 v[113:114], v[103:104], -v[105:106]
	v_add_f64_e64 v[111:112], v[105:106], -v[111:112]
	;; [unrolled: 1-line block ×3, first 2 shown]
	s_delay_alu instid0(VALU_DEP_2) | instskip(NEXT) | instid1(VALU_DEP_2)
	v_add_f64_e64 v[101:102], v[111:112], -v[101:102]
	v_add_f64_e64 v[103:104], v[103:104], -v[105:106]
	s_delay_alu instid0(VALU_DEP_1) | instskip(SKIP_1) | instid1(VALU_DEP_2)
	v_add_f64_e32 v[75:76], v[75:76], v[103:104]
	v_add_f64_e32 v[103:104], v[107:108], v[109:110]
	v_add_f64_e32 v[75:76], v[101:102], v[75:76]
	s_delay_alu instid0(VALU_DEP_2) | instskip(NEXT) | instid1(VALU_DEP_2)
	v_add_f64_e64 v[101:102], v[103:104], -v[107:108]
	v_add_f64_e32 v[75:76], v[113:114], v[75:76]
	s_delay_alu instid0(VALU_DEP_2) | instskip(NEXT) | instid1(VALU_DEP_2)
	v_add_f64_e64 v[101:102], v[109:110], -v[101:102]
	v_mul_f64_e32 v[75:76], v[80:81], v[75:76]
	s_delay_alu instid0(VALU_DEP_1) | instskip(NEXT) | instid1(VALU_DEP_1)
	v_add_f64_e32 v[75:76], v[101:102], v[75:76]
	v_add_f64_e32 v[80:81], v[103:104], v[75:76]
	s_delay_alu instid0(VALU_DEP_1) | instskip(NEXT) | instid1(VALU_DEP_1)
	v_mul_f64_e32 v[101:102], v[80:81], v[80:81]
	v_fma_f64 v[105:106], v[101:102], s[40:41], s[38:39]
	s_mov_b32 s38, 0xd7f4df2e
	s_mov_b32 s39, 0x3fc7474d
	v_mul_f64_e32 v[107:108], v[80:81], v[101:102]
	s_wait_alu 0xfffe
	s_delay_alu instid0(VALU_DEP_2) | instskip(SKIP_3) | instid1(VALU_DEP_1)
	v_fma_f64 v[105:106], v[101:102], v[105:106], s[38:39]
	s_mov_b32 s38, 0x16291751
	s_mov_b32 s39, 0x3fcc71c0
	s_wait_alu 0xfffe
	v_fma_f64 v[105:106], v[101:102], v[105:106], s[38:39]
	s_mov_b32 s38, 0x9b27acf1
	s_mov_b32 s39, 0x3fd24924
	s_wait_alu 0xfffe
	s_delay_alu instid0(VALU_DEP_1) | instskip(SKIP_3) | instid1(VALU_DEP_1)
	v_fma_f64 v[105:106], v[101:102], v[105:106], s[38:39]
	s_mov_b32 s38, 0x998ef7b6
	s_mov_b32 s39, 0x3fd99999
	s_wait_alu 0xfffe
	v_fma_f64 v[105:106], v[101:102], v[105:106], s[38:39]
	s_delay_alu instid0(VALU_DEP_1)
	v_fma_f64 v[101:102], v[101:102], v[105:106], s[16:17]
	v_ldexp_f64 v[105:106], v[80:81], 1
	v_add_f64_e64 v[80:81], v[80:81], -v[103:104]
	v_cmp_nge_f64_e64 s16, -1.0, v[73:74]
	v_cmp_neq_f64_e64 s17, 0x7ff00000, v[73:74]
	v_mul_f64_e32 v[101:102], v[107:108], v[101:102]
	v_cvt_f64_i32_e32 v[107:108], v82
	v_add_f64_e64 v[75:76], v[75:76], -v[80:81]
	s_and_b32 s16, s16, s17
	s_delay_alu instid0(VALU_DEP_3) | instskip(NEXT) | instid1(VALU_DEP_3)
	v_add_f64_e32 v[103:104], v[105:106], v[101:102]
	v_mul_f64_e32 v[109:110], s[18:19], v[107:108]
	s_delay_alu instid0(VALU_DEP_3) | instskip(NEXT) | instid1(VALU_DEP_3)
	v_ldexp_f64 v[75:76], v[75:76], 1
	v_add_f64_e64 v[80:81], v[103:104], -v[105:106]
	s_delay_alu instid0(VALU_DEP_3) | instskip(SKIP_1) | instid1(VALU_DEP_3)
	v_fma_f64 v[105:106], v[107:108], s[18:19], -v[109:110]
	v_cmp_ngt_f64_e64 s18, -1.0, v[73:74]
	v_add_f64_e64 v[80:81], v[101:102], -v[80:81]
	s_delay_alu instid0(VALU_DEP_3) | instskip(NEXT) | instid1(VALU_DEP_2)
	v_fma_f64 v[101:102], v[107:108], s[20:21], v[105:106]
	v_add_f64_e32 v[75:76], v[75:76], v[80:81]
	s_delay_alu instid0(VALU_DEP_2) | instskip(NEXT) | instid1(VALU_DEP_2)
	v_add_f64_e32 v[80:81], v[109:110], v[101:102]
	v_add_f64_e32 v[105:106], v[103:104], v[75:76]
	s_delay_alu instid0(VALU_DEP_2) | instskip(NEXT) | instid1(VALU_DEP_2)
	v_add_f64_e64 v[109:110], v[80:81], -v[109:110]
	v_add_f64_e32 v[107:108], v[80:81], v[105:106]
	v_add_f64_e64 v[103:104], v[105:106], -v[103:104]
	s_delay_alu instid0(VALU_DEP_3) | instskip(NEXT) | instid1(VALU_DEP_3)
	v_add_f64_e64 v[101:102], v[101:102], -v[109:110]
	v_add_f64_e64 v[111:112], v[107:108], -v[80:81]
	s_delay_alu instid0(VALU_DEP_3) | instskip(NEXT) | instid1(VALU_DEP_2)
	v_add_f64_e64 v[75:76], v[75:76], -v[103:104]
	v_add_f64_e64 v[113:114], v[107:108], -v[111:112]
	;; [unrolled: 1-line block ×3, first 2 shown]
	s_delay_alu instid0(VALU_DEP_3) | instskip(NEXT) | instid1(VALU_DEP_3)
	v_add_f64_e32 v[105:106], v[101:102], v[75:76]
	v_add_f64_e64 v[80:81], v[80:81], -v[113:114]
	s_delay_alu instid0(VALU_DEP_1) | instskip(NEXT) | instid1(VALU_DEP_3)
	v_add_f64_e32 v[80:81], v[103:104], v[80:81]
	v_add_f64_e64 v[103:104], v[105:106], -v[101:102]
	s_delay_alu instid0(VALU_DEP_2) | instskip(NEXT) | instid1(VALU_DEP_2)
	v_add_f64_e32 v[80:81], v[105:106], v[80:81]
	v_add_f64_e64 v[105:106], v[105:106], -v[103:104]
	v_add_f64_e64 v[75:76], v[75:76], -v[103:104]
	s_delay_alu instid0(VALU_DEP_3) | instskip(NEXT) | instid1(VALU_DEP_3)
	v_add_f64_e32 v[109:110], v[107:108], v[80:81]
	v_add_f64_e64 v[101:102], v[101:102], -v[105:106]
	s_delay_alu instid0(VALU_DEP_2) | instskip(NEXT) | instid1(VALU_DEP_2)
	v_add_f64_e64 v[103:104], v[109:110], -v[107:108]
	v_add_f64_e32 v[75:76], v[75:76], v[101:102]
	s_delay_alu instid0(VALU_DEP_2) | instskip(NEXT) | instid1(VALU_DEP_1)
	v_add_f64_e64 v[80:81], v[80:81], -v[103:104]
	v_add_f64_e32 v[75:76], v[75:76], v[80:81]
	s_delay_alu instid0(VALU_DEP_1) | instskip(SKIP_1) | instid1(VALU_DEP_1)
	v_add_f64_e32 v[75:76], v[109:110], v[75:76]
	s_wait_alu 0xfffe
	v_cndmask_b32_e64 v75, 0, v75, s16
	v_cmp_neq_f64_e64 s16, -1.0, v[73:74]
	s_delay_alu instid0(VALU_DEP_3) | instskip(SKIP_1) | instid1(VALU_DEP_1)
	v_cndmask_b32_e64 v76, 0x7ff00000, v76, s17
	s_wait_alu 0xf1ff
	v_cndmask_b32_e64 v76, 0x7ff80000, v76, s18
	s_delay_alu instid0(VALU_DEP_1) | instskip(NEXT) | instid1(VALU_DEP_1)
	v_cndmask_b32_e64 v76, 0xfff00000, v76, s16
	v_add_f64_e32 v[73:74], v[71:72], v[75:76]
.LBB6_252:
	s_wait_alu 0xfffe
	s_or_b32 exec_lo, exec_lo, s36
	s_delay_alu instid0(VALU_DEP_1)
	v_dual_mov_b32 v75, v73 :: v_dual_mov_b32 v76, v74
	v_dual_mov_b32 v71, v73 :: v_dual_mov_b32 v72, v74
.LBB6_253:
	s_wait_alu 0xfffe
	s_or_b32 exec_lo, exec_lo, s25
	s_delay_alu instid0(VALU_DEP_2)
	v_mov_b32_dpp v73, v75 row_shr:2 row_mask:0xf bank_mask:0xf
	v_mov_b32_dpp v74, v76 row_shr:2 row_mask:0xf bank_mask:0xf
	s_mov_b32 s25, exec_lo
	v_cmpx_lt_u32_e32 1, v79
	s_cbranch_execz .LBB6_257
; %bb.254:
	s_delay_alu instid0(VALU_DEP_2) | instskip(SKIP_3) | instid1(VALU_DEP_3)
	v_max_num_f64_e32 v[75:76], v[73:74], v[73:74]
	v_max_num_f64_e32 v[80:81], v[71:72], v[71:72]
	v_cmp_u_f64_e64 s16, v[73:74], v[73:74]
	v_cmp_u_f64_e64 s17, v[71:72], v[71:72]
	v_min_num_f64_e32 v[101:102], v[75:76], v[80:81]
	v_max_num_f64_e32 v[75:76], v[75:76], v[80:81]
	s_wait_alu 0xf1ff
	s_delay_alu instid0(VALU_DEP_2) | instskip(NEXT) | instid1(VALU_DEP_3)
	v_cndmask_b32_e64 v80, v102, v74, s16
	v_cndmask_b32_e64 v81, v101, v73, s16
	s_delay_alu instid0(VALU_DEP_3) | instskip(NEXT) | instid1(VALU_DEP_4)
	v_cndmask_b32_e64 v82, v76, v74, s16
	v_cndmask_b32_e64 v101, v75, v73, s16
	s_delay_alu instid0(VALU_DEP_4) | instskip(NEXT) | instid1(VALU_DEP_4)
	v_cndmask_b32_e64 v76, v80, v72, s17
	v_cndmask_b32_e64 v75, v81, v71, s17
	s_delay_alu instid0(VALU_DEP_4) | instskip(NEXT) | instid1(VALU_DEP_4)
	v_cndmask_b32_e64 v72, v82, v72, s17
	v_cndmask_b32_e64 v71, v101, v71, s17
	s_delay_alu instid0(VALU_DEP_3) | instskip(NEXT) | instid1(VALU_DEP_2)
	v_cmp_class_f64_e64 s17, v[75:76], 0x1f8
	v_cmp_neq_f64_e64 s16, v[75:76], v[71:72]
	s_or_b32 s16, s16, s17
	s_wait_alu 0xfffe
	s_and_saveexec_b32 s36, s16
	s_cbranch_execz .LBB6_256
; %bb.255:
	v_add_f64_e64 v[73:74], v[75:76], -v[71:72]
	s_mov_b32 s16, 0x652b82fe
	s_mov_b32 s17, 0x3ff71547
	;; [unrolled: 1-line block ×10, first 2 shown]
	s_wait_alu 0xfffe
	s_delay_alu instid0(VALU_DEP_1) | instskip(SKIP_2) | instid1(VALU_DEP_1)
	v_mul_f64_e32 v[75:76], s[16:17], v[73:74]
	s_mov_b32 s16, 0xfca7ab0c
	s_mov_b32 s17, 0x3e928af3
	v_rndne_f64_e32 v[75:76], v[75:76]
	s_delay_alu instid0(VALU_DEP_1) | instskip(SKIP_2) | instid1(VALU_DEP_2)
	v_fma_f64 v[80:81], v[75:76], s[18:19], v[73:74]
	v_cvt_i32_f64_e32 v82, v[75:76]
	s_mov_b32 s19, 0x3fe62e42
	v_fma_f64 v[80:81], v[75:76], s[20:21], v[80:81]
	s_mov_b32 s21, 0x3c7abc9e
	s_wait_alu 0xfffe
	s_delay_alu instid0(VALU_DEP_1)
	v_fma_f64 v[101:102], v[80:81], s[38:39], s[16:17]
	s_mov_b32 s16, 0x623fde64
	s_mov_b32 s17, 0x3ec71dee
	;; [unrolled: 1-line block ×4, first 2 shown]
	s_wait_alu 0xfffe
	s_delay_alu instid0(VALU_DEP_1) | instskip(SKIP_3) | instid1(VALU_DEP_1)
	v_fma_f64 v[101:102], v[80:81], v[101:102], s[16:17]
	s_mov_b32 s16, 0x7c89e6b0
	s_mov_b32 s17, 0x3efa0199
	s_wait_alu 0xfffe
	v_fma_f64 v[101:102], v[80:81], v[101:102], s[16:17]
	s_mov_b32 s16, 0x14761f6e
	s_mov_b32 s17, 0x3f2a01a0
	s_wait_alu 0xfffe
	s_delay_alu instid0(VALU_DEP_1) | instskip(SKIP_3) | instid1(VALU_DEP_1)
	v_fma_f64 v[101:102], v[80:81], v[101:102], s[16:17]
	s_mov_b32 s16, 0x1852b7b0
	s_mov_b32 s17, 0x3f56c16c
	s_wait_alu 0xfffe
	v_fma_f64 v[101:102], v[80:81], v[101:102], s[16:17]
	s_mov_b32 s16, 0x11122322
	s_mov_b32 s17, 0x3f811111
	;; [unrolled: 9-line block ×3, first 2 shown]
	s_wait_alu 0xfffe
	s_delay_alu instid0(VALU_DEP_1) | instskip(SKIP_3) | instid1(VALU_DEP_1)
	v_fma_f64 v[101:102], v[80:81], v[101:102], s[16:17]
	s_mov_b32 s16, 11
	s_mov_b32 s17, 0x3fe00000
	s_wait_alu 0xfffe
	v_fma_f64 v[101:102], v[80:81], v[101:102], s[16:17]
	v_cmp_nlt_f64_e64 s16, 0x40900000, v[73:74]
	v_cmp_ngt_f64_e64 s17, 0xc090cc00, v[73:74]
	s_delay_alu instid0(VALU_DEP_3) | instskip(NEXT) | instid1(VALU_DEP_1)
	v_fma_f64 v[101:102], v[80:81], v[101:102], 1.0
	v_fma_f64 v[75:76], v[80:81], v[101:102], 1.0
	s_delay_alu instid0(VALU_DEP_1) | instskip(SKIP_1) | instid1(VALU_DEP_1)
	v_ldexp_f64 v[75:76], v[75:76], v82
	s_wait_alu 0xf1ff
	v_cndmask_b32_e64 v76, 0x7ff00000, v76, s16
	s_and_b32 s16, s17, s16
	s_wait_alu 0xfffe
	s_delay_alu instid0(VALU_DEP_2) | instskip(SKIP_3) | instid1(VALU_DEP_1)
	v_cndmask_b32_e64 v73, 0, v75, s16
	s_mov_b32 s16, 0x55555555
	v_cndmask_b32_e64 v74, 0, v76, s17
	s_mov_b32 s17, 0x3fe55555
	v_add_f64_e32 v[75:76], 1.0, v[73:74]
	s_delay_alu instid0(VALU_DEP_1) | instskip(SKIP_3) | instid1(VALU_DEP_3)
	v_frexp_mant_f64_e32 v[80:81], v[75:76]
	v_frexp_exp_i32_f64_e32 v82, v[75:76]
	v_add_f64_e32 v[101:102], -1.0, v[75:76]
	s_wait_alu 0xfffe
	v_cmp_gt_f64_e64 s16, s[16:17], v[80:81]
	s_delay_alu instid0(VALU_DEP_2) | instskip(SKIP_2) | instid1(VALU_DEP_3)
	v_add_f64_e64 v[80:81], v[101:102], -v[75:76]
	v_add_f64_e64 v[101:102], v[73:74], -v[101:102]
	s_wait_alu 0xf1ff
	v_subrev_co_ci_u32_e64 v82, null, 0, v82, s16
	s_delay_alu instid0(VALU_DEP_3) | instskip(SKIP_1) | instid1(VALU_DEP_2)
	v_add_f64_e32 v[80:81], 1.0, v[80:81]
	s_mov_b32 s16, 0x55555780
	v_sub_nc_u32_e32 v105, 0, v82
	s_delay_alu instid0(VALU_DEP_1) | instskip(NEXT) | instid1(VALU_DEP_3)
	v_ldexp_f64 v[75:76], v[75:76], v105
	v_add_f64_e32 v[80:81], v[101:102], v[80:81]
	s_delay_alu instid0(VALU_DEP_2) | instskip(SKIP_1) | instid1(VALU_DEP_3)
	v_add_f64_e32 v[103:104], 1.0, v[75:76]
	v_add_f64_e32 v[109:110], -1.0, v[75:76]
	v_ldexp_f64 v[80:81], v[80:81], v105
	s_delay_alu instid0(VALU_DEP_3) | instskip(NEXT) | instid1(VALU_DEP_3)
	v_add_f64_e32 v[101:102], -1.0, v[103:104]
	v_add_f64_e32 v[111:112], 1.0, v[109:110]
	s_delay_alu instid0(VALU_DEP_2) | instskip(NEXT) | instid1(VALU_DEP_2)
	v_add_f64_e64 v[101:102], v[75:76], -v[101:102]
	v_add_f64_e64 v[75:76], v[75:76], -v[111:112]
	s_delay_alu instid0(VALU_DEP_2) | instskip(NEXT) | instid1(VALU_DEP_2)
	v_add_f64_e32 v[101:102], v[80:81], v[101:102]
	v_add_f64_e32 v[75:76], v[80:81], v[75:76]
	s_delay_alu instid0(VALU_DEP_2) | instskip(NEXT) | instid1(VALU_DEP_2)
	v_add_f64_e32 v[105:106], v[103:104], v[101:102]
	v_add_f64_e32 v[111:112], v[109:110], v[75:76]
	s_delay_alu instid0(VALU_DEP_2) | instskip(SKIP_1) | instid1(VALU_DEP_2)
	v_rcp_f64_e32 v[107:108], v[105:106]
	v_add_f64_e64 v[103:104], v[105:106], -v[103:104]
	v_add_f64_e64 v[109:110], v[111:112], -v[109:110]
	s_delay_alu instid0(VALU_DEP_2) | instskip(NEXT) | instid1(TRANS32_DEP_1)
	v_add_f64_e64 v[101:102], v[101:102], -v[103:104]
	v_fma_f64 v[113:114], -v[105:106], v[107:108], 1.0
	s_delay_alu instid0(VALU_DEP_3) | instskip(NEXT) | instid1(VALU_DEP_2)
	v_add_f64_e64 v[75:76], v[75:76], -v[109:110]
	v_fma_f64 v[107:108], v[113:114], v[107:108], v[107:108]
	s_delay_alu instid0(VALU_DEP_1) | instskip(NEXT) | instid1(VALU_DEP_1)
	v_fma_f64 v[80:81], -v[105:106], v[107:108], 1.0
	v_fma_f64 v[80:81], v[80:81], v[107:108], v[107:108]
	s_delay_alu instid0(VALU_DEP_1) | instskip(NEXT) | instid1(VALU_DEP_1)
	v_mul_f64_e32 v[107:108], v[111:112], v[80:81]
	v_mul_f64_e32 v[113:114], v[105:106], v[107:108]
	s_delay_alu instid0(VALU_DEP_1) | instskip(NEXT) | instid1(VALU_DEP_1)
	v_fma_f64 v[103:104], v[107:108], v[105:106], -v[113:114]
	v_fma_f64 v[103:104], v[107:108], v[101:102], v[103:104]
	s_delay_alu instid0(VALU_DEP_1) | instskip(NEXT) | instid1(VALU_DEP_1)
	v_add_f64_e32 v[115:116], v[113:114], v[103:104]
	v_add_f64_e64 v[117:118], v[111:112], -v[115:116]
	v_add_f64_e64 v[109:110], v[115:116], -v[113:114]
	s_delay_alu instid0(VALU_DEP_2) | instskip(NEXT) | instid1(VALU_DEP_2)
	v_add_f64_e64 v[111:112], v[111:112], -v[117:118]
	v_add_f64_e64 v[103:104], v[109:110], -v[103:104]
	s_delay_alu instid0(VALU_DEP_2) | instskip(NEXT) | instid1(VALU_DEP_1)
	v_add_f64_e64 v[111:112], v[111:112], -v[115:116]
	v_add_f64_e32 v[75:76], v[75:76], v[111:112]
	s_delay_alu instid0(VALU_DEP_1) | instskip(NEXT) | instid1(VALU_DEP_1)
	v_add_f64_e32 v[75:76], v[103:104], v[75:76]
	v_add_f64_e32 v[103:104], v[117:118], v[75:76]
	s_delay_alu instid0(VALU_DEP_1) | instskip(SKIP_1) | instid1(VALU_DEP_2)
	v_mul_f64_e32 v[109:110], v[80:81], v[103:104]
	v_add_f64_e64 v[115:116], v[117:118], -v[103:104]
	v_mul_f64_e32 v[111:112], v[105:106], v[109:110]
	s_delay_alu instid0(VALU_DEP_2) | instskip(NEXT) | instid1(VALU_DEP_2)
	v_add_f64_e32 v[75:76], v[75:76], v[115:116]
	v_fma_f64 v[105:106], v[109:110], v[105:106], -v[111:112]
	s_delay_alu instid0(VALU_DEP_1) | instskip(NEXT) | instid1(VALU_DEP_1)
	v_fma_f64 v[101:102], v[109:110], v[101:102], v[105:106]
	v_add_f64_e32 v[105:106], v[111:112], v[101:102]
	s_delay_alu instid0(VALU_DEP_1) | instskip(SKIP_1) | instid1(VALU_DEP_2)
	v_add_f64_e64 v[113:114], v[103:104], -v[105:106]
	v_add_f64_e64 v[111:112], v[105:106], -v[111:112]
	;; [unrolled: 1-line block ×3, first 2 shown]
	s_delay_alu instid0(VALU_DEP_2) | instskip(NEXT) | instid1(VALU_DEP_2)
	v_add_f64_e64 v[101:102], v[111:112], -v[101:102]
	v_add_f64_e64 v[103:104], v[103:104], -v[105:106]
	s_delay_alu instid0(VALU_DEP_1) | instskip(SKIP_1) | instid1(VALU_DEP_2)
	v_add_f64_e32 v[75:76], v[75:76], v[103:104]
	v_add_f64_e32 v[103:104], v[107:108], v[109:110]
	;; [unrolled: 1-line block ×3, first 2 shown]
	s_delay_alu instid0(VALU_DEP_2) | instskip(NEXT) | instid1(VALU_DEP_2)
	v_add_f64_e64 v[101:102], v[103:104], -v[107:108]
	v_add_f64_e32 v[75:76], v[113:114], v[75:76]
	s_delay_alu instid0(VALU_DEP_2) | instskip(NEXT) | instid1(VALU_DEP_2)
	v_add_f64_e64 v[101:102], v[109:110], -v[101:102]
	v_mul_f64_e32 v[75:76], v[80:81], v[75:76]
	s_delay_alu instid0(VALU_DEP_1) | instskip(NEXT) | instid1(VALU_DEP_1)
	v_add_f64_e32 v[75:76], v[101:102], v[75:76]
	v_add_f64_e32 v[80:81], v[103:104], v[75:76]
	s_delay_alu instid0(VALU_DEP_1) | instskip(NEXT) | instid1(VALU_DEP_1)
	v_mul_f64_e32 v[101:102], v[80:81], v[80:81]
	v_fma_f64 v[105:106], v[101:102], s[40:41], s[38:39]
	s_mov_b32 s38, 0xd7f4df2e
	s_mov_b32 s39, 0x3fc7474d
	v_mul_f64_e32 v[107:108], v[80:81], v[101:102]
	s_wait_alu 0xfffe
	s_delay_alu instid0(VALU_DEP_2) | instskip(SKIP_3) | instid1(VALU_DEP_1)
	v_fma_f64 v[105:106], v[101:102], v[105:106], s[38:39]
	s_mov_b32 s38, 0x16291751
	s_mov_b32 s39, 0x3fcc71c0
	s_wait_alu 0xfffe
	v_fma_f64 v[105:106], v[101:102], v[105:106], s[38:39]
	s_mov_b32 s38, 0x9b27acf1
	s_mov_b32 s39, 0x3fd24924
	s_wait_alu 0xfffe
	s_delay_alu instid0(VALU_DEP_1) | instskip(SKIP_3) | instid1(VALU_DEP_1)
	v_fma_f64 v[105:106], v[101:102], v[105:106], s[38:39]
	s_mov_b32 s38, 0x998ef7b6
	s_mov_b32 s39, 0x3fd99999
	s_wait_alu 0xfffe
	v_fma_f64 v[105:106], v[101:102], v[105:106], s[38:39]
	s_delay_alu instid0(VALU_DEP_1)
	v_fma_f64 v[101:102], v[101:102], v[105:106], s[16:17]
	v_ldexp_f64 v[105:106], v[80:81], 1
	v_add_f64_e64 v[80:81], v[80:81], -v[103:104]
	v_cmp_nge_f64_e64 s16, -1.0, v[73:74]
	v_cmp_neq_f64_e64 s17, 0x7ff00000, v[73:74]
	v_mul_f64_e32 v[101:102], v[107:108], v[101:102]
	v_cvt_f64_i32_e32 v[107:108], v82
	v_add_f64_e64 v[75:76], v[75:76], -v[80:81]
	s_and_b32 s16, s16, s17
	s_delay_alu instid0(VALU_DEP_3) | instskip(NEXT) | instid1(VALU_DEP_3)
	v_add_f64_e32 v[103:104], v[105:106], v[101:102]
	v_mul_f64_e32 v[109:110], s[18:19], v[107:108]
	s_delay_alu instid0(VALU_DEP_3) | instskip(NEXT) | instid1(VALU_DEP_3)
	v_ldexp_f64 v[75:76], v[75:76], 1
	v_add_f64_e64 v[80:81], v[103:104], -v[105:106]
	s_delay_alu instid0(VALU_DEP_3) | instskip(SKIP_1) | instid1(VALU_DEP_3)
	v_fma_f64 v[105:106], v[107:108], s[18:19], -v[109:110]
	v_cmp_ngt_f64_e64 s18, -1.0, v[73:74]
	v_add_f64_e64 v[80:81], v[101:102], -v[80:81]
	s_delay_alu instid0(VALU_DEP_3) | instskip(NEXT) | instid1(VALU_DEP_2)
	v_fma_f64 v[101:102], v[107:108], s[20:21], v[105:106]
	v_add_f64_e32 v[75:76], v[75:76], v[80:81]
	s_delay_alu instid0(VALU_DEP_2) | instskip(NEXT) | instid1(VALU_DEP_2)
	v_add_f64_e32 v[80:81], v[109:110], v[101:102]
	v_add_f64_e32 v[105:106], v[103:104], v[75:76]
	s_delay_alu instid0(VALU_DEP_2) | instskip(NEXT) | instid1(VALU_DEP_2)
	v_add_f64_e64 v[109:110], v[80:81], -v[109:110]
	v_add_f64_e32 v[107:108], v[80:81], v[105:106]
	v_add_f64_e64 v[103:104], v[105:106], -v[103:104]
	s_delay_alu instid0(VALU_DEP_3) | instskip(NEXT) | instid1(VALU_DEP_3)
	v_add_f64_e64 v[101:102], v[101:102], -v[109:110]
	v_add_f64_e64 v[111:112], v[107:108], -v[80:81]
	s_delay_alu instid0(VALU_DEP_3) | instskip(NEXT) | instid1(VALU_DEP_2)
	v_add_f64_e64 v[75:76], v[75:76], -v[103:104]
	v_add_f64_e64 v[113:114], v[107:108], -v[111:112]
	;; [unrolled: 1-line block ×3, first 2 shown]
	s_delay_alu instid0(VALU_DEP_3) | instskip(NEXT) | instid1(VALU_DEP_3)
	v_add_f64_e32 v[105:106], v[101:102], v[75:76]
	v_add_f64_e64 v[80:81], v[80:81], -v[113:114]
	s_delay_alu instid0(VALU_DEP_1) | instskip(NEXT) | instid1(VALU_DEP_3)
	v_add_f64_e32 v[80:81], v[103:104], v[80:81]
	v_add_f64_e64 v[103:104], v[105:106], -v[101:102]
	s_delay_alu instid0(VALU_DEP_2) | instskip(NEXT) | instid1(VALU_DEP_2)
	v_add_f64_e32 v[80:81], v[105:106], v[80:81]
	v_add_f64_e64 v[105:106], v[105:106], -v[103:104]
	v_add_f64_e64 v[75:76], v[75:76], -v[103:104]
	s_delay_alu instid0(VALU_DEP_3) | instskip(NEXT) | instid1(VALU_DEP_3)
	v_add_f64_e32 v[109:110], v[107:108], v[80:81]
	v_add_f64_e64 v[101:102], v[101:102], -v[105:106]
	s_delay_alu instid0(VALU_DEP_2) | instskip(NEXT) | instid1(VALU_DEP_2)
	v_add_f64_e64 v[103:104], v[109:110], -v[107:108]
	v_add_f64_e32 v[75:76], v[75:76], v[101:102]
	s_delay_alu instid0(VALU_DEP_2) | instskip(NEXT) | instid1(VALU_DEP_1)
	v_add_f64_e64 v[80:81], v[80:81], -v[103:104]
	v_add_f64_e32 v[75:76], v[75:76], v[80:81]
	s_delay_alu instid0(VALU_DEP_1) | instskip(SKIP_1) | instid1(VALU_DEP_1)
	v_add_f64_e32 v[75:76], v[109:110], v[75:76]
	s_wait_alu 0xfffe
	v_cndmask_b32_e64 v75, 0, v75, s16
	v_cmp_neq_f64_e64 s16, -1.0, v[73:74]
	s_delay_alu instid0(VALU_DEP_3) | instskip(SKIP_1) | instid1(VALU_DEP_1)
	v_cndmask_b32_e64 v76, 0x7ff00000, v76, s17
	s_wait_alu 0xf1ff
	v_cndmask_b32_e64 v76, 0x7ff80000, v76, s18
	s_delay_alu instid0(VALU_DEP_1) | instskip(NEXT) | instid1(VALU_DEP_1)
	v_cndmask_b32_e64 v76, 0xfff00000, v76, s16
	v_add_f64_e32 v[73:74], v[71:72], v[75:76]
.LBB6_256:
	s_wait_alu 0xfffe
	s_or_b32 exec_lo, exec_lo, s36
	s_delay_alu instid0(VALU_DEP_1)
	v_dual_mov_b32 v75, v73 :: v_dual_mov_b32 v76, v74
	v_dual_mov_b32 v71, v73 :: v_dual_mov_b32 v72, v74
.LBB6_257:
	s_wait_alu 0xfffe
	s_or_b32 exec_lo, exec_lo, s25
	s_delay_alu instid0(VALU_DEP_2)
	v_mov_b32_dpp v73, v75 row_shr:4 row_mask:0xf bank_mask:0xf
	v_mov_b32_dpp v74, v76 row_shr:4 row_mask:0xf bank_mask:0xf
	s_mov_b32 s25, exec_lo
	v_cmpx_lt_u32_e32 3, v79
	s_cbranch_execz .LBB6_261
; %bb.258:
	s_delay_alu instid0(VALU_DEP_2) | instskip(SKIP_3) | instid1(VALU_DEP_3)
	v_max_num_f64_e32 v[75:76], v[73:74], v[73:74]
	v_max_num_f64_e32 v[79:80], v[71:72], v[71:72]
	v_cmp_u_f64_e64 s16, v[73:74], v[73:74]
	v_cmp_u_f64_e64 s17, v[71:72], v[71:72]
	v_min_num_f64_e32 v[81:82], v[75:76], v[79:80]
	v_max_num_f64_e32 v[75:76], v[75:76], v[79:80]
	s_wait_alu 0xf1ff
	s_delay_alu instid0(VALU_DEP_2) | instskip(NEXT) | instid1(VALU_DEP_3)
	v_cndmask_b32_e64 v79, v82, v74, s16
	v_cndmask_b32_e64 v80, v81, v73, s16
	s_delay_alu instid0(VALU_DEP_3) | instskip(NEXT) | instid1(VALU_DEP_4)
	v_cndmask_b32_e64 v81, v76, v74, s16
	v_cndmask_b32_e64 v82, v75, v73, s16
	s_delay_alu instid0(VALU_DEP_4) | instskip(NEXT) | instid1(VALU_DEP_4)
	v_cndmask_b32_e64 v76, v79, v72, s17
	v_cndmask_b32_e64 v75, v80, v71, s17
	s_delay_alu instid0(VALU_DEP_4) | instskip(NEXT) | instid1(VALU_DEP_4)
	v_cndmask_b32_e64 v72, v81, v72, s17
	v_cndmask_b32_e64 v71, v82, v71, s17
	s_delay_alu instid0(VALU_DEP_3) | instskip(NEXT) | instid1(VALU_DEP_2)
	v_cmp_class_f64_e64 s17, v[75:76], 0x1f8
	v_cmp_neq_f64_e64 s16, v[75:76], v[71:72]
	s_or_b32 s16, s16, s17
	s_wait_alu 0xfffe
	s_and_saveexec_b32 s36, s16
	s_cbranch_execz .LBB6_260
; %bb.259:
	v_add_f64_e64 v[73:74], v[75:76], -v[71:72]
	s_mov_b32 s16, 0x652b82fe
	s_mov_b32 s17, 0x3ff71547
	;; [unrolled: 1-line block ×10, first 2 shown]
	s_wait_alu 0xfffe
	s_delay_alu instid0(VALU_DEP_1) | instskip(SKIP_2) | instid1(VALU_DEP_1)
	v_mul_f64_e32 v[75:76], s[16:17], v[73:74]
	s_mov_b32 s16, 0xfca7ab0c
	s_mov_b32 s17, 0x3e928af3
	v_rndne_f64_e32 v[75:76], v[75:76]
	s_delay_alu instid0(VALU_DEP_1) | instskip(SKIP_2) | instid1(VALU_DEP_2)
	v_fma_f64 v[79:80], v[75:76], s[18:19], v[73:74]
	v_cvt_i32_f64_e32 v101, v[75:76]
	s_mov_b32 s19, 0x3fe62e42
	v_fma_f64 v[79:80], v[75:76], s[20:21], v[79:80]
	s_mov_b32 s21, 0x3c7abc9e
	s_wait_alu 0xfffe
	s_delay_alu instid0(VALU_DEP_1)
	v_fma_f64 v[81:82], v[79:80], s[38:39], s[16:17]
	s_mov_b32 s16, 0x623fde64
	s_mov_b32 s17, 0x3ec71dee
	;; [unrolled: 1-line block ×4, first 2 shown]
	s_wait_alu 0xfffe
	s_delay_alu instid0(VALU_DEP_1) | instskip(SKIP_3) | instid1(VALU_DEP_1)
	v_fma_f64 v[81:82], v[79:80], v[81:82], s[16:17]
	s_mov_b32 s16, 0x7c89e6b0
	s_mov_b32 s17, 0x3efa0199
	s_wait_alu 0xfffe
	v_fma_f64 v[81:82], v[79:80], v[81:82], s[16:17]
	s_mov_b32 s16, 0x14761f6e
	s_mov_b32 s17, 0x3f2a01a0
	s_wait_alu 0xfffe
	s_delay_alu instid0(VALU_DEP_1) | instskip(SKIP_3) | instid1(VALU_DEP_1)
	v_fma_f64 v[81:82], v[79:80], v[81:82], s[16:17]
	s_mov_b32 s16, 0x1852b7b0
	s_mov_b32 s17, 0x3f56c16c
	s_wait_alu 0xfffe
	v_fma_f64 v[81:82], v[79:80], v[81:82], s[16:17]
	s_mov_b32 s16, 0x11122322
	s_mov_b32 s17, 0x3f811111
	;; [unrolled: 9-line block ×3, first 2 shown]
	s_wait_alu 0xfffe
	s_delay_alu instid0(VALU_DEP_1) | instskip(SKIP_3) | instid1(VALU_DEP_1)
	v_fma_f64 v[81:82], v[79:80], v[81:82], s[16:17]
	s_mov_b32 s16, 11
	s_mov_b32 s17, 0x3fe00000
	s_wait_alu 0xfffe
	v_fma_f64 v[81:82], v[79:80], v[81:82], s[16:17]
	v_cmp_nlt_f64_e64 s16, 0x40900000, v[73:74]
	v_cmp_ngt_f64_e64 s17, 0xc090cc00, v[73:74]
	s_delay_alu instid0(VALU_DEP_3) | instskip(NEXT) | instid1(VALU_DEP_1)
	v_fma_f64 v[81:82], v[79:80], v[81:82], 1.0
	v_fma_f64 v[75:76], v[79:80], v[81:82], 1.0
	s_delay_alu instid0(VALU_DEP_1) | instskip(SKIP_1) | instid1(VALU_DEP_1)
	v_ldexp_f64 v[75:76], v[75:76], v101
	s_wait_alu 0xf1ff
	v_cndmask_b32_e64 v76, 0x7ff00000, v76, s16
	s_and_b32 s16, s17, s16
	s_wait_alu 0xfffe
	s_delay_alu instid0(VALU_DEP_2) | instskip(SKIP_3) | instid1(VALU_DEP_1)
	v_cndmask_b32_e64 v73, 0, v75, s16
	s_mov_b32 s16, 0x55555555
	v_cndmask_b32_e64 v74, 0, v76, s17
	s_mov_b32 s17, 0x3fe55555
	v_add_f64_e32 v[75:76], 1.0, v[73:74]
	s_delay_alu instid0(VALU_DEP_1) | instskip(SKIP_3) | instid1(VALU_DEP_3)
	v_frexp_mant_f64_e32 v[79:80], v[75:76]
	v_frexp_exp_i32_f64_e32 v101, v[75:76]
	v_add_f64_e32 v[81:82], -1.0, v[75:76]
	s_wait_alu 0xfffe
	v_cmp_gt_f64_e64 s16, s[16:17], v[79:80]
	s_delay_alu instid0(VALU_DEP_2) | instskip(SKIP_2) | instid1(VALU_DEP_3)
	v_add_f64_e64 v[79:80], v[81:82], -v[75:76]
	v_add_f64_e64 v[81:82], v[73:74], -v[81:82]
	s_wait_alu 0xf1ff
	v_subrev_co_ci_u32_e64 v117, null, 0, v101, s16
	s_delay_alu instid0(VALU_DEP_3) | instskip(SKIP_1) | instid1(VALU_DEP_2)
	v_add_f64_e32 v[79:80], 1.0, v[79:80]
	s_mov_b32 s16, 0x55555780
	v_sub_nc_u32_e32 v103, 0, v117
	s_delay_alu instid0(VALU_DEP_1) | instskip(NEXT) | instid1(VALU_DEP_3)
	v_ldexp_f64 v[75:76], v[75:76], v103
	v_add_f64_e32 v[79:80], v[81:82], v[79:80]
	s_delay_alu instid0(VALU_DEP_2) | instskip(SKIP_1) | instid1(VALU_DEP_3)
	v_add_f64_e32 v[101:102], 1.0, v[75:76]
	v_add_f64_e32 v[107:108], -1.0, v[75:76]
	v_ldexp_f64 v[79:80], v[79:80], v103
	s_delay_alu instid0(VALU_DEP_3) | instskip(NEXT) | instid1(VALU_DEP_3)
	v_add_f64_e32 v[81:82], -1.0, v[101:102]
	v_add_f64_e32 v[109:110], 1.0, v[107:108]
	s_delay_alu instid0(VALU_DEP_2) | instskip(NEXT) | instid1(VALU_DEP_2)
	v_add_f64_e64 v[81:82], v[75:76], -v[81:82]
	v_add_f64_e64 v[75:76], v[75:76], -v[109:110]
	s_delay_alu instid0(VALU_DEP_2) | instskip(NEXT) | instid1(VALU_DEP_2)
	v_add_f64_e32 v[81:82], v[79:80], v[81:82]
	v_add_f64_e32 v[75:76], v[79:80], v[75:76]
	s_delay_alu instid0(VALU_DEP_2) | instskip(NEXT) | instid1(VALU_DEP_2)
	v_add_f64_e32 v[103:104], v[101:102], v[81:82]
	v_add_f64_e32 v[109:110], v[107:108], v[75:76]
	s_delay_alu instid0(VALU_DEP_2) | instskip(SKIP_1) | instid1(VALU_DEP_2)
	v_rcp_f64_e32 v[105:106], v[103:104]
	v_add_f64_e64 v[101:102], v[103:104], -v[101:102]
	v_add_f64_e64 v[107:108], v[109:110], -v[107:108]
	s_delay_alu instid0(VALU_DEP_2) | instskip(NEXT) | instid1(TRANS32_DEP_1)
	v_add_f64_e64 v[81:82], v[81:82], -v[101:102]
	v_fma_f64 v[111:112], -v[103:104], v[105:106], 1.0
	s_delay_alu instid0(VALU_DEP_3) | instskip(NEXT) | instid1(VALU_DEP_2)
	v_add_f64_e64 v[75:76], v[75:76], -v[107:108]
	v_fma_f64 v[105:106], v[111:112], v[105:106], v[105:106]
	s_delay_alu instid0(VALU_DEP_1) | instskip(NEXT) | instid1(VALU_DEP_1)
	v_fma_f64 v[79:80], -v[103:104], v[105:106], 1.0
	v_fma_f64 v[79:80], v[79:80], v[105:106], v[105:106]
	s_delay_alu instid0(VALU_DEP_1) | instskip(NEXT) | instid1(VALU_DEP_1)
	v_mul_f64_e32 v[105:106], v[109:110], v[79:80]
	v_mul_f64_e32 v[111:112], v[103:104], v[105:106]
	s_delay_alu instid0(VALU_DEP_1) | instskip(NEXT) | instid1(VALU_DEP_1)
	v_fma_f64 v[101:102], v[105:106], v[103:104], -v[111:112]
	v_fma_f64 v[101:102], v[105:106], v[81:82], v[101:102]
	s_delay_alu instid0(VALU_DEP_1) | instskip(NEXT) | instid1(VALU_DEP_1)
	v_add_f64_e32 v[113:114], v[111:112], v[101:102]
	v_add_f64_e64 v[115:116], v[109:110], -v[113:114]
	v_add_f64_e64 v[107:108], v[113:114], -v[111:112]
	s_delay_alu instid0(VALU_DEP_2) | instskip(NEXT) | instid1(VALU_DEP_2)
	v_add_f64_e64 v[109:110], v[109:110], -v[115:116]
	v_add_f64_e64 v[101:102], v[107:108], -v[101:102]
	s_delay_alu instid0(VALU_DEP_2) | instskip(NEXT) | instid1(VALU_DEP_1)
	v_add_f64_e64 v[109:110], v[109:110], -v[113:114]
	v_add_f64_e32 v[75:76], v[75:76], v[109:110]
	s_delay_alu instid0(VALU_DEP_1) | instskip(NEXT) | instid1(VALU_DEP_1)
	v_add_f64_e32 v[75:76], v[101:102], v[75:76]
	v_add_f64_e32 v[101:102], v[115:116], v[75:76]
	s_delay_alu instid0(VALU_DEP_1) | instskip(SKIP_1) | instid1(VALU_DEP_2)
	v_mul_f64_e32 v[107:108], v[79:80], v[101:102]
	v_add_f64_e64 v[113:114], v[115:116], -v[101:102]
	v_mul_f64_e32 v[109:110], v[103:104], v[107:108]
	s_delay_alu instid0(VALU_DEP_2) | instskip(NEXT) | instid1(VALU_DEP_2)
	v_add_f64_e32 v[75:76], v[75:76], v[113:114]
	v_fma_f64 v[103:104], v[107:108], v[103:104], -v[109:110]
	s_delay_alu instid0(VALU_DEP_1) | instskip(NEXT) | instid1(VALU_DEP_1)
	v_fma_f64 v[81:82], v[107:108], v[81:82], v[103:104]
	v_add_f64_e32 v[103:104], v[109:110], v[81:82]
	s_delay_alu instid0(VALU_DEP_1) | instskip(SKIP_1) | instid1(VALU_DEP_2)
	v_add_f64_e64 v[111:112], v[101:102], -v[103:104]
	v_add_f64_e64 v[109:110], v[103:104], -v[109:110]
	v_add_f64_e64 v[101:102], v[101:102], -v[111:112]
	s_delay_alu instid0(VALU_DEP_2) | instskip(NEXT) | instid1(VALU_DEP_2)
	v_add_f64_e64 v[81:82], v[109:110], -v[81:82]
	v_add_f64_e64 v[101:102], v[101:102], -v[103:104]
	s_delay_alu instid0(VALU_DEP_1) | instskip(SKIP_1) | instid1(VALU_DEP_2)
	v_add_f64_e32 v[75:76], v[75:76], v[101:102]
	v_add_f64_e32 v[101:102], v[105:106], v[107:108]
	v_add_f64_e32 v[75:76], v[81:82], v[75:76]
	s_delay_alu instid0(VALU_DEP_2) | instskip(NEXT) | instid1(VALU_DEP_2)
	v_add_f64_e64 v[81:82], v[101:102], -v[105:106]
	v_add_f64_e32 v[75:76], v[111:112], v[75:76]
	s_delay_alu instid0(VALU_DEP_2) | instskip(NEXT) | instid1(VALU_DEP_2)
	v_add_f64_e64 v[81:82], v[107:108], -v[81:82]
	v_mul_f64_e32 v[75:76], v[79:80], v[75:76]
	s_delay_alu instid0(VALU_DEP_1) | instskip(NEXT) | instid1(VALU_DEP_1)
	v_add_f64_e32 v[75:76], v[81:82], v[75:76]
	v_add_f64_e32 v[79:80], v[101:102], v[75:76]
	s_delay_alu instid0(VALU_DEP_1) | instskip(NEXT) | instid1(VALU_DEP_1)
	v_mul_f64_e32 v[81:82], v[79:80], v[79:80]
	v_fma_f64 v[103:104], v[81:82], s[40:41], s[38:39]
	s_mov_b32 s38, 0xd7f4df2e
	s_mov_b32 s39, 0x3fc7474d
	v_mul_f64_e32 v[105:106], v[79:80], v[81:82]
	s_wait_alu 0xfffe
	s_delay_alu instid0(VALU_DEP_2) | instskip(SKIP_3) | instid1(VALU_DEP_1)
	v_fma_f64 v[103:104], v[81:82], v[103:104], s[38:39]
	s_mov_b32 s38, 0x16291751
	s_mov_b32 s39, 0x3fcc71c0
	s_wait_alu 0xfffe
	v_fma_f64 v[103:104], v[81:82], v[103:104], s[38:39]
	s_mov_b32 s38, 0x9b27acf1
	s_mov_b32 s39, 0x3fd24924
	s_wait_alu 0xfffe
	s_delay_alu instid0(VALU_DEP_1) | instskip(SKIP_3) | instid1(VALU_DEP_1)
	v_fma_f64 v[103:104], v[81:82], v[103:104], s[38:39]
	s_mov_b32 s38, 0x998ef7b6
	s_mov_b32 s39, 0x3fd99999
	s_wait_alu 0xfffe
	v_fma_f64 v[103:104], v[81:82], v[103:104], s[38:39]
	s_delay_alu instid0(VALU_DEP_1)
	v_fma_f64 v[81:82], v[81:82], v[103:104], s[16:17]
	v_ldexp_f64 v[103:104], v[79:80], 1
	v_add_f64_e64 v[79:80], v[79:80], -v[101:102]
	v_cmp_nge_f64_e64 s16, -1.0, v[73:74]
	v_cmp_neq_f64_e64 s17, 0x7ff00000, v[73:74]
	v_mul_f64_e32 v[81:82], v[105:106], v[81:82]
	v_cvt_f64_i32_e32 v[105:106], v117
	v_add_f64_e64 v[75:76], v[75:76], -v[79:80]
	s_and_b32 s16, s16, s17
	s_delay_alu instid0(VALU_DEP_3) | instskip(NEXT) | instid1(VALU_DEP_3)
	v_add_f64_e32 v[101:102], v[103:104], v[81:82]
	v_mul_f64_e32 v[107:108], s[18:19], v[105:106]
	s_delay_alu instid0(VALU_DEP_3) | instskip(NEXT) | instid1(VALU_DEP_3)
	v_ldexp_f64 v[75:76], v[75:76], 1
	v_add_f64_e64 v[79:80], v[101:102], -v[103:104]
	s_delay_alu instid0(VALU_DEP_3) | instskip(SKIP_1) | instid1(VALU_DEP_3)
	v_fma_f64 v[103:104], v[105:106], s[18:19], -v[107:108]
	v_cmp_ngt_f64_e64 s18, -1.0, v[73:74]
	v_add_f64_e64 v[79:80], v[81:82], -v[79:80]
	s_delay_alu instid0(VALU_DEP_3) | instskip(NEXT) | instid1(VALU_DEP_2)
	v_fma_f64 v[81:82], v[105:106], s[20:21], v[103:104]
	v_add_f64_e32 v[75:76], v[75:76], v[79:80]
	s_delay_alu instid0(VALU_DEP_2) | instskip(NEXT) | instid1(VALU_DEP_2)
	v_add_f64_e32 v[79:80], v[107:108], v[81:82]
	v_add_f64_e32 v[103:104], v[101:102], v[75:76]
	s_delay_alu instid0(VALU_DEP_2) | instskip(NEXT) | instid1(VALU_DEP_2)
	v_add_f64_e64 v[107:108], v[79:80], -v[107:108]
	v_add_f64_e32 v[105:106], v[79:80], v[103:104]
	v_add_f64_e64 v[101:102], v[103:104], -v[101:102]
	s_delay_alu instid0(VALU_DEP_3) | instskip(NEXT) | instid1(VALU_DEP_3)
	v_add_f64_e64 v[81:82], v[81:82], -v[107:108]
	v_add_f64_e64 v[109:110], v[105:106], -v[79:80]
	s_delay_alu instid0(VALU_DEP_3) | instskip(NEXT) | instid1(VALU_DEP_2)
	v_add_f64_e64 v[75:76], v[75:76], -v[101:102]
	v_add_f64_e64 v[111:112], v[105:106], -v[109:110]
	;; [unrolled: 1-line block ×3, first 2 shown]
	s_delay_alu instid0(VALU_DEP_3) | instskip(NEXT) | instid1(VALU_DEP_3)
	v_add_f64_e32 v[103:104], v[81:82], v[75:76]
	v_add_f64_e64 v[79:80], v[79:80], -v[111:112]
	s_delay_alu instid0(VALU_DEP_1) | instskip(NEXT) | instid1(VALU_DEP_3)
	v_add_f64_e32 v[79:80], v[101:102], v[79:80]
	v_add_f64_e64 v[101:102], v[103:104], -v[81:82]
	s_delay_alu instid0(VALU_DEP_2) | instskip(NEXT) | instid1(VALU_DEP_2)
	v_add_f64_e32 v[79:80], v[103:104], v[79:80]
	v_add_f64_e64 v[103:104], v[103:104], -v[101:102]
	v_add_f64_e64 v[75:76], v[75:76], -v[101:102]
	s_delay_alu instid0(VALU_DEP_3) | instskip(NEXT) | instid1(VALU_DEP_3)
	v_add_f64_e32 v[107:108], v[105:106], v[79:80]
	v_add_f64_e64 v[81:82], v[81:82], -v[103:104]
	s_delay_alu instid0(VALU_DEP_2) | instskip(NEXT) | instid1(VALU_DEP_2)
	v_add_f64_e64 v[101:102], v[107:108], -v[105:106]
	v_add_f64_e32 v[75:76], v[75:76], v[81:82]
	s_delay_alu instid0(VALU_DEP_2) | instskip(NEXT) | instid1(VALU_DEP_1)
	v_add_f64_e64 v[79:80], v[79:80], -v[101:102]
	v_add_f64_e32 v[75:76], v[75:76], v[79:80]
	s_delay_alu instid0(VALU_DEP_1) | instskip(SKIP_1) | instid1(VALU_DEP_1)
	v_add_f64_e32 v[75:76], v[107:108], v[75:76]
	s_wait_alu 0xfffe
	v_cndmask_b32_e64 v75, 0, v75, s16
	v_cmp_neq_f64_e64 s16, -1.0, v[73:74]
	s_delay_alu instid0(VALU_DEP_3) | instskip(SKIP_1) | instid1(VALU_DEP_1)
	v_cndmask_b32_e64 v76, 0x7ff00000, v76, s17
	s_wait_alu 0xf1ff
	v_cndmask_b32_e64 v76, 0x7ff80000, v76, s18
	s_delay_alu instid0(VALU_DEP_1) | instskip(NEXT) | instid1(VALU_DEP_1)
	v_cndmask_b32_e64 v76, 0xfff00000, v76, s16
	v_add_f64_e32 v[73:74], v[71:72], v[75:76]
.LBB6_260:
	s_wait_alu 0xfffe
	s_or_b32 exec_lo, exec_lo, s36
	s_delay_alu instid0(VALU_DEP_1)
	v_dual_mov_b32 v71, v73 :: v_dual_mov_b32 v72, v74
.LBB6_261:
	s_wait_alu 0xfffe
	s_or_b32 exec_lo, exec_lo, s25
	ds_store_b64 v98, v[71:72]
.LBB6_262:
	s_wait_alu 0xfffe
	s_or_b32 exec_lo, exec_lo, s24
	s_delay_alu instid0(SALU_CYCLE_1)
	s_mov_b32 s24, exec_lo
	s_wait_loadcnt_dscnt 0x0
	s_barrier_signal -1
	s_barrier_wait -1
	global_inv scope:SCOPE_SE
                                        ; implicit-def: $vgpr71_vgpr72
	v_cmpx_lt_u32_e32 31, v0
	s_cbranch_execz .LBB6_266
; %bb.263:
	v_lshl_add_u32 v71, v78, 3, -8
	v_max_num_f64_e32 v[73:74], v[69:70], v[69:70]
	v_cmp_u_f64_e64 s17, v[69:70], v[69:70]
	ds_load_b64 v[71:72], v71
	s_wait_dscnt 0x0
	v_max_num_f64_e32 v[75:76], v[71:72], v[71:72]
	v_cmp_u_f64_e64 s16, v[71:72], v[71:72]
	s_delay_alu instid0(VALU_DEP_2) | instskip(SKIP_2) | instid1(VALU_DEP_2)
	v_min_num_f64_e32 v[78:79], v[75:76], v[73:74]
	v_max_num_f64_e32 v[73:74], v[75:76], v[73:74]
	s_wait_alu 0xf1ff
	v_cndmask_b32_e64 v75, v78, v71, s16
	s_delay_alu instid0(VALU_DEP_3) | instskip(NEXT) | instid1(VALU_DEP_3)
	v_cndmask_b32_e64 v76, v79, v72, s16
	v_cndmask_b32_e64 v74, v74, v72, s16
	s_delay_alu instid0(VALU_DEP_4) | instskip(NEXT) | instid1(VALU_DEP_4)
	v_cndmask_b32_e64 v73, v73, v71, s16
	v_cndmask_b32_e64 v75, v75, v69, s17
	s_delay_alu instid0(VALU_DEP_4) | instskip(NEXT) | instid1(VALU_DEP_4)
	v_cndmask_b32_e64 v76, v76, v70, s17
	v_cndmask_b32_e64 v74, v74, v70, s17
	s_delay_alu instid0(VALU_DEP_4) | instskip(SKIP_1) | instid1(VALU_DEP_4)
	v_cndmask_b32_e64 v73, v73, v69, s17
	v_dual_mov_b32 v69, v71 :: v_dual_mov_b32 v70, v72
	v_cmp_class_f64_e64 s17, v[75:76], 0x1f8
	s_delay_alu instid0(VALU_DEP_3)
	v_cmp_neq_f64_e64 s16, v[75:76], v[73:74]
	s_or_b32 s16, s16, s17
	s_wait_alu 0xfffe
	s_and_saveexec_b32 s25, s16
	s_cbranch_execz .LBB6_265
; %bb.264:
	v_add_f64_e64 v[69:70], v[75:76], -v[73:74]
	s_mov_b32 s16, 0x652b82fe
	s_mov_b32 s17, 0x3ff71547
	;; [unrolled: 1-line block ×10, first 2 shown]
	s_wait_alu 0xfffe
	s_delay_alu instid0(VALU_DEP_1) | instskip(SKIP_2) | instid1(VALU_DEP_1)
	v_mul_f64_e32 v[75:76], s[16:17], v[69:70]
	s_mov_b32 s16, 0xfca7ab0c
	s_mov_b32 s17, 0x3e928af3
	v_rndne_f64_e32 v[75:76], v[75:76]
	s_delay_alu instid0(VALU_DEP_1) | instskip(SKIP_2) | instid1(VALU_DEP_2)
	v_fma_f64 v[78:79], v[75:76], s[18:19], v[69:70]
	v_cvt_i32_f64_e32 v82, v[75:76]
	s_mov_b32 s19, 0x3fe62e42
	v_fma_f64 v[78:79], v[75:76], s[20:21], v[78:79]
	s_mov_b32 s21, 0x3c7abc9e
	s_wait_alu 0xfffe
	s_delay_alu instid0(VALU_DEP_1)
	v_fma_f64 v[80:81], v[78:79], s[36:37], s[16:17]
	s_mov_b32 s16, 0x623fde64
	s_mov_b32 s17, 0x3ec71dee
	;; [unrolled: 1-line block ×4, first 2 shown]
	s_wait_alu 0xfffe
	s_delay_alu instid0(VALU_DEP_1) | instskip(SKIP_3) | instid1(VALU_DEP_1)
	v_fma_f64 v[80:81], v[78:79], v[80:81], s[16:17]
	s_mov_b32 s16, 0x7c89e6b0
	s_mov_b32 s17, 0x3efa0199
	s_wait_alu 0xfffe
	v_fma_f64 v[80:81], v[78:79], v[80:81], s[16:17]
	s_mov_b32 s16, 0x14761f6e
	s_mov_b32 s17, 0x3f2a01a0
	s_wait_alu 0xfffe
	s_delay_alu instid0(VALU_DEP_1) | instskip(SKIP_3) | instid1(VALU_DEP_1)
	v_fma_f64 v[80:81], v[78:79], v[80:81], s[16:17]
	s_mov_b32 s16, 0x1852b7b0
	s_mov_b32 s17, 0x3f56c16c
	s_wait_alu 0xfffe
	v_fma_f64 v[80:81], v[78:79], v[80:81], s[16:17]
	s_mov_b32 s16, 0x11122322
	s_mov_b32 s17, 0x3f811111
	s_wait_alu 0xfffe
	s_delay_alu instid0(VALU_DEP_1) | instskip(SKIP_3) | instid1(VALU_DEP_1)
	v_fma_f64 v[80:81], v[78:79], v[80:81], s[16:17]
	s_mov_b32 s16, 0x555502a1
	s_mov_b32 s17, 0x3fa55555
	s_wait_alu 0xfffe
	v_fma_f64 v[80:81], v[78:79], v[80:81], s[16:17]
	s_mov_b32 s16, 0x55555511
	s_mov_b32 s17, 0x3fc55555
	s_wait_alu 0xfffe
	s_delay_alu instid0(VALU_DEP_1) | instskip(SKIP_3) | instid1(VALU_DEP_1)
	v_fma_f64 v[80:81], v[78:79], v[80:81], s[16:17]
	s_mov_b32 s16, 11
	s_mov_b32 s17, 0x3fe00000
	s_wait_alu 0xfffe
	v_fma_f64 v[80:81], v[78:79], v[80:81], s[16:17]
	v_cmp_nlt_f64_e64 s16, 0x40900000, v[69:70]
	v_cmp_ngt_f64_e64 s17, 0xc090cc00, v[69:70]
	s_delay_alu instid0(VALU_DEP_3) | instskip(NEXT) | instid1(VALU_DEP_1)
	v_fma_f64 v[80:81], v[78:79], v[80:81], 1.0
	v_fma_f64 v[75:76], v[78:79], v[80:81], 1.0
	s_delay_alu instid0(VALU_DEP_1) | instskip(SKIP_1) | instid1(VALU_DEP_1)
	v_ldexp_f64 v[75:76], v[75:76], v82
	s_wait_alu 0xf1ff
	v_cndmask_b32_e64 v76, 0x7ff00000, v76, s16
	s_and_b32 s16, s17, s16
	s_wait_alu 0xfffe
	s_delay_alu instid0(VALU_DEP_2) | instskip(SKIP_3) | instid1(VALU_DEP_1)
	v_cndmask_b32_e64 v69, 0, v75, s16
	s_mov_b32 s16, 0x55555555
	v_cndmask_b32_e64 v70, 0, v76, s17
	s_mov_b32 s17, 0x3fe55555
	v_add_f64_e32 v[75:76], 1.0, v[69:70]
	s_delay_alu instid0(VALU_DEP_1) | instskip(SKIP_3) | instid1(VALU_DEP_3)
	v_frexp_mant_f64_e32 v[78:79], v[75:76]
	v_frexp_exp_i32_f64_e32 v82, v[75:76]
	v_add_f64_e32 v[80:81], -1.0, v[75:76]
	s_wait_alu 0xfffe
	v_cmp_gt_f64_e64 s16, s[16:17], v[78:79]
	s_delay_alu instid0(VALU_DEP_2) | instskip(SKIP_2) | instid1(VALU_DEP_3)
	v_add_f64_e64 v[78:79], v[80:81], -v[75:76]
	v_add_f64_e64 v[80:81], v[69:70], -v[80:81]
	s_wait_alu 0xf1ff
	v_subrev_co_ci_u32_e64 v82, null, 0, v82, s16
	s_delay_alu instid0(VALU_DEP_3) | instskip(SKIP_1) | instid1(VALU_DEP_2)
	v_add_f64_e32 v[78:79], 1.0, v[78:79]
	s_mov_b32 s16, 0x55555780
	v_sub_nc_u32_e32 v103, 0, v82
	s_delay_alu instid0(VALU_DEP_1) | instskip(NEXT) | instid1(VALU_DEP_3)
	v_ldexp_f64 v[75:76], v[75:76], v103
	v_add_f64_e32 v[78:79], v[80:81], v[78:79]
	s_delay_alu instid0(VALU_DEP_2) | instskip(SKIP_1) | instid1(VALU_DEP_3)
	v_add_f64_e32 v[101:102], 1.0, v[75:76]
	v_add_f64_e32 v[107:108], -1.0, v[75:76]
	v_ldexp_f64 v[78:79], v[78:79], v103
	s_delay_alu instid0(VALU_DEP_3) | instskip(NEXT) | instid1(VALU_DEP_3)
	v_add_f64_e32 v[80:81], -1.0, v[101:102]
	v_add_f64_e32 v[109:110], 1.0, v[107:108]
	s_delay_alu instid0(VALU_DEP_2) | instskip(NEXT) | instid1(VALU_DEP_2)
	v_add_f64_e64 v[80:81], v[75:76], -v[80:81]
	v_add_f64_e64 v[75:76], v[75:76], -v[109:110]
	s_delay_alu instid0(VALU_DEP_2) | instskip(NEXT) | instid1(VALU_DEP_2)
	v_add_f64_e32 v[80:81], v[78:79], v[80:81]
	v_add_f64_e32 v[75:76], v[78:79], v[75:76]
	s_delay_alu instid0(VALU_DEP_2) | instskip(NEXT) | instid1(VALU_DEP_2)
	v_add_f64_e32 v[103:104], v[101:102], v[80:81]
	v_add_f64_e32 v[109:110], v[107:108], v[75:76]
	s_delay_alu instid0(VALU_DEP_2) | instskip(SKIP_1) | instid1(VALU_DEP_2)
	v_rcp_f64_e32 v[105:106], v[103:104]
	v_add_f64_e64 v[101:102], v[103:104], -v[101:102]
	v_add_f64_e64 v[107:108], v[109:110], -v[107:108]
	s_delay_alu instid0(VALU_DEP_2) | instskip(NEXT) | instid1(TRANS32_DEP_1)
	v_add_f64_e64 v[80:81], v[80:81], -v[101:102]
	v_fma_f64 v[111:112], -v[103:104], v[105:106], 1.0
	s_delay_alu instid0(VALU_DEP_3) | instskip(NEXT) | instid1(VALU_DEP_2)
	v_add_f64_e64 v[75:76], v[75:76], -v[107:108]
	v_fma_f64 v[105:106], v[111:112], v[105:106], v[105:106]
	s_delay_alu instid0(VALU_DEP_1) | instskip(NEXT) | instid1(VALU_DEP_1)
	v_fma_f64 v[78:79], -v[103:104], v[105:106], 1.0
	v_fma_f64 v[78:79], v[78:79], v[105:106], v[105:106]
	s_delay_alu instid0(VALU_DEP_1) | instskip(NEXT) | instid1(VALU_DEP_1)
	v_mul_f64_e32 v[105:106], v[109:110], v[78:79]
	v_mul_f64_e32 v[111:112], v[103:104], v[105:106]
	s_delay_alu instid0(VALU_DEP_1) | instskip(NEXT) | instid1(VALU_DEP_1)
	v_fma_f64 v[101:102], v[105:106], v[103:104], -v[111:112]
	v_fma_f64 v[101:102], v[105:106], v[80:81], v[101:102]
	s_delay_alu instid0(VALU_DEP_1) | instskip(NEXT) | instid1(VALU_DEP_1)
	v_add_f64_e32 v[113:114], v[111:112], v[101:102]
	v_add_f64_e64 v[115:116], v[109:110], -v[113:114]
	v_add_f64_e64 v[107:108], v[113:114], -v[111:112]
	s_delay_alu instid0(VALU_DEP_2) | instskip(NEXT) | instid1(VALU_DEP_2)
	v_add_f64_e64 v[109:110], v[109:110], -v[115:116]
	v_add_f64_e64 v[101:102], v[107:108], -v[101:102]
	s_delay_alu instid0(VALU_DEP_2) | instskip(NEXT) | instid1(VALU_DEP_1)
	v_add_f64_e64 v[109:110], v[109:110], -v[113:114]
	v_add_f64_e32 v[75:76], v[75:76], v[109:110]
	s_delay_alu instid0(VALU_DEP_1) | instskip(NEXT) | instid1(VALU_DEP_1)
	v_add_f64_e32 v[75:76], v[101:102], v[75:76]
	v_add_f64_e32 v[101:102], v[115:116], v[75:76]
	s_delay_alu instid0(VALU_DEP_1) | instskip(SKIP_1) | instid1(VALU_DEP_2)
	v_mul_f64_e32 v[107:108], v[78:79], v[101:102]
	v_add_f64_e64 v[113:114], v[115:116], -v[101:102]
	v_mul_f64_e32 v[109:110], v[103:104], v[107:108]
	s_delay_alu instid0(VALU_DEP_2) | instskip(NEXT) | instid1(VALU_DEP_2)
	v_add_f64_e32 v[75:76], v[75:76], v[113:114]
	v_fma_f64 v[103:104], v[107:108], v[103:104], -v[109:110]
	s_delay_alu instid0(VALU_DEP_1) | instskip(NEXT) | instid1(VALU_DEP_1)
	v_fma_f64 v[80:81], v[107:108], v[80:81], v[103:104]
	v_add_f64_e32 v[103:104], v[109:110], v[80:81]
	s_delay_alu instid0(VALU_DEP_1) | instskip(SKIP_1) | instid1(VALU_DEP_2)
	v_add_f64_e64 v[111:112], v[101:102], -v[103:104]
	v_add_f64_e64 v[109:110], v[103:104], -v[109:110]
	;; [unrolled: 1-line block ×3, first 2 shown]
	s_delay_alu instid0(VALU_DEP_2) | instskip(NEXT) | instid1(VALU_DEP_2)
	v_add_f64_e64 v[80:81], v[109:110], -v[80:81]
	v_add_f64_e64 v[101:102], v[101:102], -v[103:104]
	s_delay_alu instid0(VALU_DEP_1) | instskip(SKIP_1) | instid1(VALU_DEP_2)
	v_add_f64_e32 v[75:76], v[75:76], v[101:102]
	v_add_f64_e32 v[101:102], v[105:106], v[107:108]
	;; [unrolled: 1-line block ×3, first 2 shown]
	s_delay_alu instid0(VALU_DEP_2) | instskip(NEXT) | instid1(VALU_DEP_2)
	v_add_f64_e64 v[80:81], v[101:102], -v[105:106]
	v_add_f64_e32 v[75:76], v[111:112], v[75:76]
	s_delay_alu instid0(VALU_DEP_2) | instskip(NEXT) | instid1(VALU_DEP_2)
	v_add_f64_e64 v[80:81], v[107:108], -v[80:81]
	v_mul_f64_e32 v[75:76], v[78:79], v[75:76]
	s_delay_alu instid0(VALU_DEP_1) | instskip(NEXT) | instid1(VALU_DEP_1)
	v_add_f64_e32 v[75:76], v[80:81], v[75:76]
	v_add_f64_e32 v[78:79], v[101:102], v[75:76]
	s_delay_alu instid0(VALU_DEP_1) | instskip(NEXT) | instid1(VALU_DEP_1)
	v_mul_f64_e32 v[80:81], v[78:79], v[78:79]
	v_fma_f64 v[103:104], v[80:81], s[38:39], s[36:37]
	s_mov_b32 s36, 0xd7f4df2e
	s_mov_b32 s37, 0x3fc7474d
	v_mul_f64_e32 v[105:106], v[78:79], v[80:81]
	s_wait_alu 0xfffe
	s_delay_alu instid0(VALU_DEP_2) | instskip(SKIP_3) | instid1(VALU_DEP_1)
	v_fma_f64 v[103:104], v[80:81], v[103:104], s[36:37]
	s_mov_b32 s36, 0x16291751
	s_mov_b32 s37, 0x3fcc71c0
	s_wait_alu 0xfffe
	v_fma_f64 v[103:104], v[80:81], v[103:104], s[36:37]
	s_mov_b32 s36, 0x9b27acf1
	s_mov_b32 s37, 0x3fd24924
	s_wait_alu 0xfffe
	s_delay_alu instid0(VALU_DEP_1) | instskip(SKIP_3) | instid1(VALU_DEP_1)
	v_fma_f64 v[103:104], v[80:81], v[103:104], s[36:37]
	s_mov_b32 s36, 0x998ef7b6
	s_mov_b32 s37, 0x3fd99999
	s_wait_alu 0xfffe
	v_fma_f64 v[103:104], v[80:81], v[103:104], s[36:37]
	s_delay_alu instid0(VALU_DEP_1)
	v_fma_f64 v[80:81], v[80:81], v[103:104], s[16:17]
	v_ldexp_f64 v[103:104], v[78:79], 1
	v_add_f64_e64 v[78:79], v[78:79], -v[101:102]
	v_cmp_nge_f64_e64 s16, -1.0, v[69:70]
	v_cmp_neq_f64_e64 s17, 0x7ff00000, v[69:70]
	v_mul_f64_e32 v[80:81], v[105:106], v[80:81]
	v_cvt_f64_i32_e32 v[105:106], v82
	v_add_f64_e64 v[75:76], v[75:76], -v[78:79]
	s_and_b32 s16, s16, s17
	s_delay_alu instid0(VALU_DEP_3) | instskip(NEXT) | instid1(VALU_DEP_3)
	v_add_f64_e32 v[101:102], v[103:104], v[80:81]
	v_mul_f64_e32 v[107:108], s[18:19], v[105:106]
	s_delay_alu instid0(VALU_DEP_3) | instskip(NEXT) | instid1(VALU_DEP_3)
	v_ldexp_f64 v[75:76], v[75:76], 1
	v_add_f64_e64 v[78:79], v[101:102], -v[103:104]
	s_delay_alu instid0(VALU_DEP_3) | instskip(SKIP_1) | instid1(VALU_DEP_3)
	v_fma_f64 v[103:104], v[105:106], s[18:19], -v[107:108]
	v_cmp_ngt_f64_e64 s18, -1.0, v[69:70]
	v_add_f64_e64 v[78:79], v[80:81], -v[78:79]
	s_delay_alu instid0(VALU_DEP_3) | instskip(NEXT) | instid1(VALU_DEP_2)
	v_fma_f64 v[80:81], v[105:106], s[20:21], v[103:104]
	v_add_f64_e32 v[75:76], v[75:76], v[78:79]
	s_delay_alu instid0(VALU_DEP_2) | instskip(NEXT) | instid1(VALU_DEP_2)
	v_add_f64_e32 v[78:79], v[107:108], v[80:81]
	v_add_f64_e32 v[103:104], v[101:102], v[75:76]
	s_delay_alu instid0(VALU_DEP_2) | instskip(NEXT) | instid1(VALU_DEP_2)
	v_add_f64_e64 v[107:108], v[78:79], -v[107:108]
	v_add_f64_e32 v[105:106], v[78:79], v[103:104]
	v_add_f64_e64 v[101:102], v[103:104], -v[101:102]
	s_delay_alu instid0(VALU_DEP_3) | instskip(NEXT) | instid1(VALU_DEP_3)
	v_add_f64_e64 v[80:81], v[80:81], -v[107:108]
	v_add_f64_e64 v[109:110], v[105:106], -v[78:79]
	s_delay_alu instid0(VALU_DEP_3) | instskip(NEXT) | instid1(VALU_DEP_2)
	v_add_f64_e64 v[75:76], v[75:76], -v[101:102]
	v_add_f64_e64 v[111:112], v[105:106], -v[109:110]
	;; [unrolled: 1-line block ×3, first 2 shown]
	s_delay_alu instid0(VALU_DEP_3) | instskip(NEXT) | instid1(VALU_DEP_3)
	v_add_f64_e32 v[103:104], v[80:81], v[75:76]
	v_add_f64_e64 v[78:79], v[78:79], -v[111:112]
	s_delay_alu instid0(VALU_DEP_1) | instskip(NEXT) | instid1(VALU_DEP_3)
	v_add_f64_e32 v[78:79], v[101:102], v[78:79]
	v_add_f64_e64 v[101:102], v[103:104], -v[80:81]
	s_delay_alu instid0(VALU_DEP_2) | instskip(NEXT) | instid1(VALU_DEP_2)
	v_add_f64_e32 v[78:79], v[103:104], v[78:79]
	v_add_f64_e64 v[103:104], v[103:104], -v[101:102]
	v_add_f64_e64 v[75:76], v[75:76], -v[101:102]
	s_delay_alu instid0(VALU_DEP_3) | instskip(NEXT) | instid1(VALU_DEP_3)
	v_add_f64_e32 v[107:108], v[105:106], v[78:79]
	v_add_f64_e64 v[80:81], v[80:81], -v[103:104]
	s_delay_alu instid0(VALU_DEP_2) | instskip(NEXT) | instid1(VALU_DEP_2)
	v_add_f64_e64 v[101:102], v[107:108], -v[105:106]
	v_add_f64_e32 v[75:76], v[75:76], v[80:81]
	s_delay_alu instid0(VALU_DEP_2) | instskip(NEXT) | instid1(VALU_DEP_1)
	v_add_f64_e64 v[78:79], v[78:79], -v[101:102]
	v_add_f64_e32 v[75:76], v[75:76], v[78:79]
	s_delay_alu instid0(VALU_DEP_1) | instskip(SKIP_1) | instid1(VALU_DEP_1)
	v_add_f64_e32 v[75:76], v[107:108], v[75:76]
	s_wait_alu 0xfffe
	v_cndmask_b32_e64 v75, 0, v75, s16
	v_cmp_neq_f64_e64 s16, -1.0, v[69:70]
	s_delay_alu instid0(VALU_DEP_3) | instskip(SKIP_1) | instid1(VALU_DEP_1)
	v_cndmask_b32_e64 v76, 0x7ff00000, v76, s17
	s_wait_alu 0xf1ff
	v_cndmask_b32_e64 v76, 0x7ff80000, v76, s18
	s_delay_alu instid0(VALU_DEP_1) | instskip(NEXT) | instid1(VALU_DEP_1)
	v_cndmask_b32_e64 v76, 0xfff00000, v76, s16
	v_add_f64_e32 v[69:70], v[73:74], v[75:76]
.LBB6_265:
	s_wait_alu 0xfffe
	s_or_b32 exec_lo, exec_lo, s25
.LBB6_266:
	s_wait_alu 0xfffe
	s_or_b32 exec_lo, exec_lo, s24
	v_add_nc_u32_e32 v73, -1, v77
	s_delay_alu instid0(VALU_DEP_1) | instskip(SKIP_1) | instid1(VALU_DEP_1)
	v_cmp_gt_i32_e64 s16, 0, v73
	s_wait_alu 0xf1ff
	v_cndmask_b32_e64 v73, v73, v77, s16
	s_delay_alu instid0(VALU_DEP_1)
	v_lshlrev_b32_e32 v73, 2, v73
	ds_bpermute_b32 v69, v73, v69
	ds_bpermute_b32 v70, v73, v70
	s_and_saveexec_b32 s24, vcc_lo
	s_cbranch_execz .LBB6_270
; %bb.267:
	v_cmp_eq_u32_e32 vcc_lo, 0, v77
	s_wait_dscnt 0x0
	v_dual_cndmask_b32 v70, v70, v72 :: v_dual_cndmask_b32 v69, v69, v71
	s_delay_alu instid0(VALU_DEP_1) | instskip(SKIP_1) | instid1(VALU_DEP_2)
	v_max_num_f64_e32 v[35:36], v[69:70], v[69:70]
	v_cmp_u_f64_e32 vcc_lo, v[69:70], v[69:70]
	v_min_num_f64_e32 v[67:68], v[35:36], v[33:34]
	v_max_num_f64_e32 v[33:34], v[35:36], v[33:34]
	s_wait_alu 0xfffd
	s_delay_alu instid0(VALU_DEP_2) | instskip(NEXT) | instid1(VALU_DEP_2)
	v_dual_cndmask_b32 v35, v68, v70 :: v_dual_cndmask_b32 v36, v67, v69
	v_dual_cndmask_b32 v67, v34, v70 :: v_dual_cndmask_b32 v68, v33, v69
	s_delay_alu instid0(VALU_DEP_2) | instskip(NEXT) | instid1(VALU_DEP_3)
	v_cndmask_b32_e64 v34, v35, v2, s15
	v_cndmask_b32_e64 v33, v36, v1, s15
	s_delay_alu instid0(VALU_DEP_3) | instskip(NEXT) | instid1(VALU_DEP_4)
	v_cndmask_b32_e64 v2, v67, v2, s15
	v_cndmask_b32_e64 v1, v68, v1, s15
	s_delay_alu instid0(VALU_DEP_3) | instskip(NEXT) | instid1(VALU_DEP_2)
	v_cmp_class_f64_e64 s15, v[33:34], 0x1f8
	v_cmp_neq_f64_e32 vcc_lo, v[33:34], v[1:2]
	s_or_b32 s15, vcc_lo, s15
	s_wait_alu 0xfffe
	s_and_saveexec_b32 s25, s15
	s_cbranch_execz .LBB6_269
; %bb.268:
	v_add_f64_e64 v[33:34], v[33:34], -v[1:2]
	s_mov_b32 s16, 0x652b82fe
	s_mov_b32 s17, 0x3ff71547
	;; [unrolled: 1-line block ×10, first 2 shown]
	s_wait_alu 0xfffe
	s_delay_alu instid0(VALU_DEP_1) | instskip(SKIP_4) | instid1(VALU_DEP_3)
	v_mul_f64_e32 v[35:36], s[16:17], v[33:34]
	s_mov_b32 s17, 0xbfe62e42
	s_mov_b32 s16, 0xfefa39ef
	v_cmp_nlt_f64_e32 vcc_lo, 0x40900000, v[33:34]
	v_cmp_ngt_f64_e64 s15, 0xc090cc00, v[33:34]
	v_rndne_f64_e32 v[35:36], v[35:36]
	s_wait_alu 0xfffe
	s_delay_alu instid0(VALU_DEP_1) | instskip(SKIP_2) | instid1(VALU_DEP_2)
	v_fma_f64 v[67:68], v[35:36], s[16:17], v[33:34]
	v_cvt_i32_f64_e32 v71, v[35:36]
	s_mov_b32 s17, 0x3fe62e42
	v_fma_f64 v[67:68], v[35:36], s[18:19], v[67:68]
	s_mov_b32 s19, 0x3c7abc9e
	s_delay_alu instid0(VALU_DEP_1)
	v_fma_f64 v[69:70], v[67:68], s[36:37], s[20:21]
	s_mov_b32 s20, 0x623fde64
	s_mov_b32 s21, 0x3ec71dee
	;; [unrolled: 1-line block ×4, first 2 shown]
	s_wait_alu 0xfffe
	s_delay_alu instid0(VALU_DEP_1) | instskip(SKIP_3) | instid1(VALU_DEP_1)
	v_fma_f64 v[69:70], v[67:68], v[69:70], s[20:21]
	s_mov_b32 s20, 0x7c89e6b0
	s_mov_b32 s21, 0x3efa0199
	s_wait_alu 0xfffe
	v_fma_f64 v[69:70], v[67:68], v[69:70], s[20:21]
	s_mov_b32 s20, 0x14761f6e
	s_mov_b32 s21, 0x3f2a01a0
	s_wait_alu 0xfffe
	s_delay_alu instid0(VALU_DEP_1) | instskip(SKIP_3) | instid1(VALU_DEP_1)
	v_fma_f64 v[69:70], v[67:68], v[69:70], s[20:21]
	s_mov_b32 s20, 0x1852b7b0
	s_mov_b32 s21, 0x3f56c16c
	s_wait_alu 0xfffe
	v_fma_f64 v[69:70], v[67:68], v[69:70], s[20:21]
	s_mov_b32 s20, 0x11122322
	s_mov_b32 s21, 0x3f811111
	;; [unrolled: 9-line block ×4, first 2 shown]
	s_delay_alu instid0(VALU_DEP_1) | instskip(NEXT) | instid1(VALU_DEP_1)
	v_fma_f64 v[69:70], v[67:68], v[69:70], 1.0
	v_fma_f64 v[35:36], v[67:68], v[69:70], 1.0
	s_delay_alu instid0(VALU_DEP_1) | instskip(SKIP_1) | instid1(VALU_DEP_1)
	v_ldexp_f64 v[35:36], v[35:36], v71
	s_wait_alu 0xfffd
	v_cndmask_b32_e32 v36, 0x7ff00000, v36, vcc_lo
	s_and_b32 vcc_lo, s15, vcc_lo
	s_wait_alu 0xfffe
	s_delay_alu instid0(VALU_DEP_2) | instskip(NEXT) | instid1(VALU_DEP_2)
	v_cndmask_b32_e32 v33, 0, v35, vcc_lo
	v_cndmask_b32_e64 v34, 0, v36, s15
	s_delay_alu instid0(VALU_DEP_1) | instskip(SKIP_1) | instid1(VALU_DEP_2)
	v_add_f64_e32 v[35:36], 1.0, v[33:34]
	v_cmp_neq_f64_e64 s15, 0x7ff00000, v[33:34]
	v_frexp_mant_f64_e32 v[67:68], v[35:36]
	v_frexp_exp_i32_f64_e32 v71, v[35:36]
	v_add_f64_e32 v[69:70], -1.0, v[35:36]
	s_delay_alu instid0(VALU_DEP_3) | instskip(SKIP_1) | instid1(VALU_DEP_2)
	v_cmp_gt_f64_e32 vcc_lo, s[20:21], v[67:68]
	s_mov_b32 s20, 0x55555780
	v_add_f64_e64 v[67:68], v[69:70], -v[35:36]
	v_add_f64_e64 v[69:70], v[33:34], -v[69:70]
	s_wait_alu 0xfffd
	v_subrev_co_ci_u32_e64 v105, null, 0, v71, vcc_lo
	s_delay_alu instid0(VALU_DEP_3) | instskip(SKIP_1) | instid1(VALU_DEP_3)
	v_add_f64_e32 v[67:68], 1.0, v[67:68]
	v_cmp_nge_f64_e32 vcc_lo, -1.0, v[33:34]
	v_sub_nc_u32_e32 v73, 0, v105
	s_delay_alu instid0(VALU_DEP_1) | instskip(NEXT) | instid1(VALU_DEP_4)
	v_ldexp_f64 v[35:36], v[35:36], v73
	v_add_f64_e32 v[67:68], v[69:70], v[67:68]
	s_and_b32 vcc_lo, vcc_lo, s15
	s_delay_alu instid0(VALU_DEP_2) | instskip(SKIP_1) | instid1(VALU_DEP_3)
	v_add_f64_e32 v[71:72], 1.0, v[35:36]
	v_add_f64_e32 v[77:78], -1.0, v[35:36]
	v_ldexp_f64 v[67:68], v[67:68], v73
	s_delay_alu instid0(VALU_DEP_3) | instskip(NEXT) | instid1(VALU_DEP_3)
	v_add_f64_e32 v[69:70], -1.0, v[71:72]
	v_add_f64_e32 v[79:80], 1.0, v[77:78]
	s_delay_alu instid0(VALU_DEP_2) | instskip(NEXT) | instid1(VALU_DEP_2)
	v_add_f64_e64 v[69:70], v[35:36], -v[69:70]
	v_add_f64_e64 v[35:36], v[35:36], -v[79:80]
	s_delay_alu instid0(VALU_DEP_2) | instskip(NEXT) | instid1(VALU_DEP_2)
	v_add_f64_e32 v[69:70], v[67:68], v[69:70]
	v_add_f64_e32 v[35:36], v[67:68], v[35:36]
	s_delay_alu instid0(VALU_DEP_2) | instskip(NEXT) | instid1(VALU_DEP_2)
	v_add_f64_e32 v[73:74], v[71:72], v[69:70]
	v_add_f64_e32 v[79:80], v[77:78], v[35:36]
	s_delay_alu instid0(VALU_DEP_2) | instskip(SKIP_1) | instid1(VALU_DEP_2)
	v_rcp_f64_e32 v[75:76], v[73:74]
	v_add_f64_e64 v[71:72], v[73:74], -v[71:72]
	v_add_f64_e64 v[77:78], v[79:80], -v[77:78]
	s_delay_alu instid0(VALU_DEP_2) | instskip(NEXT) | instid1(TRANS32_DEP_1)
	v_add_f64_e64 v[69:70], v[69:70], -v[71:72]
	v_fma_f64 v[81:82], -v[73:74], v[75:76], 1.0
	s_delay_alu instid0(VALU_DEP_3) | instskip(NEXT) | instid1(VALU_DEP_2)
	v_add_f64_e64 v[35:36], v[35:36], -v[77:78]
	v_fma_f64 v[75:76], v[81:82], v[75:76], v[75:76]
	s_delay_alu instid0(VALU_DEP_1) | instskip(NEXT) | instid1(VALU_DEP_1)
	v_fma_f64 v[67:68], -v[73:74], v[75:76], 1.0
	v_fma_f64 v[67:68], v[67:68], v[75:76], v[75:76]
	s_delay_alu instid0(VALU_DEP_1) | instskip(NEXT) | instid1(VALU_DEP_1)
	v_mul_f64_e32 v[75:76], v[79:80], v[67:68]
	v_mul_f64_e32 v[81:82], v[73:74], v[75:76]
	s_delay_alu instid0(VALU_DEP_1) | instskip(NEXT) | instid1(VALU_DEP_1)
	v_fma_f64 v[71:72], v[75:76], v[73:74], -v[81:82]
	v_fma_f64 v[71:72], v[75:76], v[69:70], v[71:72]
	s_delay_alu instid0(VALU_DEP_1) | instskip(NEXT) | instid1(VALU_DEP_1)
	v_add_f64_e32 v[101:102], v[81:82], v[71:72]
	v_add_f64_e64 v[103:104], v[79:80], -v[101:102]
	v_add_f64_e64 v[77:78], v[101:102], -v[81:82]
	s_delay_alu instid0(VALU_DEP_2) | instskip(NEXT) | instid1(VALU_DEP_2)
	v_add_f64_e64 v[79:80], v[79:80], -v[103:104]
	v_add_f64_e64 v[71:72], v[77:78], -v[71:72]
	s_delay_alu instid0(VALU_DEP_2) | instskip(NEXT) | instid1(VALU_DEP_1)
	v_add_f64_e64 v[79:80], v[79:80], -v[101:102]
	v_add_f64_e32 v[35:36], v[35:36], v[79:80]
	s_delay_alu instid0(VALU_DEP_1) | instskip(NEXT) | instid1(VALU_DEP_1)
	v_add_f64_e32 v[35:36], v[71:72], v[35:36]
	v_add_f64_e32 v[71:72], v[103:104], v[35:36]
	s_delay_alu instid0(VALU_DEP_1) | instskip(SKIP_1) | instid1(VALU_DEP_2)
	v_mul_f64_e32 v[77:78], v[67:68], v[71:72]
	v_add_f64_e64 v[101:102], v[103:104], -v[71:72]
	v_mul_f64_e32 v[79:80], v[73:74], v[77:78]
	s_delay_alu instid0(VALU_DEP_2) | instskip(NEXT) | instid1(VALU_DEP_2)
	v_add_f64_e32 v[35:36], v[35:36], v[101:102]
	v_fma_f64 v[73:74], v[77:78], v[73:74], -v[79:80]
	s_delay_alu instid0(VALU_DEP_1) | instskip(NEXT) | instid1(VALU_DEP_1)
	v_fma_f64 v[69:70], v[77:78], v[69:70], v[73:74]
	v_add_f64_e32 v[73:74], v[79:80], v[69:70]
	s_delay_alu instid0(VALU_DEP_1) | instskip(SKIP_1) | instid1(VALU_DEP_2)
	v_add_f64_e64 v[81:82], v[71:72], -v[73:74]
	v_add_f64_e64 v[79:80], v[73:74], -v[79:80]
	;; [unrolled: 1-line block ×3, first 2 shown]
	s_delay_alu instid0(VALU_DEP_2) | instskip(NEXT) | instid1(VALU_DEP_2)
	v_add_f64_e64 v[69:70], v[79:80], -v[69:70]
	v_add_f64_e64 v[71:72], v[71:72], -v[73:74]
	s_delay_alu instid0(VALU_DEP_1) | instskip(SKIP_1) | instid1(VALU_DEP_2)
	v_add_f64_e32 v[35:36], v[35:36], v[71:72]
	v_add_f64_e32 v[71:72], v[75:76], v[77:78]
	;; [unrolled: 1-line block ×3, first 2 shown]
	s_delay_alu instid0(VALU_DEP_2) | instskip(NEXT) | instid1(VALU_DEP_2)
	v_add_f64_e64 v[69:70], v[71:72], -v[75:76]
	v_add_f64_e32 v[35:36], v[81:82], v[35:36]
	s_delay_alu instid0(VALU_DEP_2) | instskip(NEXT) | instid1(VALU_DEP_2)
	v_add_f64_e64 v[69:70], v[77:78], -v[69:70]
	v_mul_f64_e32 v[35:36], v[67:68], v[35:36]
	s_delay_alu instid0(VALU_DEP_1) | instskip(NEXT) | instid1(VALU_DEP_1)
	v_add_f64_e32 v[35:36], v[69:70], v[35:36]
	v_add_f64_e32 v[67:68], v[71:72], v[35:36]
	s_delay_alu instid0(VALU_DEP_1) | instskip(NEXT) | instid1(VALU_DEP_1)
	v_mul_f64_e32 v[69:70], v[67:68], v[67:68]
	v_fma_f64 v[73:74], v[69:70], s[38:39], s[36:37]
	s_mov_b32 s36, 0xd7f4df2e
	s_mov_b32 s37, 0x3fc7474d
	v_mul_f64_e32 v[75:76], v[67:68], v[69:70]
	s_wait_alu 0xfffe
	s_delay_alu instid0(VALU_DEP_2) | instskip(SKIP_3) | instid1(VALU_DEP_1)
	v_fma_f64 v[73:74], v[69:70], v[73:74], s[36:37]
	s_mov_b32 s36, 0x16291751
	s_mov_b32 s37, 0x3fcc71c0
	s_wait_alu 0xfffe
	v_fma_f64 v[73:74], v[69:70], v[73:74], s[36:37]
	s_mov_b32 s36, 0x9b27acf1
	s_mov_b32 s37, 0x3fd24924
	s_wait_alu 0xfffe
	s_delay_alu instid0(VALU_DEP_1) | instskip(SKIP_3) | instid1(VALU_DEP_1)
	v_fma_f64 v[73:74], v[69:70], v[73:74], s[36:37]
	s_mov_b32 s36, 0x998ef7b6
	s_mov_b32 s37, 0x3fd99999
	s_wait_alu 0xfffe
	v_fma_f64 v[73:74], v[69:70], v[73:74], s[36:37]
	s_delay_alu instid0(VALU_DEP_1) | instskip(SKIP_2) | instid1(VALU_DEP_3)
	v_fma_f64 v[69:70], v[69:70], v[73:74], s[20:21]
	v_ldexp_f64 v[73:74], v[67:68], 1
	v_add_f64_e64 v[67:68], v[67:68], -v[71:72]
	v_mul_f64_e32 v[69:70], v[75:76], v[69:70]
	v_cvt_f64_i32_e32 v[75:76], v105
	s_delay_alu instid0(VALU_DEP_3) | instskip(NEXT) | instid1(VALU_DEP_3)
	v_add_f64_e64 v[35:36], v[35:36], -v[67:68]
	v_add_f64_e32 v[71:72], v[73:74], v[69:70]
	s_delay_alu instid0(VALU_DEP_3) | instskip(NEXT) | instid1(VALU_DEP_3)
	v_mul_f64_e32 v[77:78], s[16:17], v[75:76]
	v_ldexp_f64 v[35:36], v[35:36], 1
	s_delay_alu instid0(VALU_DEP_3) | instskip(NEXT) | instid1(VALU_DEP_3)
	v_add_f64_e64 v[67:68], v[71:72], -v[73:74]
	v_fma_f64 v[73:74], v[75:76], s[16:17], -v[77:78]
	v_cmp_ngt_f64_e64 s16, -1.0, v[33:34]
	s_delay_alu instid0(VALU_DEP_3) | instskip(NEXT) | instid1(VALU_DEP_3)
	v_add_f64_e64 v[67:68], v[69:70], -v[67:68]
	v_fma_f64 v[69:70], v[75:76], s[18:19], v[73:74]
	s_delay_alu instid0(VALU_DEP_2) | instskip(NEXT) | instid1(VALU_DEP_2)
	v_add_f64_e32 v[35:36], v[35:36], v[67:68]
	v_add_f64_e32 v[67:68], v[77:78], v[69:70]
	s_delay_alu instid0(VALU_DEP_2) | instskip(NEXT) | instid1(VALU_DEP_2)
	v_add_f64_e32 v[73:74], v[71:72], v[35:36]
	v_add_f64_e64 v[77:78], v[67:68], -v[77:78]
	s_delay_alu instid0(VALU_DEP_2) | instskip(SKIP_1) | instid1(VALU_DEP_3)
	v_add_f64_e32 v[75:76], v[67:68], v[73:74]
	v_add_f64_e64 v[71:72], v[73:74], -v[71:72]
	v_add_f64_e64 v[69:70], v[69:70], -v[77:78]
	s_delay_alu instid0(VALU_DEP_3) | instskip(NEXT) | instid1(VALU_DEP_3)
	v_add_f64_e64 v[79:80], v[75:76], -v[67:68]
	v_add_f64_e64 v[35:36], v[35:36], -v[71:72]
	s_delay_alu instid0(VALU_DEP_2) | instskip(SKIP_1) | instid1(VALU_DEP_3)
	v_add_f64_e64 v[81:82], v[75:76], -v[79:80]
	v_add_f64_e64 v[71:72], v[73:74], -v[79:80]
	v_add_f64_e32 v[73:74], v[69:70], v[35:36]
	s_delay_alu instid0(VALU_DEP_3) | instskip(NEXT) | instid1(VALU_DEP_1)
	v_add_f64_e64 v[67:68], v[67:68], -v[81:82]
	v_add_f64_e32 v[67:68], v[71:72], v[67:68]
	s_delay_alu instid0(VALU_DEP_3) | instskip(NEXT) | instid1(VALU_DEP_2)
	v_add_f64_e64 v[71:72], v[73:74], -v[69:70]
	v_add_f64_e32 v[67:68], v[73:74], v[67:68]
	s_delay_alu instid0(VALU_DEP_2) | instskip(SKIP_1) | instid1(VALU_DEP_3)
	v_add_f64_e64 v[73:74], v[73:74], -v[71:72]
	v_add_f64_e64 v[35:36], v[35:36], -v[71:72]
	v_add_f64_e32 v[77:78], v[75:76], v[67:68]
	s_delay_alu instid0(VALU_DEP_3) | instskip(NEXT) | instid1(VALU_DEP_2)
	v_add_f64_e64 v[69:70], v[69:70], -v[73:74]
	v_add_f64_e64 v[71:72], v[77:78], -v[75:76]
	s_delay_alu instid0(VALU_DEP_2) | instskip(NEXT) | instid1(VALU_DEP_2)
	v_add_f64_e32 v[35:36], v[35:36], v[69:70]
	v_add_f64_e64 v[67:68], v[67:68], -v[71:72]
	s_delay_alu instid0(VALU_DEP_1) | instskip(NEXT) | instid1(VALU_DEP_1)
	v_add_f64_e32 v[35:36], v[35:36], v[67:68]
	v_add_f64_e32 v[35:36], v[77:78], v[35:36]
	s_delay_alu instid0(VALU_DEP_1) | instskip(SKIP_1) | instid1(VALU_DEP_3)
	v_cndmask_b32_e32 v35, 0, v35, vcc_lo
	v_cmp_neq_f64_e32 vcc_lo, -1.0, v[33:34]
	v_cndmask_b32_e64 v36, 0x7ff00000, v36, s15
	s_wait_alu 0xf1ff
	s_delay_alu instid0(VALU_DEP_1) | instskip(SKIP_1) | instid1(VALU_DEP_1)
	v_cndmask_b32_e64 v36, 0x7ff80000, v36, s16
	s_wait_alu 0xfffd
	v_cndmask_b32_e32 v36, 0xfff00000, v36, vcc_lo
	s_delay_alu instid0(VALU_DEP_1)
	v_add_f64_e32 v[69:70], v[1:2], v[35:36]
.LBB6_269:
	s_wait_alu 0xfffe
	s_or_b32 exec_lo, exec_lo, s25
	s_delay_alu instid0(VALU_DEP_1) | instskip(SKIP_1) | instid1(VALU_DEP_1)
	v_max_num_f64_e32 v[1:2], v[69:70], v[69:70]
	;;#ASMSTART
	;;#ASMEND
	v_min_num_f64_e32 v[35:36], v[1:2], v[65:66]
	v_max_num_f64_e32 v[67:68], v[1:2], v[65:66]
	v_dual_mov_b32 v1, v69 :: v_dual_mov_b32 v2, v70
.LBB6_270:
	s_wait_alu 0xfffe
	s_or_b32 exec_lo, exec_lo, s24
	s_delay_alu instid0(VALU_DEP_1) | instskip(SKIP_1) | instid1(VALU_DEP_4)
	v_cmp_u_f64_e32 vcc_lo, v[1:2], v[1:2]
	s_wait_alu 0xfffd
	v_dual_cndmask_b32 v33, v35, v1 :: v_dual_cndmask_b32 v34, v36, v2
	s_delay_alu instid0(VALU_DEP_4) | instskip(NEXT) | instid1(VALU_DEP_2)
	v_dual_cndmask_b32 v65, v68, v2 :: v_dual_cndmask_b32 v66, v67, v1
	v_cndmask_b32_e64 v35, v33, v3, s0
	s_delay_alu instid0(VALU_DEP_3) | instskip(NEXT) | instid1(VALU_DEP_3)
	v_cndmask_b32_e64 v36, v34, v4, s0
	v_cndmask_b32_e64 v34, v65, v4, s0
	s_delay_alu instid0(VALU_DEP_4) | instskip(SKIP_1) | instid1(VALU_DEP_4)
	v_cndmask_b32_e64 v33, v66, v3, s0
	v_dual_mov_b32 v4, v2 :: v_dual_mov_b32 v3, v1
	v_cmp_class_f64_e64 s0, v[35:36], 0x1f8
	s_delay_alu instid0(VALU_DEP_3)
	v_cmp_neq_f64_e32 vcc_lo, v[35:36], v[33:34]
	s_or_b32 s0, vcc_lo, s0
	s_wait_alu 0xfffe
	s_and_saveexec_b32 s24, s0
	s_cbranch_execz .LBB6_272
; %bb.271:
	v_add_f64_e64 v[3:4], v[35:36], -v[33:34]
	s_mov_b32 s16, 0x652b82fe
	s_mov_b32 s17, 0x3ff71547
	;; [unrolled: 1-line block ×10, first 2 shown]
	s_wait_alu 0xfffe
	s_delay_alu instid0(VALU_DEP_1) | instskip(SKIP_4) | instid1(VALU_DEP_3)
	v_mul_f64_e32 v[35:36], s[16:17], v[3:4]
	s_mov_b32 s17, 0xbfe62e42
	s_mov_b32 s16, 0xfefa39ef
	v_cmp_nlt_f64_e32 vcc_lo, 0x40900000, v[3:4]
	v_cmp_ngt_f64_e64 s0, 0xc090cc00, v[3:4]
	v_rndne_f64_e32 v[35:36], v[35:36]
	s_wait_alu 0xfffe
	s_delay_alu instid0(VALU_DEP_1) | instskip(SKIP_3) | instid1(VALU_DEP_2)
	v_fma_f64 v[65:66], v[35:36], s[16:17], v[3:4]
	s_wait_dscnt 0x1
	v_cvt_i32_f64_e32 v69, v[35:36]
	s_mov_b32 s17, 0x3fe62e42
	v_fma_f64 v[65:66], v[35:36], s[18:19], v[65:66]
	s_mov_b32 s19, 0x3c7abc9e
	s_delay_alu instid0(VALU_DEP_1)
	v_fma_f64 v[67:68], v[65:66], s[36:37], s[20:21]
	s_mov_b32 s20, 0x623fde64
	s_mov_b32 s21, 0x3ec71dee
	;; [unrolled: 1-line block ×4, first 2 shown]
	s_wait_alu 0xfffe
	s_delay_alu instid0(VALU_DEP_1) | instskip(SKIP_3) | instid1(VALU_DEP_1)
	v_fma_f64 v[67:68], v[65:66], v[67:68], s[20:21]
	s_mov_b32 s20, 0x7c89e6b0
	s_mov_b32 s21, 0x3efa0199
	s_wait_alu 0xfffe
	v_fma_f64 v[67:68], v[65:66], v[67:68], s[20:21]
	s_mov_b32 s20, 0x14761f6e
	s_mov_b32 s21, 0x3f2a01a0
	s_wait_alu 0xfffe
	s_delay_alu instid0(VALU_DEP_1) | instskip(SKIP_3) | instid1(VALU_DEP_1)
	v_fma_f64 v[67:68], v[65:66], v[67:68], s[20:21]
	s_mov_b32 s20, 0x1852b7b0
	s_mov_b32 s21, 0x3f56c16c
	s_wait_alu 0xfffe
	v_fma_f64 v[67:68], v[65:66], v[67:68], s[20:21]
	s_mov_b32 s20, 0x11122322
	s_mov_b32 s21, 0x3f811111
	;; [unrolled: 9-line block ×4, first 2 shown]
	s_delay_alu instid0(VALU_DEP_1) | instskip(NEXT) | instid1(VALU_DEP_1)
	v_fma_f64 v[67:68], v[65:66], v[67:68], 1.0
	v_fma_f64 v[35:36], v[65:66], v[67:68], 1.0
	s_delay_alu instid0(VALU_DEP_1) | instskip(SKIP_1) | instid1(VALU_DEP_1)
	v_ldexp_f64 v[35:36], v[35:36], v69
	s_wait_alu 0xfffd
	v_cndmask_b32_e32 v36, 0x7ff00000, v36, vcc_lo
	s_and_b32 vcc_lo, s0, vcc_lo
	s_wait_alu 0xfffe
	s_delay_alu instid0(VALU_DEP_2) | instskip(NEXT) | instid1(VALU_DEP_2)
	v_cndmask_b32_e32 v3, 0, v35, vcc_lo
	v_cndmask_b32_e64 v4, 0, v36, s0
	s_delay_alu instid0(VALU_DEP_1) | instskip(SKIP_2) | instid1(VALU_DEP_3)
	v_add_f64_e32 v[35:36], 1.0, v[3:4]
	v_cmp_neq_f64_e64 s0, 0x7ff00000, v[3:4]
	v_cmp_ngt_f64_e64 s15, -1.0, v[3:4]
	v_frexp_mant_f64_e32 v[65:66], v[35:36]
	v_frexp_exp_i32_f64_e32 v69, v[35:36]
	v_add_f64_e32 v[67:68], -1.0, v[35:36]
	s_delay_alu instid0(VALU_DEP_3) | instskip(SKIP_1) | instid1(VALU_DEP_2)
	v_cmp_gt_f64_e32 vcc_lo, s[20:21], v[65:66]
	s_mov_b32 s20, 0x55555780
	v_add_f64_e64 v[65:66], v[67:68], -v[35:36]
	v_add_f64_e64 v[67:68], v[3:4], -v[67:68]
	s_wait_alu 0xfffd
	v_subrev_co_ci_u32_e64 v103, null, 0, v69, vcc_lo
	s_delay_alu instid0(VALU_DEP_3) | instskip(SKIP_1) | instid1(VALU_DEP_3)
	v_add_f64_e32 v[65:66], 1.0, v[65:66]
	v_cmp_nge_f64_e32 vcc_lo, -1.0, v[3:4]
	v_sub_nc_u32_e32 v71, 0, v103
	s_delay_alu instid0(VALU_DEP_1) | instskip(NEXT) | instid1(VALU_DEP_4)
	v_ldexp_f64 v[35:36], v[35:36], v71
	v_add_f64_e32 v[65:66], v[67:68], v[65:66]
	s_and_b32 vcc_lo, vcc_lo, s0
	s_wait_dscnt 0x0
	s_delay_alu instid0(VALU_DEP_2) | instskip(SKIP_1) | instid1(VALU_DEP_3)
	v_add_f64_e32 v[69:70], 1.0, v[35:36]
	v_add_f64_e32 v[75:76], -1.0, v[35:36]
	v_ldexp_f64 v[65:66], v[65:66], v71
	s_delay_alu instid0(VALU_DEP_3) | instskip(NEXT) | instid1(VALU_DEP_3)
	v_add_f64_e32 v[67:68], -1.0, v[69:70]
	v_add_f64_e32 v[77:78], 1.0, v[75:76]
	s_delay_alu instid0(VALU_DEP_2) | instskip(NEXT) | instid1(VALU_DEP_2)
	v_add_f64_e64 v[67:68], v[35:36], -v[67:68]
	v_add_f64_e64 v[35:36], v[35:36], -v[77:78]
	s_delay_alu instid0(VALU_DEP_2) | instskip(NEXT) | instid1(VALU_DEP_2)
	v_add_f64_e32 v[67:68], v[65:66], v[67:68]
	v_add_f64_e32 v[35:36], v[65:66], v[35:36]
	s_delay_alu instid0(VALU_DEP_2) | instskip(NEXT) | instid1(VALU_DEP_2)
	v_add_f64_e32 v[71:72], v[69:70], v[67:68]
	v_add_f64_e32 v[77:78], v[75:76], v[35:36]
	s_delay_alu instid0(VALU_DEP_2) | instskip(SKIP_1) | instid1(VALU_DEP_2)
	v_rcp_f64_e32 v[73:74], v[71:72]
	v_add_f64_e64 v[69:70], v[71:72], -v[69:70]
	v_add_f64_e64 v[75:76], v[77:78], -v[75:76]
	s_delay_alu instid0(VALU_DEP_2) | instskip(NEXT) | instid1(TRANS32_DEP_1)
	v_add_f64_e64 v[67:68], v[67:68], -v[69:70]
	v_fma_f64 v[79:80], -v[71:72], v[73:74], 1.0
	s_delay_alu instid0(VALU_DEP_3) | instskip(NEXT) | instid1(VALU_DEP_2)
	v_add_f64_e64 v[35:36], v[35:36], -v[75:76]
	v_fma_f64 v[73:74], v[79:80], v[73:74], v[73:74]
	s_delay_alu instid0(VALU_DEP_1) | instskip(NEXT) | instid1(VALU_DEP_1)
	v_fma_f64 v[65:66], -v[71:72], v[73:74], 1.0
	v_fma_f64 v[65:66], v[65:66], v[73:74], v[73:74]
	s_delay_alu instid0(VALU_DEP_1) | instskip(NEXT) | instid1(VALU_DEP_1)
	v_mul_f64_e32 v[73:74], v[77:78], v[65:66]
	v_mul_f64_e32 v[79:80], v[71:72], v[73:74]
	s_delay_alu instid0(VALU_DEP_1) | instskip(NEXT) | instid1(VALU_DEP_1)
	v_fma_f64 v[69:70], v[73:74], v[71:72], -v[79:80]
	v_fma_f64 v[69:70], v[73:74], v[67:68], v[69:70]
	s_delay_alu instid0(VALU_DEP_1) | instskip(NEXT) | instid1(VALU_DEP_1)
	v_add_f64_e32 v[81:82], v[79:80], v[69:70]
	v_add_f64_e64 v[101:102], v[77:78], -v[81:82]
	v_add_f64_e64 v[75:76], v[81:82], -v[79:80]
	s_delay_alu instid0(VALU_DEP_2) | instskip(NEXT) | instid1(VALU_DEP_2)
	v_add_f64_e64 v[77:78], v[77:78], -v[101:102]
	v_add_f64_e64 v[69:70], v[75:76], -v[69:70]
	s_delay_alu instid0(VALU_DEP_2) | instskip(NEXT) | instid1(VALU_DEP_1)
	v_add_f64_e64 v[77:78], v[77:78], -v[81:82]
	v_add_f64_e32 v[35:36], v[35:36], v[77:78]
	s_delay_alu instid0(VALU_DEP_1) | instskip(NEXT) | instid1(VALU_DEP_1)
	v_add_f64_e32 v[35:36], v[69:70], v[35:36]
	v_add_f64_e32 v[69:70], v[101:102], v[35:36]
	s_delay_alu instid0(VALU_DEP_1) | instskip(SKIP_1) | instid1(VALU_DEP_2)
	v_mul_f64_e32 v[75:76], v[65:66], v[69:70]
	v_add_f64_e64 v[81:82], v[101:102], -v[69:70]
	v_mul_f64_e32 v[77:78], v[71:72], v[75:76]
	s_delay_alu instid0(VALU_DEP_2) | instskip(NEXT) | instid1(VALU_DEP_2)
	v_add_f64_e32 v[35:36], v[35:36], v[81:82]
	v_fma_f64 v[71:72], v[75:76], v[71:72], -v[77:78]
	s_delay_alu instid0(VALU_DEP_1) | instskip(NEXT) | instid1(VALU_DEP_1)
	v_fma_f64 v[67:68], v[75:76], v[67:68], v[71:72]
	v_add_f64_e32 v[71:72], v[77:78], v[67:68]
	s_delay_alu instid0(VALU_DEP_1) | instskip(SKIP_1) | instid1(VALU_DEP_2)
	v_add_f64_e64 v[79:80], v[69:70], -v[71:72]
	v_add_f64_e64 v[77:78], v[71:72], -v[77:78]
	;; [unrolled: 1-line block ×3, first 2 shown]
	s_delay_alu instid0(VALU_DEP_2) | instskip(NEXT) | instid1(VALU_DEP_2)
	v_add_f64_e64 v[67:68], v[77:78], -v[67:68]
	v_add_f64_e64 v[69:70], v[69:70], -v[71:72]
	s_delay_alu instid0(VALU_DEP_1) | instskip(SKIP_1) | instid1(VALU_DEP_2)
	v_add_f64_e32 v[35:36], v[35:36], v[69:70]
	v_add_f64_e32 v[69:70], v[73:74], v[75:76]
	;; [unrolled: 1-line block ×3, first 2 shown]
	s_delay_alu instid0(VALU_DEP_2) | instskip(NEXT) | instid1(VALU_DEP_2)
	v_add_f64_e64 v[67:68], v[69:70], -v[73:74]
	v_add_f64_e32 v[35:36], v[79:80], v[35:36]
	s_delay_alu instid0(VALU_DEP_2) | instskip(NEXT) | instid1(VALU_DEP_2)
	v_add_f64_e64 v[67:68], v[75:76], -v[67:68]
	v_mul_f64_e32 v[35:36], v[65:66], v[35:36]
	s_delay_alu instid0(VALU_DEP_1) | instskip(NEXT) | instid1(VALU_DEP_1)
	v_add_f64_e32 v[35:36], v[67:68], v[35:36]
	v_add_f64_e32 v[65:66], v[69:70], v[35:36]
	s_delay_alu instid0(VALU_DEP_1) | instskip(NEXT) | instid1(VALU_DEP_1)
	v_mul_f64_e32 v[67:68], v[65:66], v[65:66]
	v_fma_f64 v[71:72], v[67:68], s[38:39], s[36:37]
	s_mov_b32 s36, 0xd7f4df2e
	s_mov_b32 s37, 0x3fc7474d
	v_mul_f64_e32 v[73:74], v[65:66], v[67:68]
	s_wait_alu 0xfffe
	s_delay_alu instid0(VALU_DEP_2) | instskip(SKIP_3) | instid1(VALU_DEP_1)
	v_fma_f64 v[71:72], v[67:68], v[71:72], s[36:37]
	s_mov_b32 s36, 0x16291751
	s_mov_b32 s37, 0x3fcc71c0
	s_wait_alu 0xfffe
	v_fma_f64 v[71:72], v[67:68], v[71:72], s[36:37]
	s_mov_b32 s36, 0x9b27acf1
	s_mov_b32 s37, 0x3fd24924
	s_wait_alu 0xfffe
	s_delay_alu instid0(VALU_DEP_1) | instskip(SKIP_3) | instid1(VALU_DEP_1)
	v_fma_f64 v[71:72], v[67:68], v[71:72], s[36:37]
	s_mov_b32 s36, 0x998ef7b6
	s_mov_b32 s37, 0x3fd99999
	s_wait_alu 0xfffe
	v_fma_f64 v[71:72], v[67:68], v[71:72], s[36:37]
	s_delay_alu instid0(VALU_DEP_1) | instskip(SKIP_2) | instid1(VALU_DEP_3)
	v_fma_f64 v[67:68], v[67:68], v[71:72], s[20:21]
	v_ldexp_f64 v[71:72], v[65:66], 1
	v_add_f64_e64 v[65:66], v[65:66], -v[69:70]
	v_mul_f64_e32 v[67:68], v[73:74], v[67:68]
	v_cvt_f64_i32_e32 v[73:74], v103
	s_delay_alu instid0(VALU_DEP_3) | instskip(NEXT) | instid1(VALU_DEP_3)
	v_add_f64_e64 v[35:36], v[35:36], -v[65:66]
	v_add_f64_e32 v[69:70], v[71:72], v[67:68]
	s_delay_alu instid0(VALU_DEP_3) | instskip(NEXT) | instid1(VALU_DEP_3)
	v_mul_f64_e32 v[75:76], s[16:17], v[73:74]
	v_ldexp_f64 v[35:36], v[35:36], 1
	s_delay_alu instid0(VALU_DEP_3) | instskip(NEXT) | instid1(VALU_DEP_3)
	v_add_f64_e64 v[65:66], v[69:70], -v[71:72]
	v_fma_f64 v[71:72], v[73:74], s[16:17], -v[75:76]
	s_delay_alu instid0(VALU_DEP_2) | instskip(NEXT) | instid1(VALU_DEP_2)
	v_add_f64_e64 v[65:66], v[67:68], -v[65:66]
	v_fma_f64 v[67:68], v[73:74], s[18:19], v[71:72]
	s_delay_alu instid0(VALU_DEP_2) | instskip(NEXT) | instid1(VALU_DEP_2)
	v_add_f64_e32 v[35:36], v[35:36], v[65:66]
	v_add_f64_e32 v[65:66], v[75:76], v[67:68]
	s_delay_alu instid0(VALU_DEP_2) | instskip(NEXT) | instid1(VALU_DEP_2)
	v_add_f64_e32 v[71:72], v[69:70], v[35:36]
	v_add_f64_e64 v[75:76], v[65:66], -v[75:76]
	s_delay_alu instid0(VALU_DEP_2) | instskip(SKIP_1) | instid1(VALU_DEP_3)
	v_add_f64_e32 v[73:74], v[65:66], v[71:72]
	v_add_f64_e64 v[69:70], v[71:72], -v[69:70]
	v_add_f64_e64 v[67:68], v[67:68], -v[75:76]
	s_delay_alu instid0(VALU_DEP_3) | instskip(NEXT) | instid1(VALU_DEP_3)
	v_add_f64_e64 v[77:78], v[73:74], -v[65:66]
	v_add_f64_e64 v[35:36], v[35:36], -v[69:70]
	s_delay_alu instid0(VALU_DEP_2) | instskip(SKIP_1) | instid1(VALU_DEP_3)
	v_add_f64_e64 v[79:80], v[73:74], -v[77:78]
	v_add_f64_e64 v[69:70], v[71:72], -v[77:78]
	v_add_f64_e32 v[71:72], v[67:68], v[35:36]
	s_delay_alu instid0(VALU_DEP_3) | instskip(NEXT) | instid1(VALU_DEP_1)
	v_add_f64_e64 v[65:66], v[65:66], -v[79:80]
	v_add_f64_e32 v[65:66], v[69:70], v[65:66]
	s_delay_alu instid0(VALU_DEP_3) | instskip(NEXT) | instid1(VALU_DEP_2)
	v_add_f64_e64 v[69:70], v[71:72], -v[67:68]
	v_add_f64_e32 v[65:66], v[71:72], v[65:66]
	s_delay_alu instid0(VALU_DEP_2) | instskip(SKIP_1) | instid1(VALU_DEP_3)
	v_add_f64_e64 v[71:72], v[71:72], -v[69:70]
	v_add_f64_e64 v[35:36], v[35:36], -v[69:70]
	v_add_f64_e32 v[75:76], v[73:74], v[65:66]
	s_delay_alu instid0(VALU_DEP_3) | instskip(NEXT) | instid1(VALU_DEP_2)
	v_add_f64_e64 v[67:68], v[67:68], -v[71:72]
	v_add_f64_e64 v[69:70], v[75:76], -v[73:74]
	s_delay_alu instid0(VALU_DEP_2) | instskip(NEXT) | instid1(VALU_DEP_2)
	v_add_f64_e32 v[35:36], v[35:36], v[67:68]
	v_add_f64_e64 v[65:66], v[65:66], -v[69:70]
	s_delay_alu instid0(VALU_DEP_1) | instskip(NEXT) | instid1(VALU_DEP_1)
	v_add_f64_e32 v[35:36], v[35:36], v[65:66]
	v_add_f64_e32 v[35:36], v[75:76], v[35:36]
	s_delay_alu instid0(VALU_DEP_1) | instskip(SKIP_1) | instid1(VALU_DEP_3)
	v_cndmask_b32_e32 v35, 0, v35, vcc_lo
	v_cmp_neq_f64_e32 vcc_lo, -1.0, v[3:4]
	v_cndmask_b32_e64 v36, 0x7ff00000, v36, s0
	s_delay_alu instid0(VALU_DEP_1) | instskip(SKIP_1) | instid1(VALU_DEP_1)
	v_cndmask_b32_e64 v36, 0x7ff80000, v36, s15
	s_wait_alu 0xfffd
	v_cndmask_b32_e32 v36, 0xfff00000, v36, vcc_lo
	s_delay_alu instid0(VALU_DEP_1)
	v_add_f64_e32 v[3:4], v[33:34], v[35:36]
.LBB6_272:
	s_wait_alu 0xfffe
	s_or_b32 exec_lo, exec_lo, s24
	s_delay_alu instid0(VALU_DEP_1) | instskip(SKIP_1) | instid1(VALU_DEP_2)
	v_max_num_f64_e32 v[33:34], v[3:4], v[3:4]
	v_cmp_u_f64_e32 vcc_lo, v[3:4], v[3:4]
	v_min_num_f64_e32 v[35:36], v[33:34], v[5:6]
	v_max_num_f64_e32 v[5:6], v[33:34], v[5:6]
	s_wait_alu 0xfffd
	s_delay_alu instid0(VALU_DEP_2) | instskip(NEXT) | instid1(VALU_DEP_2)
	v_dual_cndmask_b32 v33, v35, v3 :: v_dual_cndmask_b32 v34, v36, v4
	v_dual_cndmask_b32 v6, v6, v4 :: v_dual_cndmask_b32 v5, v5, v3
	s_delay_alu instid0(VALU_DEP_2) | instskip(NEXT) | instid1(VALU_DEP_3)
	v_cndmask_b32_e64 v35, v33, v61, s1
	v_cndmask_b32_e64 v36, v34, v62, s1
	s_delay_alu instid0(VALU_DEP_3) | instskip(NEXT) | instid1(VALU_DEP_4)
	v_cndmask_b32_e64 v34, v6, v62, s1
	v_cndmask_b32_e64 v33, v5, v61, s1
	v_dual_mov_b32 v6, v4 :: v_dual_mov_b32 v5, v3
	s_delay_alu instid0(VALU_DEP_4) | instskip(NEXT) | instid1(VALU_DEP_3)
	v_cmp_class_f64_e64 s0, v[35:36], 0x1f8
	v_cmp_neq_f64_e32 vcc_lo, v[35:36], v[33:34]
	s_or_b32 s0, vcc_lo, s0
	s_wait_alu 0xfffe
	s_and_saveexec_b32 s15, s0
	s_cbranch_execz .LBB6_274
; %bb.273:
	v_add_f64_e64 v[5:6], v[35:36], -v[33:34]
	s_mov_b32 s0, 0x652b82fe
	s_mov_b32 s1, 0x3ff71547
	;; [unrolled: 1-line block ×10, first 2 shown]
	s_wait_alu 0xfffe
	s_delay_alu instid0(VALU_DEP_1) | instskip(SKIP_3) | instid1(VALU_DEP_2)
	v_mul_f64_e32 v[35:36], s[0:1], v[5:6]
	s_mov_b32 s0, 0xfca7ab0c
	s_mov_b32 s1, 0x3e928af3
	v_cmp_nlt_f64_e32 vcc_lo, 0x40900000, v[5:6]
	v_rndne_f64_e32 v[35:36], v[35:36]
	s_delay_alu instid0(VALU_DEP_1) | instskip(SKIP_2) | instid1(VALU_DEP_2)
	v_fma_f64 v[61:62], v[35:36], s[16:17], v[5:6]
	v_cvt_i32_f64_e32 v67, v[35:36]
	s_mov_b32 s17, 0x3fe62e42
	v_fma_f64 v[61:62], v[35:36], s[18:19], v[61:62]
	s_mov_b32 s19, 0x3c7abc9e
	s_wait_alu 0xfffe
	s_delay_alu instid0(VALU_DEP_1)
	v_fma_f64 v[65:66], v[61:62], s[20:21], s[0:1]
	s_mov_b32 s0, 0x623fde64
	s_mov_b32 s1, 0x3ec71dee
	;; [unrolled: 1-line block ×4, first 2 shown]
	s_wait_alu 0xfffe
	s_delay_alu instid0(VALU_DEP_1) | instskip(SKIP_3) | instid1(VALU_DEP_1)
	v_fma_f64 v[65:66], v[61:62], v[65:66], s[0:1]
	s_mov_b32 s0, 0x7c89e6b0
	s_mov_b32 s1, 0x3efa0199
	s_wait_alu 0xfffe
	v_fma_f64 v[65:66], v[61:62], v[65:66], s[0:1]
	s_mov_b32 s0, 0x14761f6e
	s_mov_b32 s1, 0x3f2a01a0
	s_wait_alu 0xfffe
	s_delay_alu instid0(VALU_DEP_1) | instskip(SKIP_3) | instid1(VALU_DEP_1)
	v_fma_f64 v[65:66], v[61:62], v[65:66], s[0:1]
	s_mov_b32 s0, 0x1852b7b0
	s_mov_b32 s1, 0x3f56c16c
	s_wait_alu 0xfffe
	v_fma_f64 v[65:66], v[61:62], v[65:66], s[0:1]
	s_mov_b32 s0, 0x11122322
	s_mov_b32 s1, 0x3f811111
	;; [unrolled: 9-line block ×3, first 2 shown]
	s_wait_alu 0xfffe
	s_delay_alu instid0(VALU_DEP_1) | instskip(SKIP_3) | instid1(VALU_DEP_1)
	v_fma_f64 v[65:66], v[61:62], v[65:66], s[0:1]
	s_mov_b32 s0, 11
	s_mov_b32 s1, 0x3fe00000
	s_wait_alu 0xfffe
	v_fma_f64 v[65:66], v[61:62], v[65:66], s[0:1]
	v_cmp_ngt_f64_e64 s0, 0xc090cc00, v[5:6]
	s_mov_b32 s1, 0x3fe55555
	v_fma_f64 v[65:66], v[61:62], v[65:66], 1.0
	s_delay_alu instid0(VALU_DEP_1) | instskip(NEXT) | instid1(VALU_DEP_1)
	v_fma_f64 v[35:36], v[61:62], v[65:66], 1.0
	v_ldexp_f64 v[35:36], v[35:36], v67
	s_wait_alu 0xfffd
	s_delay_alu instid0(VALU_DEP_1) | instskip(SKIP_2) | instid1(VALU_DEP_2)
	v_cndmask_b32_e32 v36, 0x7ff00000, v36, vcc_lo
	s_and_b32 vcc_lo, s0, vcc_lo
	s_wait_alu 0xfffe
	v_cndmask_b32_e32 v5, 0, v35, vcc_lo
	s_delay_alu instid0(VALU_DEP_2) | instskip(SKIP_1) | instid1(VALU_DEP_1)
	v_cndmask_b32_e64 v6, 0, v36, s0
	s_mov_b32 s0, 0x55555555
	v_add_f64_e32 v[35:36], 1.0, v[5:6]
	s_delay_alu instid0(VALU_DEP_1) | instskip(SKIP_3) | instid1(VALU_DEP_3)
	v_frexp_mant_f64_e32 v[61:62], v[35:36]
	v_frexp_exp_i32_f64_e32 v67, v[35:36]
	v_add_f64_e32 v[65:66], -1.0, v[35:36]
	s_wait_alu 0xfffe
	v_cmp_gt_f64_e32 vcc_lo, s[0:1], v[61:62]
	s_mov_b32 s0, 0x55555780
	s_delay_alu instid0(VALU_DEP_2) | instskip(SKIP_3) | instid1(VALU_DEP_3)
	v_add_f64_e64 v[61:62], v[65:66], -v[35:36]
	v_add_f64_e64 v[65:66], v[5:6], -v[65:66]
	s_wait_alu 0xfffd
	v_subrev_co_ci_u32_e64 v101, null, 0, v67, vcc_lo
	v_add_f64_e32 v[61:62], 1.0, v[61:62]
	v_cmp_nge_f64_e32 vcc_lo, -1.0, v[5:6]
	s_wait_dscnt 0x1
	s_delay_alu instid0(VALU_DEP_3) | instskip(NEXT) | instid1(VALU_DEP_1)
	v_sub_nc_u32_e32 v69, 0, v101
	v_ldexp_f64 v[35:36], v[35:36], v69
	s_delay_alu instid0(VALU_DEP_4) | instskip(NEXT) | instid1(VALU_DEP_2)
	v_add_f64_e32 v[61:62], v[65:66], v[61:62]
	v_add_f64_e32 v[67:68], 1.0, v[35:36]
	v_add_f64_e32 v[73:74], -1.0, v[35:36]
	s_delay_alu instid0(VALU_DEP_3) | instskip(NEXT) | instid1(VALU_DEP_3)
	v_ldexp_f64 v[61:62], v[61:62], v69
	v_add_f64_e32 v[65:66], -1.0, v[67:68]
	s_delay_alu instid0(VALU_DEP_3) | instskip(NEXT) | instid1(VALU_DEP_2)
	v_add_f64_e32 v[75:76], 1.0, v[73:74]
	v_add_f64_e64 v[65:66], v[35:36], -v[65:66]
	s_delay_alu instid0(VALU_DEP_2) | instskip(NEXT) | instid1(VALU_DEP_2)
	v_add_f64_e64 v[35:36], v[35:36], -v[75:76]
	v_add_f64_e32 v[65:66], v[61:62], v[65:66]
	s_delay_alu instid0(VALU_DEP_2) | instskip(SKIP_1) | instid1(VALU_DEP_2)
	v_add_f64_e32 v[35:36], v[61:62], v[35:36]
	s_wait_dscnt 0x0
	v_add_f64_e32 v[69:70], v[67:68], v[65:66]
	s_delay_alu instid0(VALU_DEP_2) | instskip(NEXT) | instid1(VALU_DEP_2)
	v_add_f64_e32 v[75:76], v[73:74], v[35:36]
	v_rcp_f64_e32 v[71:72], v[69:70]
	v_add_f64_e64 v[67:68], v[69:70], -v[67:68]
	s_delay_alu instid0(VALU_DEP_2) | instskip(NEXT) | instid1(VALU_DEP_2)
	v_add_f64_e64 v[73:74], v[75:76], -v[73:74]
	v_add_f64_e64 v[65:66], v[65:66], -v[67:68]
	s_delay_alu instid0(TRANS32_DEP_1) | instskip(NEXT) | instid1(VALU_DEP_3)
	v_fma_f64 v[77:78], -v[69:70], v[71:72], 1.0
	v_add_f64_e64 v[35:36], v[35:36], -v[73:74]
	s_delay_alu instid0(VALU_DEP_2) | instskip(NEXT) | instid1(VALU_DEP_1)
	v_fma_f64 v[71:72], v[77:78], v[71:72], v[71:72]
	v_fma_f64 v[61:62], -v[69:70], v[71:72], 1.0
	s_delay_alu instid0(VALU_DEP_1) | instskip(NEXT) | instid1(VALU_DEP_1)
	v_fma_f64 v[61:62], v[61:62], v[71:72], v[71:72]
	v_mul_f64_e32 v[71:72], v[75:76], v[61:62]
	s_delay_alu instid0(VALU_DEP_1) | instskip(NEXT) | instid1(VALU_DEP_1)
	v_mul_f64_e32 v[77:78], v[69:70], v[71:72]
	v_fma_f64 v[67:68], v[71:72], v[69:70], -v[77:78]
	s_delay_alu instid0(VALU_DEP_1) | instskip(NEXT) | instid1(VALU_DEP_1)
	v_fma_f64 v[67:68], v[71:72], v[65:66], v[67:68]
	v_add_f64_e32 v[79:80], v[77:78], v[67:68]
	s_delay_alu instid0(VALU_DEP_1) | instskip(SKIP_1) | instid1(VALU_DEP_2)
	v_add_f64_e64 v[81:82], v[75:76], -v[79:80]
	v_add_f64_e64 v[73:74], v[79:80], -v[77:78]
	;; [unrolled: 1-line block ×3, first 2 shown]
	s_delay_alu instid0(VALU_DEP_2) | instskip(NEXT) | instid1(VALU_DEP_2)
	v_add_f64_e64 v[67:68], v[73:74], -v[67:68]
	v_add_f64_e64 v[75:76], v[75:76], -v[79:80]
	s_delay_alu instid0(VALU_DEP_1) | instskip(NEXT) | instid1(VALU_DEP_1)
	v_add_f64_e32 v[35:36], v[35:36], v[75:76]
	v_add_f64_e32 v[35:36], v[67:68], v[35:36]
	s_delay_alu instid0(VALU_DEP_1) | instskip(NEXT) | instid1(VALU_DEP_1)
	v_add_f64_e32 v[67:68], v[81:82], v[35:36]
	v_mul_f64_e32 v[73:74], v[61:62], v[67:68]
	v_add_f64_e64 v[79:80], v[81:82], -v[67:68]
	s_delay_alu instid0(VALU_DEP_2) | instskip(NEXT) | instid1(VALU_DEP_2)
	v_mul_f64_e32 v[75:76], v[69:70], v[73:74]
	v_add_f64_e32 v[35:36], v[35:36], v[79:80]
	s_delay_alu instid0(VALU_DEP_2) | instskip(NEXT) | instid1(VALU_DEP_1)
	v_fma_f64 v[69:70], v[73:74], v[69:70], -v[75:76]
	v_fma_f64 v[65:66], v[73:74], v[65:66], v[69:70]
	s_delay_alu instid0(VALU_DEP_1) | instskip(NEXT) | instid1(VALU_DEP_1)
	v_add_f64_e32 v[69:70], v[75:76], v[65:66]
	v_add_f64_e64 v[77:78], v[67:68], -v[69:70]
	v_add_f64_e64 v[75:76], v[69:70], -v[75:76]
	s_delay_alu instid0(VALU_DEP_2) | instskip(NEXT) | instid1(VALU_DEP_2)
	v_add_f64_e64 v[67:68], v[67:68], -v[77:78]
	v_add_f64_e64 v[65:66], v[75:76], -v[65:66]
	s_delay_alu instid0(VALU_DEP_2) | instskip(NEXT) | instid1(VALU_DEP_1)
	v_add_f64_e64 v[67:68], v[67:68], -v[69:70]
	v_add_f64_e32 v[35:36], v[35:36], v[67:68]
	v_add_f64_e32 v[67:68], v[71:72], v[73:74]
	s_delay_alu instid0(VALU_DEP_2) | instskip(NEXT) | instid1(VALU_DEP_2)
	v_add_f64_e32 v[35:36], v[65:66], v[35:36]
	v_add_f64_e64 v[65:66], v[67:68], -v[71:72]
	s_delay_alu instid0(VALU_DEP_2) | instskip(NEXT) | instid1(VALU_DEP_2)
	v_add_f64_e32 v[35:36], v[77:78], v[35:36]
	v_add_f64_e64 v[65:66], v[73:74], -v[65:66]
	s_delay_alu instid0(VALU_DEP_2) | instskip(NEXT) | instid1(VALU_DEP_1)
	v_mul_f64_e32 v[35:36], v[61:62], v[35:36]
	v_add_f64_e32 v[35:36], v[65:66], v[35:36]
	s_delay_alu instid0(VALU_DEP_1) | instskip(NEXT) | instid1(VALU_DEP_1)
	v_add_f64_e32 v[61:62], v[67:68], v[35:36]
	v_mul_f64_e32 v[65:66], v[61:62], v[61:62]
	s_delay_alu instid0(VALU_DEP_1) | instskip(SKIP_4) | instid1(VALU_DEP_2)
	v_fma_f64 v[69:70], v[65:66], s[24:25], s[20:21]
	s_mov_b32 s20, 0xd7f4df2e
	s_mov_b32 s21, 0x3fc7474d
	v_mul_f64_e32 v[71:72], v[61:62], v[65:66]
	s_wait_alu 0xfffe
	v_fma_f64 v[69:70], v[65:66], v[69:70], s[20:21]
	s_mov_b32 s20, 0x16291751
	s_mov_b32 s21, 0x3fcc71c0
	s_wait_alu 0xfffe
	s_delay_alu instid0(VALU_DEP_1) | instskip(SKIP_3) | instid1(VALU_DEP_1)
	v_fma_f64 v[69:70], v[65:66], v[69:70], s[20:21]
	s_mov_b32 s20, 0x9b27acf1
	s_mov_b32 s21, 0x3fd24924
	s_wait_alu 0xfffe
	v_fma_f64 v[69:70], v[65:66], v[69:70], s[20:21]
	s_mov_b32 s20, 0x998ef7b6
	s_mov_b32 s21, 0x3fd99999
	s_wait_alu 0xfffe
	s_delay_alu instid0(VALU_DEP_1) | instskip(NEXT) | instid1(VALU_DEP_1)
	v_fma_f64 v[69:70], v[65:66], v[69:70], s[20:21]
	v_fma_f64 v[65:66], v[65:66], v[69:70], s[0:1]
	v_ldexp_f64 v[69:70], v[61:62], 1
	v_add_f64_e64 v[61:62], v[61:62], -v[67:68]
	v_cmp_neq_f64_e64 s0, 0x7ff00000, v[5:6]
	v_cmp_ngt_f64_e64 s1, -1.0, v[5:6]
	v_mul_f64_e32 v[65:66], v[71:72], v[65:66]
	v_cvt_f64_i32_e32 v[71:72], v101
	v_add_f64_e64 v[35:36], v[35:36], -v[61:62]
	s_and_b32 vcc_lo, vcc_lo, s0
	s_delay_alu instid0(VALU_DEP_3) | instskip(NEXT) | instid1(VALU_DEP_3)
	v_add_f64_e32 v[67:68], v[69:70], v[65:66]
	v_mul_f64_e32 v[73:74], s[16:17], v[71:72]
	s_delay_alu instid0(VALU_DEP_3) | instskip(NEXT) | instid1(VALU_DEP_3)
	v_ldexp_f64 v[35:36], v[35:36], 1
	v_add_f64_e64 v[61:62], v[67:68], -v[69:70]
	s_delay_alu instid0(VALU_DEP_3) | instskip(NEXT) | instid1(VALU_DEP_2)
	v_fma_f64 v[69:70], v[71:72], s[16:17], -v[73:74]
	v_add_f64_e64 v[61:62], v[65:66], -v[61:62]
	s_delay_alu instid0(VALU_DEP_2) | instskip(NEXT) | instid1(VALU_DEP_2)
	v_fma_f64 v[65:66], v[71:72], s[18:19], v[69:70]
	v_add_f64_e32 v[35:36], v[35:36], v[61:62]
	s_delay_alu instid0(VALU_DEP_2) | instskip(NEXT) | instid1(VALU_DEP_2)
	v_add_f64_e32 v[61:62], v[73:74], v[65:66]
	v_add_f64_e32 v[69:70], v[67:68], v[35:36]
	s_delay_alu instid0(VALU_DEP_2) | instskip(NEXT) | instid1(VALU_DEP_2)
	v_add_f64_e64 v[73:74], v[61:62], -v[73:74]
	v_add_f64_e32 v[71:72], v[61:62], v[69:70]
	v_add_f64_e64 v[67:68], v[69:70], -v[67:68]
	s_delay_alu instid0(VALU_DEP_3) | instskip(NEXT) | instid1(VALU_DEP_3)
	v_add_f64_e64 v[65:66], v[65:66], -v[73:74]
	v_add_f64_e64 v[75:76], v[71:72], -v[61:62]
	s_delay_alu instid0(VALU_DEP_3) | instskip(NEXT) | instid1(VALU_DEP_2)
	v_add_f64_e64 v[35:36], v[35:36], -v[67:68]
	v_add_f64_e64 v[77:78], v[71:72], -v[75:76]
	;; [unrolled: 1-line block ×3, first 2 shown]
	s_delay_alu instid0(VALU_DEP_3) | instskip(NEXT) | instid1(VALU_DEP_3)
	v_add_f64_e32 v[69:70], v[65:66], v[35:36]
	v_add_f64_e64 v[61:62], v[61:62], -v[77:78]
	s_delay_alu instid0(VALU_DEP_1) | instskip(NEXT) | instid1(VALU_DEP_3)
	v_add_f64_e32 v[61:62], v[67:68], v[61:62]
	v_add_f64_e64 v[67:68], v[69:70], -v[65:66]
	s_delay_alu instid0(VALU_DEP_2) | instskip(NEXT) | instid1(VALU_DEP_2)
	v_add_f64_e32 v[61:62], v[69:70], v[61:62]
	v_add_f64_e64 v[69:70], v[69:70], -v[67:68]
	v_add_f64_e64 v[35:36], v[35:36], -v[67:68]
	s_delay_alu instid0(VALU_DEP_3) | instskip(NEXT) | instid1(VALU_DEP_3)
	v_add_f64_e32 v[73:74], v[71:72], v[61:62]
	v_add_f64_e64 v[65:66], v[65:66], -v[69:70]
	s_delay_alu instid0(VALU_DEP_2) | instskip(NEXT) | instid1(VALU_DEP_2)
	v_add_f64_e64 v[67:68], v[73:74], -v[71:72]
	v_add_f64_e32 v[35:36], v[35:36], v[65:66]
	s_delay_alu instid0(VALU_DEP_2) | instskip(NEXT) | instid1(VALU_DEP_1)
	v_add_f64_e64 v[61:62], v[61:62], -v[67:68]
	v_add_f64_e32 v[35:36], v[35:36], v[61:62]
	s_delay_alu instid0(VALU_DEP_1) | instskip(SKIP_1) | instid1(VALU_DEP_1)
	v_add_f64_e32 v[35:36], v[73:74], v[35:36]
	s_wait_alu 0xfffe
	v_cndmask_b32_e32 v35, 0, v35, vcc_lo
	v_cmp_neq_f64_e32 vcc_lo, -1.0, v[5:6]
	s_delay_alu instid0(VALU_DEP_3) | instskip(NEXT) | instid1(VALU_DEP_1)
	v_cndmask_b32_e64 v36, 0x7ff00000, v36, s0
	v_cndmask_b32_e64 v36, 0x7ff80000, v36, s1
	s_wait_alu 0xfffd
	s_delay_alu instid0(VALU_DEP_1) | instskip(NEXT) | instid1(VALU_DEP_1)
	v_cndmask_b32_e32 v36, 0xfff00000, v36, vcc_lo
	v_add_f64_e32 v[5:6], v[33:34], v[35:36]
.LBB6_274:
	s_wait_alu 0xfffe
	s_or_b32 exec_lo, exec_lo, s15
	s_delay_alu instid0(VALU_DEP_1) | instskip(SKIP_1) | instid1(VALU_DEP_2)
	v_max_num_f64_e32 v[33:34], v[5:6], v[5:6]
	v_cmp_u_f64_e32 vcc_lo, v[5:6], v[5:6]
	v_min_num_f64_e32 v[35:36], v[33:34], v[7:8]
	v_max_num_f64_e32 v[7:8], v[33:34], v[7:8]
	s_wait_alu 0xfffd
	s_delay_alu instid0(VALU_DEP_2) | instskip(NEXT) | instid1(VALU_DEP_2)
	v_dual_cndmask_b32 v33, v35, v5 :: v_dual_cndmask_b32 v34, v36, v6
	v_dual_cndmask_b32 v8, v8, v6 :: v_dual_cndmask_b32 v7, v7, v5
	s_delay_alu instid0(VALU_DEP_2) | instskip(NEXT) | instid1(VALU_DEP_3)
	v_cndmask_b32_e64 v35, v33, v63, s2
	v_cndmask_b32_e64 v36, v34, v64, s2
	s_delay_alu instid0(VALU_DEP_3) | instskip(NEXT) | instid1(VALU_DEP_4)
	v_cndmask_b32_e64 v34, v8, v64, s2
	v_cndmask_b32_e64 v33, v7, v63, s2
	v_dual_mov_b32 v8, v6 :: v_dual_mov_b32 v7, v5
	s_delay_alu instid0(VALU_DEP_4) | instskip(NEXT) | instid1(VALU_DEP_3)
	v_cmp_class_f64_e64 s0, v[35:36], 0x1f8
	v_cmp_neq_f64_e32 vcc_lo, v[35:36], v[33:34]
	s_or_b32 s0, vcc_lo, s0
	s_wait_alu 0xfffe
	s_and_saveexec_b32 s2, s0
	s_cbranch_execz .LBB6_276
; %bb.275:
	v_add_f64_e64 v[7:8], v[35:36], -v[33:34]
	s_mov_b32 s0, 0x652b82fe
	s_mov_b32 s1, 0x3ff71547
	;; [unrolled: 1-line block ×10, first 2 shown]
	s_wait_alu 0xfffe
	s_delay_alu instid0(VALU_DEP_1) | instskip(SKIP_3) | instid1(VALU_DEP_2)
	v_mul_f64_e32 v[35:36], s[0:1], v[7:8]
	s_mov_b32 s0, 0xfca7ab0c
	s_mov_b32 s1, 0x3e928af3
	v_cmp_nlt_f64_e32 vcc_lo, 0x40900000, v[7:8]
	v_rndne_f64_e32 v[35:36], v[35:36]
	s_delay_alu instid0(VALU_DEP_1) | instskip(SKIP_2) | instid1(VALU_DEP_2)
	v_fma_f64 v[61:62], v[35:36], s[16:17], v[7:8]
	v_cvt_i32_f64_e32 v65, v[35:36]
	s_mov_b32 s17, 0x3fe62e42
	v_fma_f64 v[61:62], v[35:36], s[18:19], v[61:62]
	s_mov_b32 s19, 0x3c7abc9e
	s_wait_alu 0xfffe
	s_delay_alu instid0(VALU_DEP_1)
	v_fma_f64 v[63:64], v[61:62], s[20:21], s[0:1]
	s_mov_b32 s0, 0x623fde64
	s_mov_b32 s1, 0x3ec71dee
	;; [unrolled: 1-line block ×4, first 2 shown]
	s_wait_alu 0xfffe
	s_delay_alu instid0(VALU_DEP_1) | instskip(SKIP_3) | instid1(VALU_DEP_1)
	v_fma_f64 v[63:64], v[61:62], v[63:64], s[0:1]
	s_mov_b32 s0, 0x7c89e6b0
	s_mov_b32 s1, 0x3efa0199
	s_wait_alu 0xfffe
	v_fma_f64 v[63:64], v[61:62], v[63:64], s[0:1]
	s_mov_b32 s0, 0x14761f6e
	s_mov_b32 s1, 0x3f2a01a0
	s_wait_alu 0xfffe
	s_delay_alu instid0(VALU_DEP_1) | instskip(SKIP_3) | instid1(VALU_DEP_1)
	v_fma_f64 v[63:64], v[61:62], v[63:64], s[0:1]
	s_mov_b32 s0, 0x1852b7b0
	s_mov_b32 s1, 0x3f56c16c
	s_wait_alu 0xfffe
	v_fma_f64 v[63:64], v[61:62], v[63:64], s[0:1]
	s_mov_b32 s0, 0x11122322
	s_mov_b32 s1, 0x3f811111
	;; [unrolled: 9-line block ×3, first 2 shown]
	s_wait_alu 0xfffe
	s_delay_alu instid0(VALU_DEP_1) | instskip(SKIP_3) | instid1(VALU_DEP_1)
	v_fma_f64 v[63:64], v[61:62], v[63:64], s[0:1]
	s_mov_b32 s0, 11
	s_mov_b32 s1, 0x3fe00000
	s_wait_alu 0xfffe
	v_fma_f64 v[63:64], v[61:62], v[63:64], s[0:1]
	v_cmp_ngt_f64_e64 s0, 0xc090cc00, v[7:8]
	s_mov_b32 s1, 0x3fe55555
	v_fma_f64 v[63:64], v[61:62], v[63:64], 1.0
	s_delay_alu instid0(VALU_DEP_1) | instskip(NEXT) | instid1(VALU_DEP_1)
	v_fma_f64 v[35:36], v[61:62], v[63:64], 1.0
	v_ldexp_f64 v[35:36], v[35:36], v65
	s_wait_alu 0xfffd
	s_delay_alu instid0(VALU_DEP_1) | instskip(SKIP_2) | instid1(VALU_DEP_2)
	v_cndmask_b32_e32 v36, 0x7ff00000, v36, vcc_lo
	s_and_b32 vcc_lo, s0, vcc_lo
	s_wait_alu 0xfffe
	v_cndmask_b32_e32 v7, 0, v35, vcc_lo
	s_delay_alu instid0(VALU_DEP_2) | instskip(SKIP_1) | instid1(VALU_DEP_1)
	v_cndmask_b32_e64 v8, 0, v36, s0
	s_mov_b32 s0, 0x55555555
	v_add_f64_e32 v[35:36], 1.0, v[7:8]
	s_delay_alu instid0(VALU_DEP_1) | instskip(SKIP_3) | instid1(VALU_DEP_3)
	v_frexp_mant_f64_e32 v[61:62], v[35:36]
	v_frexp_exp_i32_f64_e32 v65, v[35:36]
	v_add_f64_e32 v[63:64], -1.0, v[35:36]
	s_wait_alu 0xfffe
	v_cmp_gt_f64_e32 vcc_lo, s[0:1], v[61:62]
	s_mov_b32 s0, 0x55555780
	s_delay_alu instid0(VALU_DEP_2) | instskip(SKIP_3) | instid1(VALU_DEP_3)
	v_add_f64_e64 v[61:62], v[63:64], -v[35:36]
	v_add_f64_e64 v[63:64], v[7:8], -v[63:64]
	s_wait_alu 0xfffd
	v_subrev_co_ci_u32_e64 v81, null, 0, v65, vcc_lo
	v_add_f64_e32 v[61:62], 1.0, v[61:62]
	v_cmp_nge_f64_e32 vcc_lo, -1.0, v[7:8]
	s_delay_alu instid0(VALU_DEP_3) | instskip(NEXT) | instid1(VALU_DEP_1)
	v_sub_nc_u32_e32 v67, 0, v81
	v_ldexp_f64 v[35:36], v[35:36], v67
	s_delay_alu instid0(VALU_DEP_4) | instskip(NEXT) | instid1(VALU_DEP_2)
	v_add_f64_e32 v[61:62], v[63:64], v[61:62]
	v_add_f64_e32 v[65:66], 1.0, v[35:36]
	v_add_f64_e32 v[71:72], -1.0, v[35:36]
	s_delay_alu instid0(VALU_DEP_3) | instskip(NEXT) | instid1(VALU_DEP_3)
	v_ldexp_f64 v[61:62], v[61:62], v67
	v_add_f64_e32 v[63:64], -1.0, v[65:66]
	s_delay_alu instid0(VALU_DEP_3) | instskip(NEXT) | instid1(VALU_DEP_2)
	v_add_f64_e32 v[73:74], 1.0, v[71:72]
	v_add_f64_e64 v[63:64], v[35:36], -v[63:64]
	s_delay_alu instid0(VALU_DEP_2) | instskip(NEXT) | instid1(VALU_DEP_2)
	v_add_f64_e64 v[35:36], v[35:36], -v[73:74]
	v_add_f64_e32 v[63:64], v[61:62], v[63:64]
	s_delay_alu instid0(VALU_DEP_2) | instskip(NEXT) | instid1(VALU_DEP_2)
	v_add_f64_e32 v[35:36], v[61:62], v[35:36]
	v_add_f64_e32 v[67:68], v[65:66], v[63:64]
	s_delay_alu instid0(VALU_DEP_2) | instskip(SKIP_1) | instid1(VALU_DEP_2)
	v_add_f64_e32 v[73:74], v[71:72], v[35:36]
	s_wait_dscnt 0x0
	v_rcp_f64_e32 v[69:70], v[67:68]
	v_add_f64_e64 v[65:66], v[67:68], -v[65:66]
	s_delay_alu instid0(VALU_DEP_2) | instskip(NEXT) | instid1(VALU_DEP_2)
	v_add_f64_e64 v[71:72], v[73:74], -v[71:72]
	v_add_f64_e64 v[63:64], v[63:64], -v[65:66]
	s_delay_alu instid0(TRANS32_DEP_1) | instskip(NEXT) | instid1(VALU_DEP_3)
	v_fma_f64 v[75:76], -v[67:68], v[69:70], 1.0
	v_add_f64_e64 v[35:36], v[35:36], -v[71:72]
	s_delay_alu instid0(VALU_DEP_2) | instskip(NEXT) | instid1(VALU_DEP_1)
	v_fma_f64 v[69:70], v[75:76], v[69:70], v[69:70]
	v_fma_f64 v[61:62], -v[67:68], v[69:70], 1.0
	s_delay_alu instid0(VALU_DEP_1) | instskip(NEXT) | instid1(VALU_DEP_1)
	v_fma_f64 v[61:62], v[61:62], v[69:70], v[69:70]
	v_mul_f64_e32 v[69:70], v[73:74], v[61:62]
	s_delay_alu instid0(VALU_DEP_1) | instskip(NEXT) | instid1(VALU_DEP_1)
	v_mul_f64_e32 v[75:76], v[67:68], v[69:70]
	v_fma_f64 v[65:66], v[69:70], v[67:68], -v[75:76]
	s_delay_alu instid0(VALU_DEP_1) | instskip(NEXT) | instid1(VALU_DEP_1)
	v_fma_f64 v[65:66], v[69:70], v[63:64], v[65:66]
	v_add_f64_e32 v[77:78], v[75:76], v[65:66]
	s_delay_alu instid0(VALU_DEP_1) | instskip(SKIP_1) | instid1(VALU_DEP_2)
	v_add_f64_e64 v[79:80], v[73:74], -v[77:78]
	v_add_f64_e64 v[71:72], v[77:78], -v[75:76]
	;; [unrolled: 1-line block ×3, first 2 shown]
	s_delay_alu instid0(VALU_DEP_2) | instskip(NEXT) | instid1(VALU_DEP_2)
	v_add_f64_e64 v[65:66], v[71:72], -v[65:66]
	v_add_f64_e64 v[73:74], v[73:74], -v[77:78]
	s_delay_alu instid0(VALU_DEP_1) | instskip(NEXT) | instid1(VALU_DEP_1)
	v_add_f64_e32 v[35:36], v[35:36], v[73:74]
	v_add_f64_e32 v[35:36], v[65:66], v[35:36]
	s_delay_alu instid0(VALU_DEP_1) | instskip(NEXT) | instid1(VALU_DEP_1)
	v_add_f64_e32 v[65:66], v[79:80], v[35:36]
	v_mul_f64_e32 v[71:72], v[61:62], v[65:66]
	v_add_f64_e64 v[77:78], v[79:80], -v[65:66]
	s_delay_alu instid0(VALU_DEP_2) | instskip(NEXT) | instid1(VALU_DEP_2)
	v_mul_f64_e32 v[73:74], v[67:68], v[71:72]
	v_add_f64_e32 v[35:36], v[35:36], v[77:78]
	s_delay_alu instid0(VALU_DEP_2) | instskip(NEXT) | instid1(VALU_DEP_1)
	v_fma_f64 v[67:68], v[71:72], v[67:68], -v[73:74]
	v_fma_f64 v[63:64], v[71:72], v[63:64], v[67:68]
	s_delay_alu instid0(VALU_DEP_1) | instskip(NEXT) | instid1(VALU_DEP_1)
	v_add_f64_e32 v[67:68], v[73:74], v[63:64]
	v_add_f64_e64 v[75:76], v[65:66], -v[67:68]
	v_add_f64_e64 v[73:74], v[67:68], -v[73:74]
	s_delay_alu instid0(VALU_DEP_2) | instskip(NEXT) | instid1(VALU_DEP_2)
	v_add_f64_e64 v[65:66], v[65:66], -v[75:76]
	v_add_f64_e64 v[63:64], v[73:74], -v[63:64]
	s_delay_alu instid0(VALU_DEP_2) | instskip(NEXT) | instid1(VALU_DEP_1)
	v_add_f64_e64 v[65:66], v[65:66], -v[67:68]
	v_add_f64_e32 v[35:36], v[35:36], v[65:66]
	v_add_f64_e32 v[65:66], v[69:70], v[71:72]
	s_delay_alu instid0(VALU_DEP_2) | instskip(NEXT) | instid1(VALU_DEP_2)
	v_add_f64_e32 v[35:36], v[63:64], v[35:36]
	v_add_f64_e64 v[63:64], v[65:66], -v[69:70]
	s_delay_alu instid0(VALU_DEP_2) | instskip(NEXT) | instid1(VALU_DEP_2)
	v_add_f64_e32 v[35:36], v[75:76], v[35:36]
	v_add_f64_e64 v[63:64], v[71:72], -v[63:64]
	s_delay_alu instid0(VALU_DEP_2) | instskip(NEXT) | instid1(VALU_DEP_1)
	v_mul_f64_e32 v[35:36], v[61:62], v[35:36]
	v_add_f64_e32 v[35:36], v[63:64], v[35:36]
	s_delay_alu instid0(VALU_DEP_1) | instskip(NEXT) | instid1(VALU_DEP_1)
	v_add_f64_e32 v[61:62], v[65:66], v[35:36]
	v_mul_f64_e32 v[63:64], v[61:62], v[61:62]
	s_delay_alu instid0(VALU_DEP_1) | instskip(SKIP_4) | instid1(VALU_DEP_2)
	v_fma_f64 v[67:68], v[63:64], s[24:25], s[20:21]
	s_mov_b32 s20, 0xd7f4df2e
	s_mov_b32 s21, 0x3fc7474d
	v_mul_f64_e32 v[69:70], v[61:62], v[63:64]
	s_wait_alu 0xfffe
	v_fma_f64 v[67:68], v[63:64], v[67:68], s[20:21]
	s_mov_b32 s20, 0x16291751
	s_mov_b32 s21, 0x3fcc71c0
	s_wait_alu 0xfffe
	s_delay_alu instid0(VALU_DEP_1) | instskip(SKIP_3) | instid1(VALU_DEP_1)
	v_fma_f64 v[67:68], v[63:64], v[67:68], s[20:21]
	s_mov_b32 s20, 0x9b27acf1
	s_mov_b32 s21, 0x3fd24924
	s_wait_alu 0xfffe
	v_fma_f64 v[67:68], v[63:64], v[67:68], s[20:21]
	s_mov_b32 s20, 0x998ef7b6
	s_mov_b32 s21, 0x3fd99999
	s_wait_alu 0xfffe
	s_delay_alu instid0(VALU_DEP_1) | instskip(NEXT) | instid1(VALU_DEP_1)
	v_fma_f64 v[67:68], v[63:64], v[67:68], s[20:21]
	v_fma_f64 v[63:64], v[63:64], v[67:68], s[0:1]
	v_ldexp_f64 v[67:68], v[61:62], 1
	v_add_f64_e64 v[61:62], v[61:62], -v[65:66]
	v_cmp_neq_f64_e64 s0, 0x7ff00000, v[7:8]
	v_cmp_ngt_f64_e64 s1, -1.0, v[7:8]
	v_mul_f64_e32 v[63:64], v[69:70], v[63:64]
	v_cvt_f64_i32_e32 v[69:70], v81
	v_add_f64_e64 v[35:36], v[35:36], -v[61:62]
	s_and_b32 vcc_lo, vcc_lo, s0
	s_delay_alu instid0(VALU_DEP_3) | instskip(NEXT) | instid1(VALU_DEP_3)
	v_add_f64_e32 v[65:66], v[67:68], v[63:64]
	v_mul_f64_e32 v[71:72], s[16:17], v[69:70]
	s_delay_alu instid0(VALU_DEP_3) | instskip(NEXT) | instid1(VALU_DEP_3)
	v_ldexp_f64 v[35:36], v[35:36], 1
	v_add_f64_e64 v[61:62], v[65:66], -v[67:68]
	s_delay_alu instid0(VALU_DEP_3) | instskip(NEXT) | instid1(VALU_DEP_2)
	v_fma_f64 v[67:68], v[69:70], s[16:17], -v[71:72]
	v_add_f64_e64 v[61:62], v[63:64], -v[61:62]
	s_delay_alu instid0(VALU_DEP_2) | instskip(NEXT) | instid1(VALU_DEP_2)
	v_fma_f64 v[63:64], v[69:70], s[18:19], v[67:68]
	v_add_f64_e32 v[35:36], v[35:36], v[61:62]
	s_delay_alu instid0(VALU_DEP_2) | instskip(NEXT) | instid1(VALU_DEP_2)
	v_add_f64_e32 v[61:62], v[71:72], v[63:64]
	v_add_f64_e32 v[67:68], v[65:66], v[35:36]
	s_delay_alu instid0(VALU_DEP_2) | instskip(NEXT) | instid1(VALU_DEP_2)
	v_add_f64_e64 v[71:72], v[61:62], -v[71:72]
	v_add_f64_e32 v[69:70], v[61:62], v[67:68]
	v_add_f64_e64 v[65:66], v[67:68], -v[65:66]
	s_delay_alu instid0(VALU_DEP_3) | instskip(NEXT) | instid1(VALU_DEP_3)
	v_add_f64_e64 v[63:64], v[63:64], -v[71:72]
	v_add_f64_e64 v[73:74], v[69:70], -v[61:62]
	s_delay_alu instid0(VALU_DEP_3) | instskip(NEXT) | instid1(VALU_DEP_2)
	v_add_f64_e64 v[35:36], v[35:36], -v[65:66]
	v_add_f64_e64 v[75:76], v[69:70], -v[73:74]
	;; [unrolled: 1-line block ×3, first 2 shown]
	s_delay_alu instid0(VALU_DEP_3) | instskip(NEXT) | instid1(VALU_DEP_3)
	v_add_f64_e32 v[67:68], v[63:64], v[35:36]
	v_add_f64_e64 v[61:62], v[61:62], -v[75:76]
	s_delay_alu instid0(VALU_DEP_1) | instskip(NEXT) | instid1(VALU_DEP_3)
	v_add_f64_e32 v[61:62], v[65:66], v[61:62]
	v_add_f64_e64 v[65:66], v[67:68], -v[63:64]
	s_delay_alu instid0(VALU_DEP_2) | instskip(NEXT) | instid1(VALU_DEP_2)
	v_add_f64_e32 v[61:62], v[67:68], v[61:62]
	v_add_f64_e64 v[67:68], v[67:68], -v[65:66]
	v_add_f64_e64 v[35:36], v[35:36], -v[65:66]
	s_delay_alu instid0(VALU_DEP_3) | instskip(NEXT) | instid1(VALU_DEP_3)
	v_add_f64_e32 v[71:72], v[69:70], v[61:62]
	v_add_f64_e64 v[63:64], v[63:64], -v[67:68]
	s_delay_alu instid0(VALU_DEP_2) | instskip(NEXT) | instid1(VALU_DEP_2)
	v_add_f64_e64 v[65:66], v[71:72], -v[69:70]
	v_add_f64_e32 v[35:36], v[35:36], v[63:64]
	s_delay_alu instid0(VALU_DEP_2) | instskip(NEXT) | instid1(VALU_DEP_1)
	v_add_f64_e64 v[61:62], v[61:62], -v[65:66]
	v_add_f64_e32 v[35:36], v[35:36], v[61:62]
	s_delay_alu instid0(VALU_DEP_1) | instskip(SKIP_1) | instid1(VALU_DEP_1)
	v_add_f64_e32 v[35:36], v[71:72], v[35:36]
	s_wait_alu 0xfffe
	v_cndmask_b32_e32 v35, 0, v35, vcc_lo
	v_cmp_neq_f64_e32 vcc_lo, -1.0, v[7:8]
	s_delay_alu instid0(VALU_DEP_3) | instskip(NEXT) | instid1(VALU_DEP_1)
	v_cndmask_b32_e64 v36, 0x7ff00000, v36, s0
	v_cndmask_b32_e64 v36, 0x7ff80000, v36, s1
	s_wait_alu 0xfffd
	s_delay_alu instid0(VALU_DEP_1) | instskip(NEXT) | instid1(VALU_DEP_1)
	v_cndmask_b32_e32 v36, 0xfff00000, v36, vcc_lo
	v_add_f64_e32 v[7:8], v[33:34], v[35:36]
.LBB6_276:
	s_wait_alu 0xfffe
	s_or_b32 exec_lo, exec_lo, s2
	s_delay_alu instid0(VALU_DEP_1) | instskip(SKIP_1) | instid1(VALU_DEP_2)
	v_max_num_f64_e32 v[33:34], v[7:8], v[7:8]
	v_cmp_u_f64_e32 vcc_lo, v[7:8], v[7:8]
	v_min_num_f64_e32 v[35:36], v[33:34], v[9:10]
	v_max_num_f64_e32 v[9:10], v[33:34], v[9:10]
	s_wait_alu 0xfffd
	s_delay_alu instid0(VALU_DEP_2) | instskip(NEXT) | instid1(VALU_DEP_2)
	v_dual_cndmask_b32 v33, v35, v7 :: v_dual_cndmask_b32 v34, v36, v8
	v_dual_cndmask_b32 v10, v10, v8 :: v_dual_cndmask_b32 v9, v9, v7
	s_delay_alu instid0(VALU_DEP_2) | instskip(NEXT) | instid1(VALU_DEP_3)
	v_cndmask_b32_e64 v35, v33, v57, s3
	v_cndmask_b32_e64 v36, v34, v58, s3
	s_delay_alu instid0(VALU_DEP_3) | instskip(NEXT) | instid1(VALU_DEP_4)
	v_cndmask_b32_e64 v34, v10, v58, s3
	v_cndmask_b32_e64 v33, v9, v57, s3
	v_dual_mov_b32 v10, v8 :: v_dual_mov_b32 v9, v7
	s_delay_alu instid0(VALU_DEP_4) | instskip(NEXT) | instid1(VALU_DEP_3)
	v_cmp_class_f64_e64 s0, v[35:36], 0x1f8
	v_cmp_neq_f64_e32 vcc_lo, v[35:36], v[33:34]
	s_or_b32 s0, vcc_lo, s0
	s_wait_alu 0xfffe
	s_and_saveexec_b32 s15, s0
	s_cbranch_execz .LBB6_278
; %bb.277:
	v_add_f64_e64 v[9:10], v[35:36], -v[33:34]
	s_mov_b32 s0, 0x652b82fe
	s_mov_b32 s1, 0x3ff71547
	;; [unrolled: 1-line block ×10, first 2 shown]
	s_wait_alu 0xfffe
	s_delay_alu instid0(VALU_DEP_1) | instskip(SKIP_3) | instid1(VALU_DEP_2)
	v_mul_f64_e32 v[35:36], s[0:1], v[9:10]
	s_mov_b32 s0, 0xfca7ab0c
	s_mov_b32 s1, 0x3e928af3
	v_cmp_nlt_f64_e32 vcc_lo, 0x40900000, v[9:10]
	v_rndne_f64_e32 v[35:36], v[35:36]
	s_delay_alu instid0(VALU_DEP_1) | instskip(SKIP_2) | instid1(VALU_DEP_2)
	v_fma_f64 v[57:58], v[35:36], s[2:3], v[9:10]
	v_cvt_i32_f64_e32 v63, v[35:36]
	s_mov_b32 s3, 0x3fe62e42
	v_fma_f64 v[57:58], v[35:36], s[16:17], v[57:58]
	s_mov_b32 s17, 0x3c7abc9e
	s_wait_alu 0xfffe
	s_delay_alu instid0(VALU_DEP_1)
	v_fma_f64 v[61:62], v[57:58], s[18:19], s[0:1]
	s_mov_b32 s0, 0x623fde64
	s_mov_b32 s1, 0x3ec71dee
	;; [unrolled: 1-line block ×4, first 2 shown]
	s_wait_alu 0xfffe
	s_delay_alu instid0(VALU_DEP_1) | instskip(SKIP_3) | instid1(VALU_DEP_1)
	v_fma_f64 v[61:62], v[57:58], v[61:62], s[0:1]
	s_mov_b32 s0, 0x7c89e6b0
	s_mov_b32 s1, 0x3efa0199
	s_wait_alu 0xfffe
	v_fma_f64 v[61:62], v[57:58], v[61:62], s[0:1]
	s_mov_b32 s0, 0x14761f6e
	s_mov_b32 s1, 0x3f2a01a0
	s_wait_alu 0xfffe
	s_delay_alu instid0(VALU_DEP_1) | instskip(SKIP_3) | instid1(VALU_DEP_1)
	v_fma_f64 v[61:62], v[57:58], v[61:62], s[0:1]
	s_mov_b32 s0, 0x1852b7b0
	s_mov_b32 s1, 0x3f56c16c
	s_wait_alu 0xfffe
	v_fma_f64 v[61:62], v[57:58], v[61:62], s[0:1]
	s_mov_b32 s0, 0x11122322
	s_mov_b32 s1, 0x3f811111
	;; [unrolled: 9-line block ×3, first 2 shown]
	s_wait_alu 0xfffe
	s_delay_alu instid0(VALU_DEP_1) | instskip(SKIP_3) | instid1(VALU_DEP_1)
	v_fma_f64 v[61:62], v[57:58], v[61:62], s[0:1]
	s_mov_b32 s0, 11
	s_mov_b32 s1, 0x3fe00000
	s_wait_alu 0xfffe
	v_fma_f64 v[61:62], v[57:58], v[61:62], s[0:1]
	v_cmp_ngt_f64_e64 s0, 0xc090cc00, v[9:10]
	s_mov_b32 s1, 0x3fe55555
	v_fma_f64 v[61:62], v[57:58], v[61:62], 1.0
	s_delay_alu instid0(VALU_DEP_1) | instskip(NEXT) | instid1(VALU_DEP_1)
	v_fma_f64 v[35:36], v[57:58], v[61:62], 1.0
	v_ldexp_f64 v[35:36], v[35:36], v63
	s_wait_alu 0xfffd
	s_delay_alu instid0(VALU_DEP_1) | instskip(SKIP_2) | instid1(VALU_DEP_2)
	v_cndmask_b32_e32 v36, 0x7ff00000, v36, vcc_lo
	s_and_b32 vcc_lo, s0, vcc_lo
	s_wait_alu 0xfffe
	v_cndmask_b32_e32 v9, 0, v35, vcc_lo
	s_delay_alu instid0(VALU_DEP_2) | instskip(SKIP_1) | instid1(VALU_DEP_1)
	v_cndmask_b32_e64 v10, 0, v36, s0
	s_mov_b32 s0, 0x55555555
	v_add_f64_e32 v[35:36], 1.0, v[9:10]
	s_delay_alu instid0(VALU_DEP_1) | instskip(SKIP_3) | instid1(VALU_DEP_3)
	v_frexp_mant_f64_e32 v[57:58], v[35:36]
	v_frexp_exp_i32_f64_e32 v63, v[35:36]
	v_add_f64_e32 v[61:62], -1.0, v[35:36]
	s_wait_alu 0xfffe
	v_cmp_gt_f64_e32 vcc_lo, s[0:1], v[57:58]
	s_mov_b32 s0, 0x55555780
	s_delay_alu instid0(VALU_DEP_2) | instskip(SKIP_3) | instid1(VALU_DEP_3)
	v_add_f64_e64 v[57:58], v[61:62], -v[35:36]
	v_add_f64_e64 v[61:62], v[9:10], -v[61:62]
	s_wait_alu 0xfffd
	v_subrev_co_ci_u32_e64 v79, null, 0, v63, vcc_lo
	v_add_f64_e32 v[57:58], 1.0, v[57:58]
	v_cmp_nge_f64_e32 vcc_lo, -1.0, v[9:10]
	s_delay_alu instid0(VALU_DEP_3) | instskip(NEXT) | instid1(VALU_DEP_1)
	v_sub_nc_u32_e32 v65, 0, v79
	v_ldexp_f64 v[35:36], v[35:36], v65
	s_delay_alu instid0(VALU_DEP_4) | instskip(NEXT) | instid1(VALU_DEP_2)
	v_add_f64_e32 v[57:58], v[61:62], v[57:58]
	v_add_f64_e32 v[63:64], 1.0, v[35:36]
	s_wait_dscnt 0x0
	v_add_f64_e32 v[69:70], -1.0, v[35:36]
	s_delay_alu instid0(VALU_DEP_3) | instskip(NEXT) | instid1(VALU_DEP_3)
	v_ldexp_f64 v[57:58], v[57:58], v65
	v_add_f64_e32 v[61:62], -1.0, v[63:64]
	s_delay_alu instid0(VALU_DEP_3) | instskip(NEXT) | instid1(VALU_DEP_2)
	v_add_f64_e32 v[71:72], 1.0, v[69:70]
	v_add_f64_e64 v[61:62], v[35:36], -v[61:62]
	s_delay_alu instid0(VALU_DEP_2) | instskip(NEXT) | instid1(VALU_DEP_2)
	v_add_f64_e64 v[35:36], v[35:36], -v[71:72]
	v_add_f64_e32 v[61:62], v[57:58], v[61:62]
	s_delay_alu instid0(VALU_DEP_2) | instskip(NEXT) | instid1(VALU_DEP_2)
	v_add_f64_e32 v[35:36], v[57:58], v[35:36]
	v_add_f64_e32 v[65:66], v[63:64], v[61:62]
	s_delay_alu instid0(VALU_DEP_2) | instskip(NEXT) | instid1(VALU_DEP_2)
	v_add_f64_e32 v[71:72], v[69:70], v[35:36]
	v_rcp_f64_e32 v[67:68], v[65:66]
	v_add_f64_e64 v[63:64], v[65:66], -v[63:64]
	s_delay_alu instid0(VALU_DEP_2) | instskip(NEXT) | instid1(VALU_DEP_2)
	v_add_f64_e64 v[69:70], v[71:72], -v[69:70]
	v_add_f64_e64 v[61:62], v[61:62], -v[63:64]
	s_delay_alu instid0(TRANS32_DEP_1) | instskip(NEXT) | instid1(VALU_DEP_3)
	v_fma_f64 v[73:74], -v[65:66], v[67:68], 1.0
	v_add_f64_e64 v[35:36], v[35:36], -v[69:70]
	s_delay_alu instid0(VALU_DEP_2) | instskip(NEXT) | instid1(VALU_DEP_1)
	v_fma_f64 v[67:68], v[73:74], v[67:68], v[67:68]
	v_fma_f64 v[57:58], -v[65:66], v[67:68], 1.0
	s_delay_alu instid0(VALU_DEP_1) | instskip(NEXT) | instid1(VALU_DEP_1)
	v_fma_f64 v[57:58], v[57:58], v[67:68], v[67:68]
	v_mul_f64_e32 v[67:68], v[71:72], v[57:58]
	s_delay_alu instid0(VALU_DEP_1) | instskip(NEXT) | instid1(VALU_DEP_1)
	v_mul_f64_e32 v[73:74], v[65:66], v[67:68]
	v_fma_f64 v[63:64], v[67:68], v[65:66], -v[73:74]
	s_delay_alu instid0(VALU_DEP_1) | instskip(NEXT) | instid1(VALU_DEP_1)
	v_fma_f64 v[63:64], v[67:68], v[61:62], v[63:64]
	v_add_f64_e32 v[75:76], v[73:74], v[63:64]
	s_delay_alu instid0(VALU_DEP_1) | instskip(SKIP_1) | instid1(VALU_DEP_2)
	v_add_f64_e64 v[77:78], v[71:72], -v[75:76]
	v_add_f64_e64 v[69:70], v[75:76], -v[73:74]
	;; [unrolled: 1-line block ×3, first 2 shown]
	s_delay_alu instid0(VALU_DEP_2) | instskip(NEXT) | instid1(VALU_DEP_2)
	v_add_f64_e64 v[63:64], v[69:70], -v[63:64]
	v_add_f64_e64 v[71:72], v[71:72], -v[75:76]
	s_delay_alu instid0(VALU_DEP_1) | instskip(NEXT) | instid1(VALU_DEP_1)
	v_add_f64_e32 v[35:36], v[35:36], v[71:72]
	v_add_f64_e32 v[35:36], v[63:64], v[35:36]
	s_delay_alu instid0(VALU_DEP_1) | instskip(NEXT) | instid1(VALU_DEP_1)
	v_add_f64_e32 v[63:64], v[77:78], v[35:36]
	v_mul_f64_e32 v[69:70], v[57:58], v[63:64]
	v_add_f64_e64 v[75:76], v[77:78], -v[63:64]
	s_delay_alu instid0(VALU_DEP_2) | instskip(NEXT) | instid1(VALU_DEP_2)
	v_mul_f64_e32 v[71:72], v[65:66], v[69:70]
	v_add_f64_e32 v[35:36], v[35:36], v[75:76]
	s_delay_alu instid0(VALU_DEP_2) | instskip(NEXT) | instid1(VALU_DEP_1)
	v_fma_f64 v[65:66], v[69:70], v[65:66], -v[71:72]
	v_fma_f64 v[61:62], v[69:70], v[61:62], v[65:66]
	s_delay_alu instid0(VALU_DEP_1) | instskip(NEXT) | instid1(VALU_DEP_1)
	v_add_f64_e32 v[65:66], v[71:72], v[61:62]
	v_add_f64_e64 v[73:74], v[63:64], -v[65:66]
	v_add_f64_e64 v[71:72], v[65:66], -v[71:72]
	s_delay_alu instid0(VALU_DEP_2) | instskip(NEXT) | instid1(VALU_DEP_2)
	v_add_f64_e64 v[63:64], v[63:64], -v[73:74]
	v_add_f64_e64 v[61:62], v[71:72], -v[61:62]
	s_delay_alu instid0(VALU_DEP_2) | instskip(NEXT) | instid1(VALU_DEP_1)
	v_add_f64_e64 v[63:64], v[63:64], -v[65:66]
	v_add_f64_e32 v[35:36], v[35:36], v[63:64]
	v_add_f64_e32 v[63:64], v[67:68], v[69:70]
	s_delay_alu instid0(VALU_DEP_2) | instskip(NEXT) | instid1(VALU_DEP_2)
	v_add_f64_e32 v[35:36], v[61:62], v[35:36]
	v_add_f64_e64 v[61:62], v[63:64], -v[67:68]
	s_delay_alu instid0(VALU_DEP_2) | instskip(NEXT) | instid1(VALU_DEP_2)
	v_add_f64_e32 v[35:36], v[73:74], v[35:36]
	v_add_f64_e64 v[61:62], v[69:70], -v[61:62]
	s_delay_alu instid0(VALU_DEP_2) | instskip(NEXT) | instid1(VALU_DEP_1)
	v_mul_f64_e32 v[35:36], v[57:58], v[35:36]
	v_add_f64_e32 v[35:36], v[61:62], v[35:36]
	s_delay_alu instid0(VALU_DEP_1) | instskip(NEXT) | instid1(VALU_DEP_1)
	v_add_f64_e32 v[57:58], v[63:64], v[35:36]
	v_mul_f64_e32 v[61:62], v[57:58], v[57:58]
	s_delay_alu instid0(VALU_DEP_1) | instskip(SKIP_4) | instid1(VALU_DEP_2)
	v_fma_f64 v[65:66], v[61:62], s[20:21], s[18:19]
	s_mov_b32 s18, 0xd7f4df2e
	s_mov_b32 s19, 0x3fc7474d
	v_mul_f64_e32 v[67:68], v[57:58], v[61:62]
	s_wait_alu 0xfffe
	v_fma_f64 v[65:66], v[61:62], v[65:66], s[18:19]
	s_mov_b32 s18, 0x16291751
	s_mov_b32 s19, 0x3fcc71c0
	s_wait_alu 0xfffe
	s_delay_alu instid0(VALU_DEP_1) | instskip(SKIP_3) | instid1(VALU_DEP_1)
	v_fma_f64 v[65:66], v[61:62], v[65:66], s[18:19]
	s_mov_b32 s18, 0x9b27acf1
	s_mov_b32 s19, 0x3fd24924
	s_wait_alu 0xfffe
	v_fma_f64 v[65:66], v[61:62], v[65:66], s[18:19]
	s_mov_b32 s18, 0x998ef7b6
	s_mov_b32 s19, 0x3fd99999
	s_wait_alu 0xfffe
	s_delay_alu instid0(VALU_DEP_1) | instskip(NEXT) | instid1(VALU_DEP_1)
	v_fma_f64 v[65:66], v[61:62], v[65:66], s[18:19]
	v_fma_f64 v[61:62], v[61:62], v[65:66], s[0:1]
	v_ldexp_f64 v[65:66], v[57:58], 1
	v_add_f64_e64 v[57:58], v[57:58], -v[63:64]
	v_cmp_neq_f64_e64 s0, 0x7ff00000, v[9:10]
	v_cmp_ngt_f64_e64 s1, -1.0, v[9:10]
	v_mul_f64_e32 v[61:62], v[67:68], v[61:62]
	v_cvt_f64_i32_e32 v[67:68], v79
	v_add_f64_e64 v[35:36], v[35:36], -v[57:58]
	s_and_b32 vcc_lo, vcc_lo, s0
	s_delay_alu instid0(VALU_DEP_3) | instskip(NEXT) | instid1(VALU_DEP_3)
	v_add_f64_e32 v[63:64], v[65:66], v[61:62]
	v_mul_f64_e32 v[69:70], s[2:3], v[67:68]
	s_delay_alu instid0(VALU_DEP_3) | instskip(NEXT) | instid1(VALU_DEP_3)
	v_ldexp_f64 v[35:36], v[35:36], 1
	v_add_f64_e64 v[57:58], v[63:64], -v[65:66]
	s_delay_alu instid0(VALU_DEP_3) | instskip(NEXT) | instid1(VALU_DEP_2)
	v_fma_f64 v[65:66], v[67:68], s[2:3], -v[69:70]
	v_add_f64_e64 v[57:58], v[61:62], -v[57:58]
	s_delay_alu instid0(VALU_DEP_2) | instskip(NEXT) | instid1(VALU_DEP_2)
	v_fma_f64 v[61:62], v[67:68], s[16:17], v[65:66]
	v_add_f64_e32 v[35:36], v[35:36], v[57:58]
	s_delay_alu instid0(VALU_DEP_2) | instskip(NEXT) | instid1(VALU_DEP_2)
	v_add_f64_e32 v[57:58], v[69:70], v[61:62]
	v_add_f64_e32 v[65:66], v[63:64], v[35:36]
	s_delay_alu instid0(VALU_DEP_2) | instskip(NEXT) | instid1(VALU_DEP_2)
	v_add_f64_e64 v[69:70], v[57:58], -v[69:70]
	v_add_f64_e32 v[67:68], v[57:58], v[65:66]
	v_add_f64_e64 v[63:64], v[65:66], -v[63:64]
	s_delay_alu instid0(VALU_DEP_3) | instskip(NEXT) | instid1(VALU_DEP_3)
	v_add_f64_e64 v[61:62], v[61:62], -v[69:70]
	v_add_f64_e64 v[71:72], v[67:68], -v[57:58]
	s_delay_alu instid0(VALU_DEP_3) | instskip(NEXT) | instid1(VALU_DEP_2)
	v_add_f64_e64 v[35:36], v[35:36], -v[63:64]
	v_add_f64_e64 v[73:74], v[67:68], -v[71:72]
	;; [unrolled: 1-line block ×3, first 2 shown]
	s_delay_alu instid0(VALU_DEP_3) | instskip(NEXT) | instid1(VALU_DEP_3)
	v_add_f64_e32 v[65:66], v[61:62], v[35:36]
	v_add_f64_e64 v[57:58], v[57:58], -v[73:74]
	s_delay_alu instid0(VALU_DEP_1) | instskip(NEXT) | instid1(VALU_DEP_3)
	v_add_f64_e32 v[57:58], v[63:64], v[57:58]
	v_add_f64_e64 v[63:64], v[65:66], -v[61:62]
	s_delay_alu instid0(VALU_DEP_2) | instskip(NEXT) | instid1(VALU_DEP_2)
	v_add_f64_e32 v[57:58], v[65:66], v[57:58]
	v_add_f64_e64 v[65:66], v[65:66], -v[63:64]
	v_add_f64_e64 v[35:36], v[35:36], -v[63:64]
	s_delay_alu instid0(VALU_DEP_3) | instskip(NEXT) | instid1(VALU_DEP_3)
	v_add_f64_e32 v[69:70], v[67:68], v[57:58]
	v_add_f64_e64 v[61:62], v[61:62], -v[65:66]
	s_delay_alu instid0(VALU_DEP_2) | instskip(NEXT) | instid1(VALU_DEP_2)
	v_add_f64_e64 v[63:64], v[69:70], -v[67:68]
	v_add_f64_e32 v[35:36], v[35:36], v[61:62]
	s_delay_alu instid0(VALU_DEP_2) | instskip(NEXT) | instid1(VALU_DEP_1)
	v_add_f64_e64 v[57:58], v[57:58], -v[63:64]
	v_add_f64_e32 v[35:36], v[35:36], v[57:58]
	s_delay_alu instid0(VALU_DEP_1) | instskip(SKIP_1) | instid1(VALU_DEP_1)
	v_add_f64_e32 v[35:36], v[69:70], v[35:36]
	s_wait_alu 0xfffe
	v_cndmask_b32_e32 v35, 0, v35, vcc_lo
	v_cmp_neq_f64_e32 vcc_lo, -1.0, v[9:10]
	s_delay_alu instid0(VALU_DEP_3) | instskip(NEXT) | instid1(VALU_DEP_1)
	v_cndmask_b32_e64 v36, 0x7ff00000, v36, s0
	v_cndmask_b32_e64 v36, 0x7ff80000, v36, s1
	s_wait_alu 0xfffd
	s_delay_alu instid0(VALU_DEP_1) | instskip(NEXT) | instid1(VALU_DEP_1)
	v_cndmask_b32_e32 v36, 0xfff00000, v36, vcc_lo
	v_add_f64_e32 v[9:10], v[33:34], v[35:36]
.LBB6_278:
	s_wait_alu 0xfffe
	s_or_b32 exec_lo, exec_lo, s15
	s_delay_alu instid0(VALU_DEP_1) | instskip(SKIP_1) | instid1(VALU_DEP_2)
	v_max_num_f64_e32 v[33:34], v[9:10], v[9:10]
	v_cmp_u_f64_e32 vcc_lo, v[9:10], v[9:10]
	v_min_num_f64_e32 v[35:36], v[33:34], v[11:12]
	v_max_num_f64_e32 v[11:12], v[33:34], v[11:12]
	s_wait_alu 0xfffd
	s_delay_alu instid0(VALU_DEP_2) | instskip(NEXT) | instid1(VALU_DEP_2)
	v_dual_cndmask_b32 v33, v35, v9 :: v_dual_cndmask_b32 v34, v36, v10
	v_dual_cndmask_b32 v12, v12, v10 :: v_dual_cndmask_b32 v11, v11, v9
	s_delay_alu instid0(VALU_DEP_2) | instskip(NEXT) | instid1(VALU_DEP_3)
	v_cndmask_b32_e64 v35, v33, v59, s4
	v_cndmask_b32_e64 v36, v34, v60, s4
	s_delay_alu instid0(VALU_DEP_3) | instskip(NEXT) | instid1(VALU_DEP_4)
	v_cndmask_b32_e64 v34, v12, v60, s4
	v_cndmask_b32_e64 v33, v11, v59, s4
	v_dual_mov_b32 v12, v10 :: v_dual_mov_b32 v11, v9
	s_delay_alu instid0(VALU_DEP_4) | instskip(NEXT) | instid1(VALU_DEP_3)
	v_cmp_class_f64_e64 s0, v[35:36], 0x1f8
	v_cmp_neq_f64_e32 vcc_lo, v[35:36], v[33:34]
	s_or_b32 s0, vcc_lo, s0
	s_wait_alu 0xfffe
	s_and_saveexec_b32 s4, s0
	s_cbranch_execz .LBB6_280
; %bb.279:
	v_add_f64_e64 v[11:12], v[35:36], -v[33:34]
	s_mov_b32 s0, 0x652b82fe
	s_mov_b32 s1, 0x3ff71547
	;; [unrolled: 1-line block ×10, first 2 shown]
	s_wait_alu 0xfffe
	s_delay_alu instid0(VALU_DEP_1) | instskip(SKIP_3) | instid1(VALU_DEP_2)
	v_mul_f64_e32 v[35:36], s[0:1], v[11:12]
	s_mov_b32 s0, 0xfca7ab0c
	s_mov_b32 s1, 0x3e928af3
	v_cmp_nlt_f64_e32 vcc_lo, 0x40900000, v[11:12]
	v_rndne_f64_e32 v[35:36], v[35:36]
	s_delay_alu instid0(VALU_DEP_1) | instskip(SKIP_2) | instid1(VALU_DEP_2)
	v_fma_f64 v[57:58], v[35:36], s[2:3], v[11:12]
	v_cvt_i32_f64_e32 v61, v[35:36]
	s_mov_b32 s3, 0x3fe62e42
	v_fma_f64 v[57:58], v[35:36], s[16:17], v[57:58]
	s_mov_b32 s17, 0x3c7abc9e
	s_wait_alu 0xfffe
	s_delay_alu instid0(VALU_DEP_1)
	v_fma_f64 v[59:60], v[57:58], s[18:19], s[0:1]
	s_mov_b32 s0, 0x623fde64
	s_mov_b32 s1, 0x3ec71dee
	s_mov_b32 s18, 0x6b47b09a
	s_mov_b32 s19, 0x3fc38538
	s_wait_alu 0xfffe
	s_delay_alu instid0(VALU_DEP_1) | instskip(SKIP_3) | instid1(VALU_DEP_1)
	v_fma_f64 v[59:60], v[57:58], v[59:60], s[0:1]
	s_mov_b32 s0, 0x7c89e6b0
	s_mov_b32 s1, 0x3efa0199
	s_wait_alu 0xfffe
	v_fma_f64 v[59:60], v[57:58], v[59:60], s[0:1]
	s_mov_b32 s0, 0x14761f6e
	s_mov_b32 s1, 0x3f2a01a0
	s_wait_alu 0xfffe
	s_delay_alu instid0(VALU_DEP_1) | instskip(SKIP_3) | instid1(VALU_DEP_1)
	v_fma_f64 v[59:60], v[57:58], v[59:60], s[0:1]
	s_mov_b32 s0, 0x1852b7b0
	s_mov_b32 s1, 0x3f56c16c
	s_wait_alu 0xfffe
	v_fma_f64 v[59:60], v[57:58], v[59:60], s[0:1]
	s_mov_b32 s0, 0x11122322
	s_mov_b32 s1, 0x3f811111
	;; [unrolled: 9-line block ×3, first 2 shown]
	s_wait_alu 0xfffe
	s_delay_alu instid0(VALU_DEP_1) | instskip(SKIP_3) | instid1(VALU_DEP_1)
	v_fma_f64 v[59:60], v[57:58], v[59:60], s[0:1]
	s_mov_b32 s0, 11
	s_mov_b32 s1, 0x3fe00000
	s_wait_alu 0xfffe
	v_fma_f64 v[59:60], v[57:58], v[59:60], s[0:1]
	v_cmp_ngt_f64_e64 s0, 0xc090cc00, v[11:12]
	s_mov_b32 s1, 0x3fe55555
	v_fma_f64 v[59:60], v[57:58], v[59:60], 1.0
	s_delay_alu instid0(VALU_DEP_1) | instskip(NEXT) | instid1(VALU_DEP_1)
	v_fma_f64 v[35:36], v[57:58], v[59:60], 1.0
	v_ldexp_f64 v[35:36], v[35:36], v61
	s_wait_alu 0xfffd
	s_delay_alu instid0(VALU_DEP_1) | instskip(SKIP_2) | instid1(VALU_DEP_2)
	v_cndmask_b32_e32 v36, 0x7ff00000, v36, vcc_lo
	s_and_b32 vcc_lo, s0, vcc_lo
	s_wait_alu 0xfffe
	v_cndmask_b32_e32 v11, 0, v35, vcc_lo
	s_delay_alu instid0(VALU_DEP_2) | instskip(SKIP_1) | instid1(VALU_DEP_1)
	v_cndmask_b32_e64 v12, 0, v36, s0
	s_mov_b32 s0, 0x55555555
	v_add_f64_e32 v[35:36], 1.0, v[11:12]
	s_delay_alu instid0(VALU_DEP_1) | instskip(SKIP_3) | instid1(VALU_DEP_3)
	v_frexp_mant_f64_e32 v[57:58], v[35:36]
	v_frexp_exp_i32_f64_e32 v61, v[35:36]
	v_add_f64_e32 v[59:60], -1.0, v[35:36]
	s_wait_alu 0xfffe
	v_cmp_gt_f64_e32 vcc_lo, s[0:1], v[57:58]
	s_mov_b32 s0, 0x55555780
	s_delay_alu instid0(VALU_DEP_2) | instskip(SKIP_3) | instid1(VALU_DEP_3)
	v_add_f64_e64 v[57:58], v[59:60], -v[35:36]
	v_add_f64_e64 v[59:60], v[11:12], -v[59:60]
	s_wait_alu 0xfffd
	v_subrev_co_ci_u32_e64 v77, null, 0, v61, vcc_lo
	v_add_f64_e32 v[57:58], 1.0, v[57:58]
	v_cmp_nge_f64_e32 vcc_lo, -1.0, v[11:12]
	s_delay_alu instid0(VALU_DEP_3) | instskip(NEXT) | instid1(VALU_DEP_1)
	v_sub_nc_u32_e32 v63, 0, v77
	v_ldexp_f64 v[35:36], v[35:36], v63
	s_delay_alu instid0(VALU_DEP_4) | instskip(NEXT) | instid1(VALU_DEP_2)
	v_add_f64_e32 v[57:58], v[59:60], v[57:58]
	v_add_f64_e32 v[61:62], 1.0, v[35:36]
	v_add_f64_e32 v[67:68], -1.0, v[35:36]
	s_delay_alu instid0(VALU_DEP_3) | instskip(NEXT) | instid1(VALU_DEP_3)
	v_ldexp_f64 v[57:58], v[57:58], v63
	v_add_f64_e32 v[59:60], -1.0, v[61:62]
	s_wait_dscnt 0x0
	s_delay_alu instid0(VALU_DEP_3) | instskip(NEXT) | instid1(VALU_DEP_2)
	v_add_f64_e32 v[69:70], 1.0, v[67:68]
	v_add_f64_e64 v[59:60], v[35:36], -v[59:60]
	s_delay_alu instid0(VALU_DEP_2) | instskip(NEXT) | instid1(VALU_DEP_2)
	v_add_f64_e64 v[35:36], v[35:36], -v[69:70]
	v_add_f64_e32 v[59:60], v[57:58], v[59:60]
	s_delay_alu instid0(VALU_DEP_2) | instskip(NEXT) | instid1(VALU_DEP_2)
	v_add_f64_e32 v[35:36], v[57:58], v[35:36]
	v_add_f64_e32 v[63:64], v[61:62], v[59:60]
	s_delay_alu instid0(VALU_DEP_2) | instskip(NEXT) | instid1(VALU_DEP_2)
	v_add_f64_e32 v[69:70], v[67:68], v[35:36]
	v_rcp_f64_e32 v[65:66], v[63:64]
	v_add_f64_e64 v[61:62], v[63:64], -v[61:62]
	s_delay_alu instid0(VALU_DEP_2) | instskip(NEXT) | instid1(VALU_DEP_2)
	v_add_f64_e64 v[67:68], v[69:70], -v[67:68]
	v_add_f64_e64 v[59:60], v[59:60], -v[61:62]
	s_delay_alu instid0(TRANS32_DEP_1) | instskip(NEXT) | instid1(VALU_DEP_3)
	v_fma_f64 v[71:72], -v[63:64], v[65:66], 1.0
	v_add_f64_e64 v[35:36], v[35:36], -v[67:68]
	s_delay_alu instid0(VALU_DEP_2) | instskip(NEXT) | instid1(VALU_DEP_1)
	v_fma_f64 v[65:66], v[71:72], v[65:66], v[65:66]
	v_fma_f64 v[57:58], -v[63:64], v[65:66], 1.0
	s_delay_alu instid0(VALU_DEP_1) | instskip(NEXT) | instid1(VALU_DEP_1)
	v_fma_f64 v[57:58], v[57:58], v[65:66], v[65:66]
	v_mul_f64_e32 v[65:66], v[69:70], v[57:58]
	s_delay_alu instid0(VALU_DEP_1) | instskip(NEXT) | instid1(VALU_DEP_1)
	v_mul_f64_e32 v[71:72], v[63:64], v[65:66]
	v_fma_f64 v[61:62], v[65:66], v[63:64], -v[71:72]
	s_delay_alu instid0(VALU_DEP_1) | instskip(NEXT) | instid1(VALU_DEP_1)
	v_fma_f64 v[61:62], v[65:66], v[59:60], v[61:62]
	v_add_f64_e32 v[73:74], v[71:72], v[61:62]
	s_delay_alu instid0(VALU_DEP_1) | instskip(SKIP_1) | instid1(VALU_DEP_2)
	v_add_f64_e64 v[75:76], v[69:70], -v[73:74]
	v_add_f64_e64 v[67:68], v[73:74], -v[71:72]
	;; [unrolled: 1-line block ×3, first 2 shown]
	s_delay_alu instid0(VALU_DEP_2) | instskip(NEXT) | instid1(VALU_DEP_2)
	v_add_f64_e64 v[61:62], v[67:68], -v[61:62]
	v_add_f64_e64 v[69:70], v[69:70], -v[73:74]
	s_delay_alu instid0(VALU_DEP_1) | instskip(NEXT) | instid1(VALU_DEP_1)
	v_add_f64_e32 v[35:36], v[35:36], v[69:70]
	v_add_f64_e32 v[35:36], v[61:62], v[35:36]
	s_delay_alu instid0(VALU_DEP_1) | instskip(NEXT) | instid1(VALU_DEP_1)
	v_add_f64_e32 v[61:62], v[75:76], v[35:36]
	v_mul_f64_e32 v[67:68], v[57:58], v[61:62]
	v_add_f64_e64 v[73:74], v[75:76], -v[61:62]
	s_delay_alu instid0(VALU_DEP_2) | instskip(NEXT) | instid1(VALU_DEP_2)
	v_mul_f64_e32 v[69:70], v[63:64], v[67:68]
	v_add_f64_e32 v[35:36], v[35:36], v[73:74]
	s_delay_alu instid0(VALU_DEP_2) | instskip(NEXT) | instid1(VALU_DEP_1)
	v_fma_f64 v[63:64], v[67:68], v[63:64], -v[69:70]
	v_fma_f64 v[59:60], v[67:68], v[59:60], v[63:64]
	s_delay_alu instid0(VALU_DEP_1) | instskip(NEXT) | instid1(VALU_DEP_1)
	v_add_f64_e32 v[63:64], v[69:70], v[59:60]
	v_add_f64_e64 v[71:72], v[61:62], -v[63:64]
	v_add_f64_e64 v[69:70], v[63:64], -v[69:70]
	s_delay_alu instid0(VALU_DEP_2) | instskip(NEXT) | instid1(VALU_DEP_2)
	v_add_f64_e64 v[61:62], v[61:62], -v[71:72]
	v_add_f64_e64 v[59:60], v[69:70], -v[59:60]
	s_delay_alu instid0(VALU_DEP_2) | instskip(NEXT) | instid1(VALU_DEP_1)
	v_add_f64_e64 v[61:62], v[61:62], -v[63:64]
	v_add_f64_e32 v[35:36], v[35:36], v[61:62]
	v_add_f64_e32 v[61:62], v[65:66], v[67:68]
	s_delay_alu instid0(VALU_DEP_2) | instskip(NEXT) | instid1(VALU_DEP_2)
	v_add_f64_e32 v[35:36], v[59:60], v[35:36]
	v_add_f64_e64 v[59:60], v[61:62], -v[65:66]
	s_delay_alu instid0(VALU_DEP_2) | instskip(NEXT) | instid1(VALU_DEP_2)
	v_add_f64_e32 v[35:36], v[71:72], v[35:36]
	v_add_f64_e64 v[59:60], v[67:68], -v[59:60]
	s_delay_alu instid0(VALU_DEP_2) | instskip(NEXT) | instid1(VALU_DEP_1)
	v_mul_f64_e32 v[35:36], v[57:58], v[35:36]
	v_add_f64_e32 v[35:36], v[59:60], v[35:36]
	s_delay_alu instid0(VALU_DEP_1) | instskip(NEXT) | instid1(VALU_DEP_1)
	v_add_f64_e32 v[57:58], v[61:62], v[35:36]
	v_mul_f64_e32 v[59:60], v[57:58], v[57:58]
	s_delay_alu instid0(VALU_DEP_1) | instskip(SKIP_4) | instid1(VALU_DEP_2)
	v_fma_f64 v[63:64], v[59:60], s[20:21], s[18:19]
	s_mov_b32 s18, 0xd7f4df2e
	s_mov_b32 s19, 0x3fc7474d
	v_mul_f64_e32 v[65:66], v[57:58], v[59:60]
	s_wait_alu 0xfffe
	v_fma_f64 v[63:64], v[59:60], v[63:64], s[18:19]
	s_mov_b32 s18, 0x16291751
	s_mov_b32 s19, 0x3fcc71c0
	s_wait_alu 0xfffe
	s_delay_alu instid0(VALU_DEP_1) | instskip(SKIP_3) | instid1(VALU_DEP_1)
	v_fma_f64 v[63:64], v[59:60], v[63:64], s[18:19]
	s_mov_b32 s18, 0x9b27acf1
	s_mov_b32 s19, 0x3fd24924
	s_wait_alu 0xfffe
	v_fma_f64 v[63:64], v[59:60], v[63:64], s[18:19]
	s_mov_b32 s18, 0x998ef7b6
	s_mov_b32 s19, 0x3fd99999
	s_wait_alu 0xfffe
	s_delay_alu instid0(VALU_DEP_1) | instskip(NEXT) | instid1(VALU_DEP_1)
	v_fma_f64 v[63:64], v[59:60], v[63:64], s[18:19]
	v_fma_f64 v[59:60], v[59:60], v[63:64], s[0:1]
	v_ldexp_f64 v[63:64], v[57:58], 1
	v_add_f64_e64 v[57:58], v[57:58], -v[61:62]
	v_cmp_neq_f64_e64 s0, 0x7ff00000, v[11:12]
	v_cmp_ngt_f64_e64 s1, -1.0, v[11:12]
	v_mul_f64_e32 v[59:60], v[65:66], v[59:60]
	v_cvt_f64_i32_e32 v[65:66], v77
	v_add_f64_e64 v[35:36], v[35:36], -v[57:58]
	s_and_b32 vcc_lo, vcc_lo, s0
	s_delay_alu instid0(VALU_DEP_3) | instskip(NEXT) | instid1(VALU_DEP_3)
	v_add_f64_e32 v[61:62], v[63:64], v[59:60]
	v_mul_f64_e32 v[67:68], s[2:3], v[65:66]
	s_delay_alu instid0(VALU_DEP_3) | instskip(NEXT) | instid1(VALU_DEP_3)
	v_ldexp_f64 v[35:36], v[35:36], 1
	v_add_f64_e64 v[57:58], v[61:62], -v[63:64]
	s_delay_alu instid0(VALU_DEP_3) | instskip(NEXT) | instid1(VALU_DEP_2)
	v_fma_f64 v[63:64], v[65:66], s[2:3], -v[67:68]
	v_add_f64_e64 v[57:58], v[59:60], -v[57:58]
	s_delay_alu instid0(VALU_DEP_2) | instskip(NEXT) | instid1(VALU_DEP_2)
	v_fma_f64 v[59:60], v[65:66], s[16:17], v[63:64]
	v_add_f64_e32 v[35:36], v[35:36], v[57:58]
	s_delay_alu instid0(VALU_DEP_2) | instskip(NEXT) | instid1(VALU_DEP_2)
	v_add_f64_e32 v[57:58], v[67:68], v[59:60]
	v_add_f64_e32 v[63:64], v[61:62], v[35:36]
	s_delay_alu instid0(VALU_DEP_2) | instskip(NEXT) | instid1(VALU_DEP_2)
	v_add_f64_e64 v[67:68], v[57:58], -v[67:68]
	v_add_f64_e32 v[65:66], v[57:58], v[63:64]
	v_add_f64_e64 v[61:62], v[63:64], -v[61:62]
	s_delay_alu instid0(VALU_DEP_3) | instskip(NEXT) | instid1(VALU_DEP_3)
	v_add_f64_e64 v[59:60], v[59:60], -v[67:68]
	v_add_f64_e64 v[69:70], v[65:66], -v[57:58]
	s_delay_alu instid0(VALU_DEP_3) | instskip(NEXT) | instid1(VALU_DEP_2)
	v_add_f64_e64 v[35:36], v[35:36], -v[61:62]
	v_add_f64_e64 v[71:72], v[65:66], -v[69:70]
	;; [unrolled: 1-line block ×3, first 2 shown]
	s_delay_alu instid0(VALU_DEP_3) | instskip(NEXT) | instid1(VALU_DEP_3)
	v_add_f64_e32 v[63:64], v[59:60], v[35:36]
	v_add_f64_e64 v[57:58], v[57:58], -v[71:72]
	s_delay_alu instid0(VALU_DEP_1) | instskip(NEXT) | instid1(VALU_DEP_3)
	v_add_f64_e32 v[57:58], v[61:62], v[57:58]
	v_add_f64_e64 v[61:62], v[63:64], -v[59:60]
	s_delay_alu instid0(VALU_DEP_2) | instskip(NEXT) | instid1(VALU_DEP_2)
	v_add_f64_e32 v[57:58], v[63:64], v[57:58]
	v_add_f64_e64 v[63:64], v[63:64], -v[61:62]
	v_add_f64_e64 v[35:36], v[35:36], -v[61:62]
	s_delay_alu instid0(VALU_DEP_3) | instskip(NEXT) | instid1(VALU_DEP_3)
	v_add_f64_e32 v[67:68], v[65:66], v[57:58]
	v_add_f64_e64 v[59:60], v[59:60], -v[63:64]
	s_delay_alu instid0(VALU_DEP_2) | instskip(NEXT) | instid1(VALU_DEP_2)
	v_add_f64_e64 v[61:62], v[67:68], -v[65:66]
	v_add_f64_e32 v[35:36], v[35:36], v[59:60]
	s_delay_alu instid0(VALU_DEP_2) | instskip(NEXT) | instid1(VALU_DEP_1)
	v_add_f64_e64 v[57:58], v[57:58], -v[61:62]
	v_add_f64_e32 v[35:36], v[35:36], v[57:58]
	s_delay_alu instid0(VALU_DEP_1) | instskip(SKIP_1) | instid1(VALU_DEP_1)
	v_add_f64_e32 v[35:36], v[67:68], v[35:36]
	s_wait_alu 0xfffe
	v_cndmask_b32_e32 v35, 0, v35, vcc_lo
	v_cmp_neq_f64_e32 vcc_lo, -1.0, v[11:12]
	s_delay_alu instid0(VALU_DEP_3) | instskip(NEXT) | instid1(VALU_DEP_1)
	v_cndmask_b32_e64 v36, 0x7ff00000, v36, s0
	v_cndmask_b32_e64 v36, 0x7ff80000, v36, s1
	s_wait_alu 0xfffd
	s_delay_alu instid0(VALU_DEP_1) | instskip(NEXT) | instid1(VALU_DEP_1)
	v_cndmask_b32_e32 v36, 0xfff00000, v36, vcc_lo
	v_add_f64_e32 v[11:12], v[33:34], v[35:36]
.LBB6_280:
	s_wait_alu 0xfffe
	s_or_b32 exec_lo, exec_lo, s4
	s_delay_alu instid0(VALU_DEP_1) | instskip(SKIP_1) | instid1(VALU_DEP_2)
	v_max_num_f64_e32 v[33:34], v[11:12], v[11:12]
	v_cmp_u_f64_e32 vcc_lo, v[11:12], v[11:12]
	v_min_num_f64_e32 v[35:36], v[33:34], v[13:14]
	v_max_num_f64_e32 v[13:14], v[33:34], v[13:14]
	s_wait_alu 0xfffd
	s_delay_alu instid0(VALU_DEP_2) | instskip(NEXT) | instid1(VALU_DEP_2)
	v_dual_cndmask_b32 v33, v35, v11 :: v_dual_cndmask_b32 v34, v36, v12
	v_dual_cndmask_b32 v14, v14, v12 :: v_dual_cndmask_b32 v13, v13, v11
	s_delay_alu instid0(VALU_DEP_2) | instskip(NEXT) | instid1(VALU_DEP_3)
	v_cndmask_b32_e64 v35, v33, v53, s5
	v_cndmask_b32_e64 v36, v34, v54, s5
	s_delay_alu instid0(VALU_DEP_3) | instskip(NEXT) | instid1(VALU_DEP_4)
	v_cndmask_b32_e64 v34, v14, v54, s5
	v_cndmask_b32_e64 v33, v13, v53, s5
	v_dual_mov_b32 v14, v12 :: v_dual_mov_b32 v13, v11
	s_delay_alu instid0(VALU_DEP_4) | instskip(NEXT) | instid1(VALU_DEP_3)
	v_cmp_class_f64_e64 s0, v[35:36], 0x1f8
	v_cmp_neq_f64_e32 vcc_lo, v[35:36], v[33:34]
	s_or_b32 s0, vcc_lo, s0
	s_wait_alu 0xfffe
	s_and_saveexec_b32 s15, s0
	s_cbranch_execz .LBB6_282
; %bb.281:
	v_add_f64_e64 v[13:14], v[35:36], -v[33:34]
	s_mov_b32 s0, 0x652b82fe
	s_mov_b32 s1, 0x3ff71547
	s_mov_b32 s3, 0xbfe62e42
	s_mov_b32 s2, 0xfefa39ef
	s_mov_b32 s5, 0xbc7abc9e
	s_mov_b32 s4, 0x3b39803f
	s_mov_b32 s16, 0x6a5dcb37
	s_mov_b32 s17, 0x3e5ade15
	s_mov_b32 s18, 0xbf559e2b
	s_mov_b32 s19, 0x3fc3ab76
	s_wait_alu 0xfffe
	s_delay_alu instid0(VALU_DEP_1) | instskip(SKIP_3) | instid1(VALU_DEP_2)
	v_mul_f64_e32 v[35:36], s[0:1], v[13:14]
	s_mov_b32 s0, 0xfca7ab0c
	s_mov_b32 s1, 0x3e928af3
	v_cmp_nlt_f64_e32 vcc_lo, 0x40900000, v[13:14]
	v_rndne_f64_e32 v[35:36], v[35:36]
	s_delay_alu instid0(VALU_DEP_1) | instskip(SKIP_2) | instid1(VALU_DEP_2)
	v_fma_f64 v[53:54], v[35:36], s[2:3], v[13:14]
	v_cvt_i32_f64_e32 v59, v[35:36]
	s_mov_b32 s3, 0x3fe62e42
	v_fma_f64 v[53:54], v[35:36], s[4:5], v[53:54]
	s_mov_b32 s5, 0x3c7abc9e
	s_wait_alu 0xfffe
	s_delay_alu instid0(VALU_DEP_1)
	v_fma_f64 v[57:58], v[53:54], s[16:17], s[0:1]
	s_mov_b32 s0, 0x623fde64
	s_mov_b32 s1, 0x3ec71dee
	s_mov_b32 s16, 0x6b47b09a
	s_mov_b32 s17, 0x3fc38538
	s_wait_alu 0xfffe
	s_delay_alu instid0(VALU_DEP_1) | instskip(SKIP_3) | instid1(VALU_DEP_1)
	v_fma_f64 v[57:58], v[53:54], v[57:58], s[0:1]
	s_mov_b32 s0, 0x7c89e6b0
	s_mov_b32 s1, 0x3efa0199
	s_wait_alu 0xfffe
	v_fma_f64 v[57:58], v[53:54], v[57:58], s[0:1]
	s_mov_b32 s0, 0x14761f6e
	s_mov_b32 s1, 0x3f2a01a0
	s_wait_alu 0xfffe
	s_delay_alu instid0(VALU_DEP_1) | instskip(SKIP_3) | instid1(VALU_DEP_1)
	v_fma_f64 v[57:58], v[53:54], v[57:58], s[0:1]
	s_mov_b32 s0, 0x1852b7b0
	s_mov_b32 s1, 0x3f56c16c
	s_wait_alu 0xfffe
	v_fma_f64 v[57:58], v[53:54], v[57:58], s[0:1]
	s_mov_b32 s0, 0x11122322
	s_mov_b32 s1, 0x3f811111
	;; [unrolled: 9-line block ×3, first 2 shown]
	s_wait_alu 0xfffe
	s_delay_alu instid0(VALU_DEP_1) | instskip(SKIP_3) | instid1(VALU_DEP_1)
	v_fma_f64 v[57:58], v[53:54], v[57:58], s[0:1]
	s_mov_b32 s0, 11
	s_mov_b32 s1, 0x3fe00000
	s_wait_alu 0xfffe
	v_fma_f64 v[57:58], v[53:54], v[57:58], s[0:1]
	v_cmp_ngt_f64_e64 s0, 0xc090cc00, v[13:14]
	s_mov_b32 s1, 0x3fe55555
	v_fma_f64 v[57:58], v[53:54], v[57:58], 1.0
	s_delay_alu instid0(VALU_DEP_1) | instskip(NEXT) | instid1(VALU_DEP_1)
	v_fma_f64 v[35:36], v[53:54], v[57:58], 1.0
	v_ldexp_f64 v[35:36], v[35:36], v59
	s_wait_alu 0xfffd
	s_delay_alu instid0(VALU_DEP_1) | instskip(SKIP_2) | instid1(VALU_DEP_2)
	v_cndmask_b32_e32 v36, 0x7ff00000, v36, vcc_lo
	s_and_b32 vcc_lo, s0, vcc_lo
	s_wait_alu 0xfffe
	v_cndmask_b32_e32 v13, 0, v35, vcc_lo
	s_delay_alu instid0(VALU_DEP_2) | instskip(SKIP_1) | instid1(VALU_DEP_1)
	v_cndmask_b32_e64 v14, 0, v36, s0
	s_mov_b32 s0, 0x55555555
	v_add_f64_e32 v[35:36], 1.0, v[13:14]
	s_delay_alu instid0(VALU_DEP_1) | instskip(SKIP_3) | instid1(VALU_DEP_3)
	v_frexp_mant_f64_e32 v[53:54], v[35:36]
	v_frexp_exp_i32_f64_e32 v59, v[35:36]
	v_add_f64_e32 v[57:58], -1.0, v[35:36]
	s_wait_alu 0xfffe
	v_cmp_gt_f64_e32 vcc_lo, s[0:1], v[53:54]
	s_mov_b32 s0, 0x55555780
	s_delay_alu instid0(VALU_DEP_2) | instskip(SKIP_3) | instid1(VALU_DEP_3)
	v_add_f64_e64 v[53:54], v[57:58], -v[35:36]
	v_add_f64_e64 v[57:58], v[13:14], -v[57:58]
	s_wait_alu 0xfffd
	v_subrev_co_ci_u32_e64 v75, null, 0, v59, vcc_lo
	v_add_f64_e32 v[53:54], 1.0, v[53:54]
	v_cmp_nge_f64_e32 vcc_lo, -1.0, v[13:14]
	s_delay_alu instid0(VALU_DEP_3) | instskip(NEXT) | instid1(VALU_DEP_1)
	v_sub_nc_u32_e32 v61, 0, v75
	v_ldexp_f64 v[35:36], v[35:36], v61
	s_delay_alu instid0(VALU_DEP_4) | instskip(NEXT) | instid1(VALU_DEP_2)
	v_add_f64_e32 v[53:54], v[57:58], v[53:54]
	v_add_f64_e32 v[59:60], 1.0, v[35:36]
	v_add_f64_e32 v[65:66], -1.0, v[35:36]
	s_delay_alu instid0(VALU_DEP_3) | instskip(NEXT) | instid1(VALU_DEP_3)
	v_ldexp_f64 v[53:54], v[53:54], v61
	v_add_f64_e32 v[57:58], -1.0, v[59:60]
	s_delay_alu instid0(VALU_DEP_3) | instskip(NEXT) | instid1(VALU_DEP_2)
	v_add_f64_e32 v[67:68], 1.0, v[65:66]
	v_add_f64_e64 v[57:58], v[35:36], -v[57:58]
	s_delay_alu instid0(VALU_DEP_2) | instskip(NEXT) | instid1(VALU_DEP_2)
	v_add_f64_e64 v[35:36], v[35:36], -v[67:68]
	v_add_f64_e32 v[57:58], v[53:54], v[57:58]
	s_delay_alu instid0(VALU_DEP_2) | instskip(NEXT) | instid1(VALU_DEP_2)
	v_add_f64_e32 v[35:36], v[53:54], v[35:36]
	v_add_f64_e32 v[61:62], v[59:60], v[57:58]
	s_delay_alu instid0(VALU_DEP_2) | instskip(NEXT) | instid1(VALU_DEP_2)
	v_add_f64_e32 v[67:68], v[65:66], v[35:36]
	v_rcp_f64_e32 v[63:64], v[61:62]
	v_add_f64_e64 v[59:60], v[61:62], -v[59:60]
	s_delay_alu instid0(VALU_DEP_2) | instskip(NEXT) | instid1(VALU_DEP_2)
	v_add_f64_e64 v[65:66], v[67:68], -v[65:66]
	v_add_f64_e64 v[57:58], v[57:58], -v[59:60]
	s_wait_dscnt 0x0
	s_delay_alu instid0(TRANS32_DEP_1) | instskip(NEXT) | instid1(VALU_DEP_3)
	v_fma_f64 v[69:70], -v[61:62], v[63:64], 1.0
	v_add_f64_e64 v[35:36], v[35:36], -v[65:66]
	s_delay_alu instid0(VALU_DEP_2) | instskip(NEXT) | instid1(VALU_DEP_1)
	v_fma_f64 v[63:64], v[69:70], v[63:64], v[63:64]
	v_fma_f64 v[53:54], -v[61:62], v[63:64], 1.0
	s_delay_alu instid0(VALU_DEP_1) | instskip(NEXT) | instid1(VALU_DEP_1)
	v_fma_f64 v[53:54], v[53:54], v[63:64], v[63:64]
	v_mul_f64_e32 v[63:64], v[67:68], v[53:54]
	s_delay_alu instid0(VALU_DEP_1) | instskip(NEXT) | instid1(VALU_DEP_1)
	v_mul_f64_e32 v[69:70], v[61:62], v[63:64]
	v_fma_f64 v[59:60], v[63:64], v[61:62], -v[69:70]
	s_delay_alu instid0(VALU_DEP_1) | instskip(NEXT) | instid1(VALU_DEP_1)
	v_fma_f64 v[59:60], v[63:64], v[57:58], v[59:60]
	v_add_f64_e32 v[71:72], v[69:70], v[59:60]
	s_delay_alu instid0(VALU_DEP_1) | instskip(SKIP_1) | instid1(VALU_DEP_2)
	v_add_f64_e64 v[73:74], v[67:68], -v[71:72]
	v_add_f64_e64 v[65:66], v[71:72], -v[69:70]
	;; [unrolled: 1-line block ×3, first 2 shown]
	s_delay_alu instid0(VALU_DEP_2) | instskip(NEXT) | instid1(VALU_DEP_2)
	v_add_f64_e64 v[59:60], v[65:66], -v[59:60]
	v_add_f64_e64 v[67:68], v[67:68], -v[71:72]
	s_delay_alu instid0(VALU_DEP_1) | instskip(NEXT) | instid1(VALU_DEP_1)
	v_add_f64_e32 v[35:36], v[35:36], v[67:68]
	v_add_f64_e32 v[35:36], v[59:60], v[35:36]
	s_delay_alu instid0(VALU_DEP_1) | instskip(NEXT) | instid1(VALU_DEP_1)
	v_add_f64_e32 v[59:60], v[73:74], v[35:36]
	v_mul_f64_e32 v[65:66], v[53:54], v[59:60]
	v_add_f64_e64 v[71:72], v[73:74], -v[59:60]
	s_delay_alu instid0(VALU_DEP_2) | instskip(NEXT) | instid1(VALU_DEP_2)
	v_mul_f64_e32 v[67:68], v[61:62], v[65:66]
	v_add_f64_e32 v[35:36], v[35:36], v[71:72]
	s_delay_alu instid0(VALU_DEP_2) | instskip(NEXT) | instid1(VALU_DEP_1)
	v_fma_f64 v[61:62], v[65:66], v[61:62], -v[67:68]
	v_fma_f64 v[57:58], v[65:66], v[57:58], v[61:62]
	s_delay_alu instid0(VALU_DEP_1) | instskip(NEXT) | instid1(VALU_DEP_1)
	v_add_f64_e32 v[61:62], v[67:68], v[57:58]
	v_add_f64_e64 v[69:70], v[59:60], -v[61:62]
	v_add_f64_e64 v[67:68], v[61:62], -v[67:68]
	s_delay_alu instid0(VALU_DEP_2) | instskip(NEXT) | instid1(VALU_DEP_2)
	v_add_f64_e64 v[59:60], v[59:60], -v[69:70]
	v_add_f64_e64 v[57:58], v[67:68], -v[57:58]
	s_delay_alu instid0(VALU_DEP_2) | instskip(NEXT) | instid1(VALU_DEP_1)
	v_add_f64_e64 v[59:60], v[59:60], -v[61:62]
	v_add_f64_e32 v[35:36], v[35:36], v[59:60]
	v_add_f64_e32 v[59:60], v[63:64], v[65:66]
	s_delay_alu instid0(VALU_DEP_2) | instskip(NEXT) | instid1(VALU_DEP_2)
	v_add_f64_e32 v[35:36], v[57:58], v[35:36]
	v_add_f64_e64 v[57:58], v[59:60], -v[63:64]
	s_delay_alu instid0(VALU_DEP_2) | instskip(NEXT) | instid1(VALU_DEP_2)
	v_add_f64_e32 v[35:36], v[69:70], v[35:36]
	v_add_f64_e64 v[57:58], v[65:66], -v[57:58]
	s_delay_alu instid0(VALU_DEP_2) | instskip(NEXT) | instid1(VALU_DEP_1)
	v_mul_f64_e32 v[35:36], v[53:54], v[35:36]
	v_add_f64_e32 v[35:36], v[57:58], v[35:36]
	s_delay_alu instid0(VALU_DEP_1) | instskip(NEXT) | instid1(VALU_DEP_1)
	v_add_f64_e32 v[53:54], v[59:60], v[35:36]
	v_mul_f64_e32 v[57:58], v[53:54], v[53:54]
	s_delay_alu instid0(VALU_DEP_1) | instskip(SKIP_4) | instid1(VALU_DEP_2)
	v_fma_f64 v[61:62], v[57:58], s[18:19], s[16:17]
	s_mov_b32 s16, 0xd7f4df2e
	s_mov_b32 s17, 0x3fc7474d
	v_mul_f64_e32 v[63:64], v[53:54], v[57:58]
	s_wait_alu 0xfffe
	v_fma_f64 v[61:62], v[57:58], v[61:62], s[16:17]
	s_mov_b32 s16, 0x16291751
	s_mov_b32 s17, 0x3fcc71c0
	s_wait_alu 0xfffe
	s_delay_alu instid0(VALU_DEP_1) | instskip(SKIP_3) | instid1(VALU_DEP_1)
	v_fma_f64 v[61:62], v[57:58], v[61:62], s[16:17]
	s_mov_b32 s16, 0x9b27acf1
	s_mov_b32 s17, 0x3fd24924
	s_wait_alu 0xfffe
	v_fma_f64 v[61:62], v[57:58], v[61:62], s[16:17]
	s_mov_b32 s16, 0x998ef7b6
	s_mov_b32 s17, 0x3fd99999
	s_wait_alu 0xfffe
	s_delay_alu instid0(VALU_DEP_1) | instskip(NEXT) | instid1(VALU_DEP_1)
	v_fma_f64 v[61:62], v[57:58], v[61:62], s[16:17]
	v_fma_f64 v[57:58], v[57:58], v[61:62], s[0:1]
	v_ldexp_f64 v[61:62], v[53:54], 1
	v_add_f64_e64 v[53:54], v[53:54], -v[59:60]
	v_cmp_neq_f64_e64 s0, 0x7ff00000, v[13:14]
	v_cmp_ngt_f64_e64 s1, -1.0, v[13:14]
	v_mul_f64_e32 v[57:58], v[63:64], v[57:58]
	v_cvt_f64_i32_e32 v[63:64], v75
	v_add_f64_e64 v[35:36], v[35:36], -v[53:54]
	s_and_b32 vcc_lo, vcc_lo, s0
	s_delay_alu instid0(VALU_DEP_3) | instskip(NEXT) | instid1(VALU_DEP_3)
	v_add_f64_e32 v[59:60], v[61:62], v[57:58]
	v_mul_f64_e32 v[65:66], s[2:3], v[63:64]
	s_delay_alu instid0(VALU_DEP_3) | instskip(NEXT) | instid1(VALU_DEP_3)
	v_ldexp_f64 v[35:36], v[35:36], 1
	v_add_f64_e64 v[53:54], v[59:60], -v[61:62]
	s_delay_alu instid0(VALU_DEP_3) | instskip(NEXT) | instid1(VALU_DEP_2)
	v_fma_f64 v[61:62], v[63:64], s[2:3], -v[65:66]
	v_add_f64_e64 v[53:54], v[57:58], -v[53:54]
	s_delay_alu instid0(VALU_DEP_2) | instskip(NEXT) | instid1(VALU_DEP_2)
	v_fma_f64 v[57:58], v[63:64], s[4:5], v[61:62]
	v_add_f64_e32 v[35:36], v[35:36], v[53:54]
	s_delay_alu instid0(VALU_DEP_2) | instskip(NEXT) | instid1(VALU_DEP_2)
	v_add_f64_e32 v[53:54], v[65:66], v[57:58]
	v_add_f64_e32 v[61:62], v[59:60], v[35:36]
	s_delay_alu instid0(VALU_DEP_2) | instskip(NEXT) | instid1(VALU_DEP_2)
	v_add_f64_e64 v[65:66], v[53:54], -v[65:66]
	v_add_f64_e32 v[63:64], v[53:54], v[61:62]
	v_add_f64_e64 v[59:60], v[61:62], -v[59:60]
	s_delay_alu instid0(VALU_DEP_3) | instskip(NEXT) | instid1(VALU_DEP_3)
	v_add_f64_e64 v[57:58], v[57:58], -v[65:66]
	v_add_f64_e64 v[67:68], v[63:64], -v[53:54]
	s_delay_alu instid0(VALU_DEP_3) | instskip(NEXT) | instid1(VALU_DEP_2)
	v_add_f64_e64 v[35:36], v[35:36], -v[59:60]
	v_add_f64_e64 v[69:70], v[63:64], -v[67:68]
	;; [unrolled: 1-line block ×3, first 2 shown]
	s_delay_alu instid0(VALU_DEP_3) | instskip(NEXT) | instid1(VALU_DEP_3)
	v_add_f64_e32 v[61:62], v[57:58], v[35:36]
	v_add_f64_e64 v[53:54], v[53:54], -v[69:70]
	s_delay_alu instid0(VALU_DEP_1) | instskip(NEXT) | instid1(VALU_DEP_3)
	v_add_f64_e32 v[53:54], v[59:60], v[53:54]
	v_add_f64_e64 v[59:60], v[61:62], -v[57:58]
	s_delay_alu instid0(VALU_DEP_2) | instskip(NEXT) | instid1(VALU_DEP_2)
	v_add_f64_e32 v[53:54], v[61:62], v[53:54]
	v_add_f64_e64 v[61:62], v[61:62], -v[59:60]
	v_add_f64_e64 v[35:36], v[35:36], -v[59:60]
	s_delay_alu instid0(VALU_DEP_3) | instskip(NEXT) | instid1(VALU_DEP_3)
	v_add_f64_e32 v[65:66], v[63:64], v[53:54]
	v_add_f64_e64 v[57:58], v[57:58], -v[61:62]
	s_delay_alu instid0(VALU_DEP_2) | instskip(NEXT) | instid1(VALU_DEP_2)
	v_add_f64_e64 v[59:60], v[65:66], -v[63:64]
	v_add_f64_e32 v[35:36], v[35:36], v[57:58]
	s_delay_alu instid0(VALU_DEP_2) | instskip(NEXT) | instid1(VALU_DEP_1)
	v_add_f64_e64 v[53:54], v[53:54], -v[59:60]
	v_add_f64_e32 v[35:36], v[35:36], v[53:54]
	s_delay_alu instid0(VALU_DEP_1) | instskip(SKIP_1) | instid1(VALU_DEP_1)
	v_add_f64_e32 v[35:36], v[65:66], v[35:36]
	s_wait_alu 0xfffe
	v_cndmask_b32_e32 v35, 0, v35, vcc_lo
	v_cmp_neq_f64_e32 vcc_lo, -1.0, v[13:14]
	s_delay_alu instid0(VALU_DEP_3) | instskip(NEXT) | instid1(VALU_DEP_1)
	v_cndmask_b32_e64 v36, 0x7ff00000, v36, s0
	v_cndmask_b32_e64 v36, 0x7ff80000, v36, s1
	s_wait_alu 0xfffd
	s_delay_alu instid0(VALU_DEP_1) | instskip(NEXT) | instid1(VALU_DEP_1)
	v_cndmask_b32_e32 v36, 0xfff00000, v36, vcc_lo
	v_add_f64_e32 v[13:14], v[33:34], v[35:36]
.LBB6_282:
	s_wait_alu 0xfffe
	s_or_b32 exec_lo, exec_lo, s15
	s_delay_alu instid0(VALU_DEP_1) | instskip(SKIP_1) | instid1(VALU_DEP_2)
	v_max_num_f64_e32 v[33:34], v[13:14], v[13:14]
	v_cmp_u_f64_e32 vcc_lo, v[13:14], v[13:14]
	v_min_num_f64_e32 v[35:36], v[33:34], v[15:16]
	v_max_num_f64_e32 v[15:16], v[33:34], v[15:16]
	s_wait_alu 0xfffd
	s_delay_alu instid0(VALU_DEP_2) | instskip(NEXT) | instid1(VALU_DEP_2)
	v_dual_cndmask_b32 v33, v35, v13 :: v_dual_cndmask_b32 v34, v36, v14
	v_dual_cndmask_b32 v16, v16, v14 :: v_dual_cndmask_b32 v15, v15, v13
	s_delay_alu instid0(VALU_DEP_2) | instskip(NEXT) | instid1(VALU_DEP_3)
	v_cndmask_b32_e64 v35, v33, v55, s6
	v_cndmask_b32_e64 v36, v34, v56, s6
	s_delay_alu instid0(VALU_DEP_3) | instskip(NEXT) | instid1(VALU_DEP_4)
	v_cndmask_b32_e64 v34, v16, v56, s6
	v_cndmask_b32_e64 v33, v15, v55, s6
	v_dual_mov_b32 v16, v14 :: v_dual_mov_b32 v15, v13
	s_delay_alu instid0(VALU_DEP_4) | instskip(NEXT) | instid1(VALU_DEP_3)
	v_cmp_class_f64_e64 s0, v[35:36], 0x1f8
	v_cmp_neq_f64_e32 vcc_lo, v[35:36], v[33:34]
	s_or_b32 s0, vcc_lo, s0
	s_wait_alu 0xfffe
	s_and_saveexec_b32 s6, s0
	s_cbranch_execz .LBB6_284
; %bb.283:
	v_add_f64_e64 v[15:16], v[35:36], -v[33:34]
	s_mov_b32 s0, 0x652b82fe
	s_mov_b32 s1, 0x3ff71547
	;; [unrolled: 1-line block ×10, first 2 shown]
	s_wait_alu 0xfffe
	s_delay_alu instid0(VALU_DEP_1) | instskip(SKIP_3) | instid1(VALU_DEP_2)
	v_mul_f64_e32 v[35:36], s[0:1], v[15:16]
	s_mov_b32 s0, 0xfca7ab0c
	s_mov_b32 s1, 0x3e928af3
	v_cmp_nlt_f64_e32 vcc_lo, 0x40900000, v[15:16]
	v_rndne_f64_e32 v[35:36], v[35:36]
	s_delay_alu instid0(VALU_DEP_1) | instskip(SKIP_2) | instid1(VALU_DEP_2)
	v_fma_f64 v[53:54], v[35:36], s[2:3], v[15:16]
	v_cvt_i32_f64_e32 v57, v[35:36]
	s_mov_b32 s3, 0x3fe62e42
	v_fma_f64 v[53:54], v[35:36], s[4:5], v[53:54]
	s_mov_b32 s5, 0x3c7abc9e
	s_wait_alu 0xfffe
	s_delay_alu instid0(VALU_DEP_1)
	v_fma_f64 v[55:56], v[53:54], s[16:17], s[0:1]
	s_mov_b32 s0, 0x623fde64
	s_mov_b32 s1, 0x3ec71dee
	;; [unrolled: 1-line block ×4, first 2 shown]
	s_wait_alu 0xfffe
	s_delay_alu instid0(VALU_DEP_1) | instskip(SKIP_3) | instid1(VALU_DEP_1)
	v_fma_f64 v[55:56], v[53:54], v[55:56], s[0:1]
	s_mov_b32 s0, 0x7c89e6b0
	s_mov_b32 s1, 0x3efa0199
	s_wait_alu 0xfffe
	v_fma_f64 v[55:56], v[53:54], v[55:56], s[0:1]
	s_mov_b32 s0, 0x14761f6e
	s_mov_b32 s1, 0x3f2a01a0
	s_wait_alu 0xfffe
	s_delay_alu instid0(VALU_DEP_1) | instskip(SKIP_3) | instid1(VALU_DEP_1)
	v_fma_f64 v[55:56], v[53:54], v[55:56], s[0:1]
	s_mov_b32 s0, 0x1852b7b0
	s_mov_b32 s1, 0x3f56c16c
	s_wait_alu 0xfffe
	v_fma_f64 v[55:56], v[53:54], v[55:56], s[0:1]
	s_mov_b32 s0, 0x11122322
	s_mov_b32 s1, 0x3f811111
	;; [unrolled: 9-line block ×3, first 2 shown]
	s_wait_alu 0xfffe
	s_delay_alu instid0(VALU_DEP_1) | instskip(SKIP_3) | instid1(VALU_DEP_1)
	v_fma_f64 v[55:56], v[53:54], v[55:56], s[0:1]
	s_mov_b32 s0, 11
	s_mov_b32 s1, 0x3fe00000
	s_wait_alu 0xfffe
	v_fma_f64 v[55:56], v[53:54], v[55:56], s[0:1]
	v_cmp_ngt_f64_e64 s0, 0xc090cc00, v[15:16]
	s_mov_b32 s1, 0x3fe55555
	v_fma_f64 v[55:56], v[53:54], v[55:56], 1.0
	s_delay_alu instid0(VALU_DEP_1) | instskip(NEXT) | instid1(VALU_DEP_1)
	v_fma_f64 v[35:36], v[53:54], v[55:56], 1.0
	v_ldexp_f64 v[35:36], v[35:36], v57
	s_wait_alu 0xfffd
	s_delay_alu instid0(VALU_DEP_1) | instskip(SKIP_2) | instid1(VALU_DEP_2)
	v_cndmask_b32_e32 v36, 0x7ff00000, v36, vcc_lo
	s_and_b32 vcc_lo, s0, vcc_lo
	s_wait_alu 0xfffe
	v_cndmask_b32_e32 v15, 0, v35, vcc_lo
	s_delay_alu instid0(VALU_DEP_2) | instskip(SKIP_1) | instid1(VALU_DEP_1)
	v_cndmask_b32_e64 v16, 0, v36, s0
	s_mov_b32 s0, 0x55555555
	v_add_f64_e32 v[35:36], 1.0, v[15:16]
	s_delay_alu instid0(VALU_DEP_1) | instskip(SKIP_3) | instid1(VALU_DEP_3)
	v_frexp_mant_f64_e32 v[53:54], v[35:36]
	v_frexp_exp_i32_f64_e32 v57, v[35:36]
	v_add_f64_e32 v[55:56], -1.0, v[35:36]
	s_wait_alu 0xfffe
	v_cmp_gt_f64_e32 vcc_lo, s[0:1], v[53:54]
	s_mov_b32 s0, 0x55555780
	s_delay_alu instid0(VALU_DEP_2) | instskip(SKIP_3) | instid1(VALU_DEP_3)
	v_add_f64_e64 v[53:54], v[55:56], -v[35:36]
	v_add_f64_e64 v[55:56], v[15:16], -v[55:56]
	s_wait_alu 0xfffd
	v_subrev_co_ci_u32_e64 v73, null, 0, v57, vcc_lo
	v_add_f64_e32 v[53:54], 1.0, v[53:54]
	v_cmp_nge_f64_e32 vcc_lo, -1.0, v[15:16]
	s_delay_alu instid0(VALU_DEP_3) | instskip(NEXT) | instid1(VALU_DEP_1)
	v_sub_nc_u32_e32 v59, 0, v73
	v_ldexp_f64 v[35:36], v[35:36], v59
	s_delay_alu instid0(VALU_DEP_4) | instskip(NEXT) | instid1(VALU_DEP_2)
	v_add_f64_e32 v[53:54], v[55:56], v[53:54]
	v_add_f64_e32 v[57:58], 1.0, v[35:36]
	v_add_f64_e32 v[63:64], -1.0, v[35:36]
	s_delay_alu instid0(VALU_DEP_3) | instskip(NEXT) | instid1(VALU_DEP_3)
	v_ldexp_f64 v[53:54], v[53:54], v59
	v_add_f64_e32 v[55:56], -1.0, v[57:58]
	s_delay_alu instid0(VALU_DEP_3) | instskip(NEXT) | instid1(VALU_DEP_2)
	v_add_f64_e32 v[65:66], 1.0, v[63:64]
	v_add_f64_e64 v[55:56], v[35:36], -v[55:56]
	s_delay_alu instid0(VALU_DEP_2) | instskip(NEXT) | instid1(VALU_DEP_2)
	v_add_f64_e64 v[35:36], v[35:36], -v[65:66]
	v_add_f64_e32 v[55:56], v[53:54], v[55:56]
	s_delay_alu instid0(VALU_DEP_2) | instskip(NEXT) | instid1(VALU_DEP_2)
	v_add_f64_e32 v[35:36], v[53:54], v[35:36]
	v_add_f64_e32 v[59:60], v[57:58], v[55:56]
	s_delay_alu instid0(VALU_DEP_2) | instskip(NEXT) | instid1(VALU_DEP_2)
	v_add_f64_e32 v[65:66], v[63:64], v[35:36]
	v_rcp_f64_e32 v[61:62], v[59:60]
	v_add_f64_e64 v[57:58], v[59:60], -v[57:58]
	s_delay_alu instid0(VALU_DEP_2) | instskip(NEXT) | instid1(VALU_DEP_2)
	v_add_f64_e64 v[63:64], v[65:66], -v[63:64]
	v_add_f64_e64 v[55:56], v[55:56], -v[57:58]
	s_delay_alu instid0(TRANS32_DEP_1) | instskip(NEXT) | instid1(VALU_DEP_3)
	v_fma_f64 v[67:68], -v[59:60], v[61:62], 1.0
	v_add_f64_e64 v[35:36], v[35:36], -v[63:64]
	s_delay_alu instid0(VALU_DEP_2) | instskip(NEXT) | instid1(VALU_DEP_1)
	v_fma_f64 v[61:62], v[67:68], v[61:62], v[61:62]
	v_fma_f64 v[53:54], -v[59:60], v[61:62], 1.0
	s_delay_alu instid0(VALU_DEP_1) | instskip(NEXT) | instid1(VALU_DEP_1)
	v_fma_f64 v[53:54], v[53:54], v[61:62], v[61:62]
	v_mul_f64_e32 v[61:62], v[65:66], v[53:54]
	s_delay_alu instid0(VALU_DEP_1) | instskip(NEXT) | instid1(VALU_DEP_1)
	v_mul_f64_e32 v[67:68], v[59:60], v[61:62]
	v_fma_f64 v[57:58], v[61:62], v[59:60], -v[67:68]
	s_delay_alu instid0(VALU_DEP_1) | instskip(SKIP_1) | instid1(VALU_DEP_1)
	v_fma_f64 v[57:58], v[61:62], v[55:56], v[57:58]
	s_wait_dscnt 0x0
	v_add_f64_e32 v[69:70], v[67:68], v[57:58]
	s_delay_alu instid0(VALU_DEP_1) | instskip(SKIP_1) | instid1(VALU_DEP_2)
	v_add_f64_e64 v[71:72], v[65:66], -v[69:70]
	v_add_f64_e64 v[63:64], v[69:70], -v[67:68]
	;; [unrolled: 1-line block ×3, first 2 shown]
	s_delay_alu instid0(VALU_DEP_2) | instskip(NEXT) | instid1(VALU_DEP_2)
	v_add_f64_e64 v[57:58], v[63:64], -v[57:58]
	v_add_f64_e64 v[65:66], v[65:66], -v[69:70]
	s_delay_alu instid0(VALU_DEP_1) | instskip(NEXT) | instid1(VALU_DEP_1)
	v_add_f64_e32 v[35:36], v[35:36], v[65:66]
	v_add_f64_e32 v[35:36], v[57:58], v[35:36]
	s_delay_alu instid0(VALU_DEP_1) | instskip(NEXT) | instid1(VALU_DEP_1)
	v_add_f64_e32 v[57:58], v[71:72], v[35:36]
	v_mul_f64_e32 v[63:64], v[53:54], v[57:58]
	v_add_f64_e64 v[69:70], v[71:72], -v[57:58]
	s_delay_alu instid0(VALU_DEP_2) | instskip(NEXT) | instid1(VALU_DEP_2)
	v_mul_f64_e32 v[65:66], v[59:60], v[63:64]
	v_add_f64_e32 v[35:36], v[35:36], v[69:70]
	s_delay_alu instid0(VALU_DEP_2) | instskip(NEXT) | instid1(VALU_DEP_1)
	v_fma_f64 v[59:60], v[63:64], v[59:60], -v[65:66]
	v_fma_f64 v[55:56], v[63:64], v[55:56], v[59:60]
	s_delay_alu instid0(VALU_DEP_1) | instskip(NEXT) | instid1(VALU_DEP_1)
	v_add_f64_e32 v[59:60], v[65:66], v[55:56]
	v_add_f64_e64 v[67:68], v[57:58], -v[59:60]
	v_add_f64_e64 v[65:66], v[59:60], -v[65:66]
	s_delay_alu instid0(VALU_DEP_2) | instskip(NEXT) | instid1(VALU_DEP_2)
	v_add_f64_e64 v[57:58], v[57:58], -v[67:68]
	v_add_f64_e64 v[55:56], v[65:66], -v[55:56]
	s_delay_alu instid0(VALU_DEP_2) | instskip(NEXT) | instid1(VALU_DEP_1)
	v_add_f64_e64 v[57:58], v[57:58], -v[59:60]
	v_add_f64_e32 v[35:36], v[35:36], v[57:58]
	v_add_f64_e32 v[57:58], v[61:62], v[63:64]
	s_delay_alu instid0(VALU_DEP_2) | instskip(NEXT) | instid1(VALU_DEP_2)
	v_add_f64_e32 v[35:36], v[55:56], v[35:36]
	v_add_f64_e64 v[55:56], v[57:58], -v[61:62]
	s_delay_alu instid0(VALU_DEP_2) | instskip(NEXT) | instid1(VALU_DEP_2)
	v_add_f64_e32 v[35:36], v[67:68], v[35:36]
	v_add_f64_e64 v[55:56], v[63:64], -v[55:56]
	s_delay_alu instid0(VALU_DEP_2) | instskip(NEXT) | instid1(VALU_DEP_1)
	v_mul_f64_e32 v[35:36], v[53:54], v[35:36]
	v_add_f64_e32 v[35:36], v[55:56], v[35:36]
	s_delay_alu instid0(VALU_DEP_1) | instskip(NEXT) | instid1(VALU_DEP_1)
	v_add_f64_e32 v[53:54], v[57:58], v[35:36]
	v_mul_f64_e32 v[55:56], v[53:54], v[53:54]
	s_delay_alu instid0(VALU_DEP_1) | instskip(SKIP_4) | instid1(VALU_DEP_2)
	v_fma_f64 v[59:60], v[55:56], s[18:19], s[16:17]
	s_mov_b32 s16, 0xd7f4df2e
	s_mov_b32 s17, 0x3fc7474d
	v_mul_f64_e32 v[61:62], v[53:54], v[55:56]
	s_wait_alu 0xfffe
	v_fma_f64 v[59:60], v[55:56], v[59:60], s[16:17]
	s_mov_b32 s16, 0x16291751
	s_mov_b32 s17, 0x3fcc71c0
	s_wait_alu 0xfffe
	s_delay_alu instid0(VALU_DEP_1) | instskip(SKIP_3) | instid1(VALU_DEP_1)
	v_fma_f64 v[59:60], v[55:56], v[59:60], s[16:17]
	s_mov_b32 s16, 0x9b27acf1
	s_mov_b32 s17, 0x3fd24924
	s_wait_alu 0xfffe
	v_fma_f64 v[59:60], v[55:56], v[59:60], s[16:17]
	s_mov_b32 s16, 0x998ef7b6
	s_mov_b32 s17, 0x3fd99999
	s_wait_alu 0xfffe
	s_delay_alu instid0(VALU_DEP_1) | instskip(NEXT) | instid1(VALU_DEP_1)
	v_fma_f64 v[59:60], v[55:56], v[59:60], s[16:17]
	v_fma_f64 v[55:56], v[55:56], v[59:60], s[0:1]
	v_ldexp_f64 v[59:60], v[53:54], 1
	v_add_f64_e64 v[53:54], v[53:54], -v[57:58]
	v_cmp_neq_f64_e64 s0, 0x7ff00000, v[15:16]
	v_cmp_ngt_f64_e64 s1, -1.0, v[15:16]
	v_mul_f64_e32 v[55:56], v[61:62], v[55:56]
	v_cvt_f64_i32_e32 v[61:62], v73
	v_add_f64_e64 v[35:36], v[35:36], -v[53:54]
	s_and_b32 vcc_lo, vcc_lo, s0
	s_delay_alu instid0(VALU_DEP_3) | instskip(NEXT) | instid1(VALU_DEP_3)
	v_add_f64_e32 v[57:58], v[59:60], v[55:56]
	v_mul_f64_e32 v[63:64], s[2:3], v[61:62]
	s_delay_alu instid0(VALU_DEP_3) | instskip(NEXT) | instid1(VALU_DEP_3)
	v_ldexp_f64 v[35:36], v[35:36], 1
	v_add_f64_e64 v[53:54], v[57:58], -v[59:60]
	s_delay_alu instid0(VALU_DEP_3) | instskip(NEXT) | instid1(VALU_DEP_2)
	v_fma_f64 v[59:60], v[61:62], s[2:3], -v[63:64]
	v_add_f64_e64 v[53:54], v[55:56], -v[53:54]
	s_delay_alu instid0(VALU_DEP_2) | instskip(NEXT) | instid1(VALU_DEP_2)
	v_fma_f64 v[55:56], v[61:62], s[4:5], v[59:60]
	v_add_f64_e32 v[35:36], v[35:36], v[53:54]
	s_delay_alu instid0(VALU_DEP_2) | instskip(NEXT) | instid1(VALU_DEP_2)
	v_add_f64_e32 v[53:54], v[63:64], v[55:56]
	v_add_f64_e32 v[59:60], v[57:58], v[35:36]
	s_delay_alu instid0(VALU_DEP_2) | instskip(NEXT) | instid1(VALU_DEP_2)
	v_add_f64_e64 v[63:64], v[53:54], -v[63:64]
	v_add_f64_e32 v[61:62], v[53:54], v[59:60]
	v_add_f64_e64 v[57:58], v[59:60], -v[57:58]
	s_delay_alu instid0(VALU_DEP_3) | instskip(NEXT) | instid1(VALU_DEP_3)
	v_add_f64_e64 v[55:56], v[55:56], -v[63:64]
	v_add_f64_e64 v[65:66], v[61:62], -v[53:54]
	s_delay_alu instid0(VALU_DEP_3) | instskip(NEXT) | instid1(VALU_DEP_2)
	v_add_f64_e64 v[35:36], v[35:36], -v[57:58]
	v_add_f64_e64 v[67:68], v[61:62], -v[65:66]
	;; [unrolled: 1-line block ×3, first 2 shown]
	s_delay_alu instid0(VALU_DEP_3) | instskip(NEXT) | instid1(VALU_DEP_3)
	v_add_f64_e32 v[59:60], v[55:56], v[35:36]
	v_add_f64_e64 v[53:54], v[53:54], -v[67:68]
	s_delay_alu instid0(VALU_DEP_1) | instskip(NEXT) | instid1(VALU_DEP_3)
	v_add_f64_e32 v[53:54], v[57:58], v[53:54]
	v_add_f64_e64 v[57:58], v[59:60], -v[55:56]
	s_delay_alu instid0(VALU_DEP_2) | instskip(NEXT) | instid1(VALU_DEP_2)
	v_add_f64_e32 v[53:54], v[59:60], v[53:54]
	v_add_f64_e64 v[59:60], v[59:60], -v[57:58]
	v_add_f64_e64 v[35:36], v[35:36], -v[57:58]
	s_delay_alu instid0(VALU_DEP_3) | instskip(NEXT) | instid1(VALU_DEP_3)
	v_add_f64_e32 v[63:64], v[61:62], v[53:54]
	v_add_f64_e64 v[55:56], v[55:56], -v[59:60]
	s_delay_alu instid0(VALU_DEP_2) | instskip(NEXT) | instid1(VALU_DEP_2)
	v_add_f64_e64 v[57:58], v[63:64], -v[61:62]
	v_add_f64_e32 v[35:36], v[35:36], v[55:56]
	s_delay_alu instid0(VALU_DEP_2) | instskip(NEXT) | instid1(VALU_DEP_1)
	v_add_f64_e64 v[53:54], v[53:54], -v[57:58]
	v_add_f64_e32 v[35:36], v[35:36], v[53:54]
	s_delay_alu instid0(VALU_DEP_1) | instskip(SKIP_1) | instid1(VALU_DEP_1)
	v_add_f64_e32 v[35:36], v[63:64], v[35:36]
	s_wait_alu 0xfffe
	v_cndmask_b32_e32 v35, 0, v35, vcc_lo
	v_cmp_neq_f64_e32 vcc_lo, -1.0, v[15:16]
	s_delay_alu instid0(VALU_DEP_3) | instskip(NEXT) | instid1(VALU_DEP_1)
	v_cndmask_b32_e64 v36, 0x7ff00000, v36, s0
	v_cndmask_b32_e64 v36, 0x7ff80000, v36, s1
	s_wait_alu 0xfffd
	s_delay_alu instid0(VALU_DEP_1) | instskip(NEXT) | instid1(VALU_DEP_1)
	v_cndmask_b32_e32 v36, 0xfff00000, v36, vcc_lo
	v_add_f64_e32 v[15:16], v[33:34], v[35:36]
.LBB6_284:
	s_wait_alu 0xfffe
	s_or_b32 exec_lo, exec_lo, s6
	s_delay_alu instid0(VALU_DEP_1) | instskip(SKIP_1) | instid1(VALU_DEP_2)
	v_max_num_f64_e32 v[33:34], v[15:16], v[15:16]
	v_cmp_u_f64_e32 vcc_lo, v[15:16], v[15:16]
	v_min_num_f64_e32 v[35:36], v[33:34], v[17:18]
	v_max_num_f64_e32 v[17:18], v[33:34], v[17:18]
	s_wait_alu 0xfffd
	s_delay_alu instid0(VALU_DEP_2) | instskip(NEXT) | instid1(VALU_DEP_2)
	v_dual_cndmask_b32 v33, v35, v15 :: v_dual_cndmask_b32 v34, v36, v16
	v_dual_cndmask_b32 v18, v18, v16 :: v_dual_cndmask_b32 v17, v17, v15
	s_delay_alu instid0(VALU_DEP_2) | instskip(NEXT) | instid1(VALU_DEP_3)
	v_cndmask_b32_e64 v35, v33, v49, s7
	v_cndmask_b32_e64 v36, v34, v50, s7
	s_delay_alu instid0(VALU_DEP_3) | instskip(NEXT) | instid1(VALU_DEP_4)
	v_cndmask_b32_e64 v34, v18, v50, s7
	v_cndmask_b32_e64 v33, v17, v49, s7
	v_dual_mov_b32 v18, v16 :: v_dual_mov_b32 v17, v15
	s_delay_alu instid0(VALU_DEP_4) | instskip(NEXT) | instid1(VALU_DEP_3)
	v_cmp_class_f64_e64 s0, v[35:36], 0x1f8
	v_cmp_neq_f64_e32 vcc_lo, v[35:36], v[33:34]
	s_or_b32 s0, vcc_lo, s0
	s_wait_alu 0xfffe
	s_and_saveexec_b32 s6, s0
	s_cbranch_execz .LBB6_286
; %bb.285:
	v_add_f64_e64 v[17:18], v[35:36], -v[33:34]
	s_mov_b32 s0, 0x652b82fe
	s_mov_b32 s1, 0x3ff71547
	;; [unrolled: 1-line block ×10, first 2 shown]
	s_wait_alu 0xfffe
	s_delay_alu instid0(VALU_DEP_1) | instskip(SKIP_3) | instid1(VALU_DEP_2)
	v_mul_f64_e32 v[35:36], s[0:1], v[17:18]
	s_mov_b32 s0, 0xfca7ab0c
	s_mov_b32 s1, 0x3e928af3
	v_cmp_nlt_f64_e32 vcc_lo, 0x40900000, v[17:18]
	v_rndne_f64_e32 v[35:36], v[35:36]
	s_delay_alu instid0(VALU_DEP_1) | instskip(SKIP_2) | instid1(VALU_DEP_2)
	v_fma_f64 v[49:50], v[35:36], s[2:3], v[17:18]
	v_cvt_i32_f64_e32 v55, v[35:36]
	s_mov_b32 s3, 0x3fe62e42
	v_fma_f64 v[49:50], v[35:36], s[4:5], v[49:50]
	s_mov_b32 s5, 0x3c7abc9e
	s_wait_alu 0xfffe
	s_delay_alu instid0(VALU_DEP_1)
	v_fma_f64 v[53:54], v[49:50], s[16:17], s[0:1]
	s_mov_b32 s0, 0x623fde64
	s_mov_b32 s1, 0x3ec71dee
	;; [unrolled: 1-line block ×4, first 2 shown]
	s_wait_alu 0xfffe
	s_delay_alu instid0(VALU_DEP_1) | instskip(SKIP_3) | instid1(VALU_DEP_1)
	v_fma_f64 v[53:54], v[49:50], v[53:54], s[0:1]
	s_mov_b32 s0, 0x7c89e6b0
	s_mov_b32 s1, 0x3efa0199
	s_wait_alu 0xfffe
	v_fma_f64 v[53:54], v[49:50], v[53:54], s[0:1]
	s_mov_b32 s0, 0x14761f6e
	s_mov_b32 s1, 0x3f2a01a0
	s_wait_alu 0xfffe
	s_delay_alu instid0(VALU_DEP_1) | instskip(SKIP_3) | instid1(VALU_DEP_1)
	v_fma_f64 v[53:54], v[49:50], v[53:54], s[0:1]
	s_mov_b32 s0, 0x1852b7b0
	s_mov_b32 s1, 0x3f56c16c
	s_wait_alu 0xfffe
	v_fma_f64 v[53:54], v[49:50], v[53:54], s[0:1]
	s_mov_b32 s0, 0x11122322
	s_mov_b32 s1, 0x3f811111
	;; [unrolled: 9-line block ×3, first 2 shown]
	s_wait_alu 0xfffe
	s_delay_alu instid0(VALU_DEP_1) | instskip(SKIP_3) | instid1(VALU_DEP_1)
	v_fma_f64 v[53:54], v[49:50], v[53:54], s[0:1]
	s_mov_b32 s0, 11
	s_mov_b32 s1, 0x3fe00000
	s_wait_alu 0xfffe
	v_fma_f64 v[53:54], v[49:50], v[53:54], s[0:1]
	v_cmp_ngt_f64_e64 s0, 0xc090cc00, v[17:18]
	s_mov_b32 s1, 0x3fe55555
	v_fma_f64 v[53:54], v[49:50], v[53:54], 1.0
	s_delay_alu instid0(VALU_DEP_1) | instskip(NEXT) | instid1(VALU_DEP_1)
	v_fma_f64 v[35:36], v[49:50], v[53:54], 1.0
	v_ldexp_f64 v[35:36], v[35:36], v55
	s_wait_alu 0xfffd
	s_delay_alu instid0(VALU_DEP_1) | instskip(SKIP_2) | instid1(VALU_DEP_2)
	v_cndmask_b32_e32 v36, 0x7ff00000, v36, vcc_lo
	s_and_b32 vcc_lo, s0, vcc_lo
	s_wait_alu 0xfffe
	v_cndmask_b32_e32 v17, 0, v35, vcc_lo
	s_delay_alu instid0(VALU_DEP_2) | instskip(SKIP_1) | instid1(VALU_DEP_1)
	v_cndmask_b32_e64 v18, 0, v36, s0
	s_mov_b32 s0, 0x55555555
	v_add_f64_e32 v[35:36], 1.0, v[17:18]
	s_delay_alu instid0(VALU_DEP_1) | instskip(SKIP_3) | instid1(VALU_DEP_3)
	v_frexp_mant_f64_e32 v[49:50], v[35:36]
	v_frexp_exp_i32_f64_e32 v55, v[35:36]
	v_add_f64_e32 v[53:54], -1.0, v[35:36]
	s_wait_alu 0xfffe
	v_cmp_gt_f64_e32 vcc_lo, s[0:1], v[49:50]
	s_mov_b32 s0, 0x55555780
	s_delay_alu instid0(VALU_DEP_2) | instskip(SKIP_3) | instid1(VALU_DEP_3)
	v_add_f64_e64 v[49:50], v[53:54], -v[35:36]
	v_add_f64_e64 v[53:54], v[17:18], -v[53:54]
	s_wait_alu 0xfffd
	v_subrev_co_ci_u32_e64 v71, null, 0, v55, vcc_lo
	v_add_f64_e32 v[49:50], 1.0, v[49:50]
	v_cmp_nge_f64_e32 vcc_lo, -1.0, v[17:18]
	s_delay_alu instid0(VALU_DEP_3) | instskip(NEXT) | instid1(VALU_DEP_1)
	v_sub_nc_u32_e32 v57, 0, v71
	v_ldexp_f64 v[35:36], v[35:36], v57
	s_delay_alu instid0(VALU_DEP_4) | instskip(NEXT) | instid1(VALU_DEP_2)
	v_add_f64_e32 v[49:50], v[53:54], v[49:50]
	v_add_f64_e32 v[55:56], 1.0, v[35:36]
	v_add_f64_e32 v[61:62], -1.0, v[35:36]
	s_delay_alu instid0(VALU_DEP_3) | instskip(NEXT) | instid1(VALU_DEP_3)
	v_ldexp_f64 v[49:50], v[49:50], v57
	v_add_f64_e32 v[53:54], -1.0, v[55:56]
	s_delay_alu instid0(VALU_DEP_3) | instskip(NEXT) | instid1(VALU_DEP_2)
	v_add_f64_e32 v[63:64], 1.0, v[61:62]
	v_add_f64_e64 v[53:54], v[35:36], -v[53:54]
	s_delay_alu instid0(VALU_DEP_2) | instskip(NEXT) | instid1(VALU_DEP_2)
	v_add_f64_e64 v[35:36], v[35:36], -v[63:64]
	v_add_f64_e32 v[53:54], v[49:50], v[53:54]
	s_delay_alu instid0(VALU_DEP_2) | instskip(NEXT) | instid1(VALU_DEP_2)
	v_add_f64_e32 v[35:36], v[49:50], v[35:36]
	v_add_f64_e32 v[57:58], v[55:56], v[53:54]
	s_delay_alu instid0(VALU_DEP_2) | instskip(NEXT) | instid1(VALU_DEP_2)
	v_add_f64_e32 v[63:64], v[61:62], v[35:36]
	v_rcp_f64_e32 v[59:60], v[57:58]
	v_add_f64_e64 v[55:56], v[57:58], -v[55:56]
	s_delay_alu instid0(VALU_DEP_2) | instskip(NEXT) | instid1(VALU_DEP_2)
	v_add_f64_e64 v[61:62], v[63:64], -v[61:62]
	v_add_f64_e64 v[53:54], v[53:54], -v[55:56]
	s_delay_alu instid0(TRANS32_DEP_1) | instskip(NEXT) | instid1(VALU_DEP_3)
	v_fma_f64 v[65:66], -v[57:58], v[59:60], 1.0
	v_add_f64_e64 v[35:36], v[35:36], -v[61:62]
	s_delay_alu instid0(VALU_DEP_2) | instskip(NEXT) | instid1(VALU_DEP_1)
	v_fma_f64 v[59:60], v[65:66], v[59:60], v[59:60]
	v_fma_f64 v[49:50], -v[57:58], v[59:60], 1.0
	s_delay_alu instid0(VALU_DEP_1) | instskip(NEXT) | instid1(VALU_DEP_1)
	v_fma_f64 v[49:50], v[49:50], v[59:60], v[59:60]
	v_mul_f64_e32 v[59:60], v[63:64], v[49:50]
	s_delay_alu instid0(VALU_DEP_1) | instskip(NEXT) | instid1(VALU_DEP_1)
	v_mul_f64_e32 v[65:66], v[57:58], v[59:60]
	v_fma_f64 v[55:56], v[59:60], v[57:58], -v[65:66]
	s_delay_alu instid0(VALU_DEP_1) | instskip(NEXT) | instid1(VALU_DEP_1)
	v_fma_f64 v[55:56], v[59:60], v[53:54], v[55:56]
	v_add_f64_e32 v[67:68], v[65:66], v[55:56]
	s_wait_dscnt 0x0
	s_delay_alu instid0(VALU_DEP_1) | instskip(SKIP_1) | instid1(VALU_DEP_2)
	v_add_f64_e64 v[69:70], v[63:64], -v[67:68]
	v_add_f64_e64 v[61:62], v[67:68], -v[65:66]
	;; [unrolled: 1-line block ×3, first 2 shown]
	s_delay_alu instid0(VALU_DEP_2) | instskip(NEXT) | instid1(VALU_DEP_2)
	v_add_f64_e64 v[55:56], v[61:62], -v[55:56]
	v_add_f64_e64 v[63:64], v[63:64], -v[67:68]
	s_delay_alu instid0(VALU_DEP_1) | instskip(NEXT) | instid1(VALU_DEP_1)
	v_add_f64_e32 v[35:36], v[35:36], v[63:64]
	v_add_f64_e32 v[35:36], v[55:56], v[35:36]
	s_delay_alu instid0(VALU_DEP_1) | instskip(NEXT) | instid1(VALU_DEP_1)
	v_add_f64_e32 v[55:56], v[69:70], v[35:36]
	v_mul_f64_e32 v[61:62], v[49:50], v[55:56]
	v_add_f64_e64 v[67:68], v[69:70], -v[55:56]
	s_delay_alu instid0(VALU_DEP_2) | instskip(NEXT) | instid1(VALU_DEP_2)
	v_mul_f64_e32 v[63:64], v[57:58], v[61:62]
	v_add_f64_e32 v[35:36], v[35:36], v[67:68]
	s_delay_alu instid0(VALU_DEP_2) | instskip(NEXT) | instid1(VALU_DEP_1)
	v_fma_f64 v[57:58], v[61:62], v[57:58], -v[63:64]
	v_fma_f64 v[53:54], v[61:62], v[53:54], v[57:58]
	s_delay_alu instid0(VALU_DEP_1) | instskip(NEXT) | instid1(VALU_DEP_1)
	v_add_f64_e32 v[57:58], v[63:64], v[53:54]
	v_add_f64_e64 v[65:66], v[55:56], -v[57:58]
	v_add_f64_e64 v[63:64], v[57:58], -v[63:64]
	s_delay_alu instid0(VALU_DEP_2) | instskip(NEXT) | instid1(VALU_DEP_2)
	v_add_f64_e64 v[55:56], v[55:56], -v[65:66]
	v_add_f64_e64 v[53:54], v[63:64], -v[53:54]
	s_delay_alu instid0(VALU_DEP_2) | instskip(NEXT) | instid1(VALU_DEP_1)
	v_add_f64_e64 v[55:56], v[55:56], -v[57:58]
	v_add_f64_e32 v[35:36], v[35:36], v[55:56]
	v_add_f64_e32 v[55:56], v[59:60], v[61:62]
	s_delay_alu instid0(VALU_DEP_2) | instskip(NEXT) | instid1(VALU_DEP_2)
	v_add_f64_e32 v[35:36], v[53:54], v[35:36]
	v_add_f64_e64 v[53:54], v[55:56], -v[59:60]
	s_delay_alu instid0(VALU_DEP_2) | instskip(NEXT) | instid1(VALU_DEP_2)
	v_add_f64_e32 v[35:36], v[65:66], v[35:36]
	v_add_f64_e64 v[53:54], v[61:62], -v[53:54]
	s_delay_alu instid0(VALU_DEP_2) | instskip(NEXT) | instid1(VALU_DEP_1)
	v_mul_f64_e32 v[35:36], v[49:50], v[35:36]
	v_add_f64_e32 v[35:36], v[53:54], v[35:36]
	s_delay_alu instid0(VALU_DEP_1) | instskip(NEXT) | instid1(VALU_DEP_1)
	v_add_f64_e32 v[49:50], v[55:56], v[35:36]
	v_mul_f64_e32 v[53:54], v[49:50], v[49:50]
	s_delay_alu instid0(VALU_DEP_1) | instskip(SKIP_4) | instid1(VALU_DEP_2)
	v_fma_f64 v[57:58], v[53:54], s[18:19], s[16:17]
	s_mov_b32 s16, 0xd7f4df2e
	s_mov_b32 s17, 0x3fc7474d
	v_mul_f64_e32 v[59:60], v[49:50], v[53:54]
	s_wait_alu 0xfffe
	v_fma_f64 v[57:58], v[53:54], v[57:58], s[16:17]
	s_mov_b32 s16, 0x16291751
	s_mov_b32 s17, 0x3fcc71c0
	s_wait_alu 0xfffe
	s_delay_alu instid0(VALU_DEP_1) | instskip(SKIP_3) | instid1(VALU_DEP_1)
	v_fma_f64 v[57:58], v[53:54], v[57:58], s[16:17]
	s_mov_b32 s16, 0x9b27acf1
	s_mov_b32 s17, 0x3fd24924
	s_wait_alu 0xfffe
	v_fma_f64 v[57:58], v[53:54], v[57:58], s[16:17]
	s_mov_b32 s16, 0x998ef7b6
	s_mov_b32 s17, 0x3fd99999
	s_wait_alu 0xfffe
	s_delay_alu instid0(VALU_DEP_1) | instskip(NEXT) | instid1(VALU_DEP_1)
	v_fma_f64 v[57:58], v[53:54], v[57:58], s[16:17]
	v_fma_f64 v[53:54], v[53:54], v[57:58], s[0:1]
	v_ldexp_f64 v[57:58], v[49:50], 1
	v_add_f64_e64 v[49:50], v[49:50], -v[55:56]
	v_cmp_neq_f64_e64 s0, 0x7ff00000, v[17:18]
	v_cmp_ngt_f64_e64 s1, -1.0, v[17:18]
	v_mul_f64_e32 v[53:54], v[59:60], v[53:54]
	v_cvt_f64_i32_e32 v[59:60], v71
	v_add_f64_e64 v[35:36], v[35:36], -v[49:50]
	s_and_b32 vcc_lo, vcc_lo, s0
	s_delay_alu instid0(VALU_DEP_3) | instskip(NEXT) | instid1(VALU_DEP_3)
	v_add_f64_e32 v[55:56], v[57:58], v[53:54]
	v_mul_f64_e32 v[61:62], s[2:3], v[59:60]
	s_delay_alu instid0(VALU_DEP_3) | instskip(NEXT) | instid1(VALU_DEP_3)
	v_ldexp_f64 v[35:36], v[35:36], 1
	v_add_f64_e64 v[49:50], v[55:56], -v[57:58]
	s_delay_alu instid0(VALU_DEP_3) | instskip(NEXT) | instid1(VALU_DEP_2)
	v_fma_f64 v[57:58], v[59:60], s[2:3], -v[61:62]
	v_add_f64_e64 v[49:50], v[53:54], -v[49:50]
	s_delay_alu instid0(VALU_DEP_2) | instskip(NEXT) | instid1(VALU_DEP_2)
	v_fma_f64 v[53:54], v[59:60], s[4:5], v[57:58]
	v_add_f64_e32 v[35:36], v[35:36], v[49:50]
	s_delay_alu instid0(VALU_DEP_2) | instskip(NEXT) | instid1(VALU_DEP_2)
	v_add_f64_e32 v[49:50], v[61:62], v[53:54]
	v_add_f64_e32 v[57:58], v[55:56], v[35:36]
	s_delay_alu instid0(VALU_DEP_2) | instskip(NEXT) | instid1(VALU_DEP_2)
	v_add_f64_e64 v[61:62], v[49:50], -v[61:62]
	v_add_f64_e32 v[59:60], v[49:50], v[57:58]
	v_add_f64_e64 v[55:56], v[57:58], -v[55:56]
	s_delay_alu instid0(VALU_DEP_3) | instskip(NEXT) | instid1(VALU_DEP_3)
	v_add_f64_e64 v[53:54], v[53:54], -v[61:62]
	v_add_f64_e64 v[63:64], v[59:60], -v[49:50]
	s_delay_alu instid0(VALU_DEP_3) | instskip(NEXT) | instid1(VALU_DEP_2)
	v_add_f64_e64 v[35:36], v[35:36], -v[55:56]
	v_add_f64_e64 v[65:66], v[59:60], -v[63:64]
	;; [unrolled: 1-line block ×3, first 2 shown]
	s_delay_alu instid0(VALU_DEP_3) | instskip(NEXT) | instid1(VALU_DEP_3)
	v_add_f64_e32 v[57:58], v[53:54], v[35:36]
	v_add_f64_e64 v[49:50], v[49:50], -v[65:66]
	s_delay_alu instid0(VALU_DEP_1) | instskip(NEXT) | instid1(VALU_DEP_3)
	v_add_f64_e32 v[49:50], v[55:56], v[49:50]
	v_add_f64_e64 v[55:56], v[57:58], -v[53:54]
	s_delay_alu instid0(VALU_DEP_2) | instskip(NEXT) | instid1(VALU_DEP_2)
	v_add_f64_e32 v[49:50], v[57:58], v[49:50]
	v_add_f64_e64 v[57:58], v[57:58], -v[55:56]
	v_add_f64_e64 v[35:36], v[35:36], -v[55:56]
	s_delay_alu instid0(VALU_DEP_3) | instskip(NEXT) | instid1(VALU_DEP_3)
	v_add_f64_e32 v[61:62], v[59:60], v[49:50]
	v_add_f64_e64 v[53:54], v[53:54], -v[57:58]
	s_delay_alu instid0(VALU_DEP_2) | instskip(NEXT) | instid1(VALU_DEP_2)
	v_add_f64_e64 v[55:56], v[61:62], -v[59:60]
	v_add_f64_e32 v[35:36], v[35:36], v[53:54]
	s_delay_alu instid0(VALU_DEP_2) | instskip(NEXT) | instid1(VALU_DEP_1)
	v_add_f64_e64 v[49:50], v[49:50], -v[55:56]
	v_add_f64_e32 v[35:36], v[35:36], v[49:50]
	s_delay_alu instid0(VALU_DEP_1) | instskip(SKIP_1) | instid1(VALU_DEP_1)
	v_add_f64_e32 v[35:36], v[61:62], v[35:36]
	s_wait_alu 0xfffe
	v_cndmask_b32_e32 v35, 0, v35, vcc_lo
	v_cmp_neq_f64_e32 vcc_lo, -1.0, v[17:18]
	s_delay_alu instid0(VALU_DEP_3) | instskip(NEXT) | instid1(VALU_DEP_1)
	v_cndmask_b32_e64 v36, 0x7ff00000, v36, s0
	v_cndmask_b32_e64 v36, 0x7ff80000, v36, s1
	s_wait_alu 0xfffd
	s_delay_alu instid0(VALU_DEP_1) | instskip(NEXT) | instid1(VALU_DEP_1)
	v_cndmask_b32_e32 v36, 0xfff00000, v36, vcc_lo
	v_add_f64_e32 v[17:18], v[33:34], v[35:36]
.LBB6_286:
	s_wait_alu 0xfffe
	s_or_b32 exec_lo, exec_lo, s6
	s_delay_alu instid0(VALU_DEP_1) | instskip(SKIP_1) | instid1(VALU_DEP_2)
	v_max_num_f64_e32 v[33:34], v[17:18], v[17:18]
	v_cmp_u_f64_e32 vcc_lo, v[17:18], v[17:18]
	v_min_num_f64_e32 v[35:36], v[33:34], v[19:20]
	v_max_num_f64_e32 v[19:20], v[33:34], v[19:20]
	s_wait_alu 0xfffd
	s_delay_alu instid0(VALU_DEP_2) | instskip(NEXT) | instid1(VALU_DEP_2)
	v_dual_cndmask_b32 v33, v35, v17 :: v_dual_cndmask_b32 v34, v36, v18
	v_dual_cndmask_b32 v20, v20, v18 :: v_dual_cndmask_b32 v19, v19, v17
	s_delay_alu instid0(VALU_DEP_2) | instskip(NEXT) | instid1(VALU_DEP_3)
	v_cndmask_b32_e64 v35, v33, v51, s8
	v_cndmask_b32_e64 v36, v34, v52, s8
	s_delay_alu instid0(VALU_DEP_3) | instskip(NEXT) | instid1(VALU_DEP_4)
	v_cndmask_b32_e64 v34, v20, v52, s8
	v_cndmask_b32_e64 v33, v19, v51, s8
	v_dual_mov_b32 v20, v18 :: v_dual_mov_b32 v19, v17
	s_delay_alu instid0(VALU_DEP_4) | instskip(NEXT) | instid1(VALU_DEP_3)
	v_cmp_class_f64_e64 s0, v[35:36], 0x1f8
	v_cmp_neq_f64_e32 vcc_lo, v[35:36], v[33:34]
	s_or_b32 s0, vcc_lo, s0
	s_wait_alu 0xfffe
	s_and_saveexec_b32 s6, s0
	s_cbranch_execz .LBB6_288
; %bb.287:
	v_add_f64_e64 v[19:20], v[35:36], -v[33:34]
	s_mov_b32 s0, 0x652b82fe
	s_mov_b32 s1, 0x3ff71547
	;; [unrolled: 1-line block ×10, first 2 shown]
	s_wait_alu 0xfffe
	s_delay_alu instid0(VALU_DEP_1) | instskip(SKIP_3) | instid1(VALU_DEP_2)
	v_mul_f64_e32 v[35:36], s[0:1], v[19:20]
	s_mov_b32 s0, 0xfca7ab0c
	s_mov_b32 s1, 0x3e928af3
	v_cmp_nlt_f64_e32 vcc_lo, 0x40900000, v[19:20]
	v_rndne_f64_e32 v[35:36], v[35:36]
	s_delay_alu instid0(VALU_DEP_1) | instskip(SKIP_2) | instid1(VALU_DEP_2)
	v_fma_f64 v[49:50], v[35:36], s[2:3], v[19:20]
	v_cvt_i32_f64_e32 v53, v[35:36]
	s_mov_b32 s3, 0x3fe62e42
	v_fma_f64 v[49:50], v[35:36], s[4:5], v[49:50]
	s_mov_b32 s5, 0x3c7abc9e
	s_wait_alu 0xfffe
	s_delay_alu instid0(VALU_DEP_1)
	v_fma_f64 v[51:52], v[49:50], s[16:17], s[0:1]
	s_mov_b32 s0, 0x623fde64
	s_mov_b32 s1, 0x3ec71dee
	;; [unrolled: 1-line block ×4, first 2 shown]
	s_wait_alu 0xfffe
	s_delay_alu instid0(VALU_DEP_1) | instskip(SKIP_3) | instid1(VALU_DEP_1)
	v_fma_f64 v[51:52], v[49:50], v[51:52], s[0:1]
	s_mov_b32 s0, 0x7c89e6b0
	s_mov_b32 s1, 0x3efa0199
	s_wait_alu 0xfffe
	v_fma_f64 v[51:52], v[49:50], v[51:52], s[0:1]
	s_mov_b32 s0, 0x14761f6e
	s_mov_b32 s1, 0x3f2a01a0
	s_wait_alu 0xfffe
	s_delay_alu instid0(VALU_DEP_1) | instskip(SKIP_3) | instid1(VALU_DEP_1)
	v_fma_f64 v[51:52], v[49:50], v[51:52], s[0:1]
	s_mov_b32 s0, 0x1852b7b0
	s_mov_b32 s1, 0x3f56c16c
	s_wait_alu 0xfffe
	v_fma_f64 v[51:52], v[49:50], v[51:52], s[0:1]
	s_mov_b32 s0, 0x11122322
	s_mov_b32 s1, 0x3f811111
	;; [unrolled: 9-line block ×3, first 2 shown]
	s_wait_alu 0xfffe
	s_delay_alu instid0(VALU_DEP_1) | instskip(SKIP_3) | instid1(VALU_DEP_1)
	v_fma_f64 v[51:52], v[49:50], v[51:52], s[0:1]
	s_mov_b32 s0, 11
	s_mov_b32 s1, 0x3fe00000
	s_wait_alu 0xfffe
	v_fma_f64 v[51:52], v[49:50], v[51:52], s[0:1]
	v_cmp_ngt_f64_e64 s0, 0xc090cc00, v[19:20]
	s_mov_b32 s1, 0x3fe55555
	v_fma_f64 v[51:52], v[49:50], v[51:52], 1.0
	s_delay_alu instid0(VALU_DEP_1) | instskip(NEXT) | instid1(VALU_DEP_1)
	v_fma_f64 v[35:36], v[49:50], v[51:52], 1.0
	v_ldexp_f64 v[35:36], v[35:36], v53
	s_wait_alu 0xfffd
	s_delay_alu instid0(VALU_DEP_1) | instskip(SKIP_2) | instid1(VALU_DEP_2)
	v_cndmask_b32_e32 v36, 0x7ff00000, v36, vcc_lo
	s_and_b32 vcc_lo, s0, vcc_lo
	s_wait_alu 0xfffe
	v_cndmask_b32_e32 v19, 0, v35, vcc_lo
	s_delay_alu instid0(VALU_DEP_2) | instskip(SKIP_1) | instid1(VALU_DEP_1)
	v_cndmask_b32_e64 v20, 0, v36, s0
	s_mov_b32 s0, 0x55555555
	v_add_f64_e32 v[35:36], 1.0, v[19:20]
	s_delay_alu instid0(VALU_DEP_1) | instskip(SKIP_3) | instid1(VALU_DEP_3)
	v_frexp_mant_f64_e32 v[49:50], v[35:36]
	v_frexp_exp_i32_f64_e32 v53, v[35:36]
	v_add_f64_e32 v[51:52], -1.0, v[35:36]
	s_wait_alu 0xfffe
	v_cmp_gt_f64_e32 vcc_lo, s[0:1], v[49:50]
	s_mov_b32 s0, 0x55555780
	s_delay_alu instid0(VALU_DEP_2) | instskip(SKIP_4) | instid1(VALU_DEP_3)
	v_add_f64_e64 v[49:50], v[51:52], -v[35:36]
	v_add_f64_e64 v[51:52], v[19:20], -v[51:52]
	s_wait_dscnt 0x1
	s_wait_alu 0xfffd
	v_subrev_co_ci_u32_e64 v69, null, 0, v53, vcc_lo
	v_add_f64_e32 v[49:50], 1.0, v[49:50]
	v_cmp_nge_f64_e32 vcc_lo, -1.0, v[19:20]
	s_delay_alu instid0(VALU_DEP_3) | instskip(NEXT) | instid1(VALU_DEP_1)
	v_sub_nc_u32_e32 v55, 0, v69
	v_ldexp_f64 v[35:36], v[35:36], v55
	s_delay_alu instid0(VALU_DEP_4) | instskip(NEXT) | instid1(VALU_DEP_2)
	v_add_f64_e32 v[49:50], v[51:52], v[49:50]
	v_add_f64_e32 v[53:54], 1.0, v[35:36]
	v_add_f64_e32 v[59:60], -1.0, v[35:36]
	s_delay_alu instid0(VALU_DEP_3) | instskip(NEXT) | instid1(VALU_DEP_3)
	v_ldexp_f64 v[49:50], v[49:50], v55
	v_add_f64_e32 v[51:52], -1.0, v[53:54]
	s_delay_alu instid0(VALU_DEP_3) | instskip(NEXT) | instid1(VALU_DEP_2)
	v_add_f64_e32 v[61:62], 1.0, v[59:60]
	v_add_f64_e64 v[51:52], v[35:36], -v[51:52]
	s_delay_alu instid0(VALU_DEP_2) | instskip(NEXT) | instid1(VALU_DEP_2)
	v_add_f64_e64 v[35:36], v[35:36], -v[61:62]
	v_add_f64_e32 v[51:52], v[49:50], v[51:52]
	s_delay_alu instid0(VALU_DEP_2) | instskip(NEXT) | instid1(VALU_DEP_2)
	v_add_f64_e32 v[35:36], v[49:50], v[35:36]
	v_add_f64_e32 v[55:56], v[53:54], v[51:52]
	s_delay_alu instid0(VALU_DEP_2) | instskip(NEXT) | instid1(VALU_DEP_2)
	v_add_f64_e32 v[61:62], v[59:60], v[35:36]
	v_rcp_f64_e32 v[57:58], v[55:56]
	v_add_f64_e64 v[53:54], v[55:56], -v[53:54]
	s_delay_alu instid0(VALU_DEP_2) | instskip(NEXT) | instid1(VALU_DEP_2)
	v_add_f64_e64 v[59:60], v[61:62], -v[59:60]
	v_add_f64_e64 v[51:52], v[51:52], -v[53:54]
	s_delay_alu instid0(TRANS32_DEP_1) | instskip(NEXT) | instid1(VALU_DEP_3)
	v_fma_f64 v[63:64], -v[55:56], v[57:58], 1.0
	v_add_f64_e64 v[35:36], v[35:36], -v[59:60]
	s_delay_alu instid0(VALU_DEP_2) | instskip(NEXT) | instid1(VALU_DEP_1)
	v_fma_f64 v[57:58], v[63:64], v[57:58], v[57:58]
	v_fma_f64 v[49:50], -v[55:56], v[57:58], 1.0
	s_delay_alu instid0(VALU_DEP_1) | instskip(NEXT) | instid1(VALU_DEP_1)
	v_fma_f64 v[49:50], v[49:50], v[57:58], v[57:58]
	v_mul_f64_e32 v[57:58], v[61:62], v[49:50]
	s_delay_alu instid0(VALU_DEP_1) | instskip(NEXT) | instid1(VALU_DEP_1)
	v_mul_f64_e32 v[63:64], v[55:56], v[57:58]
	v_fma_f64 v[53:54], v[57:58], v[55:56], -v[63:64]
	s_delay_alu instid0(VALU_DEP_1) | instskip(NEXT) | instid1(VALU_DEP_1)
	v_fma_f64 v[53:54], v[57:58], v[51:52], v[53:54]
	v_add_f64_e32 v[65:66], v[63:64], v[53:54]
	s_delay_alu instid0(VALU_DEP_1) | instskip(SKIP_1) | instid1(VALU_DEP_2)
	v_add_f64_e64 v[67:68], v[61:62], -v[65:66]
	v_add_f64_e64 v[59:60], v[65:66], -v[63:64]
	;; [unrolled: 1-line block ×3, first 2 shown]
	s_delay_alu instid0(VALU_DEP_2) | instskip(NEXT) | instid1(VALU_DEP_2)
	v_add_f64_e64 v[53:54], v[59:60], -v[53:54]
	v_add_f64_e64 v[61:62], v[61:62], -v[65:66]
	s_delay_alu instid0(VALU_DEP_1) | instskip(NEXT) | instid1(VALU_DEP_1)
	v_add_f64_e32 v[35:36], v[35:36], v[61:62]
	v_add_f64_e32 v[35:36], v[53:54], v[35:36]
	s_delay_alu instid0(VALU_DEP_1) | instskip(NEXT) | instid1(VALU_DEP_1)
	v_add_f64_e32 v[53:54], v[67:68], v[35:36]
	v_mul_f64_e32 v[59:60], v[49:50], v[53:54]
	v_add_f64_e64 v[65:66], v[67:68], -v[53:54]
	s_delay_alu instid0(VALU_DEP_2) | instskip(NEXT) | instid1(VALU_DEP_2)
	v_mul_f64_e32 v[61:62], v[55:56], v[59:60]
	v_add_f64_e32 v[35:36], v[35:36], v[65:66]
	s_delay_alu instid0(VALU_DEP_2) | instskip(NEXT) | instid1(VALU_DEP_1)
	v_fma_f64 v[55:56], v[59:60], v[55:56], -v[61:62]
	v_fma_f64 v[51:52], v[59:60], v[51:52], v[55:56]
	s_delay_alu instid0(VALU_DEP_1) | instskip(NEXT) | instid1(VALU_DEP_1)
	v_add_f64_e32 v[55:56], v[61:62], v[51:52]
	v_add_f64_e64 v[63:64], v[53:54], -v[55:56]
	v_add_f64_e64 v[61:62], v[55:56], -v[61:62]
	s_delay_alu instid0(VALU_DEP_2) | instskip(NEXT) | instid1(VALU_DEP_2)
	v_add_f64_e64 v[53:54], v[53:54], -v[63:64]
	v_add_f64_e64 v[51:52], v[61:62], -v[51:52]
	s_delay_alu instid0(VALU_DEP_2) | instskip(NEXT) | instid1(VALU_DEP_1)
	v_add_f64_e64 v[53:54], v[53:54], -v[55:56]
	v_add_f64_e32 v[35:36], v[35:36], v[53:54]
	v_add_f64_e32 v[53:54], v[57:58], v[59:60]
	s_delay_alu instid0(VALU_DEP_2) | instskip(NEXT) | instid1(VALU_DEP_2)
	v_add_f64_e32 v[35:36], v[51:52], v[35:36]
	v_add_f64_e64 v[51:52], v[53:54], -v[57:58]
	s_delay_alu instid0(VALU_DEP_2) | instskip(NEXT) | instid1(VALU_DEP_2)
	v_add_f64_e32 v[35:36], v[63:64], v[35:36]
	v_add_f64_e64 v[51:52], v[59:60], -v[51:52]
	s_delay_alu instid0(VALU_DEP_2) | instskip(NEXT) | instid1(VALU_DEP_1)
	v_mul_f64_e32 v[35:36], v[49:50], v[35:36]
	v_add_f64_e32 v[35:36], v[51:52], v[35:36]
	s_delay_alu instid0(VALU_DEP_1) | instskip(NEXT) | instid1(VALU_DEP_1)
	v_add_f64_e32 v[49:50], v[53:54], v[35:36]
	v_mul_f64_e32 v[51:52], v[49:50], v[49:50]
	s_delay_alu instid0(VALU_DEP_1) | instskip(SKIP_4) | instid1(VALU_DEP_2)
	v_fma_f64 v[55:56], v[51:52], s[18:19], s[16:17]
	s_mov_b32 s16, 0xd7f4df2e
	s_mov_b32 s17, 0x3fc7474d
	v_mul_f64_e32 v[57:58], v[49:50], v[51:52]
	s_wait_alu 0xfffe
	v_fma_f64 v[55:56], v[51:52], v[55:56], s[16:17]
	s_mov_b32 s16, 0x16291751
	s_mov_b32 s17, 0x3fcc71c0
	s_wait_alu 0xfffe
	s_delay_alu instid0(VALU_DEP_1) | instskip(SKIP_3) | instid1(VALU_DEP_1)
	v_fma_f64 v[55:56], v[51:52], v[55:56], s[16:17]
	s_mov_b32 s16, 0x9b27acf1
	s_mov_b32 s17, 0x3fd24924
	s_wait_alu 0xfffe
	v_fma_f64 v[55:56], v[51:52], v[55:56], s[16:17]
	s_mov_b32 s16, 0x998ef7b6
	s_mov_b32 s17, 0x3fd99999
	s_wait_alu 0xfffe
	s_delay_alu instid0(VALU_DEP_1) | instskip(NEXT) | instid1(VALU_DEP_1)
	v_fma_f64 v[55:56], v[51:52], v[55:56], s[16:17]
	v_fma_f64 v[51:52], v[51:52], v[55:56], s[0:1]
	v_ldexp_f64 v[55:56], v[49:50], 1
	v_add_f64_e64 v[49:50], v[49:50], -v[53:54]
	v_cmp_neq_f64_e64 s0, 0x7ff00000, v[19:20]
	v_cmp_ngt_f64_e64 s1, -1.0, v[19:20]
	v_mul_f64_e32 v[51:52], v[57:58], v[51:52]
	v_cvt_f64_i32_e32 v[57:58], v69
	v_add_f64_e64 v[35:36], v[35:36], -v[49:50]
	s_and_b32 vcc_lo, vcc_lo, s0
	s_delay_alu instid0(VALU_DEP_3) | instskip(NEXT) | instid1(VALU_DEP_3)
	v_add_f64_e32 v[53:54], v[55:56], v[51:52]
	v_mul_f64_e32 v[59:60], s[2:3], v[57:58]
	s_delay_alu instid0(VALU_DEP_3) | instskip(NEXT) | instid1(VALU_DEP_3)
	v_ldexp_f64 v[35:36], v[35:36], 1
	v_add_f64_e64 v[49:50], v[53:54], -v[55:56]
	s_delay_alu instid0(VALU_DEP_3) | instskip(NEXT) | instid1(VALU_DEP_2)
	v_fma_f64 v[55:56], v[57:58], s[2:3], -v[59:60]
	v_add_f64_e64 v[49:50], v[51:52], -v[49:50]
	s_delay_alu instid0(VALU_DEP_2) | instskip(NEXT) | instid1(VALU_DEP_2)
	v_fma_f64 v[51:52], v[57:58], s[4:5], v[55:56]
	v_add_f64_e32 v[35:36], v[35:36], v[49:50]
	s_delay_alu instid0(VALU_DEP_2) | instskip(NEXT) | instid1(VALU_DEP_2)
	v_add_f64_e32 v[49:50], v[59:60], v[51:52]
	v_add_f64_e32 v[55:56], v[53:54], v[35:36]
	s_delay_alu instid0(VALU_DEP_2) | instskip(NEXT) | instid1(VALU_DEP_2)
	v_add_f64_e64 v[59:60], v[49:50], -v[59:60]
	v_add_f64_e32 v[57:58], v[49:50], v[55:56]
	v_add_f64_e64 v[53:54], v[55:56], -v[53:54]
	s_delay_alu instid0(VALU_DEP_3) | instskip(NEXT) | instid1(VALU_DEP_3)
	v_add_f64_e64 v[51:52], v[51:52], -v[59:60]
	v_add_f64_e64 v[61:62], v[57:58], -v[49:50]
	s_delay_alu instid0(VALU_DEP_3) | instskip(NEXT) | instid1(VALU_DEP_2)
	v_add_f64_e64 v[35:36], v[35:36], -v[53:54]
	v_add_f64_e64 v[63:64], v[57:58], -v[61:62]
	;; [unrolled: 1-line block ×3, first 2 shown]
	s_delay_alu instid0(VALU_DEP_3) | instskip(NEXT) | instid1(VALU_DEP_3)
	v_add_f64_e32 v[55:56], v[51:52], v[35:36]
	v_add_f64_e64 v[49:50], v[49:50], -v[63:64]
	s_delay_alu instid0(VALU_DEP_1) | instskip(NEXT) | instid1(VALU_DEP_3)
	v_add_f64_e32 v[49:50], v[53:54], v[49:50]
	v_add_f64_e64 v[53:54], v[55:56], -v[51:52]
	s_delay_alu instid0(VALU_DEP_2) | instskip(NEXT) | instid1(VALU_DEP_2)
	v_add_f64_e32 v[49:50], v[55:56], v[49:50]
	v_add_f64_e64 v[55:56], v[55:56], -v[53:54]
	v_add_f64_e64 v[35:36], v[35:36], -v[53:54]
	s_delay_alu instid0(VALU_DEP_3) | instskip(NEXT) | instid1(VALU_DEP_3)
	v_add_f64_e32 v[59:60], v[57:58], v[49:50]
	v_add_f64_e64 v[51:52], v[51:52], -v[55:56]
	s_delay_alu instid0(VALU_DEP_2) | instskip(NEXT) | instid1(VALU_DEP_2)
	v_add_f64_e64 v[53:54], v[59:60], -v[57:58]
	v_add_f64_e32 v[35:36], v[35:36], v[51:52]
	s_delay_alu instid0(VALU_DEP_2) | instskip(NEXT) | instid1(VALU_DEP_1)
	v_add_f64_e64 v[49:50], v[49:50], -v[53:54]
	v_add_f64_e32 v[35:36], v[35:36], v[49:50]
	s_delay_alu instid0(VALU_DEP_1) | instskip(SKIP_1) | instid1(VALU_DEP_1)
	v_add_f64_e32 v[35:36], v[59:60], v[35:36]
	s_wait_alu 0xfffe
	v_cndmask_b32_e32 v35, 0, v35, vcc_lo
	v_cmp_neq_f64_e32 vcc_lo, -1.0, v[19:20]
	s_delay_alu instid0(VALU_DEP_3) | instskip(NEXT) | instid1(VALU_DEP_1)
	v_cndmask_b32_e64 v36, 0x7ff00000, v36, s0
	v_cndmask_b32_e64 v36, 0x7ff80000, v36, s1
	s_wait_alu 0xfffd
	s_delay_alu instid0(VALU_DEP_1) | instskip(NEXT) | instid1(VALU_DEP_1)
	v_cndmask_b32_e32 v36, 0xfff00000, v36, vcc_lo
	v_add_f64_e32 v[19:20], v[33:34], v[35:36]
.LBB6_288:
	s_wait_alu 0xfffe
	s_or_b32 exec_lo, exec_lo, s6
	s_delay_alu instid0(VALU_DEP_1) | instskip(SKIP_1) | instid1(VALU_DEP_2)
	v_max_num_f64_e32 v[33:34], v[19:20], v[19:20]
	v_cmp_u_f64_e32 vcc_lo, v[19:20], v[19:20]
	v_min_num_f64_e32 v[35:36], v[33:34], v[21:22]
	v_max_num_f64_e32 v[21:22], v[33:34], v[21:22]
	s_wait_alu 0xfffd
	s_delay_alu instid0(VALU_DEP_2) | instskip(NEXT) | instid1(VALU_DEP_2)
	v_dual_cndmask_b32 v33, v35, v19 :: v_dual_cndmask_b32 v34, v36, v20
	v_dual_cndmask_b32 v22, v22, v20 :: v_dual_cndmask_b32 v21, v21, v19
	s_delay_alu instid0(VALU_DEP_2) | instskip(NEXT) | instid1(VALU_DEP_3)
	v_cndmask_b32_e64 v35, v33, v45, s9
	v_cndmask_b32_e64 v36, v34, v46, s9
	s_delay_alu instid0(VALU_DEP_3) | instskip(NEXT) | instid1(VALU_DEP_4)
	v_cndmask_b32_e64 v34, v22, v46, s9
	v_cndmask_b32_e64 v33, v21, v45, s9
	v_dual_mov_b32 v22, v20 :: v_dual_mov_b32 v21, v19
	s_delay_alu instid0(VALU_DEP_4) | instskip(NEXT) | instid1(VALU_DEP_3)
	v_cmp_class_f64_e64 s0, v[35:36], 0x1f8
	v_cmp_neq_f64_e32 vcc_lo, v[35:36], v[33:34]
	s_or_b32 s0, vcc_lo, s0
	s_wait_alu 0xfffe
	s_and_saveexec_b32 s6, s0
	s_cbranch_execz .LBB6_290
; %bb.289:
	v_add_f64_e64 v[21:22], v[35:36], -v[33:34]
	s_mov_b32 s0, 0x652b82fe
	s_mov_b32 s1, 0x3ff71547
	;; [unrolled: 1-line block ×10, first 2 shown]
	s_wait_alu 0xfffe
	s_delay_alu instid0(VALU_DEP_1) | instskip(SKIP_3) | instid1(VALU_DEP_2)
	v_mul_f64_e32 v[35:36], s[0:1], v[21:22]
	s_mov_b32 s0, 0xfca7ab0c
	s_mov_b32 s1, 0x3e928af3
	v_cmp_nlt_f64_e32 vcc_lo, 0x40900000, v[21:22]
	v_rndne_f64_e32 v[35:36], v[35:36]
	s_delay_alu instid0(VALU_DEP_1) | instskip(SKIP_2) | instid1(VALU_DEP_2)
	v_fma_f64 v[45:46], v[35:36], s[2:3], v[21:22]
	v_cvt_i32_f64_e32 v51, v[35:36]
	s_mov_b32 s3, 0x3fe62e42
	v_fma_f64 v[45:46], v[35:36], s[4:5], v[45:46]
	s_mov_b32 s5, 0x3c7abc9e
	s_wait_alu 0xfffe
	s_delay_alu instid0(VALU_DEP_1)
	v_fma_f64 v[49:50], v[45:46], s[8:9], s[0:1]
	s_mov_b32 s0, 0x623fde64
	s_mov_b32 s1, 0x3ec71dee
	;; [unrolled: 1-line block ×4, first 2 shown]
	s_wait_alu 0xfffe
	s_delay_alu instid0(VALU_DEP_1) | instskip(SKIP_3) | instid1(VALU_DEP_1)
	v_fma_f64 v[49:50], v[45:46], v[49:50], s[0:1]
	s_mov_b32 s0, 0x7c89e6b0
	s_mov_b32 s1, 0x3efa0199
	s_wait_alu 0xfffe
	v_fma_f64 v[49:50], v[45:46], v[49:50], s[0:1]
	s_mov_b32 s0, 0x14761f6e
	s_mov_b32 s1, 0x3f2a01a0
	s_wait_alu 0xfffe
	s_delay_alu instid0(VALU_DEP_1) | instskip(SKIP_3) | instid1(VALU_DEP_1)
	v_fma_f64 v[49:50], v[45:46], v[49:50], s[0:1]
	s_mov_b32 s0, 0x1852b7b0
	s_mov_b32 s1, 0x3f56c16c
	s_wait_alu 0xfffe
	v_fma_f64 v[49:50], v[45:46], v[49:50], s[0:1]
	s_mov_b32 s0, 0x11122322
	s_mov_b32 s1, 0x3f811111
	;; [unrolled: 9-line block ×3, first 2 shown]
	s_wait_alu 0xfffe
	s_delay_alu instid0(VALU_DEP_1) | instskip(SKIP_3) | instid1(VALU_DEP_1)
	v_fma_f64 v[49:50], v[45:46], v[49:50], s[0:1]
	s_mov_b32 s0, 11
	s_mov_b32 s1, 0x3fe00000
	s_wait_alu 0xfffe
	v_fma_f64 v[49:50], v[45:46], v[49:50], s[0:1]
	v_cmp_ngt_f64_e64 s0, 0xc090cc00, v[21:22]
	s_mov_b32 s1, 0x3fe55555
	v_fma_f64 v[49:50], v[45:46], v[49:50], 1.0
	s_delay_alu instid0(VALU_DEP_1) | instskip(NEXT) | instid1(VALU_DEP_1)
	v_fma_f64 v[35:36], v[45:46], v[49:50], 1.0
	v_ldexp_f64 v[35:36], v[35:36], v51
	s_wait_alu 0xfffd
	s_delay_alu instid0(VALU_DEP_1) | instskip(SKIP_2) | instid1(VALU_DEP_2)
	v_cndmask_b32_e32 v36, 0x7ff00000, v36, vcc_lo
	s_and_b32 vcc_lo, s0, vcc_lo
	s_wait_alu 0xfffe
	v_cndmask_b32_e32 v21, 0, v35, vcc_lo
	s_delay_alu instid0(VALU_DEP_2) | instskip(SKIP_1) | instid1(VALU_DEP_1)
	v_cndmask_b32_e64 v22, 0, v36, s0
	s_mov_b32 s0, 0x55555555
	v_add_f64_e32 v[35:36], 1.0, v[21:22]
	s_delay_alu instid0(VALU_DEP_1) | instskip(SKIP_3) | instid1(VALU_DEP_3)
	v_frexp_mant_f64_e32 v[45:46], v[35:36]
	v_frexp_exp_i32_f64_e32 v51, v[35:36]
	v_add_f64_e32 v[49:50], -1.0, v[35:36]
	s_wait_alu 0xfffe
	v_cmp_gt_f64_e32 vcc_lo, s[0:1], v[45:46]
	s_mov_b32 s0, 0x55555780
	s_delay_alu instid0(VALU_DEP_2) | instskip(SKIP_3) | instid1(VALU_DEP_3)
	v_add_f64_e64 v[45:46], v[49:50], -v[35:36]
	v_add_f64_e64 v[49:50], v[21:22], -v[49:50]
	s_wait_alu 0xfffd
	v_subrev_co_ci_u32_e64 v67, null, 0, v51, vcc_lo
	v_add_f64_e32 v[45:46], 1.0, v[45:46]
	v_cmp_nge_f64_e32 vcc_lo, -1.0, v[21:22]
	s_delay_alu instid0(VALU_DEP_3) | instskip(NEXT) | instid1(VALU_DEP_1)
	v_sub_nc_u32_e32 v53, 0, v67
	v_ldexp_f64 v[35:36], v[35:36], v53
	s_delay_alu instid0(VALU_DEP_4) | instskip(NEXT) | instid1(VALU_DEP_2)
	v_add_f64_e32 v[45:46], v[49:50], v[45:46]
	v_add_f64_e32 v[51:52], 1.0, v[35:36]
	v_add_f64_e32 v[57:58], -1.0, v[35:36]
	s_delay_alu instid0(VALU_DEP_3) | instskip(NEXT) | instid1(VALU_DEP_3)
	v_ldexp_f64 v[45:46], v[45:46], v53
	v_add_f64_e32 v[49:50], -1.0, v[51:52]
	s_delay_alu instid0(VALU_DEP_3) | instskip(NEXT) | instid1(VALU_DEP_2)
	v_add_f64_e32 v[59:60], 1.0, v[57:58]
	v_add_f64_e64 v[49:50], v[35:36], -v[49:50]
	s_delay_alu instid0(VALU_DEP_2) | instskip(NEXT) | instid1(VALU_DEP_2)
	v_add_f64_e64 v[35:36], v[35:36], -v[59:60]
	v_add_f64_e32 v[49:50], v[45:46], v[49:50]
	s_delay_alu instid0(VALU_DEP_2) | instskip(NEXT) | instid1(VALU_DEP_2)
	v_add_f64_e32 v[35:36], v[45:46], v[35:36]
	v_add_f64_e32 v[53:54], v[51:52], v[49:50]
	s_delay_alu instid0(VALU_DEP_2) | instskip(NEXT) | instid1(VALU_DEP_2)
	v_add_f64_e32 v[59:60], v[57:58], v[35:36]
	v_rcp_f64_e32 v[55:56], v[53:54]
	v_add_f64_e64 v[51:52], v[53:54], -v[51:52]
	s_delay_alu instid0(VALU_DEP_2) | instskip(NEXT) | instid1(VALU_DEP_2)
	v_add_f64_e64 v[57:58], v[59:60], -v[57:58]
	v_add_f64_e64 v[49:50], v[49:50], -v[51:52]
	s_delay_alu instid0(TRANS32_DEP_1) | instskip(NEXT) | instid1(VALU_DEP_3)
	v_fma_f64 v[61:62], -v[53:54], v[55:56], 1.0
	v_add_f64_e64 v[35:36], v[35:36], -v[57:58]
	s_delay_alu instid0(VALU_DEP_2) | instskip(NEXT) | instid1(VALU_DEP_1)
	v_fma_f64 v[55:56], v[61:62], v[55:56], v[55:56]
	v_fma_f64 v[45:46], -v[53:54], v[55:56], 1.0
	s_delay_alu instid0(VALU_DEP_1) | instskip(NEXT) | instid1(VALU_DEP_1)
	v_fma_f64 v[45:46], v[45:46], v[55:56], v[55:56]
	v_mul_f64_e32 v[55:56], v[59:60], v[45:46]
	s_delay_alu instid0(VALU_DEP_1) | instskip(NEXT) | instid1(VALU_DEP_1)
	v_mul_f64_e32 v[61:62], v[53:54], v[55:56]
	v_fma_f64 v[51:52], v[55:56], v[53:54], -v[61:62]
	s_delay_alu instid0(VALU_DEP_1) | instskip(NEXT) | instid1(VALU_DEP_1)
	v_fma_f64 v[51:52], v[55:56], v[49:50], v[51:52]
	v_add_f64_e32 v[63:64], v[61:62], v[51:52]
	s_delay_alu instid0(VALU_DEP_1) | instskip(SKIP_1) | instid1(VALU_DEP_2)
	v_add_f64_e64 v[65:66], v[59:60], -v[63:64]
	v_add_f64_e64 v[57:58], v[63:64], -v[61:62]
	;; [unrolled: 1-line block ×3, first 2 shown]
	s_delay_alu instid0(VALU_DEP_2) | instskip(NEXT) | instid1(VALU_DEP_2)
	v_add_f64_e64 v[51:52], v[57:58], -v[51:52]
	v_add_f64_e64 v[59:60], v[59:60], -v[63:64]
	s_delay_alu instid0(VALU_DEP_1) | instskip(NEXT) | instid1(VALU_DEP_1)
	v_add_f64_e32 v[35:36], v[35:36], v[59:60]
	v_add_f64_e32 v[35:36], v[51:52], v[35:36]
	s_delay_alu instid0(VALU_DEP_1) | instskip(NEXT) | instid1(VALU_DEP_1)
	v_add_f64_e32 v[51:52], v[65:66], v[35:36]
	v_mul_f64_e32 v[57:58], v[45:46], v[51:52]
	v_add_f64_e64 v[63:64], v[65:66], -v[51:52]
	s_delay_alu instid0(VALU_DEP_2) | instskip(NEXT) | instid1(VALU_DEP_2)
	v_mul_f64_e32 v[59:60], v[53:54], v[57:58]
	v_add_f64_e32 v[35:36], v[35:36], v[63:64]
	s_delay_alu instid0(VALU_DEP_2) | instskip(NEXT) | instid1(VALU_DEP_1)
	v_fma_f64 v[53:54], v[57:58], v[53:54], -v[59:60]
	v_fma_f64 v[49:50], v[57:58], v[49:50], v[53:54]
	s_delay_alu instid0(VALU_DEP_1) | instskip(NEXT) | instid1(VALU_DEP_1)
	v_add_f64_e32 v[53:54], v[59:60], v[49:50]
	v_add_f64_e64 v[61:62], v[51:52], -v[53:54]
	v_add_f64_e64 v[59:60], v[53:54], -v[59:60]
	s_delay_alu instid0(VALU_DEP_2) | instskip(NEXT) | instid1(VALU_DEP_2)
	v_add_f64_e64 v[51:52], v[51:52], -v[61:62]
	v_add_f64_e64 v[49:50], v[59:60], -v[49:50]
	s_delay_alu instid0(VALU_DEP_2) | instskip(NEXT) | instid1(VALU_DEP_1)
	v_add_f64_e64 v[51:52], v[51:52], -v[53:54]
	v_add_f64_e32 v[35:36], v[35:36], v[51:52]
	v_add_f64_e32 v[51:52], v[55:56], v[57:58]
	s_delay_alu instid0(VALU_DEP_2) | instskip(NEXT) | instid1(VALU_DEP_2)
	v_add_f64_e32 v[35:36], v[49:50], v[35:36]
	v_add_f64_e64 v[49:50], v[51:52], -v[55:56]
	s_delay_alu instid0(VALU_DEP_2) | instskip(NEXT) | instid1(VALU_DEP_2)
	v_add_f64_e32 v[35:36], v[61:62], v[35:36]
	v_add_f64_e64 v[49:50], v[57:58], -v[49:50]
	s_delay_alu instid0(VALU_DEP_2) | instskip(NEXT) | instid1(VALU_DEP_1)
	v_mul_f64_e32 v[35:36], v[45:46], v[35:36]
	v_add_f64_e32 v[35:36], v[49:50], v[35:36]
	s_delay_alu instid0(VALU_DEP_1) | instskip(NEXT) | instid1(VALU_DEP_1)
	v_add_f64_e32 v[45:46], v[51:52], v[35:36]
	v_mul_f64_e32 v[49:50], v[45:46], v[45:46]
	s_delay_alu instid0(VALU_DEP_1) | instskip(SKIP_4) | instid1(VALU_DEP_2)
	v_fma_f64 v[53:54], v[49:50], s[16:17], s[8:9]
	s_mov_b32 s8, 0xd7f4df2e
	s_mov_b32 s9, 0x3fc7474d
	v_mul_f64_e32 v[55:56], v[45:46], v[49:50]
	s_wait_alu 0xfffe
	v_fma_f64 v[53:54], v[49:50], v[53:54], s[8:9]
	s_mov_b32 s8, 0x16291751
	s_mov_b32 s9, 0x3fcc71c0
	s_wait_alu 0xfffe
	s_delay_alu instid0(VALU_DEP_1) | instskip(SKIP_3) | instid1(VALU_DEP_1)
	v_fma_f64 v[53:54], v[49:50], v[53:54], s[8:9]
	s_mov_b32 s8, 0x9b27acf1
	s_mov_b32 s9, 0x3fd24924
	s_wait_alu 0xfffe
	v_fma_f64 v[53:54], v[49:50], v[53:54], s[8:9]
	s_mov_b32 s8, 0x998ef7b6
	s_mov_b32 s9, 0x3fd99999
	s_wait_alu 0xfffe
	s_delay_alu instid0(VALU_DEP_1) | instskip(NEXT) | instid1(VALU_DEP_1)
	v_fma_f64 v[53:54], v[49:50], v[53:54], s[8:9]
	v_fma_f64 v[49:50], v[49:50], v[53:54], s[0:1]
	v_ldexp_f64 v[53:54], v[45:46], 1
	v_add_f64_e64 v[45:46], v[45:46], -v[51:52]
	v_cmp_neq_f64_e64 s0, 0x7ff00000, v[21:22]
	v_cmp_ngt_f64_e64 s1, -1.0, v[21:22]
	v_mul_f64_e32 v[49:50], v[55:56], v[49:50]
	v_cvt_f64_i32_e32 v[55:56], v67
	v_add_f64_e64 v[35:36], v[35:36], -v[45:46]
	s_and_b32 vcc_lo, vcc_lo, s0
	s_delay_alu instid0(VALU_DEP_3) | instskip(NEXT) | instid1(VALU_DEP_3)
	v_add_f64_e32 v[51:52], v[53:54], v[49:50]
	v_mul_f64_e32 v[57:58], s[2:3], v[55:56]
	s_delay_alu instid0(VALU_DEP_3) | instskip(NEXT) | instid1(VALU_DEP_3)
	v_ldexp_f64 v[35:36], v[35:36], 1
	v_add_f64_e64 v[45:46], v[51:52], -v[53:54]
	s_delay_alu instid0(VALU_DEP_3) | instskip(NEXT) | instid1(VALU_DEP_2)
	v_fma_f64 v[53:54], v[55:56], s[2:3], -v[57:58]
	v_add_f64_e64 v[45:46], v[49:50], -v[45:46]
	s_delay_alu instid0(VALU_DEP_2) | instskip(NEXT) | instid1(VALU_DEP_2)
	v_fma_f64 v[49:50], v[55:56], s[4:5], v[53:54]
	v_add_f64_e32 v[35:36], v[35:36], v[45:46]
	s_delay_alu instid0(VALU_DEP_2) | instskip(NEXT) | instid1(VALU_DEP_2)
	v_add_f64_e32 v[45:46], v[57:58], v[49:50]
	v_add_f64_e32 v[53:54], v[51:52], v[35:36]
	s_delay_alu instid0(VALU_DEP_2) | instskip(NEXT) | instid1(VALU_DEP_2)
	v_add_f64_e64 v[57:58], v[45:46], -v[57:58]
	v_add_f64_e32 v[55:56], v[45:46], v[53:54]
	v_add_f64_e64 v[51:52], v[53:54], -v[51:52]
	s_delay_alu instid0(VALU_DEP_3) | instskip(NEXT) | instid1(VALU_DEP_3)
	v_add_f64_e64 v[49:50], v[49:50], -v[57:58]
	v_add_f64_e64 v[59:60], v[55:56], -v[45:46]
	s_delay_alu instid0(VALU_DEP_3) | instskip(NEXT) | instid1(VALU_DEP_2)
	v_add_f64_e64 v[35:36], v[35:36], -v[51:52]
	v_add_f64_e64 v[61:62], v[55:56], -v[59:60]
	;; [unrolled: 1-line block ×3, first 2 shown]
	s_delay_alu instid0(VALU_DEP_3) | instskip(NEXT) | instid1(VALU_DEP_3)
	v_add_f64_e32 v[53:54], v[49:50], v[35:36]
	v_add_f64_e64 v[45:46], v[45:46], -v[61:62]
	s_delay_alu instid0(VALU_DEP_1) | instskip(NEXT) | instid1(VALU_DEP_3)
	v_add_f64_e32 v[45:46], v[51:52], v[45:46]
	v_add_f64_e64 v[51:52], v[53:54], -v[49:50]
	s_delay_alu instid0(VALU_DEP_2) | instskip(NEXT) | instid1(VALU_DEP_2)
	v_add_f64_e32 v[45:46], v[53:54], v[45:46]
	v_add_f64_e64 v[53:54], v[53:54], -v[51:52]
	v_add_f64_e64 v[35:36], v[35:36], -v[51:52]
	s_delay_alu instid0(VALU_DEP_3) | instskip(NEXT) | instid1(VALU_DEP_3)
	v_add_f64_e32 v[57:58], v[55:56], v[45:46]
	v_add_f64_e64 v[49:50], v[49:50], -v[53:54]
	s_delay_alu instid0(VALU_DEP_2) | instskip(NEXT) | instid1(VALU_DEP_2)
	v_add_f64_e64 v[51:52], v[57:58], -v[55:56]
	v_add_f64_e32 v[35:36], v[35:36], v[49:50]
	s_delay_alu instid0(VALU_DEP_2) | instskip(NEXT) | instid1(VALU_DEP_1)
	v_add_f64_e64 v[45:46], v[45:46], -v[51:52]
	v_add_f64_e32 v[35:36], v[35:36], v[45:46]
	s_delay_alu instid0(VALU_DEP_1) | instskip(SKIP_1) | instid1(VALU_DEP_1)
	v_add_f64_e32 v[35:36], v[57:58], v[35:36]
	s_wait_alu 0xfffe
	v_cndmask_b32_e32 v35, 0, v35, vcc_lo
	v_cmp_neq_f64_e32 vcc_lo, -1.0, v[21:22]
	s_delay_alu instid0(VALU_DEP_3) | instskip(NEXT) | instid1(VALU_DEP_1)
	v_cndmask_b32_e64 v36, 0x7ff00000, v36, s0
	v_cndmask_b32_e64 v36, 0x7ff80000, v36, s1
	s_wait_alu 0xfffd
	s_delay_alu instid0(VALU_DEP_1) | instskip(NEXT) | instid1(VALU_DEP_1)
	v_cndmask_b32_e32 v36, 0xfff00000, v36, vcc_lo
	v_add_f64_e32 v[21:22], v[33:34], v[35:36]
.LBB6_290:
	s_wait_alu 0xfffe
	s_or_b32 exec_lo, exec_lo, s6
	s_delay_alu instid0(VALU_DEP_1) | instskip(SKIP_1) | instid1(VALU_DEP_2)
	v_max_num_f64_e32 v[33:34], v[21:22], v[21:22]
	v_cmp_u_f64_e32 vcc_lo, v[21:22], v[21:22]
	v_min_num_f64_e32 v[35:36], v[33:34], v[23:24]
	v_max_num_f64_e32 v[23:24], v[33:34], v[23:24]
	s_wait_alu 0xfffd
	s_delay_alu instid0(VALU_DEP_2) | instskip(NEXT) | instid1(VALU_DEP_2)
	v_dual_cndmask_b32 v33, v35, v21 :: v_dual_cndmask_b32 v34, v36, v22
	v_dual_cndmask_b32 v24, v24, v22 :: v_dual_cndmask_b32 v23, v23, v21
	s_delay_alu instid0(VALU_DEP_2) | instskip(NEXT) | instid1(VALU_DEP_3)
	v_cndmask_b32_e64 v35, v33, v47, s10
	v_cndmask_b32_e64 v36, v34, v48, s10
	s_delay_alu instid0(VALU_DEP_3) | instskip(NEXT) | instid1(VALU_DEP_4)
	v_cndmask_b32_e64 v34, v24, v48, s10
	v_cndmask_b32_e64 v33, v23, v47, s10
	v_dual_mov_b32 v24, v22 :: v_dual_mov_b32 v23, v21
	s_delay_alu instid0(VALU_DEP_4) | instskip(NEXT) | instid1(VALU_DEP_3)
	v_cmp_class_f64_e64 s0, v[35:36], 0x1f8
	v_cmp_neq_f64_e32 vcc_lo, v[35:36], v[33:34]
	s_or_b32 s0, vcc_lo, s0
	s_wait_alu 0xfffe
	s_and_saveexec_b32 s6, s0
	s_cbranch_execz .LBB6_292
; %bb.291:
	v_add_f64_e64 v[23:24], v[35:36], -v[33:34]
	s_mov_b32 s0, 0x652b82fe
	s_mov_b32 s1, 0x3ff71547
	;; [unrolled: 1-line block ×10, first 2 shown]
	s_wait_alu 0xfffe
	s_delay_alu instid0(VALU_DEP_1) | instskip(SKIP_3) | instid1(VALU_DEP_2)
	v_mul_f64_e32 v[35:36], s[0:1], v[23:24]
	s_mov_b32 s0, 0xfca7ab0c
	s_mov_b32 s1, 0x3e928af3
	v_cmp_nlt_f64_e32 vcc_lo, 0x40900000, v[23:24]
	v_rndne_f64_e32 v[35:36], v[35:36]
	s_delay_alu instid0(VALU_DEP_1) | instskip(SKIP_2) | instid1(VALU_DEP_2)
	v_fma_f64 v[45:46], v[35:36], s[2:3], v[23:24]
	v_cvt_i32_f64_e32 v49, v[35:36]
	s_mov_b32 s3, 0x3fe62e42
	v_fma_f64 v[45:46], v[35:36], s[4:5], v[45:46]
	s_mov_b32 s5, 0x3c7abc9e
	s_wait_alu 0xfffe
	s_delay_alu instid0(VALU_DEP_1)
	v_fma_f64 v[47:48], v[45:46], s[8:9], s[0:1]
	s_mov_b32 s0, 0x623fde64
	s_mov_b32 s1, 0x3ec71dee
	;; [unrolled: 1-line block ×4, first 2 shown]
	s_wait_alu 0xfffe
	s_delay_alu instid0(VALU_DEP_1) | instskip(SKIP_3) | instid1(VALU_DEP_1)
	v_fma_f64 v[47:48], v[45:46], v[47:48], s[0:1]
	s_mov_b32 s0, 0x7c89e6b0
	s_mov_b32 s1, 0x3efa0199
	s_wait_alu 0xfffe
	v_fma_f64 v[47:48], v[45:46], v[47:48], s[0:1]
	s_mov_b32 s0, 0x14761f6e
	s_mov_b32 s1, 0x3f2a01a0
	s_wait_alu 0xfffe
	s_delay_alu instid0(VALU_DEP_1) | instskip(SKIP_3) | instid1(VALU_DEP_1)
	v_fma_f64 v[47:48], v[45:46], v[47:48], s[0:1]
	s_mov_b32 s0, 0x1852b7b0
	s_mov_b32 s1, 0x3f56c16c
	s_wait_alu 0xfffe
	v_fma_f64 v[47:48], v[45:46], v[47:48], s[0:1]
	s_mov_b32 s0, 0x11122322
	s_mov_b32 s1, 0x3f811111
	;; [unrolled: 9-line block ×3, first 2 shown]
	s_wait_alu 0xfffe
	s_delay_alu instid0(VALU_DEP_1) | instskip(SKIP_3) | instid1(VALU_DEP_1)
	v_fma_f64 v[47:48], v[45:46], v[47:48], s[0:1]
	s_mov_b32 s0, 11
	s_mov_b32 s1, 0x3fe00000
	s_wait_alu 0xfffe
	v_fma_f64 v[47:48], v[45:46], v[47:48], s[0:1]
	v_cmp_ngt_f64_e64 s0, 0xc090cc00, v[23:24]
	s_mov_b32 s1, 0x3fe55555
	v_fma_f64 v[47:48], v[45:46], v[47:48], 1.0
	s_delay_alu instid0(VALU_DEP_1) | instskip(NEXT) | instid1(VALU_DEP_1)
	v_fma_f64 v[35:36], v[45:46], v[47:48], 1.0
	v_ldexp_f64 v[35:36], v[35:36], v49
	s_wait_alu 0xfffd
	s_delay_alu instid0(VALU_DEP_1) | instskip(SKIP_2) | instid1(VALU_DEP_2)
	v_cndmask_b32_e32 v36, 0x7ff00000, v36, vcc_lo
	s_and_b32 vcc_lo, s0, vcc_lo
	s_wait_alu 0xfffe
	v_cndmask_b32_e32 v23, 0, v35, vcc_lo
	s_delay_alu instid0(VALU_DEP_2) | instskip(SKIP_1) | instid1(VALU_DEP_1)
	v_cndmask_b32_e64 v24, 0, v36, s0
	s_mov_b32 s0, 0x55555555
	v_add_f64_e32 v[35:36], 1.0, v[23:24]
	s_delay_alu instid0(VALU_DEP_1) | instskip(SKIP_3) | instid1(VALU_DEP_3)
	v_frexp_mant_f64_e32 v[45:46], v[35:36]
	v_frexp_exp_i32_f64_e32 v49, v[35:36]
	v_add_f64_e32 v[47:48], -1.0, v[35:36]
	s_wait_alu 0xfffe
	v_cmp_gt_f64_e32 vcc_lo, s[0:1], v[45:46]
	s_mov_b32 s0, 0x55555780
	s_delay_alu instid0(VALU_DEP_2) | instskip(SKIP_3) | instid1(VALU_DEP_3)
	v_add_f64_e64 v[45:46], v[47:48], -v[35:36]
	v_add_f64_e64 v[47:48], v[23:24], -v[47:48]
	s_wait_alu 0xfffd
	v_subrev_co_ci_u32_e64 v65, null, 0, v49, vcc_lo
	v_add_f64_e32 v[45:46], 1.0, v[45:46]
	v_cmp_nge_f64_e32 vcc_lo, -1.0, v[23:24]
	s_delay_alu instid0(VALU_DEP_3) | instskip(NEXT) | instid1(VALU_DEP_1)
	v_sub_nc_u32_e32 v51, 0, v65
	v_ldexp_f64 v[35:36], v[35:36], v51
	s_delay_alu instid0(VALU_DEP_4) | instskip(NEXT) | instid1(VALU_DEP_2)
	v_add_f64_e32 v[45:46], v[47:48], v[45:46]
	v_add_f64_e32 v[49:50], 1.0, v[35:36]
	v_add_f64_e32 v[55:56], -1.0, v[35:36]
	s_delay_alu instid0(VALU_DEP_3) | instskip(NEXT) | instid1(VALU_DEP_3)
	v_ldexp_f64 v[45:46], v[45:46], v51
	v_add_f64_e32 v[47:48], -1.0, v[49:50]
	s_delay_alu instid0(VALU_DEP_3) | instskip(NEXT) | instid1(VALU_DEP_2)
	v_add_f64_e32 v[57:58], 1.0, v[55:56]
	v_add_f64_e64 v[47:48], v[35:36], -v[47:48]
	s_delay_alu instid0(VALU_DEP_2) | instskip(NEXT) | instid1(VALU_DEP_2)
	v_add_f64_e64 v[35:36], v[35:36], -v[57:58]
	v_add_f64_e32 v[47:48], v[45:46], v[47:48]
	s_delay_alu instid0(VALU_DEP_2) | instskip(NEXT) | instid1(VALU_DEP_2)
	v_add_f64_e32 v[35:36], v[45:46], v[35:36]
	v_add_f64_e32 v[51:52], v[49:50], v[47:48]
	s_delay_alu instid0(VALU_DEP_2) | instskip(NEXT) | instid1(VALU_DEP_2)
	v_add_f64_e32 v[57:58], v[55:56], v[35:36]
	v_rcp_f64_e32 v[53:54], v[51:52]
	v_add_f64_e64 v[49:50], v[51:52], -v[49:50]
	s_delay_alu instid0(VALU_DEP_2) | instskip(NEXT) | instid1(VALU_DEP_2)
	v_add_f64_e64 v[55:56], v[57:58], -v[55:56]
	v_add_f64_e64 v[47:48], v[47:48], -v[49:50]
	s_delay_alu instid0(TRANS32_DEP_1) | instskip(NEXT) | instid1(VALU_DEP_3)
	v_fma_f64 v[59:60], -v[51:52], v[53:54], 1.0
	v_add_f64_e64 v[35:36], v[35:36], -v[55:56]
	s_delay_alu instid0(VALU_DEP_2) | instskip(NEXT) | instid1(VALU_DEP_1)
	v_fma_f64 v[53:54], v[59:60], v[53:54], v[53:54]
	v_fma_f64 v[45:46], -v[51:52], v[53:54], 1.0
	s_delay_alu instid0(VALU_DEP_1) | instskip(NEXT) | instid1(VALU_DEP_1)
	v_fma_f64 v[45:46], v[45:46], v[53:54], v[53:54]
	v_mul_f64_e32 v[53:54], v[57:58], v[45:46]
	s_delay_alu instid0(VALU_DEP_1) | instskip(NEXT) | instid1(VALU_DEP_1)
	v_mul_f64_e32 v[59:60], v[51:52], v[53:54]
	v_fma_f64 v[49:50], v[53:54], v[51:52], -v[59:60]
	s_delay_alu instid0(VALU_DEP_1) | instskip(NEXT) | instid1(VALU_DEP_1)
	v_fma_f64 v[49:50], v[53:54], v[47:48], v[49:50]
	v_add_f64_e32 v[61:62], v[59:60], v[49:50]
	s_delay_alu instid0(VALU_DEP_1) | instskip(SKIP_1) | instid1(VALU_DEP_2)
	v_add_f64_e64 v[63:64], v[57:58], -v[61:62]
	v_add_f64_e64 v[55:56], v[61:62], -v[59:60]
	;; [unrolled: 1-line block ×3, first 2 shown]
	s_delay_alu instid0(VALU_DEP_2) | instskip(NEXT) | instid1(VALU_DEP_2)
	v_add_f64_e64 v[49:50], v[55:56], -v[49:50]
	v_add_f64_e64 v[57:58], v[57:58], -v[61:62]
	s_delay_alu instid0(VALU_DEP_1) | instskip(NEXT) | instid1(VALU_DEP_1)
	v_add_f64_e32 v[35:36], v[35:36], v[57:58]
	v_add_f64_e32 v[35:36], v[49:50], v[35:36]
	s_delay_alu instid0(VALU_DEP_1) | instskip(NEXT) | instid1(VALU_DEP_1)
	v_add_f64_e32 v[49:50], v[63:64], v[35:36]
	v_mul_f64_e32 v[55:56], v[45:46], v[49:50]
	v_add_f64_e64 v[61:62], v[63:64], -v[49:50]
	s_delay_alu instid0(VALU_DEP_2) | instskip(NEXT) | instid1(VALU_DEP_2)
	v_mul_f64_e32 v[57:58], v[51:52], v[55:56]
	v_add_f64_e32 v[35:36], v[35:36], v[61:62]
	s_delay_alu instid0(VALU_DEP_2) | instskip(NEXT) | instid1(VALU_DEP_1)
	v_fma_f64 v[51:52], v[55:56], v[51:52], -v[57:58]
	v_fma_f64 v[47:48], v[55:56], v[47:48], v[51:52]
	s_delay_alu instid0(VALU_DEP_1) | instskip(NEXT) | instid1(VALU_DEP_1)
	v_add_f64_e32 v[51:52], v[57:58], v[47:48]
	v_add_f64_e64 v[59:60], v[49:50], -v[51:52]
	v_add_f64_e64 v[57:58], v[51:52], -v[57:58]
	s_delay_alu instid0(VALU_DEP_2) | instskip(NEXT) | instid1(VALU_DEP_2)
	v_add_f64_e64 v[49:50], v[49:50], -v[59:60]
	v_add_f64_e64 v[47:48], v[57:58], -v[47:48]
	s_delay_alu instid0(VALU_DEP_2) | instskip(NEXT) | instid1(VALU_DEP_1)
	v_add_f64_e64 v[49:50], v[49:50], -v[51:52]
	v_add_f64_e32 v[35:36], v[35:36], v[49:50]
	v_add_f64_e32 v[49:50], v[53:54], v[55:56]
	s_delay_alu instid0(VALU_DEP_2) | instskip(NEXT) | instid1(VALU_DEP_2)
	v_add_f64_e32 v[35:36], v[47:48], v[35:36]
	v_add_f64_e64 v[47:48], v[49:50], -v[53:54]
	s_delay_alu instid0(VALU_DEP_2) | instskip(NEXT) | instid1(VALU_DEP_2)
	v_add_f64_e32 v[35:36], v[59:60], v[35:36]
	v_add_f64_e64 v[47:48], v[55:56], -v[47:48]
	s_delay_alu instid0(VALU_DEP_2) | instskip(NEXT) | instid1(VALU_DEP_1)
	v_mul_f64_e32 v[35:36], v[45:46], v[35:36]
	v_add_f64_e32 v[35:36], v[47:48], v[35:36]
	s_delay_alu instid0(VALU_DEP_1) | instskip(NEXT) | instid1(VALU_DEP_1)
	v_add_f64_e32 v[45:46], v[49:50], v[35:36]
	v_mul_f64_e32 v[47:48], v[45:46], v[45:46]
	s_delay_alu instid0(VALU_DEP_1) | instskip(SKIP_4) | instid1(VALU_DEP_2)
	v_fma_f64 v[51:52], v[47:48], s[16:17], s[8:9]
	s_mov_b32 s8, 0xd7f4df2e
	s_mov_b32 s9, 0x3fc7474d
	v_mul_f64_e32 v[53:54], v[45:46], v[47:48]
	s_wait_alu 0xfffe
	v_fma_f64 v[51:52], v[47:48], v[51:52], s[8:9]
	s_mov_b32 s8, 0x16291751
	s_mov_b32 s9, 0x3fcc71c0
	s_wait_alu 0xfffe
	s_delay_alu instid0(VALU_DEP_1) | instskip(SKIP_3) | instid1(VALU_DEP_1)
	v_fma_f64 v[51:52], v[47:48], v[51:52], s[8:9]
	s_mov_b32 s8, 0x9b27acf1
	s_mov_b32 s9, 0x3fd24924
	s_wait_alu 0xfffe
	v_fma_f64 v[51:52], v[47:48], v[51:52], s[8:9]
	s_mov_b32 s8, 0x998ef7b6
	s_mov_b32 s9, 0x3fd99999
	s_wait_alu 0xfffe
	s_delay_alu instid0(VALU_DEP_1) | instskip(NEXT) | instid1(VALU_DEP_1)
	v_fma_f64 v[51:52], v[47:48], v[51:52], s[8:9]
	v_fma_f64 v[47:48], v[47:48], v[51:52], s[0:1]
	v_ldexp_f64 v[51:52], v[45:46], 1
	v_add_f64_e64 v[45:46], v[45:46], -v[49:50]
	v_cmp_neq_f64_e64 s0, 0x7ff00000, v[23:24]
	v_cmp_ngt_f64_e64 s1, -1.0, v[23:24]
	v_mul_f64_e32 v[47:48], v[53:54], v[47:48]
	v_cvt_f64_i32_e32 v[53:54], v65
	v_add_f64_e64 v[35:36], v[35:36], -v[45:46]
	s_and_b32 vcc_lo, vcc_lo, s0
	s_delay_alu instid0(VALU_DEP_3) | instskip(NEXT) | instid1(VALU_DEP_3)
	v_add_f64_e32 v[49:50], v[51:52], v[47:48]
	v_mul_f64_e32 v[55:56], s[2:3], v[53:54]
	s_delay_alu instid0(VALU_DEP_3) | instskip(NEXT) | instid1(VALU_DEP_3)
	v_ldexp_f64 v[35:36], v[35:36], 1
	v_add_f64_e64 v[45:46], v[49:50], -v[51:52]
	s_delay_alu instid0(VALU_DEP_3) | instskip(NEXT) | instid1(VALU_DEP_2)
	v_fma_f64 v[51:52], v[53:54], s[2:3], -v[55:56]
	v_add_f64_e64 v[45:46], v[47:48], -v[45:46]
	s_delay_alu instid0(VALU_DEP_2) | instskip(NEXT) | instid1(VALU_DEP_2)
	v_fma_f64 v[47:48], v[53:54], s[4:5], v[51:52]
	v_add_f64_e32 v[35:36], v[35:36], v[45:46]
	s_delay_alu instid0(VALU_DEP_2) | instskip(NEXT) | instid1(VALU_DEP_2)
	v_add_f64_e32 v[45:46], v[55:56], v[47:48]
	v_add_f64_e32 v[51:52], v[49:50], v[35:36]
	s_delay_alu instid0(VALU_DEP_2) | instskip(NEXT) | instid1(VALU_DEP_2)
	v_add_f64_e64 v[55:56], v[45:46], -v[55:56]
	v_add_f64_e32 v[53:54], v[45:46], v[51:52]
	v_add_f64_e64 v[49:50], v[51:52], -v[49:50]
	s_delay_alu instid0(VALU_DEP_3) | instskip(NEXT) | instid1(VALU_DEP_3)
	v_add_f64_e64 v[47:48], v[47:48], -v[55:56]
	v_add_f64_e64 v[57:58], v[53:54], -v[45:46]
	s_delay_alu instid0(VALU_DEP_3) | instskip(NEXT) | instid1(VALU_DEP_2)
	v_add_f64_e64 v[35:36], v[35:36], -v[49:50]
	v_add_f64_e64 v[59:60], v[53:54], -v[57:58]
	;; [unrolled: 1-line block ×3, first 2 shown]
	s_delay_alu instid0(VALU_DEP_3) | instskip(NEXT) | instid1(VALU_DEP_3)
	v_add_f64_e32 v[51:52], v[47:48], v[35:36]
	v_add_f64_e64 v[45:46], v[45:46], -v[59:60]
	s_delay_alu instid0(VALU_DEP_1) | instskip(NEXT) | instid1(VALU_DEP_3)
	v_add_f64_e32 v[45:46], v[49:50], v[45:46]
	v_add_f64_e64 v[49:50], v[51:52], -v[47:48]
	s_delay_alu instid0(VALU_DEP_2) | instskip(NEXT) | instid1(VALU_DEP_2)
	v_add_f64_e32 v[45:46], v[51:52], v[45:46]
	v_add_f64_e64 v[51:52], v[51:52], -v[49:50]
	v_add_f64_e64 v[35:36], v[35:36], -v[49:50]
	s_delay_alu instid0(VALU_DEP_3) | instskip(NEXT) | instid1(VALU_DEP_3)
	v_add_f64_e32 v[55:56], v[53:54], v[45:46]
	v_add_f64_e64 v[47:48], v[47:48], -v[51:52]
	s_delay_alu instid0(VALU_DEP_2) | instskip(NEXT) | instid1(VALU_DEP_2)
	v_add_f64_e64 v[49:50], v[55:56], -v[53:54]
	v_add_f64_e32 v[35:36], v[35:36], v[47:48]
	s_delay_alu instid0(VALU_DEP_2) | instskip(NEXT) | instid1(VALU_DEP_1)
	v_add_f64_e64 v[45:46], v[45:46], -v[49:50]
	v_add_f64_e32 v[35:36], v[35:36], v[45:46]
	s_delay_alu instid0(VALU_DEP_1) | instskip(SKIP_1) | instid1(VALU_DEP_1)
	v_add_f64_e32 v[35:36], v[55:56], v[35:36]
	s_wait_alu 0xfffe
	v_cndmask_b32_e32 v35, 0, v35, vcc_lo
	v_cmp_neq_f64_e32 vcc_lo, -1.0, v[23:24]
	s_delay_alu instid0(VALU_DEP_3) | instskip(NEXT) | instid1(VALU_DEP_1)
	v_cndmask_b32_e64 v36, 0x7ff00000, v36, s0
	v_cndmask_b32_e64 v36, 0x7ff80000, v36, s1
	s_wait_alu 0xfffd
	s_delay_alu instid0(VALU_DEP_1) | instskip(NEXT) | instid1(VALU_DEP_1)
	v_cndmask_b32_e32 v36, 0xfff00000, v36, vcc_lo
	v_add_f64_e32 v[23:24], v[33:34], v[35:36]
.LBB6_292:
	s_wait_alu 0xfffe
	s_or_b32 exec_lo, exec_lo, s6
	s_delay_alu instid0(VALU_DEP_1) | instskip(SKIP_1) | instid1(VALU_DEP_2)
	v_max_num_f64_e32 v[33:34], v[23:24], v[23:24]
	v_cmp_u_f64_e32 vcc_lo, v[23:24], v[23:24]
	v_min_num_f64_e32 v[35:36], v[33:34], v[25:26]
	v_max_num_f64_e32 v[25:26], v[33:34], v[25:26]
	s_wait_alu 0xfffd
	s_delay_alu instid0(VALU_DEP_2) | instskip(NEXT) | instid1(VALU_DEP_2)
	v_dual_cndmask_b32 v33, v35, v23 :: v_dual_cndmask_b32 v34, v36, v24
	v_dual_cndmask_b32 v26, v26, v24 :: v_dual_cndmask_b32 v25, v25, v23
	s_delay_alu instid0(VALU_DEP_2) | instskip(NEXT) | instid1(VALU_DEP_3)
	v_cndmask_b32_e64 v35, v33, v41, s11
	v_cndmask_b32_e64 v36, v34, v42, s11
	s_delay_alu instid0(VALU_DEP_3) | instskip(NEXT) | instid1(VALU_DEP_4)
	v_cndmask_b32_e64 v34, v26, v42, s11
	v_cndmask_b32_e64 v33, v25, v41, s11
	v_dual_mov_b32 v26, v24 :: v_dual_mov_b32 v25, v23
	s_delay_alu instid0(VALU_DEP_4) | instskip(NEXT) | instid1(VALU_DEP_3)
	v_cmp_class_f64_e64 s0, v[35:36], 0x1f8
	v_cmp_neq_f64_e32 vcc_lo, v[35:36], v[33:34]
	s_or_b32 s0, vcc_lo, s0
	s_wait_alu 0xfffe
	s_and_saveexec_b32 s6, s0
	s_cbranch_execz .LBB6_294
; %bb.293:
	v_add_f64_e64 v[25:26], v[35:36], -v[33:34]
	s_mov_b32 s0, 0x652b82fe
	s_mov_b32 s1, 0x3ff71547
	;; [unrolled: 1-line block ×10, first 2 shown]
	s_wait_alu 0xfffe
	s_delay_alu instid0(VALU_DEP_1) | instskip(SKIP_3) | instid1(VALU_DEP_2)
	v_mul_f64_e32 v[35:36], s[0:1], v[25:26]
	s_mov_b32 s0, 0xfca7ab0c
	s_mov_b32 s1, 0x3e928af3
	v_cmp_nlt_f64_e32 vcc_lo, 0x40900000, v[25:26]
	v_rndne_f64_e32 v[35:36], v[35:36]
	s_delay_alu instid0(VALU_DEP_1) | instskip(SKIP_2) | instid1(VALU_DEP_2)
	v_fma_f64 v[41:42], v[35:36], s[2:3], v[25:26]
	v_cvt_i32_f64_e32 v47, v[35:36]
	s_mov_b32 s3, 0x3fe62e42
	v_fma_f64 v[41:42], v[35:36], s[4:5], v[41:42]
	s_mov_b32 s5, 0x3c7abc9e
	s_wait_alu 0xfffe
	s_delay_alu instid0(VALU_DEP_1)
	v_fma_f64 v[45:46], v[41:42], s[8:9], s[0:1]
	s_mov_b32 s0, 0x623fde64
	s_mov_b32 s1, 0x3ec71dee
	;; [unrolled: 1-line block ×4, first 2 shown]
	s_wait_alu 0xfffe
	s_delay_alu instid0(VALU_DEP_1) | instskip(SKIP_3) | instid1(VALU_DEP_1)
	v_fma_f64 v[45:46], v[41:42], v[45:46], s[0:1]
	s_mov_b32 s0, 0x7c89e6b0
	s_mov_b32 s1, 0x3efa0199
	s_wait_alu 0xfffe
	v_fma_f64 v[45:46], v[41:42], v[45:46], s[0:1]
	s_mov_b32 s0, 0x14761f6e
	s_mov_b32 s1, 0x3f2a01a0
	s_wait_alu 0xfffe
	s_delay_alu instid0(VALU_DEP_1) | instskip(SKIP_3) | instid1(VALU_DEP_1)
	v_fma_f64 v[45:46], v[41:42], v[45:46], s[0:1]
	s_mov_b32 s0, 0x1852b7b0
	s_mov_b32 s1, 0x3f56c16c
	s_wait_alu 0xfffe
	v_fma_f64 v[45:46], v[41:42], v[45:46], s[0:1]
	s_mov_b32 s0, 0x11122322
	s_mov_b32 s1, 0x3f811111
	;; [unrolled: 9-line block ×3, first 2 shown]
	s_wait_alu 0xfffe
	s_delay_alu instid0(VALU_DEP_1) | instskip(SKIP_3) | instid1(VALU_DEP_1)
	v_fma_f64 v[45:46], v[41:42], v[45:46], s[0:1]
	s_mov_b32 s0, 11
	s_mov_b32 s1, 0x3fe00000
	s_wait_alu 0xfffe
	v_fma_f64 v[45:46], v[41:42], v[45:46], s[0:1]
	v_cmp_ngt_f64_e64 s0, 0xc090cc00, v[25:26]
	s_mov_b32 s1, 0x3fe55555
	v_fma_f64 v[45:46], v[41:42], v[45:46], 1.0
	s_delay_alu instid0(VALU_DEP_1) | instskip(NEXT) | instid1(VALU_DEP_1)
	v_fma_f64 v[35:36], v[41:42], v[45:46], 1.0
	v_ldexp_f64 v[35:36], v[35:36], v47
	s_wait_alu 0xfffd
	s_delay_alu instid0(VALU_DEP_1) | instskip(SKIP_2) | instid1(VALU_DEP_2)
	v_cndmask_b32_e32 v36, 0x7ff00000, v36, vcc_lo
	s_and_b32 vcc_lo, s0, vcc_lo
	s_wait_alu 0xfffe
	v_cndmask_b32_e32 v25, 0, v35, vcc_lo
	s_delay_alu instid0(VALU_DEP_2) | instskip(SKIP_1) | instid1(VALU_DEP_1)
	v_cndmask_b32_e64 v26, 0, v36, s0
	s_mov_b32 s0, 0x55555555
	v_add_f64_e32 v[35:36], 1.0, v[25:26]
	s_delay_alu instid0(VALU_DEP_1) | instskip(SKIP_3) | instid1(VALU_DEP_3)
	v_frexp_mant_f64_e32 v[41:42], v[35:36]
	v_frexp_exp_i32_f64_e32 v47, v[35:36]
	v_add_f64_e32 v[45:46], -1.0, v[35:36]
	s_wait_alu 0xfffe
	v_cmp_gt_f64_e32 vcc_lo, s[0:1], v[41:42]
	s_mov_b32 s0, 0x55555780
	s_delay_alu instid0(VALU_DEP_2) | instskip(SKIP_3) | instid1(VALU_DEP_3)
	v_add_f64_e64 v[41:42], v[45:46], -v[35:36]
	v_add_f64_e64 v[45:46], v[25:26], -v[45:46]
	s_wait_alu 0xfffd
	v_subrev_co_ci_u32_e64 v63, null, 0, v47, vcc_lo
	v_add_f64_e32 v[41:42], 1.0, v[41:42]
	v_cmp_nge_f64_e32 vcc_lo, -1.0, v[25:26]
	s_delay_alu instid0(VALU_DEP_3) | instskip(NEXT) | instid1(VALU_DEP_1)
	v_sub_nc_u32_e32 v49, 0, v63
	v_ldexp_f64 v[35:36], v[35:36], v49
	s_delay_alu instid0(VALU_DEP_4) | instskip(NEXT) | instid1(VALU_DEP_2)
	v_add_f64_e32 v[41:42], v[45:46], v[41:42]
	v_add_f64_e32 v[47:48], 1.0, v[35:36]
	v_add_f64_e32 v[53:54], -1.0, v[35:36]
	s_delay_alu instid0(VALU_DEP_3) | instskip(NEXT) | instid1(VALU_DEP_3)
	v_ldexp_f64 v[41:42], v[41:42], v49
	v_add_f64_e32 v[45:46], -1.0, v[47:48]
	s_delay_alu instid0(VALU_DEP_3) | instskip(NEXT) | instid1(VALU_DEP_2)
	v_add_f64_e32 v[55:56], 1.0, v[53:54]
	v_add_f64_e64 v[45:46], v[35:36], -v[45:46]
	s_delay_alu instid0(VALU_DEP_2) | instskip(NEXT) | instid1(VALU_DEP_2)
	v_add_f64_e64 v[35:36], v[35:36], -v[55:56]
	v_add_f64_e32 v[45:46], v[41:42], v[45:46]
	s_delay_alu instid0(VALU_DEP_2) | instskip(NEXT) | instid1(VALU_DEP_2)
	v_add_f64_e32 v[35:36], v[41:42], v[35:36]
	v_add_f64_e32 v[49:50], v[47:48], v[45:46]
	s_delay_alu instid0(VALU_DEP_2) | instskip(NEXT) | instid1(VALU_DEP_2)
	v_add_f64_e32 v[55:56], v[53:54], v[35:36]
	v_rcp_f64_e32 v[51:52], v[49:50]
	v_add_f64_e64 v[47:48], v[49:50], -v[47:48]
	s_delay_alu instid0(VALU_DEP_2) | instskip(NEXT) | instid1(VALU_DEP_2)
	v_add_f64_e64 v[53:54], v[55:56], -v[53:54]
	v_add_f64_e64 v[45:46], v[45:46], -v[47:48]
	s_delay_alu instid0(TRANS32_DEP_1) | instskip(NEXT) | instid1(VALU_DEP_3)
	v_fma_f64 v[57:58], -v[49:50], v[51:52], 1.0
	v_add_f64_e64 v[35:36], v[35:36], -v[53:54]
	s_delay_alu instid0(VALU_DEP_2) | instskip(NEXT) | instid1(VALU_DEP_1)
	v_fma_f64 v[51:52], v[57:58], v[51:52], v[51:52]
	v_fma_f64 v[41:42], -v[49:50], v[51:52], 1.0
	s_delay_alu instid0(VALU_DEP_1) | instskip(NEXT) | instid1(VALU_DEP_1)
	v_fma_f64 v[41:42], v[41:42], v[51:52], v[51:52]
	v_mul_f64_e32 v[51:52], v[55:56], v[41:42]
	s_delay_alu instid0(VALU_DEP_1) | instskip(NEXT) | instid1(VALU_DEP_1)
	v_mul_f64_e32 v[57:58], v[49:50], v[51:52]
	v_fma_f64 v[47:48], v[51:52], v[49:50], -v[57:58]
	s_delay_alu instid0(VALU_DEP_1) | instskip(NEXT) | instid1(VALU_DEP_1)
	v_fma_f64 v[47:48], v[51:52], v[45:46], v[47:48]
	v_add_f64_e32 v[59:60], v[57:58], v[47:48]
	s_delay_alu instid0(VALU_DEP_1) | instskip(SKIP_1) | instid1(VALU_DEP_2)
	v_add_f64_e64 v[61:62], v[55:56], -v[59:60]
	v_add_f64_e64 v[53:54], v[59:60], -v[57:58]
	;; [unrolled: 1-line block ×3, first 2 shown]
	s_delay_alu instid0(VALU_DEP_2) | instskip(NEXT) | instid1(VALU_DEP_2)
	v_add_f64_e64 v[47:48], v[53:54], -v[47:48]
	v_add_f64_e64 v[55:56], v[55:56], -v[59:60]
	s_delay_alu instid0(VALU_DEP_1) | instskip(NEXT) | instid1(VALU_DEP_1)
	v_add_f64_e32 v[35:36], v[35:36], v[55:56]
	v_add_f64_e32 v[35:36], v[47:48], v[35:36]
	s_delay_alu instid0(VALU_DEP_1) | instskip(NEXT) | instid1(VALU_DEP_1)
	v_add_f64_e32 v[47:48], v[61:62], v[35:36]
	v_mul_f64_e32 v[53:54], v[41:42], v[47:48]
	v_add_f64_e64 v[59:60], v[61:62], -v[47:48]
	s_delay_alu instid0(VALU_DEP_2) | instskip(NEXT) | instid1(VALU_DEP_2)
	v_mul_f64_e32 v[55:56], v[49:50], v[53:54]
	v_add_f64_e32 v[35:36], v[35:36], v[59:60]
	s_delay_alu instid0(VALU_DEP_2) | instskip(NEXT) | instid1(VALU_DEP_1)
	v_fma_f64 v[49:50], v[53:54], v[49:50], -v[55:56]
	v_fma_f64 v[45:46], v[53:54], v[45:46], v[49:50]
	s_delay_alu instid0(VALU_DEP_1) | instskip(NEXT) | instid1(VALU_DEP_1)
	v_add_f64_e32 v[49:50], v[55:56], v[45:46]
	v_add_f64_e64 v[57:58], v[47:48], -v[49:50]
	v_add_f64_e64 v[55:56], v[49:50], -v[55:56]
	s_delay_alu instid0(VALU_DEP_2) | instskip(NEXT) | instid1(VALU_DEP_2)
	v_add_f64_e64 v[47:48], v[47:48], -v[57:58]
	v_add_f64_e64 v[45:46], v[55:56], -v[45:46]
	s_delay_alu instid0(VALU_DEP_2) | instskip(NEXT) | instid1(VALU_DEP_1)
	v_add_f64_e64 v[47:48], v[47:48], -v[49:50]
	v_add_f64_e32 v[35:36], v[35:36], v[47:48]
	v_add_f64_e32 v[47:48], v[51:52], v[53:54]
	s_delay_alu instid0(VALU_DEP_2) | instskip(NEXT) | instid1(VALU_DEP_2)
	v_add_f64_e32 v[35:36], v[45:46], v[35:36]
	v_add_f64_e64 v[45:46], v[47:48], -v[51:52]
	s_delay_alu instid0(VALU_DEP_2) | instskip(NEXT) | instid1(VALU_DEP_2)
	v_add_f64_e32 v[35:36], v[57:58], v[35:36]
	v_add_f64_e64 v[45:46], v[53:54], -v[45:46]
	s_delay_alu instid0(VALU_DEP_2) | instskip(NEXT) | instid1(VALU_DEP_1)
	v_mul_f64_e32 v[35:36], v[41:42], v[35:36]
	v_add_f64_e32 v[35:36], v[45:46], v[35:36]
	s_delay_alu instid0(VALU_DEP_1) | instskip(NEXT) | instid1(VALU_DEP_1)
	v_add_f64_e32 v[41:42], v[47:48], v[35:36]
	v_mul_f64_e32 v[45:46], v[41:42], v[41:42]
	s_delay_alu instid0(VALU_DEP_1) | instskip(SKIP_4) | instid1(VALU_DEP_2)
	v_fma_f64 v[49:50], v[45:46], s[10:11], s[8:9]
	s_mov_b32 s8, 0xd7f4df2e
	s_mov_b32 s9, 0x3fc7474d
	v_mul_f64_e32 v[51:52], v[41:42], v[45:46]
	s_wait_alu 0xfffe
	v_fma_f64 v[49:50], v[45:46], v[49:50], s[8:9]
	s_mov_b32 s8, 0x16291751
	s_mov_b32 s9, 0x3fcc71c0
	s_wait_alu 0xfffe
	s_delay_alu instid0(VALU_DEP_1) | instskip(SKIP_3) | instid1(VALU_DEP_1)
	v_fma_f64 v[49:50], v[45:46], v[49:50], s[8:9]
	s_mov_b32 s8, 0x9b27acf1
	s_mov_b32 s9, 0x3fd24924
	s_wait_alu 0xfffe
	v_fma_f64 v[49:50], v[45:46], v[49:50], s[8:9]
	s_mov_b32 s8, 0x998ef7b6
	s_mov_b32 s9, 0x3fd99999
	s_wait_alu 0xfffe
	s_delay_alu instid0(VALU_DEP_1) | instskip(NEXT) | instid1(VALU_DEP_1)
	v_fma_f64 v[49:50], v[45:46], v[49:50], s[8:9]
	v_fma_f64 v[45:46], v[45:46], v[49:50], s[0:1]
	v_ldexp_f64 v[49:50], v[41:42], 1
	v_add_f64_e64 v[41:42], v[41:42], -v[47:48]
	v_cmp_neq_f64_e64 s0, 0x7ff00000, v[25:26]
	v_cmp_ngt_f64_e64 s1, -1.0, v[25:26]
	v_mul_f64_e32 v[45:46], v[51:52], v[45:46]
	v_cvt_f64_i32_e32 v[51:52], v63
	v_add_f64_e64 v[35:36], v[35:36], -v[41:42]
	s_and_b32 vcc_lo, vcc_lo, s0
	s_delay_alu instid0(VALU_DEP_3) | instskip(NEXT) | instid1(VALU_DEP_3)
	v_add_f64_e32 v[47:48], v[49:50], v[45:46]
	v_mul_f64_e32 v[53:54], s[2:3], v[51:52]
	s_delay_alu instid0(VALU_DEP_3) | instskip(NEXT) | instid1(VALU_DEP_3)
	v_ldexp_f64 v[35:36], v[35:36], 1
	v_add_f64_e64 v[41:42], v[47:48], -v[49:50]
	s_delay_alu instid0(VALU_DEP_3) | instskip(NEXT) | instid1(VALU_DEP_2)
	v_fma_f64 v[49:50], v[51:52], s[2:3], -v[53:54]
	v_add_f64_e64 v[41:42], v[45:46], -v[41:42]
	s_delay_alu instid0(VALU_DEP_2) | instskip(NEXT) | instid1(VALU_DEP_2)
	v_fma_f64 v[45:46], v[51:52], s[4:5], v[49:50]
	v_add_f64_e32 v[35:36], v[35:36], v[41:42]
	s_delay_alu instid0(VALU_DEP_2) | instskip(NEXT) | instid1(VALU_DEP_2)
	v_add_f64_e32 v[41:42], v[53:54], v[45:46]
	v_add_f64_e32 v[49:50], v[47:48], v[35:36]
	s_delay_alu instid0(VALU_DEP_2) | instskip(NEXT) | instid1(VALU_DEP_2)
	v_add_f64_e64 v[53:54], v[41:42], -v[53:54]
	v_add_f64_e32 v[51:52], v[41:42], v[49:50]
	v_add_f64_e64 v[47:48], v[49:50], -v[47:48]
	s_delay_alu instid0(VALU_DEP_3) | instskip(NEXT) | instid1(VALU_DEP_3)
	v_add_f64_e64 v[45:46], v[45:46], -v[53:54]
	v_add_f64_e64 v[55:56], v[51:52], -v[41:42]
	s_delay_alu instid0(VALU_DEP_3) | instskip(NEXT) | instid1(VALU_DEP_2)
	v_add_f64_e64 v[35:36], v[35:36], -v[47:48]
	v_add_f64_e64 v[57:58], v[51:52], -v[55:56]
	;; [unrolled: 1-line block ×3, first 2 shown]
	s_delay_alu instid0(VALU_DEP_3) | instskip(NEXT) | instid1(VALU_DEP_3)
	v_add_f64_e32 v[49:50], v[45:46], v[35:36]
	v_add_f64_e64 v[41:42], v[41:42], -v[57:58]
	s_delay_alu instid0(VALU_DEP_1) | instskip(NEXT) | instid1(VALU_DEP_3)
	v_add_f64_e32 v[41:42], v[47:48], v[41:42]
	v_add_f64_e64 v[47:48], v[49:50], -v[45:46]
	s_delay_alu instid0(VALU_DEP_2) | instskip(NEXT) | instid1(VALU_DEP_2)
	v_add_f64_e32 v[41:42], v[49:50], v[41:42]
	v_add_f64_e64 v[49:50], v[49:50], -v[47:48]
	v_add_f64_e64 v[35:36], v[35:36], -v[47:48]
	s_delay_alu instid0(VALU_DEP_3) | instskip(NEXT) | instid1(VALU_DEP_3)
	v_add_f64_e32 v[53:54], v[51:52], v[41:42]
	v_add_f64_e64 v[45:46], v[45:46], -v[49:50]
	s_delay_alu instid0(VALU_DEP_2) | instskip(NEXT) | instid1(VALU_DEP_2)
	v_add_f64_e64 v[47:48], v[53:54], -v[51:52]
	v_add_f64_e32 v[35:36], v[35:36], v[45:46]
	s_delay_alu instid0(VALU_DEP_2) | instskip(NEXT) | instid1(VALU_DEP_1)
	v_add_f64_e64 v[41:42], v[41:42], -v[47:48]
	v_add_f64_e32 v[35:36], v[35:36], v[41:42]
	s_delay_alu instid0(VALU_DEP_1) | instskip(SKIP_1) | instid1(VALU_DEP_1)
	v_add_f64_e32 v[35:36], v[53:54], v[35:36]
	s_wait_alu 0xfffe
	v_cndmask_b32_e32 v35, 0, v35, vcc_lo
	v_cmp_neq_f64_e32 vcc_lo, -1.0, v[25:26]
	s_delay_alu instid0(VALU_DEP_3) | instskip(NEXT) | instid1(VALU_DEP_1)
	v_cndmask_b32_e64 v36, 0x7ff00000, v36, s0
	v_cndmask_b32_e64 v36, 0x7ff80000, v36, s1
	s_wait_alu 0xfffd
	s_delay_alu instid0(VALU_DEP_1) | instskip(NEXT) | instid1(VALU_DEP_1)
	v_cndmask_b32_e32 v36, 0xfff00000, v36, vcc_lo
	v_add_f64_e32 v[25:26], v[33:34], v[35:36]
.LBB6_294:
	s_wait_alu 0xfffe
	s_or_b32 exec_lo, exec_lo, s6
	s_delay_alu instid0(VALU_DEP_1) | instskip(SKIP_1) | instid1(VALU_DEP_2)
	v_max_num_f64_e32 v[33:34], v[25:26], v[25:26]
	v_cmp_u_f64_e32 vcc_lo, v[25:26], v[25:26]
	v_min_num_f64_e32 v[35:36], v[33:34], v[27:28]
	v_max_num_f64_e32 v[27:28], v[33:34], v[27:28]
	s_wait_alu 0xfffd
	s_delay_alu instid0(VALU_DEP_2) | instskip(NEXT) | instid1(VALU_DEP_2)
	v_dual_cndmask_b32 v33, v35, v25 :: v_dual_cndmask_b32 v34, v36, v26
	v_dual_cndmask_b32 v28, v28, v26 :: v_dual_cndmask_b32 v27, v27, v25
	s_delay_alu instid0(VALU_DEP_2) | instskip(NEXT) | instid1(VALU_DEP_3)
	v_cndmask_b32_e64 v35, v33, v43, s12
	v_cndmask_b32_e64 v36, v34, v44, s12
	s_delay_alu instid0(VALU_DEP_3) | instskip(NEXT) | instid1(VALU_DEP_4)
	v_cndmask_b32_e64 v34, v28, v44, s12
	v_cndmask_b32_e64 v33, v27, v43, s12
	v_dual_mov_b32 v28, v26 :: v_dual_mov_b32 v27, v25
	s_delay_alu instid0(VALU_DEP_4) | instskip(NEXT) | instid1(VALU_DEP_3)
	v_cmp_class_f64_e64 s0, v[35:36], 0x1f8
	v_cmp_neq_f64_e32 vcc_lo, v[35:36], v[33:34]
	s_or_b32 s0, vcc_lo, s0
	s_wait_alu 0xfffe
	s_and_saveexec_b32 s6, s0
	s_cbranch_execz .LBB6_296
; %bb.295:
	v_add_f64_e64 v[27:28], v[35:36], -v[33:34]
	s_mov_b32 s0, 0x652b82fe
	s_mov_b32 s1, 0x3ff71547
	;; [unrolled: 1-line block ×10, first 2 shown]
	s_wait_alu 0xfffe
	s_delay_alu instid0(VALU_DEP_1) | instskip(SKIP_3) | instid1(VALU_DEP_2)
	v_mul_f64_e32 v[35:36], s[0:1], v[27:28]
	s_mov_b32 s0, 0xfca7ab0c
	s_mov_b32 s1, 0x3e928af3
	v_cmp_nlt_f64_e32 vcc_lo, 0x40900000, v[27:28]
	v_rndne_f64_e32 v[35:36], v[35:36]
	s_delay_alu instid0(VALU_DEP_1) | instskip(SKIP_2) | instid1(VALU_DEP_2)
	v_fma_f64 v[41:42], v[35:36], s[2:3], v[27:28]
	v_cvt_i32_f64_e32 v45, v[35:36]
	s_mov_b32 s3, 0x3fe62e42
	v_fma_f64 v[41:42], v[35:36], s[4:5], v[41:42]
	s_mov_b32 s5, 0x3c7abc9e
	s_wait_alu 0xfffe
	s_delay_alu instid0(VALU_DEP_1)
	v_fma_f64 v[43:44], v[41:42], s[8:9], s[0:1]
	s_mov_b32 s0, 0x623fde64
	s_mov_b32 s1, 0x3ec71dee
	;; [unrolled: 1-line block ×4, first 2 shown]
	s_wait_alu 0xfffe
	s_delay_alu instid0(VALU_DEP_1) | instskip(SKIP_3) | instid1(VALU_DEP_1)
	v_fma_f64 v[43:44], v[41:42], v[43:44], s[0:1]
	s_mov_b32 s0, 0x7c89e6b0
	s_mov_b32 s1, 0x3efa0199
	s_wait_alu 0xfffe
	v_fma_f64 v[43:44], v[41:42], v[43:44], s[0:1]
	s_mov_b32 s0, 0x14761f6e
	s_mov_b32 s1, 0x3f2a01a0
	s_wait_alu 0xfffe
	s_delay_alu instid0(VALU_DEP_1) | instskip(SKIP_3) | instid1(VALU_DEP_1)
	v_fma_f64 v[43:44], v[41:42], v[43:44], s[0:1]
	s_mov_b32 s0, 0x1852b7b0
	s_mov_b32 s1, 0x3f56c16c
	s_wait_alu 0xfffe
	v_fma_f64 v[43:44], v[41:42], v[43:44], s[0:1]
	s_mov_b32 s0, 0x11122322
	s_mov_b32 s1, 0x3f811111
	s_wait_alu 0xfffe
	s_delay_alu instid0(VALU_DEP_1) | instskip(SKIP_3) | instid1(VALU_DEP_1)
	v_fma_f64 v[43:44], v[41:42], v[43:44], s[0:1]
	s_mov_b32 s0, 0x555502a1
	s_mov_b32 s1, 0x3fa55555
	s_wait_alu 0xfffe
	v_fma_f64 v[43:44], v[41:42], v[43:44], s[0:1]
	s_mov_b32 s0, 0x55555511
	s_mov_b32 s1, 0x3fc55555
	s_wait_alu 0xfffe
	s_delay_alu instid0(VALU_DEP_1) | instskip(SKIP_3) | instid1(VALU_DEP_1)
	v_fma_f64 v[43:44], v[41:42], v[43:44], s[0:1]
	s_mov_b32 s0, 11
	s_mov_b32 s1, 0x3fe00000
	s_wait_alu 0xfffe
	v_fma_f64 v[43:44], v[41:42], v[43:44], s[0:1]
	v_cmp_ngt_f64_e64 s0, 0xc090cc00, v[27:28]
	s_mov_b32 s1, 0x3fe55555
	v_fma_f64 v[43:44], v[41:42], v[43:44], 1.0
	s_delay_alu instid0(VALU_DEP_1) | instskip(NEXT) | instid1(VALU_DEP_1)
	v_fma_f64 v[35:36], v[41:42], v[43:44], 1.0
	v_ldexp_f64 v[35:36], v[35:36], v45
	s_wait_alu 0xfffd
	s_delay_alu instid0(VALU_DEP_1) | instskip(SKIP_2) | instid1(VALU_DEP_2)
	v_cndmask_b32_e32 v36, 0x7ff00000, v36, vcc_lo
	s_and_b32 vcc_lo, s0, vcc_lo
	s_wait_alu 0xfffe
	v_cndmask_b32_e32 v27, 0, v35, vcc_lo
	s_delay_alu instid0(VALU_DEP_2) | instskip(SKIP_1) | instid1(VALU_DEP_1)
	v_cndmask_b32_e64 v28, 0, v36, s0
	s_mov_b32 s0, 0x55555555
	v_add_f64_e32 v[35:36], 1.0, v[27:28]
	s_delay_alu instid0(VALU_DEP_1) | instskip(SKIP_3) | instid1(VALU_DEP_3)
	v_frexp_mant_f64_e32 v[41:42], v[35:36]
	v_frexp_exp_i32_f64_e32 v45, v[35:36]
	v_add_f64_e32 v[43:44], -1.0, v[35:36]
	s_wait_alu 0xfffe
	v_cmp_gt_f64_e32 vcc_lo, s[0:1], v[41:42]
	s_mov_b32 s0, 0x55555780
	s_delay_alu instid0(VALU_DEP_2) | instskip(SKIP_3) | instid1(VALU_DEP_3)
	v_add_f64_e64 v[41:42], v[43:44], -v[35:36]
	v_add_f64_e64 v[43:44], v[27:28], -v[43:44]
	s_wait_alu 0xfffd
	v_subrev_co_ci_u32_e64 v61, null, 0, v45, vcc_lo
	v_add_f64_e32 v[41:42], 1.0, v[41:42]
	v_cmp_nge_f64_e32 vcc_lo, -1.0, v[27:28]
	s_delay_alu instid0(VALU_DEP_3) | instskip(NEXT) | instid1(VALU_DEP_1)
	v_sub_nc_u32_e32 v47, 0, v61
	v_ldexp_f64 v[35:36], v[35:36], v47
	s_delay_alu instid0(VALU_DEP_4) | instskip(NEXT) | instid1(VALU_DEP_2)
	v_add_f64_e32 v[41:42], v[43:44], v[41:42]
	v_add_f64_e32 v[45:46], 1.0, v[35:36]
	v_add_f64_e32 v[51:52], -1.0, v[35:36]
	s_delay_alu instid0(VALU_DEP_3) | instskip(NEXT) | instid1(VALU_DEP_3)
	v_ldexp_f64 v[41:42], v[41:42], v47
	v_add_f64_e32 v[43:44], -1.0, v[45:46]
	s_delay_alu instid0(VALU_DEP_3) | instskip(NEXT) | instid1(VALU_DEP_2)
	v_add_f64_e32 v[53:54], 1.0, v[51:52]
	v_add_f64_e64 v[43:44], v[35:36], -v[43:44]
	s_delay_alu instid0(VALU_DEP_2) | instskip(NEXT) | instid1(VALU_DEP_2)
	v_add_f64_e64 v[35:36], v[35:36], -v[53:54]
	v_add_f64_e32 v[43:44], v[41:42], v[43:44]
	s_delay_alu instid0(VALU_DEP_2) | instskip(NEXT) | instid1(VALU_DEP_2)
	v_add_f64_e32 v[35:36], v[41:42], v[35:36]
	v_add_f64_e32 v[47:48], v[45:46], v[43:44]
	s_delay_alu instid0(VALU_DEP_2) | instskip(NEXT) | instid1(VALU_DEP_2)
	v_add_f64_e32 v[53:54], v[51:52], v[35:36]
	v_rcp_f64_e32 v[49:50], v[47:48]
	v_add_f64_e64 v[45:46], v[47:48], -v[45:46]
	s_delay_alu instid0(VALU_DEP_2) | instskip(NEXT) | instid1(VALU_DEP_2)
	v_add_f64_e64 v[51:52], v[53:54], -v[51:52]
	v_add_f64_e64 v[43:44], v[43:44], -v[45:46]
	s_delay_alu instid0(TRANS32_DEP_1) | instskip(NEXT) | instid1(VALU_DEP_3)
	v_fma_f64 v[55:56], -v[47:48], v[49:50], 1.0
	v_add_f64_e64 v[35:36], v[35:36], -v[51:52]
	s_delay_alu instid0(VALU_DEP_2) | instskip(NEXT) | instid1(VALU_DEP_1)
	v_fma_f64 v[49:50], v[55:56], v[49:50], v[49:50]
	v_fma_f64 v[41:42], -v[47:48], v[49:50], 1.0
	s_delay_alu instid0(VALU_DEP_1) | instskip(NEXT) | instid1(VALU_DEP_1)
	v_fma_f64 v[41:42], v[41:42], v[49:50], v[49:50]
	v_mul_f64_e32 v[49:50], v[53:54], v[41:42]
	s_delay_alu instid0(VALU_DEP_1) | instskip(NEXT) | instid1(VALU_DEP_1)
	v_mul_f64_e32 v[55:56], v[47:48], v[49:50]
	v_fma_f64 v[45:46], v[49:50], v[47:48], -v[55:56]
	s_delay_alu instid0(VALU_DEP_1) | instskip(NEXT) | instid1(VALU_DEP_1)
	v_fma_f64 v[45:46], v[49:50], v[43:44], v[45:46]
	v_add_f64_e32 v[57:58], v[55:56], v[45:46]
	s_delay_alu instid0(VALU_DEP_1) | instskip(SKIP_1) | instid1(VALU_DEP_2)
	v_add_f64_e64 v[59:60], v[53:54], -v[57:58]
	v_add_f64_e64 v[51:52], v[57:58], -v[55:56]
	;; [unrolled: 1-line block ×3, first 2 shown]
	s_delay_alu instid0(VALU_DEP_2) | instskip(NEXT) | instid1(VALU_DEP_2)
	v_add_f64_e64 v[45:46], v[51:52], -v[45:46]
	v_add_f64_e64 v[53:54], v[53:54], -v[57:58]
	s_delay_alu instid0(VALU_DEP_1) | instskip(NEXT) | instid1(VALU_DEP_1)
	v_add_f64_e32 v[35:36], v[35:36], v[53:54]
	v_add_f64_e32 v[35:36], v[45:46], v[35:36]
	s_delay_alu instid0(VALU_DEP_1) | instskip(NEXT) | instid1(VALU_DEP_1)
	v_add_f64_e32 v[45:46], v[59:60], v[35:36]
	v_mul_f64_e32 v[51:52], v[41:42], v[45:46]
	v_add_f64_e64 v[57:58], v[59:60], -v[45:46]
	s_delay_alu instid0(VALU_DEP_2) | instskip(NEXT) | instid1(VALU_DEP_2)
	v_mul_f64_e32 v[53:54], v[47:48], v[51:52]
	v_add_f64_e32 v[35:36], v[35:36], v[57:58]
	s_delay_alu instid0(VALU_DEP_2) | instskip(NEXT) | instid1(VALU_DEP_1)
	v_fma_f64 v[47:48], v[51:52], v[47:48], -v[53:54]
	v_fma_f64 v[43:44], v[51:52], v[43:44], v[47:48]
	s_delay_alu instid0(VALU_DEP_1) | instskip(NEXT) | instid1(VALU_DEP_1)
	v_add_f64_e32 v[47:48], v[53:54], v[43:44]
	v_add_f64_e64 v[55:56], v[45:46], -v[47:48]
	v_add_f64_e64 v[53:54], v[47:48], -v[53:54]
	s_delay_alu instid0(VALU_DEP_2) | instskip(NEXT) | instid1(VALU_DEP_2)
	v_add_f64_e64 v[45:46], v[45:46], -v[55:56]
	v_add_f64_e64 v[43:44], v[53:54], -v[43:44]
	s_delay_alu instid0(VALU_DEP_2) | instskip(NEXT) | instid1(VALU_DEP_1)
	v_add_f64_e64 v[45:46], v[45:46], -v[47:48]
	v_add_f64_e32 v[35:36], v[35:36], v[45:46]
	v_add_f64_e32 v[45:46], v[49:50], v[51:52]
	s_delay_alu instid0(VALU_DEP_2) | instskip(NEXT) | instid1(VALU_DEP_2)
	v_add_f64_e32 v[35:36], v[43:44], v[35:36]
	v_add_f64_e64 v[43:44], v[45:46], -v[49:50]
	s_delay_alu instid0(VALU_DEP_2) | instskip(NEXT) | instid1(VALU_DEP_2)
	v_add_f64_e32 v[35:36], v[55:56], v[35:36]
	v_add_f64_e64 v[43:44], v[51:52], -v[43:44]
	s_delay_alu instid0(VALU_DEP_2) | instskip(NEXT) | instid1(VALU_DEP_1)
	v_mul_f64_e32 v[35:36], v[41:42], v[35:36]
	v_add_f64_e32 v[35:36], v[43:44], v[35:36]
	s_delay_alu instid0(VALU_DEP_1) | instskip(NEXT) | instid1(VALU_DEP_1)
	v_add_f64_e32 v[41:42], v[45:46], v[35:36]
	v_mul_f64_e32 v[43:44], v[41:42], v[41:42]
	s_delay_alu instid0(VALU_DEP_1) | instskip(SKIP_4) | instid1(VALU_DEP_2)
	v_fma_f64 v[47:48], v[43:44], s[10:11], s[8:9]
	s_mov_b32 s8, 0xd7f4df2e
	s_mov_b32 s9, 0x3fc7474d
	v_mul_f64_e32 v[49:50], v[41:42], v[43:44]
	s_wait_alu 0xfffe
	v_fma_f64 v[47:48], v[43:44], v[47:48], s[8:9]
	s_mov_b32 s8, 0x16291751
	s_mov_b32 s9, 0x3fcc71c0
	s_wait_alu 0xfffe
	s_delay_alu instid0(VALU_DEP_1) | instskip(SKIP_3) | instid1(VALU_DEP_1)
	v_fma_f64 v[47:48], v[43:44], v[47:48], s[8:9]
	s_mov_b32 s8, 0x9b27acf1
	s_mov_b32 s9, 0x3fd24924
	s_wait_alu 0xfffe
	v_fma_f64 v[47:48], v[43:44], v[47:48], s[8:9]
	s_mov_b32 s8, 0x998ef7b6
	s_mov_b32 s9, 0x3fd99999
	s_wait_alu 0xfffe
	s_delay_alu instid0(VALU_DEP_1) | instskip(NEXT) | instid1(VALU_DEP_1)
	v_fma_f64 v[47:48], v[43:44], v[47:48], s[8:9]
	v_fma_f64 v[43:44], v[43:44], v[47:48], s[0:1]
	v_ldexp_f64 v[47:48], v[41:42], 1
	v_add_f64_e64 v[41:42], v[41:42], -v[45:46]
	v_cmp_neq_f64_e64 s0, 0x7ff00000, v[27:28]
	v_cmp_ngt_f64_e64 s1, -1.0, v[27:28]
	v_mul_f64_e32 v[43:44], v[49:50], v[43:44]
	v_cvt_f64_i32_e32 v[49:50], v61
	v_add_f64_e64 v[35:36], v[35:36], -v[41:42]
	s_and_b32 vcc_lo, vcc_lo, s0
	s_delay_alu instid0(VALU_DEP_3) | instskip(NEXT) | instid1(VALU_DEP_3)
	v_add_f64_e32 v[45:46], v[47:48], v[43:44]
	v_mul_f64_e32 v[51:52], s[2:3], v[49:50]
	s_delay_alu instid0(VALU_DEP_3) | instskip(NEXT) | instid1(VALU_DEP_3)
	v_ldexp_f64 v[35:36], v[35:36], 1
	v_add_f64_e64 v[41:42], v[45:46], -v[47:48]
	s_delay_alu instid0(VALU_DEP_3) | instskip(NEXT) | instid1(VALU_DEP_2)
	v_fma_f64 v[47:48], v[49:50], s[2:3], -v[51:52]
	v_add_f64_e64 v[41:42], v[43:44], -v[41:42]
	s_delay_alu instid0(VALU_DEP_2) | instskip(NEXT) | instid1(VALU_DEP_2)
	v_fma_f64 v[43:44], v[49:50], s[4:5], v[47:48]
	v_add_f64_e32 v[35:36], v[35:36], v[41:42]
	s_delay_alu instid0(VALU_DEP_2) | instskip(NEXT) | instid1(VALU_DEP_2)
	v_add_f64_e32 v[41:42], v[51:52], v[43:44]
	v_add_f64_e32 v[47:48], v[45:46], v[35:36]
	s_delay_alu instid0(VALU_DEP_2) | instskip(NEXT) | instid1(VALU_DEP_2)
	v_add_f64_e64 v[51:52], v[41:42], -v[51:52]
	v_add_f64_e32 v[49:50], v[41:42], v[47:48]
	v_add_f64_e64 v[45:46], v[47:48], -v[45:46]
	s_delay_alu instid0(VALU_DEP_3) | instskip(NEXT) | instid1(VALU_DEP_3)
	v_add_f64_e64 v[43:44], v[43:44], -v[51:52]
	v_add_f64_e64 v[53:54], v[49:50], -v[41:42]
	s_delay_alu instid0(VALU_DEP_3) | instskip(NEXT) | instid1(VALU_DEP_2)
	v_add_f64_e64 v[35:36], v[35:36], -v[45:46]
	v_add_f64_e64 v[55:56], v[49:50], -v[53:54]
	;; [unrolled: 1-line block ×3, first 2 shown]
	s_delay_alu instid0(VALU_DEP_3) | instskip(NEXT) | instid1(VALU_DEP_3)
	v_add_f64_e32 v[47:48], v[43:44], v[35:36]
	v_add_f64_e64 v[41:42], v[41:42], -v[55:56]
	s_delay_alu instid0(VALU_DEP_1) | instskip(NEXT) | instid1(VALU_DEP_3)
	v_add_f64_e32 v[41:42], v[45:46], v[41:42]
	v_add_f64_e64 v[45:46], v[47:48], -v[43:44]
	s_delay_alu instid0(VALU_DEP_2) | instskip(NEXT) | instid1(VALU_DEP_2)
	v_add_f64_e32 v[41:42], v[47:48], v[41:42]
	v_add_f64_e64 v[47:48], v[47:48], -v[45:46]
	v_add_f64_e64 v[35:36], v[35:36], -v[45:46]
	s_delay_alu instid0(VALU_DEP_3) | instskip(NEXT) | instid1(VALU_DEP_3)
	v_add_f64_e32 v[51:52], v[49:50], v[41:42]
	v_add_f64_e64 v[43:44], v[43:44], -v[47:48]
	s_delay_alu instid0(VALU_DEP_2) | instskip(NEXT) | instid1(VALU_DEP_2)
	v_add_f64_e64 v[45:46], v[51:52], -v[49:50]
	v_add_f64_e32 v[35:36], v[35:36], v[43:44]
	s_delay_alu instid0(VALU_DEP_2) | instskip(NEXT) | instid1(VALU_DEP_1)
	v_add_f64_e64 v[41:42], v[41:42], -v[45:46]
	v_add_f64_e32 v[35:36], v[35:36], v[41:42]
	s_delay_alu instid0(VALU_DEP_1) | instskip(SKIP_1) | instid1(VALU_DEP_1)
	v_add_f64_e32 v[35:36], v[51:52], v[35:36]
	s_wait_alu 0xfffe
	v_cndmask_b32_e32 v35, 0, v35, vcc_lo
	v_cmp_neq_f64_e32 vcc_lo, -1.0, v[27:28]
	s_delay_alu instid0(VALU_DEP_3) | instskip(NEXT) | instid1(VALU_DEP_1)
	v_cndmask_b32_e64 v36, 0x7ff00000, v36, s0
	v_cndmask_b32_e64 v36, 0x7ff80000, v36, s1
	s_wait_alu 0xfffd
	s_delay_alu instid0(VALU_DEP_1) | instskip(NEXT) | instid1(VALU_DEP_1)
	v_cndmask_b32_e32 v36, 0xfff00000, v36, vcc_lo
	v_add_f64_e32 v[27:28], v[33:34], v[35:36]
.LBB6_296:
	s_wait_alu 0xfffe
	s_or_b32 exec_lo, exec_lo, s6
	s_delay_alu instid0(VALU_DEP_1) | instskip(SKIP_1) | instid1(VALU_DEP_2)
	v_max_num_f64_e32 v[33:34], v[27:28], v[27:28]
	v_cmp_u_f64_e32 vcc_lo, v[27:28], v[27:28]
	v_min_num_f64_e32 v[35:36], v[33:34], v[29:30]
	v_max_num_f64_e32 v[29:30], v[33:34], v[29:30]
	s_wait_alu 0xfffd
	s_delay_alu instid0(VALU_DEP_2) | instskip(NEXT) | instid1(VALU_DEP_2)
	v_dual_cndmask_b32 v33, v35, v27 :: v_dual_cndmask_b32 v34, v36, v28
	v_dual_cndmask_b32 v30, v30, v28 :: v_dual_cndmask_b32 v29, v29, v27
	s_delay_alu instid0(VALU_DEP_2) | instskip(NEXT) | instid1(VALU_DEP_3)
	v_cndmask_b32_e64 v35, v33, v37, s13
	v_cndmask_b32_e64 v36, v34, v38, s13
	s_delay_alu instid0(VALU_DEP_3) | instskip(NEXT) | instid1(VALU_DEP_4)
	v_cndmask_b32_e64 v34, v30, v38, s13
	v_cndmask_b32_e64 v33, v29, v37, s13
	v_dual_mov_b32 v30, v28 :: v_dual_mov_b32 v29, v27
	s_delay_alu instid0(VALU_DEP_4) | instskip(NEXT) | instid1(VALU_DEP_3)
	v_cmp_class_f64_e64 s0, v[35:36], 0x1f8
	v_cmp_neq_f64_e32 vcc_lo, v[35:36], v[33:34]
	s_or_b32 s0, vcc_lo, s0
	s_wait_alu 0xfffe
	s_and_saveexec_b32 s6, s0
	s_cbranch_execz .LBB6_298
; %bb.297:
	v_add_f64_e64 v[29:30], v[35:36], -v[33:34]
	s_mov_b32 s0, 0x652b82fe
	s_mov_b32 s1, 0x3ff71547
	;; [unrolled: 1-line block ×10, first 2 shown]
	s_wait_alu 0xfffe
	s_delay_alu instid0(VALU_DEP_1) | instskip(SKIP_3) | instid1(VALU_DEP_2)
	v_mul_f64_e32 v[35:36], s[0:1], v[29:30]
	s_mov_b32 s0, 0xfca7ab0c
	s_mov_b32 s1, 0x3e928af3
	v_cmp_nlt_f64_e32 vcc_lo, 0x40900000, v[29:30]
	v_rndne_f64_e32 v[35:36], v[35:36]
	s_delay_alu instid0(VALU_DEP_1) | instskip(SKIP_2) | instid1(VALU_DEP_2)
	v_fma_f64 v[37:38], v[35:36], s[2:3], v[29:30]
	v_cvt_i32_f64_e32 v43, v[35:36]
	s_mov_b32 s3, 0x3fe62e42
	v_fma_f64 v[37:38], v[35:36], s[4:5], v[37:38]
	s_mov_b32 s5, 0x3c7abc9e
	s_wait_alu 0xfffe
	s_delay_alu instid0(VALU_DEP_1)
	v_fma_f64 v[41:42], v[37:38], s[8:9], s[0:1]
	s_mov_b32 s0, 0x623fde64
	s_mov_b32 s1, 0x3ec71dee
	;; [unrolled: 1-line block ×4, first 2 shown]
	s_wait_alu 0xfffe
	s_delay_alu instid0(VALU_DEP_1) | instskip(SKIP_3) | instid1(VALU_DEP_1)
	v_fma_f64 v[41:42], v[37:38], v[41:42], s[0:1]
	s_mov_b32 s0, 0x7c89e6b0
	s_mov_b32 s1, 0x3efa0199
	s_wait_alu 0xfffe
	v_fma_f64 v[41:42], v[37:38], v[41:42], s[0:1]
	s_mov_b32 s0, 0x14761f6e
	s_mov_b32 s1, 0x3f2a01a0
	s_wait_alu 0xfffe
	s_delay_alu instid0(VALU_DEP_1) | instskip(SKIP_3) | instid1(VALU_DEP_1)
	v_fma_f64 v[41:42], v[37:38], v[41:42], s[0:1]
	s_mov_b32 s0, 0x1852b7b0
	s_mov_b32 s1, 0x3f56c16c
	s_wait_alu 0xfffe
	v_fma_f64 v[41:42], v[37:38], v[41:42], s[0:1]
	s_mov_b32 s0, 0x11122322
	s_mov_b32 s1, 0x3f811111
	;; [unrolled: 9-line block ×3, first 2 shown]
	s_wait_alu 0xfffe
	s_delay_alu instid0(VALU_DEP_1) | instskip(SKIP_3) | instid1(VALU_DEP_1)
	v_fma_f64 v[41:42], v[37:38], v[41:42], s[0:1]
	s_mov_b32 s0, 11
	s_mov_b32 s1, 0x3fe00000
	s_wait_alu 0xfffe
	v_fma_f64 v[41:42], v[37:38], v[41:42], s[0:1]
	v_cmp_ngt_f64_e64 s0, 0xc090cc00, v[29:30]
	s_mov_b32 s1, 0x3fe55555
	v_fma_f64 v[41:42], v[37:38], v[41:42], 1.0
	s_delay_alu instid0(VALU_DEP_1) | instskip(NEXT) | instid1(VALU_DEP_1)
	v_fma_f64 v[35:36], v[37:38], v[41:42], 1.0
	v_ldexp_f64 v[35:36], v[35:36], v43
	s_wait_alu 0xfffd
	s_delay_alu instid0(VALU_DEP_1) | instskip(SKIP_2) | instid1(VALU_DEP_2)
	v_cndmask_b32_e32 v36, 0x7ff00000, v36, vcc_lo
	s_and_b32 vcc_lo, s0, vcc_lo
	s_wait_alu 0xfffe
	v_cndmask_b32_e32 v29, 0, v35, vcc_lo
	s_delay_alu instid0(VALU_DEP_2) | instskip(SKIP_1) | instid1(VALU_DEP_1)
	v_cndmask_b32_e64 v30, 0, v36, s0
	s_mov_b32 s0, 0x55555555
	v_add_f64_e32 v[35:36], 1.0, v[29:30]
	s_delay_alu instid0(VALU_DEP_1) | instskip(SKIP_3) | instid1(VALU_DEP_3)
	v_frexp_mant_f64_e32 v[37:38], v[35:36]
	v_frexp_exp_i32_f64_e32 v43, v[35:36]
	v_add_f64_e32 v[41:42], -1.0, v[35:36]
	s_wait_alu 0xfffe
	v_cmp_gt_f64_e32 vcc_lo, s[0:1], v[37:38]
	s_mov_b32 s0, 0x55555780
	s_delay_alu instid0(VALU_DEP_2) | instskip(SKIP_3) | instid1(VALU_DEP_3)
	v_add_f64_e64 v[37:38], v[41:42], -v[35:36]
	v_add_f64_e64 v[41:42], v[29:30], -v[41:42]
	s_wait_alu 0xfffd
	v_subrev_co_ci_u32_e64 v59, null, 0, v43, vcc_lo
	v_add_f64_e32 v[37:38], 1.0, v[37:38]
	v_cmp_nge_f64_e32 vcc_lo, -1.0, v[29:30]
	s_delay_alu instid0(VALU_DEP_3) | instskip(NEXT) | instid1(VALU_DEP_1)
	v_sub_nc_u32_e32 v45, 0, v59
	v_ldexp_f64 v[35:36], v[35:36], v45
	s_delay_alu instid0(VALU_DEP_4) | instskip(NEXT) | instid1(VALU_DEP_2)
	v_add_f64_e32 v[37:38], v[41:42], v[37:38]
	v_add_f64_e32 v[43:44], 1.0, v[35:36]
	v_add_f64_e32 v[49:50], -1.0, v[35:36]
	s_delay_alu instid0(VALU_DEP_3) | instskip(NEXT) | instid1(VALU_DEP_3)
	v_ldexp_f64 v[37:38], v[37:38], v45
	v_add_f64_e32 v[41:42], -1.0, v[43:44]
	s_delay_alu instid0(VALU_DEP_3) | instskip(NEXT) | instid1(VALU_DEP_2)
	v_add_f64_e32 v[51:52], 1.0, v[49:50]
	v_add_f64_e64 v[41:42], v[35:36], -v[41:42]
	s_delay_alu instid0(VALU_DEP_2) | instskip(NEXT) | instid1(VALU_DEP_2)
	v_add_f64_e64 v[35:36], v[35:36], -v[51:52]
	v_add_f64_e32 v[41:42], v[37:38], v[41:42]
	s_delay_alu instid0(VALU_DEP_2) | instskip(NEXT) | instid1(VALU_DEP_2)
	v_add_f64_e32 v[35:36], v[37:38], v[35:36]
	v_add_f64_e32 v[45:46], v[43:44], v[41:42]
	s_delay_alu instid0(VALU_DEP_2) | instskip(NEXT) | instid1(VALU_DEP_2)
	v_add_f64_e32 v[51:52], v[49:50], v[35:36]
	v_rcp_f64_e32 v[47:48], v[45:46]
	v_add_f64_e64 v[43:44], v[45:46], -v[43:44]
	s_delay_alu instid0(VALU_DEP_2) | instskip(NEXT) | instid1(VALU_DEP_2)
	v_add_f64_e64 v[49:50], v[51:52], -v[49:50]
	v_add_f64_e64 v[41:42], v[41:42], -v[43:44]
	s_delay_alu instid0(TRANS32_DEP_1) | instskip(NEXT) | instid1(VALU_DEP_3)
	v_fma_f64 v[53:54], -v[45:46], v[47:48], 1.0
	v_add_f64_e64 v[35:36], v[35:36], -v[49:50]
	s_delay_alu instid0(VALU_DEP_2) | instskip(NEXT) | instid1(VALU_DEP_1)
	v_fma_f64 v[47:48], v[53:54], v[47:48], v[47:48]
	v_fma_f64 v[37:38], -v[45:46], v[47:48], 1.0
	s_delay_alu instid0(VALU_DEP_1) | instskip(NEXT) | instid1(VALU_DEP_1)
	v_fma_f64 v[37:38], v[37:38], v[47:48], v[47:48]
	v_mul_f64_e32 v[47:48], v[51:52], v[37:38]
	s_delay_alu instid0(VALU_DEP_1) | instskip(NEXT) | instid1(VALU_DEP_1)
	v_mul_f64_e32 v[53:54], v[45:46], v[47:48]
	v_fma_f64 v[43:44], v[47:48], v[45:46], -v[53:54]
	s_delay_alu instid0(VALU_DEP_1) | instskip(NEXT) | instid1(VALU_DEP_1)
	v_fma_f64 v[43:44], v[47:48], v[41:42], v[43:44]
	v_add_f64_e32 v[55:56], v[53:54], v[43:44]
	s_delay_alu instid0(VALU_DEP_1) | instskip(SKIP_1) | instid1(VALU_DEP_2)
	v_add_f64_e64 v[57:58], v[51:52], -v[55:56]
	v_add_f64_e64 v[49:50], v[55:56], -v[53:54]
	;; [unrolled: 1-line block ×3, first 2 shown]
	s_delay_alu instid0(VALU_DEP_2) | instskip(NEXT) | instid1(VALU_DEP_2)
	v_add_f64_e64 v[43:44], v[49:50], -v[43:44]
	v_add_f64_e64 v[51:52], v[51:52], -v[55:56]
	s_delay_alu instid0(VALU_DEP_1) | instskip(NEXT) | instid1(VALU_DEP_1)
	v_add_f64_e32 v[35:36], v[35:36], v[51:52]
	v_add_f64_e32 v[35:36], v[43:44], v[35:36]
	s_delay_alu instid0(VALU_DEP_1) | instskip(NEXT) | instid1(VALU_DEP_1)
	v_add_f64_e32 v[43:44], v[57:58], v[35:36]
	v_mul_f64_e32 v[49:50], v[37:38], v[43:44]
	v_add_f64_e64 v[55:56], v[57:58], -v[43:44]
	s_delay_alu instid0(VALU_DEP_2) | instskip(NEXT) | instid1(VALU_DEP_2)
	v_mul_f64_e32 v[51:52], v[45:46], v[49:50]
	v_add_f64_e32 v[35:36], v[35:36], v[55:56]
	s_delay_alu instid0(VALU_DEP_2) | instskip(NEXT) | instid1(VALU_DEP_1)
	v_fma_f64 v[45:46], v[49:50], v[45:46], -v[51:52]
	v_fma_f64 v[41:42], v[49:50], v[41:42], v[45:46]
	s_delay_alu instid0(VALU_DEP_1) | instskip(NEXT) | instid1(VALU_DEP_1)
	v_add_f64_e32 v[45:46], v[51:52], v[41:42]
	v_add_f64_e64 v[53:54], v[43:44], -v[45:46]
	v_add_f64_e64 v[51:52], v[45:46], -v[51:52]
	s_delay_alu instid0(VALU_DEP_2) | instskip(NEXT) | instid1(VALU_DEP_2)
	v_add_f64_e64 v[43:44], v[43:44], -v[53:54]
	v_add_f64_e64 v[41:42], v[51:52], -v[41:42]
	s_delay_alu instid0(VALU_DEP_2) | instskip(NEXT) | instid1(VALU_DEP_1)
	v_add_f64_e64 v[43:44], v[43:44], -v[45:46]
	v_add_f64_e32 v[35:36], v[35:36], v[43:44]
	v_add_f64_e32 v[43:44], v[47:48], v[49:50]
	s_delay_alu instid0(VALU_DEP_2) | instskip(NEXT) | instid1(VALU_DEP_2)
	v_add_f64_e32 v[35:36], v[41:42], v[35:36]
	v_add_f64_e64 v[41:42], v[43:44], -v[47:48]
	s_delay_alu instid0(VALU_DEP_2) | instskip(NEXT) | instid1(VALU_DEP_2)
	v_add_f64_e32 v[35:36], v[53:54], v[35:36]
	v_add_f64_e64 v[41:42], v[49:50], -v[41:42]
	s_delay_alu instid0(VALU_DEP_2) | instskip(NEXT) | instid1(VALU_DEP_1)
	v_mul_f64_e32 v[35:36], v[37:38], v[35:36]
	v_add_f64_e32 v[35:36], v[41:42], v[35:36]
	s_delay_alu instid0(VALU_DEP_1) | instskip(NEXT) | instid1(VALU_DEP_1)
	v_add_f64_e32 v[37:38], v[43:44], v[35:36]
	v_mul_f64_e32 v[41:42], v[37:38], v[37:38]
	s_delay_alu instid0(VALU_DEP_1) | instskip(SKIP_4) | instid1(VALU_DEP_2)
	v_fma_f64 v[45:46], v[41:42], s[10:11], s[8:9]
	s_mov_b32 s8, 0xd7f4df2e
	s_mov_b32 s9, 0x3fc7474d
	v_mul_f64_e32 v[47:48], v[37:38], v[41:42]
	s_wait_alu 0xfffe
	v_fma_f64 v[45:46], v[41:42], v[45:46], s[8:9]
	s_mov_b32 s8, 0x16291751
	s_mov_b32 s9, 0x3fcc71c0
	s_wait_alu 0xfffe
	s_delay_alu instid0(VALU_DEP_1) | instskip(SKIP_3) | instid1(VALU_DEP_1)
	v_fma_f64 v[45:46], v[41:42], v[45:46], s[8:9]
	s_mov_b32 s8, 0x9b27acf1
	s_mov_b32 s9, 0x3fd24924
	s_wait_alu 0xfffe
	v_fma_f64 v[45:46], v[41:42], v[45:46], s[8:9]
	s_mov_b32 s8, 0x998ef7b6
	s_mov_b32 s9, 0x3fd99999
	s_wait_alu 0xfffe
	s_delay_alu instid0(VALU_DEP_1) | instskip(NEXT) | instid1(VALU_DEP_1)
	v_fma_f64 v[45:46], v[41:42], v[45:46], s[8:9]
	v_fma_f64 v[41:42], v[41:42], v[45:46], s[0:1]
	v_ldexp_f64 v[45:46], v[37:38], 1
	v_add_f64_e64 v[37:38], v[37:38], -v[43:44]
	v_cmp_neq_f64_e64 s0, 0x7ff00000, v[29:30]
	v_cmp_ngt_f64_e64 s1, -1.0, v[29:30]
	v_mul_f64_e32 v[41:42], v[47:48], v[41:42]
	v_cvt_f64_i32_e32 v[47:48], v59
	v_add_f64_e64 v[35:36], v[35:36], -v[37:38]
	s_and_b32 vcc_lo, vcc_lo, s0
	s_delay_alu instid0(VALU_DEP_3) | instskip(NEXT) | instid1(VALU_DEP_3)
	v_add_f64_e32 v[43:44], v[45:46], v[41:42]
	v_mul_f64_e32 v[49:50], s[2:3], v[47:48]
	s_delay_alu instid0(VALU_DEP_3) | instskip(NEXT) | instid1(VALU_DEP_3)
	v_ldexp_f64 v[35:36], v[35:36], 1
	v_add_f64_e64 v[37:38], v[43:44], -v[45:46]
	s_delay_alu instid0(VALU_DEP_3) | instskip(NEXT) | instid1(VALU_DEP_2)
	v_fma_f64 v[45:46], v[47:48], s[2:3], -v[49:50]
	v_add_f64_e64 v[37:38], v[41:42], -v[37:38]
	s_delay_alu instid0(VALU_DEP_2) | instskip(NEXT) | instid1(VALU_DEP_2)
	v_fma_f64 v[41:42], v[47:48], s[4:5], v[45:46]
	v_add_f64_e32 v[35:36], v[35:36], v[37:38]
	s_delay_alu instid0(VALU_DEP_2) | instskip(NEXT) | instid1(VALU_DEP_2)
	v_add_f64_e32 v[37:38], v[49:50], v[41:42]
	v_add_f64_e32 v[45:46], v[43:44], v[35:36]
	s_delay_alu instid0(VALU_DEP_2) | instskip(NEXT) | instid1(VALU_DEP_2)
	v_add_f64_e64 v[49:50], v[37:38], -v[49:50]
	v_add_f64_e32 v[47:48], v[37:38], v[45:46]
	v_add_f64_e64 v[43:44], v[45:46], -v[43:44]
	s_delay_alu instid0(VALU_DEP_3) | instskip(NEXT) | instid1(VALU_DEP_3)
	v_add_f64_e64 v[41:42], v[41:42], -v[49:50]
	v_add_f64_e64 v[51:52], v[47:48], -v[37:38]
	s_delay_alu instid0(VALU_DEP_3) | instskip(NEXT) | instid1(VALU_DEP_2)
	v_add_f64_e64 v[35:36], v[35:36], -v[43:44]
	v_add_f64_e64 v[53:54], v[47:48], -v[51:52]
	;; [unrolled: 1-line block ×3, first 2 shown]
	s_delay_alu instid0(VALU_DEP_3) | instskip(NEXT) | instid1(VALU_DEP_3)
	v_add_f64_e32 v[45:46], v[41:42], v[35:36]
	v_add_f64_e64 v[37:38], v[37:38], -v[53:54]
	s_delay_alu instid0(VALU_DEP_1) | instskip(NEXT) | instid1(VALU_DEP_3)
	v_add_f64_e32 v[37:38], v[43:44], v[37:38]
	v_add_f64_e64 v[43:44], v[45:46], -v[41:42]
	s_delay_alu instid0(VALU_DEP_2) | instskip(NEXT) | instid1(VALU_DEP_2)
	v_add_f64_e32 v[37:38], v[45:46], v[37:38]
	v_add_f64_e64 v[45:46], v[45:46], -v[43:44]
	v_add_f64_e64 v[35:36], v[35:36], -v[43:44]
	s_delay_alu instid0(VALU_DEP_3) | instskip(NEXT) | instid1(VALU_DEP_3)
	v_add_f64_e32 v[49:50], v[47:48], v[37:38]
	v_add_f64_e64 v[41:42], v[41:42], -v[45:46]
	s_delay_alu instid0(VALU_DEP_2) | instskip(NEXT) | instid1(VALU_DEP_2)
	v_add_f64_e64 v[43:44], v[49:50], -v[47:48]
	v_add_f64_e32 v[35:36], v[35:36], v[41:42]
	s_delay_alu instid0(VALU_DEP_2) | instskip(NEXT) | instid1(VALU_DEP_1)
	v_add_f64_e64 v[37:38], v[37:38], -v[43:44]
	v_add_f64_e32 v[35:36], v[35:36], v[37:38]
	s_delay_alu instid0(VALU_DEP_1) | instskip(SKIP_1) | instid1(VALU_DEP_1)
	v_add_f64_e32 v[35:36], v[49:50], v[35:36]
	s_wait_alu 0xfffe
	v_cndmask_b32_e32 v35, 0, v35, vcc_lo
	v_cmp_neq_f64_e32 vcc_lo, -1.0, v[29:30]
	s_delay_alu instid0(VALU_DEP_3) | instskip(NEXT) | instid1(VALU_DEP_1)
	v_cndmask_b32_e64 v36, 0x7ff00000, v36, s0
	v_cndmask_b32_e64 v36, 0x7ff80000, v36, s1
	s_wait_alu 0xfffd
	s_delay_alu instid0(VALU_DEP_1) | instskip(NEXT) | instid1(VALU_DEP_1)
	v_cndmask_b32_e32 v36, 0xfff00000, v36, vcc_lo
	v_add_f64_e32 v[29:30], v[33:34], v[35:36]
.LBB6_298:
	s_wait_alu 0xfffe
	s_or_b32 exec_lo, exec_lo, s6
	s_delay_alu instid0(VALU_DEP_1) | instskip(SKIP_1) | instid1(VALU_DEP_2)
	v_max_num_f64_e32 v[33:34], v[29:30], v[29:30]
	v_cmp_u_f64_e32 vcc_lo, v[29:30], v[29:30]
	v_min_num_f64_e32 v[35:36], v[33:34], v[31:32]
	v_max_num_f64_e32 v[31:32], v[33:34], v[31:32]
	s_wait_alu 0xfffd
	s_delay_alu instid0(VALU_DEP_2) | instskip(NEXT) | instid1(VALU_DEP_2)
	v_dual_cndmask_b32 v33, v35, v29 :: v_dual_cndmask_b32 v34, v36, v30
	v_dual_cndmask_b32 v32, v32, v30 :: v_dual_cndmask_b32 v31, v31, v29
	s_delay_alu instid0(VALU_DEP_2) | instskip(NEXT) | instid1(VALU_DEP_3)
	v_cndmask_b32_e64 v35, v33, v39, s14
	v_cndmask_b32_e64 v36, v34, v40, s14
	s_delay_alu instid0(VALU_DEP_3) | instskip(NEXT) | instid1(VALU_DEP_4)
	v_cndmask_b32_e64 v34, v32, v40, s14
	v_cndmask_b32_e64 v33, v31, v39, s14
	v_dual_mov_b32 v32, v30 :: v_dual_mov_b32 v31, v29
	s_delay_alu instid0(VALU_DEP_4) | instskip(NEXT) | instid1(VALU_DEP_3)
	v_cmp_class_f64_e64 s0, v[35:36], 0x1f8
	v_cmp_neq_f64_e32 vcc_lo, v[35:36], v[33:34]
	s_or_b32 s0, vcc_lo, s0
	s_wait_alu 0xfffe
	s_and_saveexec_b32 s6, s0
	s_cbranch_execz .LBB6_300
; %bb.299:
	v_add_f64_e64 v[31:32], v[35:36], -v[33:34]
	s_mov_b32 s0, 0x652b82fe
	s_mov_b32 s1, 0x3ff71547
	;; [unrolled: 1-line block ×10, first 2 shown]
	s_wait_alu 0xfffe
	s_delay_alu instid0(VALU_DEP_1) | instskip(SKIP_3) | instid1(VALU_DEP_2)
	v_mul_f64_e32 v[35:36], s[0:1], v[31:32]
	s_mov_b32 s0, 0xfca7ab0c
	s_mov_b32 s1, 0x3e928af3
	v_cmp_nlt_f64_e32 vcc_lo, 0x40900000, v[31:32]
	v_rndne_f64_e32 v[35:36], v[35:36]
	s_delay_alu instid0(VALU_DEP_1) | instskip(SKIP_2) | instid1(VALU_DEP_2)
	v_fma_f64 v[37:38], v[35:36], s[2:3], v[31:32]
	v_cvt_i32_f64_e32 v41, v[35:36]
	s_mov_b32 s3, 0x3fe62e42
	v_fma_f64 v[37:38], v[35:36], s[4:5], v[37:38]
	s_mov_b32 s5, 0x3c7abc9e
	s_wait_alu 0xfffe
	s_delay_alu instid0(VALU_DEP_1)
	v_fma_f64 v[39:40], v[37:38], s[8:9], s[0:1]
	s_mov_b32 s0, 0x623fde64
	s_mov_b32 s1, 0x3ec71dee
	;; [unrolled: 1-line block ×4, first 2 shown]
	s_wait_alu 0xfffe
	s_delay_alu instid0(VALU_DEP_1) | instskip(SKIP_3) | instid1(VALU_DEP_1)
	v_fma_f64 v[39:40], v[37:38], v[39:40], s[0:1]
	s_mov_b32 s0, 0x7c89e6b0
	s_mov_b32 s1, 0x3efa0199
	s_wait_alu 0xfffe
	v_fma_f64 v[39:40], v[37:38], v[39:40], s[0:1]
	s_mov_b32 s0, 0x14761f6e
	s_mov_b32 s1, 0x3f2a01a0
	s_wait_alu 0xfffe
	s_delay_alu instid0(VALU_DEP_1) | instskip(SKIP_3) | instid1(VALU_DEP_1)
	v_fma_f64 v[39:40], v[37:38], v[39:40], s[0:1]
	s_mov_b32 s0, 0x1852b7b0
	s_mov_b32 s1, 0x3f56c16c
	s_wait_alu 0xfffe
	v_fma_f64 v[39:40], v[37:38], v[39:40], s[0:1]
	s_mov_b32 s0, 0x11122322
	s_mov_b32 s1, 0x3f811111
	;; [unrolled: 9-line block ×3, first 2 shown]
	s_wait_alu 0xfffe
	s_delay_alu instid0(VALU_DEP_1) | instskip(SKIP_3) | instid1(VALU_DEP_1)
	v_fma_f64 v[39:40], v[37:38], v[39:40], s[0:1]
	s_mov_b32 s0, 11
	s_mov_b32 s1, 0x3fe00000
	s_wait_alu 0xfffe
	v_fma_f64 v[39:40], v[37:38], v[39:40], s[0:1]
	v_cmp_ngt_f64_e64 s0, 0xc090cc00, v[31:32]
	s_mov_b32 s1, 0x3fe55555
	v_fma_f64 v[39:40], v[37:38], v[39:40], 1.0
	s_delay_alu instid0(VALU_DEP_1) | instskip(NEXT) | instid1(VALU_DEP_1)
	v_fma_f64 v[35:36], v[37:38], v[39:40], 1.0
	v_ldexp_f64 v[35:36], v[35:36], v41
	s_wait_alu 0xfffd
	s_delay_alu instid0(VALU_DEP_1) | instskip(SKIP_2) | instid1(VALU_DEP_2)
	v_cndmask_b32_e32 v36, 0x7ff00000, v36, vcc_lo
	s_and_b32 vcc_lo, s0, vcc_lo
	s_wait_alu 0xfffe
	v_cndmask_b32_e32 v31, 0, v35, vcc_lo
	s_delay_alu instid0(VALU_DEP_2) | instskip(SKIP_1) | instid1(VALU_DEP_1)
	v_cndmask_b32_e64 v32, 0, v36, s0
	s_mov_b32 s0, 0x55555555
	v_add_f64_e32 v[35:36], 1.0, v[31:32]
	s_delay_alu instid0(VALU_DEP_1) | instskip(SKIP_3) | instid1(VALU_DEP_3)
	v_frexp_mant_f64_e32 v[37:38], v[35:36]
	v_frexp_exp_i32_f64_e32 v41, v[35:36]
	v_add_f64_e32 v[39:40], -1.0, v[35:36]
	s_wait_alu 0xfffe
	v_cmp_gt_f64_e32 vcc_lo, s[0:1], v[37:38]
	s_mov_b32 s0, 0x55555780
	s_delay_alu instid0(VALU_DEP_2) | instskip(SKIP_3) | instid1(VALU_DEP_3)
	v_add_f64_e64 v[37:38], v[39:40], -v[35:36]
	v_add_f64_e64 v[39:40], v[31:32], -v[39:40]
	s_wait_alu 0xfffd
	v_subrev_co_ci_u32_e64 v57, null, 0, v41, vcc_lo
	v_add_f64_e32 v[37:38], 1.0, v[37:38]
	v_cmp_nge_f64_e32 vcc_lo, -1.0, v[31:32]
	s_delay_alu instid0(VALU_DEP_3) | instskip(NEXT) | instid1(VALU_DEP_1)
	v_sub_nc_u32_e32 v43, 0, v57
	v_ldexp_f64 v[35:36], v[35:36], v43
	s_delay_alu instid0(VALU_DEP_4) | instskip(NEXT) | instid1(VALU_DEP_2)
	v_add_f64_e32 v[37:38], v[39:40], v[37:38]
	v_add_f64_e32 v[41:42], 1.0, v[35:36]
	v_add_f64_e32 v[47:48], -1.0, v[35:36]
	s_delay_alu instid0(VALU_DEP_3) | instskip(NEXT) | instid1(VALU_DEP_3)
	v_ldexp_f64 v[37:38], v[37:38], v43
	v_add_f64_e32 v[39:40], -1.0, v[41:42]
	s_delay_alu instid0(VALU_DEP_3) | instskip(NEXT) | instid1(VALU_DEP_2)
	v_add_f64_e32 v[49:50], 1.0, v[47:48]
	v_add_f64_e64 v[39:40], v[35:36], -v[39:40]
	s_delay_alu instid0(VALU_DEP_2) | instskip(NEXT) | instid1(VALU_DEP_2)
	v_add_f64_e64 v[35:36], v[35:36], -v[49:50]
	v_add_f64_e32 v[39:40], v[37:38], v[39:40]
	s_delay_alu instid0(VALU_DEP_2) | instskip(NEXT) | instid1(VALU_DEP_2)
	v_add_f64_e32 v[35:36], v[37:38], v[35:36]
	v_add_f64_e32 v[43:44], v[41:42], v[39:40]
	s_delay_alu instid0(VALU_DEP_2) | instskip(NEXT) | instid1(VALU_DEP_2)
	v_add_f64_e32 v[49:50], v[47:48], v[35:36]
	v_rcp_f64_e32 v[45:46], v[43:44]
	v_add_f64_e64 v[41:42], v[43:44], -v[41:42]
	s_delay_alu instid0(VALU_DEP_2) | instskip(NEXT) | instid1(VALU_DEP_2)
	v_add_f64_e64 v[47:48], v[49:50], -v[47:48]
	v_add_f64_e64 v[39:40], v[39:40], -v[41:42]
	s_delay_alu instid0(TRANS32_DEP_1) | instskip(NEXT) | instid1(VALU_DEP_3)
	v_fma_f64 v[51:52], -v[43:44], v[45:46], 1.0
	v_add_f64_e64 v[35:36], v[35:36], -v[47:48]
	s_delay_alu instid0(VALU_DEP_2) | instskip(NEXT) | instid1(VALU_DEP_1)
	v_fma_f64 v[45:46], v[51:52], v[45:46], v[45:46]
	v_fma_f64 v[37:38], -v[43:44], v[45:46], 1.0
	s_delay_alu instid0(VALU_DEP_1) | instskip(NEXT) | instid1(VALU_DEP_1)
	v_fma_f64 v[37:38], v[37:38], v[45:46], v[45:46]
	v_mul_f64_e32 v[45:46], v[49:50], v[37:38]
	s_delay_alu instid0(VALU_DEP_1) | instskip(NEXT) | instid1(VALU_DEP_1)
	v_mul_f64_e32 v[51:52], v[43:44], v[45:46]
	v_fma_f64 v[41:42], v[45:46], v[43:44], -v[51:52]
	s_delay_alu instid0(VALU_DEP_1) | instskip(NEXT) | instid1(VALU_DEP_1)
	v_fma_f64 v[41:42], v[45:46], v[39:40], v[41:42]
	v_add_f64_e32 v[53:54], v[51:52], v[41:42]
	s_delay_alu instid0(VALU_DEP_1) | instskip(SKIP_1) | instid1(VALU_DEP_2)
	v_add_f64_e64 v[55:56], v[49:50], -v[53:54]
	v_add_f64_e64 v[47:48], v[53:54], -v[51:52]
	;; [unrolled: 1-line block ×3, first 2 shown]
	s_delay_alu instid0(VALU_DEP_2) | instskip(NEXT) | instid1(VALU_DEP_2)
	v_add_f64_e64 v[41:42], v[47:48], -v[41:42]
	v_add_f64_e64 v[49:50], v[49:50], -v[53:54]
	s_delay_alu instid0(VALU_DEP_1) | instskip(NEXT) | instid1(VALU_DEP_1)
	v_add_f64_e32 v[35:36], v[35:36], v[49:50]
	v_add_f64_e32 v[35:36], v[41:42], v[35:36]
	s_delay_alu instid0(VALU_DEP_1) | instskip(NEXT) | instid1(VALU_DEP_1)
	v_add_f64_e32 v[41:42], v[55:56], v[35:36]
	v_mul_f64_e32 v[47:48], v[37:38], v[41:42]
	v_add_f64_e64 v[53:54], v[55:56], -v[41:42]
	s_delay_alu instid0(VALU_DEP_2) | instskip(NEXT) | instid1(VALU_DEP_2)
	v_mul_f64_e32 v[49:50], v[43:44], v[47:48]
	v_add_f64_e32 v[35:36], v[35:36], v[53:54]
	s_delay_alu instid0(VALU_DEP_2) | instskip(NEXT) | instid1(VALU_DEP_1)
	v_fma_f64 v[43:44], v[47:48], v[43:44], -v[49:50]
	v_fma_f64 v[39:40], v[47:48], v[39:40], v[43:44]
	s_delay_alu instid0(VALU_DEP_1) | instskip(NEXT) | instid1(VALU_DEP_1)
	v_add_f64_e32 v[43:44], v[49:50], v[39:40]
	v_add_f64_e64 v[51:52], v[41:42], -v[43:44]
	v_add_f64_e64 v[49:50], v[43:44], -v[49:50]
	s_delay_alu instid0(VALU_DEP_2) | instskip(NEXT) | instid1(VALU_DEP_2)
	v_add_f64_e64 v[41:42], v[41:42], -v[51:52]
	v_add_f64_e64 v[39:40], v[49:50], -v[39:40]
	s_delay_alu instid0(VALU_DEP_2) | instskip(NEXT) | instid1(VALU_DEP_1)
	v_add_f64_e64 v[41:42], v[41:42], -v[43:44]
	v_add_f64_e32 v[35:36], v[35:36], v[41:42]
	v_add_f64_e32 v[41:42], v[45:46], v[47:48]
	s_delay_alu instid0(VALU_DEP_2) | instskip(NEXT) | instid1(VALU_DEP_2)
	v_add_f64_e32 v[35:36], v[39:40], v[35:36]
	v_add_f64_e64 v[39:40], v[41:42], -v[45:46]
	s_delay_alu instid0(VALU_DEP_2) | instskip(NEXT) | instid1(VALU_DEP_2)
	v_add_f64_e32 v[35:36], v[51:52], v[35:36]
	v_add_f64_e64 v[39:40], v[47:48], -v[39:40]
	s_delay_alu instid0(VALU_DEP_2) | instskip(NEXT) | instid1(VALU_DEP_1)
	v_mul_f64_e32 v[35:36], v[37:38], v[35:36]
	v_add_f64_e32 v[35:36], v[39:40], v[35:36]
	s_delay_alu instid0(VALU_DEP_1) | instskip(NEXT) | instid1(VALU_DEP_1)
	v_add_f64_e32 v[37:38], v[41:42], v[35:36]
	v_mul_f64_e32 v[39:40], v[37:38], v[37:38]
	s_delay_alu instid0(VALU_DEP_1) | instskip(SKIP_4) | instid1(VALU_DEP_2)
	v_fma_f64 v[43:44], v[39:40], s[10:11], s[8:9]
	s_mov_b32 s8, 0xd7f4df2e
	s_mov_b32 s9, 0x3fc7474d
	v_mul_f64_e32 v[45:46], v[37:38], v[39:40]
	s_wait_alu 0xfffe
	v_fma_f64 v[43:44], v[39:40], v[43:44], s[8:9]
	s_mov_b32 s8, 0x16291751
	s_mov_b32 s9, 0x3fcc71c0
	s_wait_alu 0xfffe
	s_delay_alu instid0(VALU_DEP_1) | instskip(SKIP_3) | instid1(VALU_DEP_1)
	v_fma_f64 v[43:44], v[39:40], v[43:44], s[8:9]
	s_mov_b32 s8, 0x9b27acf1
	s_mov_b32 s9, 0x3fd24924
	s_wait_alu 0xfffe
	v_fma_f64 v[43:44], v[39:40], v[43:44], s[8:9]
	s_mov_b32 s8, 0x998ef7b6
	s_mov_b32 s9, 0x3fd99999
	s_wait_alu 0xfffe
	s_delay_alu instid0(VALU_DEP_1) | instskip(NEXT) | instid1(VALU_DEP_1)
	v_fma_f64 v[43:44], v[39:40], v[43:44], s[8:9]
	v_fma_f64 v[39:40], v[39:40], v[43:44], s[0:1]
	v_ldexp_f64 v[43:44], v[37:38], 1
	v_add_f64_e64 v[37:38], v[37:38], -v[41:42]
	v_cmp_neq_f64_e64 s0, 0x7ff00000, v[31:32]
	v_cmp_ngt_f64_e64 s1, -1.0, v[31:32]
	v_mul_f64_e32 v[39:40], v[45:46], v[39:40]
	v_cvt_f64_i32_e32 v[45:46], v57
	v_add_f64_e64 v[35:36], v[35:36], -v[37:38]
	s_and_b32 vcc_lo, vcc_lo, s0
	s_delay_alu instid0(VALU_DEP_3) | instskip(NEXT) | instid1(VALU_DEP_3)
	v_add_f64_e32 v[41:42], v[43:44], v[39:40]
	v_mul_f64_e32 v[47:48], s[2:3], v[45:46]
	s_delay_alu instid0(VALU_DEP_3) | instskip(NEXT) | instid1(VALU_DEP_3)
	v_ldexp_f64 v[35:36], v[35:36], 1
	v_add_f64_e64 v[37:38], v[41:42], -v[43:44]
	s_delay_alu instid0(VALU_DEP_3) | instskip(NEXT) | instid1(VALU_DEP_2)
	v_fma_f64 v[43:44], v[45:46], s[2:3], -v[47:48]
	v_add_f64_e64 v[37:38], v[39:40], -v[37:38]
	s_delay_alu instid0(VALU_DEP_2) | instskip(NEXT) | instid1(VALU_DEP_2)
	v_fma_f64 v[39:40], v[45:46], s[4:5], v[43:44]
	v_add_f64_e32 v[35:36], v[35:36], v[37:38]
	s_delay_alu instid0(VALU_DEP_2) | instskip(NEXT) | instid1(VALU_DEP_2)
	v_add_f64_e32 v[37:38], v[47:48], v[39:40]
	v_add_f64_e32 v[43:44], v[41:42], v[35:36]
	s_delay_alu instid0(VALU_DEP_2) | instskip(NEXT) | instid1(VALU_DEP_2)
	v_add_f64_e64 v[47:48], v[37:38], -v[47:48]
	v_add_f64_e32 v[45:46], v[37:38], v[43:44]
	v_add_f64_e64 v[41:42], v[43:44], -v[41:42]
	s_delay_alu instid0(VALU_DEP_3) | instskip(NEXT) | instid1(VALU_DEP_3)
	v_add_f64_e64 v[39:40], v[39:40], -v[47:48]
	v_add_f64_e64 v[49:50], v[45:46], -v[37:38]
	s_delay_alu instid0(VALU_DEP_3) | instskip(NEXT) | instid1(VALU_DEP_2)
	v_add_f64_e64 v[35:36], v[35:36], -v[41:42]
	v_add_f64_e64 v[51:52], v[45:46], -v[49:50]
	;; [unrolled: 1-line block ×3, first 2 shown]
	s_delay_alu instid0(VALU_DEP_3) | instskip(NEXT) | instid1(VALU_DEP_3)
	v_add_f64_e32 v[43:44], v[39:40], v[35:36]
	v_add_f64_e64 v[37:38], v[37:38], -v[51:52]
	s_delay_alu instid0(VALU_DEP_1) | instskip(NEXT) | instid1(VALU_DEP_3)
	v_add_f64_e32 v[37:38], v[41:42], v[37:38]
	v_add_f64_e64 v[41:42], v[43:44], -v[39:40]
	s_delay_alu instid0(VALU_DEP_2) | instskip(NEXT) | instid1(VALU_DEP_2)
	v_add_f64_e32 v[37:38], v[43:44], v[37:38]
	v_add_f64_e64 v[43:44], v[43:44], -v[41:42]
	v_add_f64_e64 v[35:36], v[35:36], -v[41:42]
	s_delay_alu instid0(VALU_DEP_3) | instskip(NEXT) | instid1(VALU_DEP_3)
	v_add_f64_e32 v[47:48], v[45:46], v[37:38]
	v_add_f64_e64 v[39:40], v[39:40], -v[43:44]
	s_delay_alu instid0(VALU_DEP_2) | instskip(NEXT) | instid1(VALU_DEP_2)
	v_add_f64_e64 v[41:42], v[47:48], -v[45:46]
	v_add_f64_e32 v[35:36], v[35:36], v[39:40]
	s_delay_alu instid0(VALU_DEP_2) | instskip(NEXT) | instid1(VALU_DEP_1)
	v_add_f64_e64 v[37:38], v[37:38], -v[41:42]
	v_add_f64_e32 v[35:36], v[35:36], v[37:38]
	s_delay_alu instid0(VALU_DEP_1) | instskip(SKIP_1) | instid1(VALU_DEP_1)
	v_add_f64_e32 v[35:36], v[47:48], v[35:36]
	s_wait_alu 0xfffe
	v_cndmask_b32_e32 v35, 0, v35, vcc_lo
	v_cmp_neq_f64_e32 vcc_lo, -1.0, v[31:32]
	s_delay_alu instid0(VALU_DEP_3) | instskip(NEXT) | instid1(VALU_DEP_1)
	v_cndmask_b32_e64 v36, 0x7ff00000, v36, s0
	v_cndmask_b32_e64 v36, 0x7ff80000, v36, s1
	s_wait_alu 0xfffd
	s_delay_alu instid0(VALU_DEP_1) | instskip(NEXT) | instid1(VALU_DEP_1)
	v_cndmask_b32_e32 v36, 0xfff00000, v36, vcc_lo
	v_add_f64_e32 v[31:32], v[33:34], v[35:36]
.LBB6_300:
	s_wait_alu 0xfffe
	s_or_b32 exec_lo, exec_lo, s6
	s_delay_alu instid0(SALU_CYCLE_1)
	s_mov_b32 s0, exec_lo
	v_cmpx_eq_u32_e32 0xff, v0
	s_cbranch_execz .LBB6_302
; %bb.301:
	s_add_nc_u64 s[2:3], s[70:71], 0x200
	v_dual_mov_b32 v35, 2 :: v_dual_mov_b32 v36, 0
	s_delay_alu instid0(VALU_DEP_3)
	v_dual_mov_b32 v33, v31 :: v_dual_mov_b32 v34, v32
	s_wait_alu 0xfffe
	v_dual_mov_b32 v38, s3 :: v_dual_mov_b32 v37, s2
	;;#ASMSTART
	global_store_b128 v[37:38], v[33:36] off scope:SCOPE_DEV	
s_wait_storecnt 0x0
	;;#ASMEND
.LBB6_302:
	s_wait_alu 0xfffe
	s_or_b32 exec_lo, exec_lo, s0
	s_delay_alu instid0(VALU_DEP_2) | instskip(NEXT) | instid1(VALU_DEP_3)
	v_mov_b32_e32 v36, v32
	v_dual_mov_b32 v35, v31 :: v_dual_mov_b32 v34, v30
	v_dual_mov_b32 v33, v29 :: v_dual_mov_b32 v32, v28
	v_mov_b32_e32 v31, v27
	v_mov_b32_e32 v30, v26
	;; [unrolled: 1-line block ×27, first 2 shown]
.LBB6_303:
	s_add_nc_u64 s[0:1], s[28:29], s[34:35]
	s_and_b32 vcc_lo, exec_lo, s33
	s_wait_alu 0xfffe
	s_add_nc_u64 s[0:1], s[0:1], s[68:69]
	s_mov_b32 s2, -1
	s_wait_loadcnt_dscnt 0x0
	s_barrier_signal -1
	s_barrier_wait -1
	global_inv scope:SCOPE_SE
	s_cbranch_vccz .LBB6_305
; %bb.304:
	v_lshrrev_b32_e32 v2, 2, v97
	v_lshrrev_b32_e32 v3, 2, v96
	;; [unrolled: 1-line block ×3, first 2 shown]
	v_and_b32_e32 v1, 56, v99
	v_lshrrev_b32_e32 v37, 2, v94
	v_and_b32_e32 v2, 0x78, v2
	v_and_b32_e32 v3, 0xb8, v3
	;; [unrolled: 1-line block ×3, first 2 shown]
	v_add_nc_u32_e32 v1, v1, v98
	v_lshrrev_b32_e32 v38, 2, v93
	v_and_b32_e32 v42, 0x138, v37
	v_lshrrev_b32_e32 v44, 2, v92
	v_lshrrev_b32_e32 v45, 2, v91
	v_add_nc_u32_e32 v39, v2, v98
	v_add_nc_u32_e32 v40, v3, v98
	;; [unrolled: 1-line block ×3, first 2 shown]
	v_lshrrev_b32_e32 v47, 2, v88
	ds_store_2addr_b64 v100, v[5:6], v[7:8] offset1:1
	ds_store_2addr_b64 v100, v[9:10], v[11:12] offset0:2 offset1:3
	ds_store_2addr_b64 v100, v[13:14], v[15:16] offset0:4 offset1:5
	;; [unrolled: 1-line block ×7, first 2 shown]
	s_wait_loadcnt_dscnt 0x0
	s_barrier_signal -1
	s_barrier_wait -1
	global_inv scope:SCOPE_SE
	v_and_b32_e32 v43, 0x178, v38
	ds_load_b64 v[1:2], v1
	ds_load_b64 v[3:4], v39 offset:2048
	ds_load_b64 v[37:38], v40 offset:4096
	;; [unrolled: 1-line block ×3, first 2 shown]
	v_add_nc_u32_e32 v41, v42, v98
	v_and_b32_e32 v42, 0x1b8, v44
	v_and_b32_e32 v44, 0x1f8, v45
	v_lshrrev_b32_e32 v45, 2, v90
	v_and_b32_e32 v52, 0x2b8, v47
	v_lshrrev_b32_e32 v46, 2, v89
	v_lshrrev_b32_e32 v53, 2, v87
	v_add_nc_u32_e32 v43, v43, v98
	v_and_b32_e32 v50, 0x238, v45
	v_add_nc_u32_e32 v48, v42, v98
	v_add_nc_u32_e32 v49, v44, v98
	;; [unrolled: 1-line block ×3, first 2 shown]
	v_lshrrev_b32_e32 v52, 2, v86
	v_and_b32_e32 v51, 0x278, v46
	ds_load_b64 v[41:42], v41 offset:8192
	ds_load_b64 v[43:44], v43 offset:10240
	ds_load_b64 v[45:46], v48 offset:12288
	ds_load_b64 v[47:48], v49 offset:14336
	v_add_nc_u32_e32 v49, v50, v98
	v_and_b32_e32 v50, 0x2f8, v53
	v_lshrrev_b32_e32 v53, 2, v85
	v_lshrrev_b32_e32 v55, 2, v84
	;; [unrolled: 1-line block ×3, first 2 shown]
	v_and_b32_e32 v58, 0x338, v52
	v_add_nc_u32_e32 v51, v51, v98
	v_and_b32_e32 v59, 0x378, v53
	v_and_b32_e32 v60, 0x3b8, v55
	v_add_nc_u32_e32 v57, v50, v98
	v_and_b32_e32 v61, 0x3f8, v56
	ds_load_b64 v[49:50], v49 offset:16384
	ds_load_b64 v[51:52], v51 offset:18432
	;; [unrolled: 1-line block ×4, first 2 shown]
	v_add_nc_u32_e32 v57, v58, v98
	v_add_nc_u32_e32 v59, v59, v98
	;; [unrolled: 1-line block ×4, first 2 shown]
	ds_load_b64 v[57:58], v57 offset:24576
	ds_load_b64 v[59:60], v59 offset:26624
	;; [unrolled: 1-line block ×4, first 2 shown]
	s_wait_dscnt 0xf
	global_store_b64 v98, v[1:2], s[0:1]
	s_wait_dscnt 0xe
	global_store_b64 v98, v[3:4], s[0:1] offset:2048
	s_wait_dscnt 0xd
	global_store_b64 v98, v[37:38], s[0:1] offset:4096
	;; [unrolled: 2-line block ×11, first 2 shown]
	s_mov_b32 s2, 0
	s_wait_dscnt 0x3
	global_store_b64 v98, v[57:58], s[0:1] offset:24576
	s_wait_dscnt 0x2
	global_store_b64 v98, v[59:60], s[0:1] offset:26624
	;; [unrolled: 2-line block ×4, first 2 shown]
.LBB6_305:
	s_wait_alu 0xfffe
	s_and_not1_b32 vcc_lo, exec_lo, s2
	s_wait_alu 0xfffe
	s_cbranch_vccnz .LBB6_323
; %bb.306:
	v_lshrrev_b32_e32 v2, 2, v97
	v_lshrrev_b32_e32 v3, 2, v96
	;; [unrolled: 1-line block ×3, first 2 shown]
	ds_store_2addr_b64 v100, v[5:6], v[7:8] offset1:1
	ds_store_2addr_b64 v100, v[9:10], v[11:12] offset0:2 offset1:3
	ds_store_2addr_b64 v100, v[13:14], v[15:16] offset0:4 offset1:5
	;; [unrolled: 1-line block ×7, first 2 shown]
	v_and_b32_e32 v1, 56, v99
	v_lshrrev_b32_e32 v5, 2, v94
	v_and_b32_e32 v2, 0x78, v2
	v_lshrrev_b32_e32 v6, 2, v93
	v_and_b32_e32 v3, 0xb8, v3
	v_and_b32_e32 v4, 0xf8, v4
	v_add_nc_u32_e32 v1, v1, v98
	v_and_b32_e32 v10, 0x138, v5
	v_lshrrev_b32_e32 v12, 2, v92
	v_add_nc_u32_e32 v2, v2, v98
	v_and_b32_e32 v11, 0x178, v6
	v_lshrrev_b32_e32 v13, 2, v91
	v_add_nc_u32_e32 v7, v3, v98
	v_add_nc_u32_e32 v8, v4, v98
	s_wait_storecnt 0x0
	s_wait_loadcnt_dscnt 0x0
	s_barrier_signal -1
	s_barrier_wait -1
	global_inv scope:SCOPE_SE
	ds_load_b64 v[4:5], v1
	ds_load_b64 v[2:3], v2 offset:2048
	ds_load_b64 v[6:7], v7 offset:4096
	;; [unrolled: 1-line block ×3, first 2 shown]
	v_add_nc_u32_e32 v1, v10, v98
	v_and_b32_e32 v10, 0x1b8, v12
	v_lshrrev_b32_e32 v12, 2, v90
	v_add_nc_u32_e32 v14, v11, v98
	v_and_b32_e32 v11, 0x1f8, v13
	v_lshrrev_b32_e32 v13, 2, v89
	v_lshrrev_b32_e32 v15, 2, v88
	v_and_b32_e32 v18, 0x238, v12
	v_add_nc_u32_e32 v16, v10, v98
	v_add_nc_u32_e32 v17, v11, v98
	v_and_b32_e32 v19, 0x278, v13
	v_and_b32_e32 v20, 0x2b8, v15
	ds_load_b64 v[10:11], v1 offset:8192
	ds_load_b64 v[12:13], v14 offset:10240
	;; [unrolled: 1-line block ×4, first 2 shown]
	v_add_nc_u32_e32 v1, v18, v98
	v_lshrrev_b32_e32 v18, 2, v87
	v_add_nc_u32_e32 v21, v19, v98
	v_add_nc_u32_e32 v22, v20, v98
	v_lshrrev_b32_e32 v19, 2, v86
	v_lshrrev_b32_e32 v20, 2, v85
	;; [unrolled: 1-line block ×4, first 2 shown]
	v_and_b32_e32 v18, 0x2f8, v18
	v_and_b32_e32 v19, 0x338, v19
	;; [unrolled: 1-line block ×5, first 2 shown]
	v_add_nc_u32_e32 v25, v18, v98
	v_add_nc_u32_e32 v26, v19, v98
	;; [unrolled: 1-line block ×5, first 2 shown]
	ds_load_b64 v[18:19], v1 offset:16384
	ds_load_b64 v[20:21], v21 offset:18432
	;; [unrolled: 1-line block ×8, first 2 shown]
	v_add_co_u32 v34, s0, s0, v98
	v_mov_b32_e32 v1, 0
	s_wait_alu 0xf1ff
	v_add_co_ci_u32_e64 v35, null, s1, 0, s0
	s_mov_b32 s0, exec_lo
	v_cmpx_gt_u32_e64 s30, v0
	s_cbranch_execnz .LBB6_339
; %bb.307:
	s_wait_alu 0xfffe
	s_or_b32 exec_lo, exec_lo, s0
	s_delay_alu instid0(SALU_CYCLE_1)
	s_mov_b32 s0, exec_lo
	v_cmpx_gt_u32_e64 s30, v97
	s_cbranch_execnz .LBB6_340
.LBB6_308:
	s_wait_alu 0xfffe
	s_or_b32 exec_lo, exec_lo, s0
	s_delay_alu instid0(SALU_CYCLE_1)
	s_mov_b32 s0, exec_lo
	v_cmpx_gt_u32_e64 s30, v96
	s_cbranch_execnz .LBB6_341
.LBB6_309:
	s_wait_alu 0xfffe
	s_or_b32 exec_lo, exec_lo, s0
	s_delay_alu instid0(SALU_CYCLE_1)
	s_mov_b32 s0, exec_lo
	v_cmpx_gt_u32_e64 s30, v95
	s_cbranch_execnz .LBB6_342
.LBB6_310:
	s_wait_alu 0xfffe
	s_or_b32 exec_lo, exec_lo, s0
	s_delay_alu instid0(SALU_CYCLE_1)
	s_mov_b32 s0, exec_lo
	v_cmpx_gt_u32_e64 s30, v94
	s_cbranch_execnz .LBB6_343
.LBB6_311:
	s_wait_alu 0xfffe
	s_or_b32 exec_lo, exec_lo, s0
	s_delay_alu instid0(SALU_CYCLE_1)
	s_mov_b32 s0, exec_lo
	v_cmpx_gt_u32_e64 s30, v93
	s_cbranch_execnz .LBB6_344
.LBB6_312:
	s_wait_alu 0xfffe
	s_or_b32 exec_lo, exec_lo, s0
	s_delay_alu instid0(SALU_CYCLE_1)
	s_mov_b32 s0, exec_lo
	v_cmpx_gt_u32_e64 s30, v92
	s_cbranch_execnz .LBB6_345
.LBB6_313:
	s_wait_alu 0xfffe
	s_or_b32 exec_lo, exec_lo, s0
	s_delay_alu instid0(SALU_CYCLE_1)
	s_mov_b32 s0, exec_lo
	v_cmpx_gt_u32_e64 s30, v91
	s_cbranch_execnz .LBB6_346
.LBB6_314:
	s_wait_alu 0xfffe
	s_or_b32 exec_lo, exec_lo, s0
	s_delay_alu instid0(SALU_CYCLE_1)
	s_mov_b32 s0, exec_lo
	v_cmpx_gt_u32_e64 s30, v90
	s_cbranch_execnz .LBB6_347
.LBB6_315:
	s_wait_alu 0xfffe
	s_or_b32 exec_lo, exec_lo, s0
	s_delay_alu instid0(SALU_CYCLE_1)
	s_mov_b32 s0, exec_lo
	v_cmpx_gt_u32_e64 s30, v89
	s_cbranch_execnz .LBB6_348
.LBB6_316:
	s_wait_alu 0xfffe
	s_or_b32 exec_lo, exec_lo, s0
	s_delay_alu instid0(SALU_CYCLE_1)
	s_mov_b32 s0, exec_lo
	v_cmpx_gt_u32_e64 s30, v88
	s_cbranch_execnz .LBB6_349
.LBB6_317:
	s_wait_alu 0xfffe
	s_or_b32 exec_lo, exec_lo, s0
	s_delay_alu instid0(SALU_CYCLE_1)
	s_mov_b32 s0, exec_lo
	v_cmpx_gt_u32_e64 s30, v87
	s_cbranch_execnz .LBB6_350
.LBB6_318:
	s_wait_alu 0xfffe
	s_or_b32 exec_lo, exec_lo, s0
	s_delay_alu instid0(SALU_CYCLE_1)
	s_mov_b32 s0, exec_lo
	v_cmpx_gt_u32_e64 s30, v86
	s_cbranch_execnz .LBB6_351
.LBB6_319:
	s_wait_alu 0xfffe
	s_or_b32 exec_lo, exec_lo, s0
	s_delay_alu instid0(SALU_CYCLE_1)
	s_mov_b32 s0, exec_lo
	v_cmpx_gt_u32_e64 s30, v85
	s_cbranch_execnz .LBB6_352
.LBB6_320:
	s_wait_alu 0xfffe
	s_or_b32 exec_lo, exec_lo, s0
	s_delay_alu instid0(SALU_CYCLE_1)
	s_mov_b32 s0, exec_lo
	v_cmpx_gt_u32_e64 s30, v84
	s_cbranch_execnz .LBB6_353
.LBB6_321:
	s_wait_alu 0xfffe
	s_or_b32 exec_lo, exec_lo, s0
	s_delay_alu instid0(SALU_CYCLE_1)
	s_mov_b32 s0, exec_lo
	v_cmpx_gt_u32_e64 s30, v83
	s_cbranch_execnz .LBB6_354
.LBB6_322:
	s_wait_alu 0xfffe
	s_or_b32 exec_lo, exec_lo, s0
	s_wait_kmcnt 0x0
	v_cmp_lt_u64_e64 s0, s[26:27], 2
	s_and_b32 vcc_lo, exec_lo, s0
	s_wait_alu 0xfffe
	s_cbranch_vccz .LBB6_355
.LBB6_323:
	s_nop 0
	s_sendmsg sendmsg(MSG_DEALLOC_VGPRS)
	s_endpgm
.LBB6_324:
	global_load_b64 v[33:34], v98, s[4:5]
	v_dual_mov_b32 v1, s36 :: v_dual_mov_b32 v2, s37
	v_dual_mov_b32 v3, s38 :: v_dual_mov_b32 v4, s39
	;; [unrolled: 1-line block ×16, first 2 shown]
	s_or_b32 exec_lo, exec_lo, s3
	s_delay_alu instid0(SALU_CYCLE_1)
	s_mov_b32 s2, exec_lo
	v_cmpx_gt_u32_e64 s30, v97
	s_cbranch_execnz .LBB6_325
; %bb.441:
	s_getpc_b64 s[88:89]
.Lpost_getpc16:
	s_wait_alu 0xfffe
	s_add_co_u32 s88, s88, (.LBB6_5-.Lpost_getpc16)&4294967295
	s_add_co_ci_u32 s89, s89, (.LBB6_5-.Lpost_getpc16)>>32
	s_wait_alu 0xfffe
	s_setpc_b64 s[88:89]
.LBB6_325:
	global_load_b64 v[3:4], v98, s[4:5] offset:2048
	s_or_b32 exec_lo, exec_lo, s2
	s_delay_alu instid0(SALU_CYCLE_1)
	s_mov_b32 s2, exec_lo
	v_cmpx_gt_u32_e64 s30, v96
	s_cbranch_execnz .LBB6_326
; %bb.443:
	s_getpc_b64 s[88:89]
.Lpost_getpc17:
	s_wait_alu 0xfffe
	s_add_co_u32 s88, s88, (.LBB6_6-.Lpost_getpc17)&4294967295
	s_add_co_ci_u32 s89, s89, (.LBB6_6-.Lpost_getpc17)>>32
	s_wait_alu 0xfffe
	s_setpc_b64 s[88:89]
.LBB6_326:
	global_load_b64 v[5:6], v98, s[4:5] offset:4096
	s_or_b32 exec_lo, exec_lo, s2
	s_delay_alu instid0(SALU_CYCLE_1)
	s_mov_b32 s2, exec_lo
	v_cmpx_gt_u32_e64 s30, v95
	s_cbranch_execnz .LBB6_327
; %bb.445:
	s_getpc_b64 s[88:89]
.Lpost_getpc18:
	s_wait_alu 0xfffe
	s_add_co_u32 s88, s88, (.LBB6_7-.Lpost_getpc18)&4294967295
	s_add_co_ci_u32 s89, s89, (.LBB6_7-.Lpost_getpc18)>>32
	s_wait_alu 0xfffe
	s_setpc_b64 s[88:89]
.LBB6_327:
	global_load_b64 v[7:8], v98, s[4:5] offset:6144
	s_or_b32 exec_lo, exec_lo, s2
	s_delay_alu instid0(SALU_CYCLE_1)
	s_mov_b32 s2, exec_lo
	v_cmpx_gt_u32_e64 s30, v94
	s_cbranch_execnz .LBB6_328
; %bb.447:
	s_getpc_b64 s[88:89]
.Lpost_getpc19:
	s_wait_alu 0xfffe
	s_add_co_u32 s88, s88, (.LBB6_8-.Lpost_getpc19)&4294967295
	s_add_co_ci_u32 s89, s89, (.LBB6_8-.Lpost_getpc19)>>32
	s_wait_alu 0xfffe
	s_setpc_b64 s[88:89]
.LBB6_328:
	global_load_b64 v[9:10], v98, s[4:5] offset:8192
	s_or_b32 exec_lo, exec_lo, s2
	s_delay_alu instid0(SALU_CYCLE_1)
	s_mov_b32 s2, exec_lo
	v_cmpx_gt_u32_e64 s30, v93
	s_cbranch_execnz .LBB6_329
; %bb.449:
	s_getpc_b64 s[88:89]
.Lpost_getpc20:
	s_wait_alu 0xfffe
	s_add_co_u32 s88, s88, (.LBB6_9-.Lpost_getpc20)&4294967295
	s_add_co_ci_u32 s89, s89, (.LBB6_9-.Lpost_getpc20)>>32
	s_wait_alu 0xfffe
	s_setpc_b64 s[88:89]
.LBB6_329:
	global_load_b64 v[11:12], v98, s[4:5] offset:10240
	s_or_b32 exec_lo, exec_lo, s2
	s_delay_alu instid0(SALU_CYCLE_1)
	s_mov_b32 s2, exec_lo
	v_cmpx_gt_u32_e64 s30, v92
	s_cbranch_execnz .LBB6_330
; %bb.451:
	s_getpc_b64 s[88:89]
.Lpost_getpc21:
	s_wait_alu 0xfffe
	s_add_co_u32 s88, s88, (.LBB6_10-.Lpost_getpc21)&4294967295
	s_add_co_ci_u32 s89, s89, (.LBB6_10-.Lpost_getpc21)>>32
	s_wait_alu 0xfffe
	s_setpc_b64 s[88:89]
.LBB6_330:
	global_load_b64 v[13:14], v98, s[4:5] offset:12288
	s_or_b32 exec_lo, exec_lo, s2
	s_delay_alu instid0(SALU_CYCLE_1)
	s_mov_b32 s2, exec_lo
	v_cmpx_gt_u32_e64 s30, v91
	s_cbranch_execnz .LBB6_331
; %bb.453:
	s_getpc_b64 s[88:89]
.Lpost_getpc22:
	s_wait_alu 0xfffe
	s_add_co_u32 s88, s88, (.LBB6_11-.Lpost_getpc22)&4294967295
	s_add_co_ci_u32 s89, s89, (.LBB6_11-.Lpost_getpc22)>>32
	s_wait_alu 0xfffe
	s_setpc_b64 s[88:89]
.LBB6_331:
	global_load_b64 v[15:16], v98, s[4:5] offset:14336
	s_or_b32 exec_lo, exec_lo, s2
	s_delay_alu instid0(SALU_CYCLE_1)
	s_mov_b32 s2, exec_lo
	v_cmpx_gt_u32_e64 s30, v90
	s_cbranch_execnz .LBB6_332
; %bb.455:
	s_getpc_b64 s[88:89]
.Lpost_getpc23:
	s_wait_alu 0xfffe
	s_add_co_u32 s88, s88, (.LBB6_12-.Lpost_getpc23)&4294967295
	s_add_co_ci_u32 s89, s89, (.LBB6_12-.Lpost_getpc23)>>32
	s_wait_alu 0xfffe
	s_setpc_b64 s[88:89]
.LBB6_332:
	global_load_b64 v[17:18], v98, s[4:5] offset:16384
	s_or_b32 exec_lo, exec_lo, s2
	s_delay_alu instid0(SALU_CYCLE_1)
	s_mov_b32 s2, exec_lo
	v_cmpx_gt_u32_e64 s30, v89
	s_cbranch_execnz .LBB6_333
; %bb.457:
	s_getpc_b64 s[88:89]
.Lpost_getpc24:
	s_wait_alu 0xfffe
	s_add_co_u32 s88, s88, (.LBB6_13-.Lpost_getpc24)&4294967295
	s_add_co_ci_u32 s89, s89, (.LBB6_13-.Lpost_getpc24)>>32
	s_wait_alu 0xfffe
	s_setpc_b64 s[88:89]
.LBB6_333:
	global_load_b64 v[19:20], v98, s[4:5] offset:18432
	s_or_b32 exec_lo, exec_lo, s2
	s_delay_alu instid0(SALU_CYCLE_1)
	s_mov_b32 s2, exec_lo
	v_cmpx_gt_u32_e64 s30, v88
	s_cbranch_execnz .LBB6_334
; %bb.459:
	s_getpc_b64 s[88:89]
.Lpost_getpc25:
	s_wait_alu 0xfffe
	s_add_co_u32 s88, s88, (.LBB6_14-.Lpost_getpc25)&4294967295
	s_add_co_ci_u32 s89, s89, (.LBB6_14-.Lpost_getpc25)>>32
	s_wait_alu 0xfffe
	s_setpc_b64 s[88:89]
.LBB6_334:
	global_load_b64 v[21:22], v98, s[4:5] offset:20480
	s_or_b32 exec_lo, exec_lo, s2
	s_delay_alu instid0(SALU_CYCLE_1)
	s_mov_b32 s2, exec_lo
	v_cmpx_gt_u32_e64 s30, v87
	s_cbranch_execnz .LBB6_335
; %bb.461:
	s_getpc_b64 s[88:89]
.Lpost_getpc26:
	s_wait_alu 0xfffe
	s_add_co_u32 s88, s88, (.LBB6_15-.Lpost_getpc26)&4294967295
	s_add_co_ci_u32 s89, s89, (.LBB6_15-.Lpost_getpc26)>>32
	s_wait_alu 0xfffe
	s_setpc_b64 s[88:89]
.LBB6_335:
	global_load_b64 v[23:24], v98, s[4:5] offset:22528
	s_or_b32 exec_lo, exec_lo, s2
	s_delay_alu instid0(SALU_CYCLE_1)
	s_mov_b32 s2, exec_lo
	v_cmpx_gt_u32_e64 s30, v86
	s_cbranch_execnz .LBB6_336
; %bb.463:
	s_getpc_b64 s[88:89]
.Lpost_getpc27:
	s_wait_alu 0xfffe
	s_add_co_u32 s88, s88, (.LBB6_16-.Lpost_getpc27)&4294967295
	s_add_co_ci_u32 s89, s89, (.LBB6_16-.Lpost_getpc27)>>32
	s_wait_alu 0xfffe
	s_setpc_b64 s[88:89]
.LBB6_336:
	global_load_b64 v[25:26], v98, s[4:5] offset:24576
	s_or_b32 exec_lo, exec_lo, s2
	s_delay_alu instid0(SALU_CYCLE_1)
	s_mov_b32 s2, exec_lo
	v_cmpx_gt_u32_e64 s30, v85
	s_cbranch_execnz .LBB6_337
; %bb.465:
	s_getpc_b64 s[88:89]
.Lpost_getpc28:
	s_wait_alu 0xfffe
	s_add_co_u32 s88, s88, (.LBB6_17-.Lpost_getpc28)&4294967295
	s_add_co_ci_u32 s89, s89, (.LBB6_17-.Lpost_getpc28)>>32
	s_wait_alu 0xfffe
	s_setpc_b64 s[88:89]
.LBB6_337:
	global_load_b64 v[27:28], v98, s[4:5] offset:26624
	s_or_b32 exec_lo, exec_lo, s2
	s_delay_alu instid0(SALU_CYCLE_1)
	s_mov_b32 s2, exec_lo
	v_cmpx_gt_u32_e64 s30, v84
	s_cbranch_execnz .LBB6_338
; %bb.467:
	s_getpc_b64 s[88:89]
.Lpost_getpc29:
	s_wait_alu 0xfffe
	s_add_co_u32 s88, s88, (.LBB6_18-.Lpost_getpc29)&4294967295
	s_add_co_ci_u32 s89, s89, (.LBB6_18-.Lpost_getpc29)>>32
	s_wait_alu 0xfffe
	s_setpc_b64 s[88:89]
.LBB6_338:
	global_load_b64 v[29:30], v98, s[4:5] offset:28672
	s_or_b32 exec_lo, exec_lo, s2
	s_delay_alu instid0(SALU_CYCLE_1)
	s_mov_b32 s2, exec_lo
	v_cmpx_gt_u32_e64 s30, v83
	s_cbranch_execz .LBB6_409
; %bb.469:
	s_getpc_b64 s[88:89]
.Lpost_getpc30:
	s_wait_alu 0xfffe
	s_add_co_u32 s88, s88, (.LBB6_19-.Lpost_getpc30)&4294967295
	s_add_co_ci_u32 s89, s89, (.LBB6_19-.Lpost_getpc30)>>32
	s_wait_alu 0xfffe
	s_setpc_b64 s[88:89]
.LBB6_409:
	s_getpc_b64 s[88:89]
.Lpost_getpc0:
	s_wait_alu 0xfffe
	s_add_co_u32 s88, s88, (.LBB6_20-.Lpost_getpc0)&4294967295
	s_add_co_ci_u32 s89, s89, (.LBB6_20-.Lpost_getpc0)>>32
	s_wait_alu 0xfffe
	s_setpc_b64 s[88:89]
.LBB6_339:
	s_wait_dscnt 0xf
	global_store_b64 v[34:35], v[4:5], off
	s_wait_alu 0xfffe
	s_or_b32 exec_lo, exec_lo, s0
	s_delay_alu instid0(SALU_CYCLE_1)
	s_mov_b32 s0, exec_lo
	v_cmpx_gt_u32_e64 s30, v97
	s_cbranch_execz .LBB6_308
.LBB6_340:
	s_wait_dscnt 0xe
	global_store_b64 v[34:35], v[2:3], off offset:2048
	s_wait_alu 0xfffe
	s_or_b32 exec_lo, exec_lo, s0
	s_delay_alu instid0(SALU_CYCLE_1)
	s_mov_b32 s0, exec_lo
	v_cmpx_gt_u32_e64 s30, v96
	s_cbranch_execz .LBB6_309
.LBB6_341:
	s_wait_dscnt 0xd
	global_store_b64 v[34:35], v[6:7], off offset:4096
	s_wait_alu 0xfffe
	s_or_b32 exec_lo, exec_lo, s0
	s_delay_alu instid0(SALU_CYCLE_1)
	s_mov_b32 s0, exec_lo
	v_cmpx_gt_u32_e64 s30, v95
	s_cbranch_execz .LBB6_310
.LBB6_342:
	s_wait_dscnt 0xc
	global_store_b64 v[34:35], v[8:9], off offset:6144
	s_wait_alu 0xfffe
	s_or_b32 exec_lo, exec_lo, s0
	s_delay_alu instid0(SALU_CYCLE_1)
	s_mov_b32 s0, exec_lo
	v_cmpx_gt_u32_e64 s30, v94
	s_cbranch_execz .LBB6_311
.LBB6_343:
	s_wait_dscnt 0xb
	global_store_b64 v[34:35], v[10:11], off offset:8192
	s_wait_alu 0xfffe
	s_or_b32 exec_lo, exec_lo, s0
	s_delay_alu instid0(SALU_CYCLE_1)
	s_mov_b32 s0, exec_lo
	v_cmpx_gt_u32_e64 s30, v93
	s_cbranch_execz .LBB6_312
.LBB6_344:
	s_wait_dscnt 0xa
	global_store_b64 v[34:35], v[12:13], off offset:10240
	s_wait_alu 0xfffe
	s_or_b32 exec_lo, exec_lo, s0
	s_delay_alu instid0(SALU_CYCLE_1)
	s_mov_b32 s0, exec_lo
	v_cmpx_gt_u32_e64 s30, v92
	s_cbranch_execz .LBB6_313
.LBB6_345:
	s_wait_dscnt 0x9
	global_store_b64 v[34:35], v[14:15], off offset:12288
	s_wait_alu 0xfffe
	s_or_b32 exec_lo, exec_lo, s0
	s_delay_alu instid0(SALU_CYCLE_1)
	s_mov_b32 s0, exec_lo
	v_cmpx_gt_u32_e64 s30, v91
	s_cbranch_execz .LBB6_314
.LBB6_346:
	s_wait_dscnt 0x8
	global_store_b64 v[34:35], v[16:17], off offset:14336
	s_wait_alu 0xfffe
	s_or_b32 exec_lo, exec_lo, s0
	s_delay_alu instid0(SALU_CYCLE_1)
	s_mov_b32 s0, exec_lo
	v_cmpx_gt_u32_e64 s30, v90
	s_cbranch_execz .LBB6_315
.LBB6_347:
	s_wait_dscnt 0x7
	global_store_b64 v[34:35], v[18:19], off offset:16384
	s_wait_alu 0xfffe
	s_or_b32 exec_lo, exec_lo, s0
	s_delay_alu instid0(SALU_CYCLE_1)
	s_mov_b32 s0, exec_lo
	v_cmpx_gt_u32_e64 s30, v89
	s_cbranch_execz .LBB6_316
.LBB6_348:
	s_wait_dscnt 0x6
	global_store_b64 v[34:35], v[20:21], off offset:18432
	s_wait_alu 0xfffe
	s_or_b32 exec_lo, exec_lo, s0
	s_delay_alu instid0(SALU_CYCLE_1)
	s_mov_b32 s0, exec_lo
	v_cmpx_gt_u32_e64 s30, v88
	s_cbranch_execz .LBB6_317
.LBB6_349:
	s_wait_dscnt 0x5
	global_store_b64 v[34:35], v[22:23], off offset:20480
	s_wait_alu 0xfffe
	s_or_b32 exec_lo, exec_lo, s0
	s_delay_alu instid0(SALU_CYCLE_1)
	s_mov_b32 s0, exec_lo
	v_cmpx_gt_u32_e64 s30, v87
	s_cbranch_execz .LBB6_318
.LBB6_350:
	s_wait_dscnt 0x4
	global_store_b64 v[34:35], v[24:25], off offset:22528
	s_wait_alu 0xfffe
	s_or_b32 exec_lo, exec_lo, s0
	s_delay_alu instid0(SALU_CYCLE_1)
	s_mov_b32 s0, exec_lo
	v_cmpx_gt_u32_e64 s30, v86
	s_cbranch_execz .LBB6_319
.LBB6_351:
	s_wait_dscnt 0x3
	global_store_b64 v[34:35], v[26:27], off offset:24576
	s_wait_alu 0xfffe
	s_or_b32 exec_lo, exec_lo, s0
	s_delay_alu instid0(SALU_CYCLE_1)
	s_mov_b32 s0, exec_lo
	v_cmpx_gt_u32_e64 s30, v85
	s_cbranch_execz .LBB6_320
.LBB6_352:
	s_wait_dscnt 0x2
	global_store_b64 v[34:35], v[28:29], off offset:26624
	s_wait_alu 0xfffe
	s_or_b32 exec_lo, exec_lo, s0
	s_delay_alu instid0(SALU_CYCLE_1)
	s_mov_b32 s0, exec_lo
	v_cmpx_gt_u32_e64 s30, v84
	s_cbranch_execz .LBB6_321
.LBB6_353:
	s_wait_dscnt 0x1
	global_store_b64 v[34:35], v[30:31], off offset:28672
	s_wait_alu 0xfffe
	s_or_b32 exec_lo, exec_lo, s0
	s_delay_alu instid0(SALU_CYCLE_1)
	s_mov_b32 s0, exec_lo
	v_cmpx_gt_u32_e64 s30, v83
	s_cbranch_execz .LBB6_322
.LBB6_354:
	s_wait_dscnt 0x0
	global_store_b64 v[34:35], v[32:33], off offset:30720
	s_wait_alu 0xfffe
	s_or_b32 exec_lo, exec_lo, s0
	s_wait_kmcnt 0x0
	v_cmp_lt_u64_e64 s0, s[26:27], 2
	s_and_b32 vcc_lo, exec_lo, s0
	s_wait_alu 0xfffe
	s_cbranch_vccnz .LBB6_323
.LBB6_355:
	s_add_nc_u64 s[0:1], s[30:31], -1
	s_wait_alu 0xfffe
	s_lshr_b64 s[2:3], s[0:1], 4
	s_mov_b32 s1, exec_lo
	s_wait_alu 0xfffe
	v_cmpx_eq_u64_e64 s[2:3], v[0:1]
	s_cbranch_execz .LBB6_323
; %bb.356:
	s_and_b32 s0, s0, 15
	s_mov_b32 s1, 0
	s_wait_alu 0xfffe
	v_cmp_lt_i64_e64 s2, s[0:1], 8
	s_and_b32 vcc_lo, exec_lo, s2
	s_mov_b32 s2, -1
	s_wait_alu 0xfffe
	s_cbranch_vccnz .LBB6_383
; %bb.357:
	v_cmp_lt_i64_e64 s2, s[0:1], 12
	s_and_b32 vcc_lo, exec_lo, s2
	s_mov_b32 s2, -1
	s_wait_alu 0xfffe
	s_cbranch_vccnz .LBB6_370
; %bb.358:
	;; [unrolled: 6-line block ×3, first 2 shown]
	v_cmp_gt_i64_e64 s2, s[0:1], 14
	s_and_b32 vcc_lo, exec_lo, s2
	s_mov_b32 s2, -1
	s_wait_alu 0xfffe
	s_cbranch_vccz .LBB6_361
; %bb.360:
	v_mov_b32_e32 v0, 0
	s_mov_b32 s2, 0
	s_wait_dscnt 0x0
	global_store_b64 v0, v[32:33], s[22:23]
.LBB6_361:
	s_wait_alu 0xfffe
	s_and_not1_b32 vcc_lo, exec_lo, s2
	s_wait_alu 0xfffe
	s_cbranch_vccnz .LBB6_363
; %bb.362:
	v_mov_b32_e32 v0, 0
	s_wait_dscnt 0x1
	global_store_b64 v0, v[30:31], s[22:23]
.LBB6_363:
	s_mov_b32 s2, 0
.LBB6_364:
	s_wait_alu 0xfffe
	s_and_not1_b32 vcc_lo, exec_lo, s2
	s_wait_alu 0xfffe
	s_cbranch_vccnz .LBB6_369
; %bb.365:
	v_cmp_gt_i64_e64 s2, s[0:1], 12
	s_and_b32 vcc_lo, exec_lo, s2
	s_mov_b32 s2, -1
	s_wait_alu 0xfffe
	s_cbranch_vccz .LBB6_367
; %bb.366:
	v_mov_b32_e32 v0, 0
	s_mov_b32 s2, 0
	s_wait_dscnt 0x2
	global_store_b64 v0, v[28:29], s[22:23]
.LBB6_367:
	s_wait_alu 0xfffe
	s_and_not1_b32 vcc_lo, exec_lo, s2
	s_wait_alu 0xfffe
	s_cbranch_vccnz .LBB6_369
; %bb.368:
	v_mov_b32_e32 v0, 0
	s_wait_dscnt 0x3
	global_store_b64 v0, v[26:27], s[22:23]
.LBB6_369:
	s_mov_b32 s2, 0
.LBB6_370:
	s_wait_alu 0xfffe
	s_and_not1_b32 vcc_lo, exec_lo, s2
	s_wait_alu 0xfffe
	s_cbranch_vccnz .LBB6_382
; %bb.371:
	v_cmp_lt_i64_e64 s2, s[0:1], 10
	s_and_b32 vcc_lo, exec_lo, s2
	s_mov_b32 s2, -1
	s_wait_alu 0xfffe
	s_cbranch_vccnz .LBB6_377
; %bb.372:
	v_cmp_gt_i64_e64 s2, s[0:1], 10
	s_and_b32 vcc_lo, exec_lo, s2
	s_mov_b32 s2, -1
	s_wait_alu 0xfffe
	s_cbranch_vccz .LBB6_374
; %bb.373:
	v_mov_b32_e32 v0, 0
	s_mov_b32 s2, 0
	s_wait_dscnt 0x4
	global_store_b64 v0, v[24:25], s[22:23]
.LBB6_374:
	s_wait_alu 0xfffe
	s_and_not1_b32 vcc_lo, exec_lo, s2
	s_wait_alu 0xfffe
	s_cbranch_vccnz .LBB6_376
; %bb.375:
	v_mov_b32_e32 v0, 0
	s_wait_dscnt 0x5
	global_store_b64 v0, v[22:23], s[22:23]
.LBB6_376:
	s_mov_b32 s2, 0
.LBB6_377:
	s_wait_alu 0xfffe
	s_and_not1_b32 vcc_lo, exec_lo, s2
	s_wait_alu 0xfffe
	s_cbranch_vccnz .LBB6_382
; %bb.378:
	v_cmp_gt_i64_e64 s2, s[0:1], 8
	s_and_b32 vcc_lo, exec_lo, s2
	s_mov_b32 s2, -1
	s_wait_alu 0xfffe
	s_cbranch_vccz .LBB6_380
; %bb.379:
	v_mov_b32_e32 v0, 0
	s_mov_b32 s2, 0
	s_wait_dscnt 0x6
	global_store_b64 v0, v[20:21], s[22:23]
.LBB6_380:
	s_wait_alu 0xfffe
	s_and_not1_b32 vcc_lo, exec_lo, s2
	s_wait_alu 0xfffe
	s_cbranch_vccnz .LBB6_382
; %bb.381:
	v_mov_b32_e32 v0, 0
	s_wait_dscnt 0x7
	global_store_b64 v0, v[18:19], s[22:23]
.LBB6_382:
	s_mov_b32 s2, 0
.LBB6_383:
	s_wait_alu 0xfffe
	s_and_not1_b32 vcc_lo, exec_lo, s2
	s_wait_alu 0xfffe
	s_cbranch_vccnz .LBB6_323
; %bb.384:
	v_cmp_lt_i64_e64 s2, s[0:1], 4
	s_and_b32 vcc_lo, exec_lo, s2
	s_mov_b32 s2, -1
	s_wait_alu 0xfffe
	s_cbranch_vccnz .LBB6_397
; %bb.385:
	v_cmp_lt_i64_e64 s2, s[0:1], 6
	s_and_b32 vcc_lo, exec_lo, s2
	s_mov_b32 s2, -1
	s_wait_alu 0xfffe
	s_cbranch_vccnz .LBB6_391
; %bb.386:
	v_cmp_gt_i64_e64 s2, s[0:1], 6
	s_and_b32 vcc_lo, exec_lo, s2
	s_mov_b32 s2, -1
	s_wait_alu 0xfffe
	s_cbranch_vccz .LBB6_388
; %bb.387:
	v_mov_b32_e32 v0, 0
	s_mov_b32 s2, 0
	s_wait_dscnt 0x8
	global_store_b64 v0, v[16:17], s[22:23]
.LBB6_388:
	s_wait_alu 0xfffe
	s_and_not1_b32 vcc_lo, exec_lo, s2
	s_wait_alu 0xfffe
	s_cbranch_vccnz .LBB6_390
; %bb.389:
	v_mov_b32_e32 v0, 0
	s_wait_dscnt 0x9
	global_store_b64 v0, v[14:15], s[22:23]
.LBB6_390:
	s_mov_b32 s2, 0
.LBB6_391:
	s_wait_alu 0xfffe
	s_and_not1_b32 vcc_lo, exec_lo, s2
	s_wait_alu 0xfffe
	s_cbranch_vccnz .LBB6_396
; %bb.392:
	v_cmp_gt_i64_e64 s2, s[0:1], 4
	s_and_b32 vcc_lo, exec_lo, s2
	s_mov_b32 s2, -1
	s_wait_alu 0xfffe
	s_cbranch_vccz .LBB6_394
; %bb.393:
	v_mov_b32_e32 v0, 0
	s_mov_b32 s2, 0
	s_wait_dscnt 0xa
	global_store_b64 v0, v[12:13], s[22:23]
.LBB6_394:
	s_wait_alu 0xfffe
	s_and_not1_b32 vcc_lo, exec_lo, s2
	s_wait_alu 0xfffe
	s_cbranch_vccnz .LBB6_396
; %bb.395:
	v_mov_b32_e32 v0, 0
	s_wait_dscnt 0xb
	global_store_b64 v0, v[10:11], s[22:23]
.LBB6_396:
	s_mov_b32 s2, 0
.LBB6_397:
	s_wait_alu 0xfffe
	s_and_not1_b32 vcc_lo, exec_lo, s2
	s_wait_alu 0xfffe
	s_cbranch_vccnz .LBB6_323
; %bb.398:
	v_cmp_lt_i64_e64 s2, s[0:1], 2
	s_and_b32 vcc_lo, exec_lo, s2
	s_mov_b32 s2, -1
	s_wait_alu 0xfffe
	s_cbranch_vccnz .LBB6_404
; %bb.399:
	v_cmp_gt_i64_e64 s2, s[0:1], 2
	s_and_b32 vcc_lo, exec_lo, s2
	s_mov_b32 s2, -1
	s_wait_alu 0xfffe
	s_cbranch_vccz .LBB6_401
; %bb.400:
	v_mov_b32_e32 v0, 0
	s_mov_b32 s2, 0
	s_wait_dscnt 0xc
	global_store_b64 v0, v[8:9], s[22:23]
.LBB6_401:
	s_wait_alu 0xfffe
	s_and_not1_b32 vcc_lo, exec_lo, s2
	s_wait_alu 0xfffe
	s_cbranch_vccnz .LBB6_403
; %bb.402:
	v_mov_b32_e32 v0, 0
	s_wait_dscnt 0xd
	global_store_b64 v0, v[6:7], s[22:23]
.LBB6_403:
	s_mov_b32 s2, 0
.LBB6_404:
	s_wait_alu 0xfffe
	s_and_not1_b32 vcc_lo, exec_lo, s2
	s_wait_alu 0xfffe
	s_cbranch_vccnz .LBB6_323
; %bb.405:
	s_cmp_eq_u64 s[0:1], 1
	s_mov_b32 s0, -1
	s_cbranch_scc1 .LBB6_407
; %bb.406:
	v_mov_b32_e32 v0, 0
	s_mov_b32 s0, 0
	s_wait_dscnt 0xf
	global_store_b64 v0, v[4:5], s[22:23]
.LBB6_407:
	s_wait_alu 0xfffe
	s_and_not1_b32 vcc_lo, exec_lo, s0
	s_wait_alu 0xfffe
	s_cbranch_vccnz .LBB6_323
; %bb.408:
	v_mov_b32_e32 v0, 0
	s_wait_dscnt 0xe
	global_store_b64 v0, v[2:3], s[22:23]
	s_nop 0
	s_sendmsg sendmsg(MSG_DEALLOC_VGPRS)
	s_endpgm
	.section	.rodata,"a",@progbits
	.p2align	6, 0x0
	.amdhsa_kernel _ZN7rocprim17ROCPRIM_400000_NS6detail17trampoline_kernelINS0_14default_configENS1_20scan_config_selectorIdEEZZNS1_9scan_implILNS1_25lookback_scan_determinismE0ELb0ELb0ES3_PKdPddZZZN2at6native31launch_logcumsumexp_cuda_kernelERKNSB_10TensorBaseESF_lENKUlvE_clEvENKUlvE_clEvEUlddE_dEEDaPvRmT3_T4_T5_mT6_P12ihipStream_tbENKUlT_T0_E_clISt17integral_constantIbLb0EESW_EEDaSR_SS_EUlSR_E_NS1_11comp_targetILNS1_3genE10ELNS1_11target_archE1201ELNS1_3gpuE5ELNS1_3repE0EEENS1_30default_config_static_selectorELNS0_4arch9wavefront6targetE0EEEvT1_
		.amdhsa_group_segment_fixed_size 33792
		.amdhsa_private_segment_fixed_size 0
		.amdhsa_kernarg_size 104
		.amdhsa_user_sgpr_count 2
		.amdhsa_user_sgpr_dispatch_ptr 0
		.amdhsa_user_sgpr_queue_ptr 0
		.amdhsa_user_sgpr_kernarg_segment_ptr 1
		.amdhsa_user_sgpr_dispatch_id 0
		.amdhsa_user_sgpr_private_segment_size 0
		.amdhsa_wavefront_size32 1
		.amdhsa_uses_dynamic_stack 0
		.amdhsa_enable_private_segment 0
		.amdhsa_system_sgpr_workgroup_id_x 1
		.amdhsa_system_sgpr_workgroup_id_y 0
		.amdhsa_system_sgpr_workgroup_id_z 0
		.amdhsa_system_sgpr_workgroup_info 0
		.amdhsa_system_vgpr_workitem_id 0
		.amdhsa_next_free_vgpr 217
		.amdhsa_next_free_sgpr 90
		.amdhsa_reserve_vcc 1
		.amdhsa_float_round_mode_32 0
		.amdhsa_float_round_mode_16_64 0
		.amdhsa_float_denorm_mode_32 3
		.amdhsa_float_denorm_mode_16_64 3
		.amdhsa_fp16_overflow 0
		.amdhsa_workgroup_processor_mode 1
		.amdhsa_memory_ordered 1
		.amdhsa_forward_progress 1
		.amdhsa_inst_pref_size 255
		.amdhsa_round_robin_scheduling 0
		.amdhsa_exception_fp_ieee_invalid_op 0
		.amdhsa_exception_fp_denorm_src 0
		.amdhsa_exception_fp_ieee_div_zero 0
		.amdhsa_exception_fp_ieee_overflow 0
		.amdhsa_exception_fp_ieee_underflow 0
		.amdhsa_exception_fp_ieee_inexact 0
		.amdhsa_exception_int_div_zero 0
	.end_amdhsa_kernel
	.section	.text._ZN7rocprim17ROCPRIM_400000_NS6detail17trampoline_kernelINS0_14default_configENS1_20scan_config_selectorIdEEZZNS1_9scan_implILNS1_25lookback_scan_determinismE0ELb0ELb0ES3_PKdPddZZZN2at6native31launch_logcumsumexp_cuda_kernelERKNSB_10TensorBaseESF_lENKUlvE_clEvENKUlvE_clEvEUlddE_dEEDaPvRmT3_T4_T5_mT6_P12ihipStream_tbENKUlT_T0_E_clISt17integral_constantIbLb0EESW_EEDaSR_SS_EUlSR_E_NS1_11comp_targetILNS1_3genE10ELNS1_11target_archE1201ELNS1_3gpuE5ELNS1_3repE0EEENS1_30default_config_static_selectorELNS0_4arch9wavefront6targetE0EEEvT1_,"axG",@progbits,_ZN7rocprim17ROCPRIM_400000_NS6detail17trampoline_kernelINS0_14default_configENS1_20scan_config_selectorIdEEZZNS1_9scan_implILNS1_25lookback_scan_determinismE0ELb0ELb0ES3_PKdPddZZZN2at6native31launch_logcumsumexp_cuda_kernelERKNSB_10TensorBaseESF_lENKUlvE_clEvENKUlvE_clEvEUlddE_dEEDaPvRmT3_T4_T5_mT6_P12ihipStream_tbENKUlT_T0_E_clISt17integral_constantIbLb0EESW_EEDaSR_SS_EUlSR_E_NS1_11comp_targetILNS1_3genE10ELNS1_11target_archE1201ELNS1_3gpuE5ELNS1_3repE0EEENS1_30default_config_static_selectorELNS0_4arch9wavefront6targetE0EEEvT1_,comdat
.Lfunc_end6:
	.size	_ZN7rocprim17ROCPRIM_400000_NS6detail17trampoline_kernelINS0_14default_configENS1_20scan_config_selectorIdEEZZNS1_9scan_implILNS1_25lookback_scan_determinismE0ELb0ELb0ES3_PKdPddZZZN2at6native31launch_logcumsumexp_cuda_kernelERKNSB_10TensorBaseESF_lENKUlvE_clEvENKUlvE_clEvEUlddE_dEEDaPvRmT3_T4_T5_mT6_P12ihipStream_tbENKUlT_T0_E_clISt17integral_constantIbLb0EESW_EEDaSR_SS_EUlSR_E_NS1_11comp_targetILNS1_3genE10ELNS1_11target_archE1201ELNS1_3gpuE5ELNS1_3repE0EEENS1_30default_config_static_selectorELNS0_4arch9wavefront6targetE0EEEvT1_, .Lfunc_end6-_ZN7rocprim17ROCPRIM_400000_NS6detail17trampoline_kernelINS0_14default_configENS1_20scan_config_selectorIdEEZZNS1_9scan_implILNS1_25lookback_scan_determinismE0ELb0ELb0ES3_PKdPddZZZN2at6native31launch_logcumsumexp_cuda_kernelERKNSB_10TensorBaseESF_lENKUlvE_clEvENKUlvE_clEvEUlddE_dEEDaPvRmT3_T4_T5_mT6_P12ihipStream_tbENKUlT_T0_E_clISt17integral_constantIbLb0EESW_EEDaSR_SS_EUlSR_E_NS1_11comp_targetILNS1_3genE10ELNS1_11target_archE1201ELNS1_3gpuE5ELNS1_3repE0EEENS1_30default_config_static_selectorELNS0_4arch9wavefront6targetE0EEEvT1_
                                        ; -- End function
	.set _ZN7rocprim17ROCPRIM_400000_NS6detail17trampoline_kernelINS0_14default_configENS1_20scan_config_selectorIdEEZZNS1_9scan_implILNS1_25lookback_scan_determinismE0ELb0ELb0ES3_PKdPddZZZN2at6native31launch_logcumsumexp_cuda_kernelERKNSB_10TensorBaseESF_lENKUlvE_clEvENKUlvE_clEvEUlddE_dEEDaPvRmT3_T4_T5_mT6_P12ihipStream_tbENKUlT_T0_E_clISt17integral_constantIbLb0EESW_EEDaSR_SS_EUlSR_E_NS1_11comp_targetILNS1_3genE10ELNS1_11target_archE1201ELNS1_3gpuE5ELNS1_3repE0EEENS1_30default_config_static_selectorELNS0_4arch9wavefront6targetE0EEEvT1_.num_vgpr, 133
	.set _ZN7rocprim17ROCPRIM_400000_NS6detail17trampoline_kernelINS0_14default_configENS1_20scan_config_selectorIdEEZZNS1_9scan_implILNS1_25lookback_scan_determinismE0ELb0ELb0ES3_PKdPddZZZN2at6native31launch_logcumsumexp_cuda_kernelERKNSB_10TensorBaseESF_lENKUlvE_clEvENKUlvE_clEvEUlddE_dEEDaPvRmT3_T4_T5_mT6_P12ihipStream_tbENKUlT_T0_E_clISt17integral_constantIbLb0EESW_EEDaSR_SS_EUlSR_E_NS1_11comp_targetILNS1_3genE10ELNS1_11target_archE1201ELNS1_3gpuE5ELNS1_3repE0EEENS1_30default_config_static_selectorELNS0_4arch9wavefront6targetE0EEEvT1_.num_agpr, 0
	.set _ZN7rocprim17ROCPRIM_400000_NS6detail17trampoline_kernelINS0_14default_configENS1_20scan_config_selectorIdEEZZNS1_9scan_implILNS1_25lookback_scan_determinismE0ELb0ELb0ES3_PKdPddZZZN2at6native31launch_logcumsumexp_cuda_kernelERKNSB_10TensorBaseESF_lENKUlvE_clEvENKUlvE_clEvEUlddE_dEEDaPvRmT3_T4_T5_mT6_P12ihipStream_tbENKUlT_T0_E_clISt17integral_constantIbLb0EESW_EEDaSR_SS_EUlSR_E_NS1_11comp_targetILNS1_3genE10ELNS1_11target_archE1201ELNS1_3gpuE5ELNS1_3repE0EEENS1_30default_config_static_selectorELNS0_4arch9wavefront6targetE0EEEvT1_.numbered_sgpr, 90
	.set _ZN7rocprim17ROCPRIM_400000_NS6detail17trampoline_kernelINS0_14default_configENS1_20scan_config_selectorIdEEZZNS1_9scan_implILNS1_25lookback_scan_determinismE0ELb0ELb0ES3_PKdPddZZZN2at6native31launch_logcumsumexp_cuda_kernelERKNSB_10TensorBaseESF_lENKUlvE_clEvENKUlvE_clEvEUlddE_dEEDaPvRmT3_T4_T5_mT6_P12ihipStream_tbENKUlT_T0_E_clISt17integral_constantIbLb0EESW_EEDaSR_SS_EUlSR_E_NS1_11comp_targetILNS1_3genE10ELNS1_11target_archE1201ELNS1_3gpuE5ELNS1_3repE0EEENS1_30default_config_static_selectorELNS0_4arch9wavefront6targetE0EEEvT1_.num_named_barrier, 0
	.set _ZN7rocprim17ROCPRIM_400000_NS6detail17trampoline_kernelINS0_14default_configENS1_20scan_config_selectorIdEEZZNS1_9scan_implILNS1_25lookback_scan_determinismE0ELb0ELb0ES3_PKdPddZZZN2at6native31launch_logcumsumexp_cuda_kernelERKNSB_10TensorBaseESF_lENKUlvE_clEvENKUlvE_clEvEUlddE_dEEDaPvRmT3_T4_T5_mT6_P12ihipStream_tbENKUlT_T0_E_clISt17integral_constantIbLb0EESW_EEDaSR_SS_EUlSR_E_NS1_11comp_targetILNS1_3genE10ELNS1_11target_archE1201ELNS1_3gpuE5ELNS1_3repE0EEENS1_30default_config_static_selectorELNS0_4arch9wavefront6targetE0EEEvT1_.private_seg_size, 0
	.set _ZN7rocprim17ROCPRIM_400000_NS6detail17trampoline_kernelINS0_14default_configENS1_20scan_config_selectorIdEEZZNS1_9scan_implILNS1_25lookback_scan_determinismE0ELb0ELb0ES3_PKdPddZZZN2at6native31launch_logcumsumexp_cuda_kernelERKNSB_10TensorBaseESF_lENKUlvE_clEvENKUlvE_clEvEUlddE_dEEDaPvRmT3_T4_T5_mT6_P12ihipStream_tbENKUlT_T0_E_clISt17integral_constantIbLb0EESW_EEDaSR_SS_EUlSR_E_NS1_11comp_targetILNS1_3genE10ELNS1_11target_archE1201ELNS1_3gpuE5ELNS1_3repE0EEENS1_30default_config_static_selectorELNS0_4arch9wavefront6targetE0EEEvT1_.uses_vcc, 1
	.set _ZN7rocprim17ROCPRIM_400000_NS6detail17trampoline_kernelINS0_14default_configENS1_20scan_config_selectorIdEEZZNS1_9scan_implILNS1_25lookback_scan_determinismE0ELb0ELb0ES3_PKdPddZZZN2at6native31launch_logcumsumexp_cuda_kernelERKNSB_10TensorBaseESF_lENKUlvE_clEvENKUlvE_clEvEUlddE_dEEDaPvRmT3_T4_T5_mT6_P12ihipStream_tbENKUlT_T0_E_clISt17integral_constantIbLb0EESW_EEDaSR_SS_EUlSR_E_NS1_11comp_targetILNS1_3genE10ELNS1_11target_archE1201ELNS1_3gpuE5ELNS1_3repE0EEENS1_30default_config_static_selectorELNS0_4arch9wavefront6targetE0EEEvT1_.uses_flat_scratch, 0
	.set _ZN7rocprim17ROCPRIM_400000_NS6detail17trampoline_kernelINS0_14default_configENS1_20scan_config_selectorIdEEZZNS1_9scan_implILNS1_25lookback_scan_determinismE0ELb0ELb0ES3_PKdPddZZZN2at6native31launch_logcumsumexp_cuda_kernelERKNSB_10TensorBaseESF_lENKUlvE_clEvENKUlvE_clEvEUlddE_dEEDaPvRmT3_T4_T5_mT6_P12ihipStream_tbENKUlT_T0_E_clISt17integral_constantIbLb0EESW_EEDaSR_SS_EUlSR_E_NS1_11comp_targetILNS1_3genE10ELNS1_11target_archE1201ELNS1_3gpuE5ELNS1_3repE0EEENS1_30default_config_static_selectorELNS0_4arch9wavefront6targetE0EEEvT1_.has_dyn_sized_stack, 0
	.set _ZN7rocprim17ROCPRIM_400000_NS6detail17trampoline_kernelINS0_14default_configENS1_20scan_config_selectorIdEEZZNS1_9scan_implILNS1_25lookback_scan_determinismE0ELb0ELb0ES3_PKdPddZZZN2at6native31launch_logcumsumexp_cuda_kernelERKNSB_10TensorBaseESF_lENKUlvE_clEvENKUlvE_clEvEUlddE_dEEDaPvRmT3_T4_T5_mT6_P12ihipStream_tbENKUlT_T0_E_clISt17integral_constantIbLb0EESW_EEDaSR_SS_EUlSR_E_NS1_11comp_targetILNS1_3genE10ELNS1_11target_archE1201ELNS1_3gpuE5ELNS1_3repE0EEENS1_30default_config_static_selectorELNS0_4arch9wavefront6targetE0EEEvT1_.has_recursion, 0
	.set _ZN7rocprim17ROCPRIM_400000_NS6detail17trampoline_kernelINS0_14default_configENS1_20scan_config_selectorIdEEZZNS1_9scan_implILNS1_25lookback_scan_determinismE0ELb0ELb0ES3_PKdPddZZZN2at6native31launch_logcumsumexp_cuda_kernelERKNSB_10TensorBaseESF_lENKUlvE_clEvENKUlvE_clEvEUlddE_dEEDaPvRmT3_T4_T5_mT6_P12ihipStream_tbENKUlT_T0_E_clISt17integral_constantIbLb0EESW_EEDaSR_SS_EUlSR_E_NS1_11comp_targetILNS1_3genE10ELNS1_11target_archE1201ELNS1_3gpuE5ELNS1_3repE0EEENS1_30default_config_static_selectorELNS0_4arch9wavefront6targetE0EEEvT1_.has_indirect_call, 0
	.section	.AMDGPU.csdata,"",@progbits
; Kernel info:
; codeLenInByte = 172320
; TotalNumSgprs: 92
; NumVgprs: 133
; ScratchSize: 0
; MemoryBound: 0
; FloatMode: 240
; IeeeMode: 1
; LDSByteSize: 33792 bytes/workgroup (compile time only)
; SGPRBlocks: 0
; VGPRBlocks: 27
; NumSGPRsForWavesPerEU: 92
; NumVGPRsForWavesPerEU: 217
; Occupancy: 6
; WaveLimiterHint : 1
; COMPUTE_PGM_RSRC2:SCRATCH_EN: 0
; COMPUTE_PGM_RSRC2:USER_SGPR: 2
; COMPUTE_PGM_RSRC2:TRAP_HANDLER: 0
; COMPUTE_PGM_RSRC2:TGID_X_EN: 1
; COMPUTE_PGM_RSRC2:TGID_Y_EN: 0
; COMPUTE_PGM_RSRC2:TGID_Z_EN: 0
; COMPUTE_PGM_RSRC2:TIDIG_COMP_CNT: 0
	.section	.text._ZN7rocprim17ROCPRIM_400000_NS6detail17trampoline_kernelINS0_14default_configENS1_20scan_config_selectorIdEEZZNS1_9scan_implILNS1_25lookback_scan_determinismE0ELb0ELb0ES3_PKdPddZZZN2at6native31launch_logcumsumexp_cuda_kernelERKNSB_10TensorBaseESF_lENKUlvE_clEvENKUlvE_clEvEUlddE_dEEDaPvRmT3_T4_T5_mT6_P12ihipStream_tbENKUlT_T0_E_clISt17integral_constantIbLb0EESW_EEDaSR_SS_EUlSR_E_NS1_11comp_targetILNS1_3genE10ELNS1_11target_archE1200ELNS1_3gpuE4ELNS1_3repE0EEENS1_30default_config_static_selectorELNS0_4arch9wavefront6targetE0EEEvT1_,"axG",@progbits,_ZN7rocprim17ROCPRIM_400000_NS6detail17trampoline_kernelINS0_14default_configENS1_20scan_config_selectorIdEEZZNS1_9scan_implILNS1_25lookback_scan_determinismE0ELb0ELb0ES3_PKdPddZZZN2at6native31launch_logcumsumexp_cuda_kernelERKNSB_10TensorBaseESF_lENKUlvE_clEvENKUlvE_clEvEUlddE_dEEDaPvRmT3_T4_T5_mT6_P12ihipStream_tbENKUlT_T0_E_clISt17integral_constantIbLb0EESW_EEDaSR_SS_EUlSR_E_NS1_11comp_targetILNS1_3genE10ELNS1_11target_archE1200ELNS1_3gpuE4ELNS1_3repE0EEENS1_30default_config_static_selectorELNS0_4arch9wavefront6targetE0EEEvT1_,comdat
	.globl	_ZN7rocprim17ROCPRIM_400000_NS6detail17trampoline_kernelINS0_14default_configENS1_20scan_config_selectorIdEEZZNS1_9scan_implILNS1_25lookback_scan_determinismE0ELb0ELb0ES3_PKdPddZZZN2at6native31launch_logcumsumexp_cuda_kernelERKNSB_10TensorBaseESF_lENKUlvE_clEvENKUlvE_clEvEUlddE_dEEDaPvRmT3_T4_T5_mT6_P12ihipStream_tbENKUlT_T0_E_clISt17integral_constantIbLb0EESW_EEDaSR_SS_EUlSR_E_NS1_11comp_targetILNS1_3genE10ELNS1_11target_archE1200ELNS1_3gpuE4ELNS1_3repE0EEENS1_30default_config_static_selectorELNS0_4arch9wavefront6targetE0EEEvT1_ ; -- Begin function _ZN7rocprim17ROCPRIM_400000_NS6detail17trampoline_kernelINS0_14default_configENS1_20scan_config_selectorIdEEZZNS1_9scan_implILNS1_25lookback_scan_determinismE0ELb0ELb0ES3_PKdPddZZZN2at6native31launch_logcumsumexp_cuda_kernelERKNSB_10TensorBaseESF_lENKUlvE_clEvENKUlvE_clEvEUlddE_dEEDaPvRmT3_T4_T5_mT6_P12ihipStream_tbENKUlT_T0_E_clISt17integral_constantIbLb0EESW_EEDaSR_SS_EUlSR_E_NS1_11comp_targetILNS1_3genE10ELNS1_11target_archE1200ELNS1_3gpuE4ELNS1_3repE0EEENS1_30default_config_static_selectorELNS0_4arch9wavefront6targetE0EEEvT1_
	.p2align	8
	.type	_ZN7rocprim17ROCPRIM_400000_NS6detail17trampoline_kernelINS0_14default_configENS1_20scan_config_selectorIdEEZZNS1_9scan_implILNS1_25lookback_scan_determinismE0ELb0ELb0ES3_PKdPddZZZN2at6native31launch_logcumsumexp_cuda_kernelERKNSB_10TensorBaseESF_lENKUlvE_clEvENKUlvE_clEvEUlddE_dEEDaPvRmT3_T4_T5_mT6_P12ihipStream_tbENKUlT_T0_E_clISt17integral_constantIbLb0EESW_EEDaSR_SS_EUlSR_E_NS1_11comp_targetILNS1_3genE10ELNS1_11target_archE1200ELNS1_3gpuE4ELNS1_3repE0EEENS1_30default_config_static_selectorELNS0_4arch9wavefront6targetE0EEEvT1_,@function
_ZN7rocprim17ROCPRIM_400000_NS6detail17trampoline_kernelINS0_14default_configENS1_20scan_config_selectorIdEEZZNS1_9scan_implILNS1_25lookback_scan_determinismE0ELb0ELb0ES3_PKdPddZZZN2at6native31launch_logcumsumexp_cuda_kernelERKNSB_10TensorBaseESF_lENKUlvE_clEvENKUlvE_clEvEUlddE_dEEDaPvRmT3_T4_T5_mT6_P12ihipStream_tbENKUlT_T0_E_clISt17integral_constantIbLb0EESW_EEDaSR_SS_EUlSR_E_NS1_11comp_targetILNS1_3genE10ELNS1_11target_archE1200ELNS1_3gpuE4ELNS1_3repE0EEENS1_30default_config_static_selectorELNS0_4arch9wavefront6targetE0EEEvT1_: ; @_ZN7rocprim17ROCPRIM_400000_NS6detail17trampoline_kernelINS0_14default_configENS1_20scan_config_selectorIdEEZZNS1_9scan_implILNS1_25lookback_scan_determinismE0ELb0ELb0ES3_PKdPddZZZN2at6native31launch_logcumsumexp_cuda_kernelERKNSB_10TensorBaseESF_lENKUlvE_clEvENKUlvE_clEvEUlddE_dEEDaPvRmT3_T4_T5_mT6_P12ihipStream_tbENKUlT_T0_E_clISt17integral_constantIbLb0EESW_EEDaSR_SS_EUlSR_E_NS1_11comp_targetILNS1_3genE10ELNS1_11target_archE1200ELNS1_3gpuE4ELNS1_3repE0EEENS1_30default_config_static_selectorELNS0_4arch9wavefront6targetE0EEEvT1_
; %bb.0:
	.section	.rodata,"a",@progbits
	.p2align	6, 0x0
	.amdhsa_kernel _ZN7rocprim17ROCPRIM_400000_NS6detail17trampoline_kernelINS0_14default_configENS1_20scan_config_selectorIdEEZZNS1_9scan_implILNS1_25lookback_scan_determinismE0ELb0ELb0ES3_PKdPddZZZN2at6native31launch_logcumsumexp_cuda_kernelERKNSB_10TensorBaseESF_lENKUlvE_clEvENKUlvE_clEvEUlddE_dEEDaPvRmT3_T4_T5_mT6_P12ihipStream_tbENKUlT_T0_E_clISt17integral_constantIbLb0EESW_EEDaSR_SS_EUlSR_E_NS1_11comp_targetILNS1_3genE10ELNS1_11target_archE1200ELNS1_3gpuE4ELNS1_3repE0EEENS1_30default_config_static_selectorELNS0_4arch9wavefront6targetE0EEEvT1_
		.amdhsa_group_segment_fixed_size 0
		.amdhsa_private_segment_fixed_size 0
		.amdhsa_kernarg_size 104
		.amdhsa_user_sgpr_count 2
		.amdhsa_user_sgpr_dispatch_ptr 0
		.amdhsa_user_sgpr_queue_ptr 0
		.amdhsa_user_sgpr_kernarg_segment_ptr 1
		.amdhsa_user_sgpr_dispatch_id 0
		.amdhsa_user_sgpr_private_segment_size 0
		.amdhsa_wavefront_size32 1
		.amdhsa_uses_dynamic_stack 0
		.amdhsa_enable_private_segment 0
		.amdhsa_system_sgpr_workgroup_id_x 1
		.amdhsa_system_sgpr_workgroup_id_y 0
		.amdhsa_system_sgpr_workgroup_id_z 0
		.amdhsa_system_sgpr_workgroup_info 0
		.amdhsa_system_vgpr_workitem_id 0
		.amdhsa_next_free_vgpr 1
		.amdhsa_next_free_sgpr 1
		.amdhsa_reserve_vcc 0
		.amdhsa_float_round_mode_32 0
		.amdhsa_float_round_mode_16_64 0
		.amdhsa_float_denorm_mode_32 3
		.amdhsa_float_denorm_mode_16_64 3
		.amdhsa_fp16_overflow 0
		.amdhsa_workgroup_processor_mode 1
		.amdhsa_memory_ordered 1
		.amdhsa_forward_progress 1
		.amdhsa_inst_pref_size 0
		.amdhsa_round_robin_scheduling 0
		.amdhsa_exception_fp_ieee_invalid_op 0
		.amdhsa_exception_fp_denorm_src 0
		.amdhsa_exception_fp_ieee_div_zero 0
		.amdhsa_exception_fp_ieee_overflow 0
		.amdhsa_exception_fp_ieee_underflow 0
		.amdhsa_exception_fp_ieee_inexact 0
		.amdhsa_exception_int_div_zero 0
	.end_amdhsa_kernel
	.section	.text._ZN7rocprim17ROCPRIM_400000_NS6detail17trampoline_kernelINS0_14default_configENS1_20scan_config_selectorIdEEZZNS1_9scan_implILNS1_25lookback_scan_determinismE0ELb0ELb0ES3_PKdPddZZZN2at6native31launch_logcumsumexp_cuda_kernelERKNSB_10TensorBaseESF_lENKUlvE_clEvENKUlvE_clEvEUlddE_dEEDaPvRmT3_T4_T5_mT6_P12ihipStream_tbENKUlT_T0_E_clISt17integral_constantIbLb0EESW_EEDaSR_SS_EUlSR_E_NS1_11comp_targetILNS1_3genE10ELNS1_11target_archE1200ELNS1_3gpuE4ELNS1_3repE0EEENS1_30default_config_static_selectorELNS0_4arch9wavefront6targetE0EEEvT1_,"axG",@progbits,_ZN7rocprim17ROCPRIM_400000_NS6detail17trampoline_kernelINS0_14default_configENS1_20scan_config_selectorIdEEZZNS1_9scan_implILNS1_25lookback_scan_determinismE0ELb0ELb0ES3_PKdPddZZZN2at6native31launch_logcumsumexp_cuda_kernelERKNSB_10TensorBaseESF_lENKUlvE_clEvENKUlvE_clEvEUlddE_dEEDaPvRmT3_T4_T5_mT6_P12ihipStream_tbENKUlT_T0_E_clISt17integral_constantIbLb0EESW_EEDaSR_SS_EUlSR_E_NS1_11comp_targetILNS1_3genE10ELNS1_11target_archE1200ELNS1_3gpuE4ELNS1_3repE0EEENS1_30default_config_static_selectorELNS0_4arch9wavefront6targetE0EEEvT1_,comdat
.Lfunc_end7:
	.size	_ZN7rocprim17ROCPRIM_400000_NS6detail17trampoline_kernelINS0_14default_configENS1_20scan_config_selectorIdEEZZNS1_9scan_implILNS1_25lookback_scan_determinismE0ELb0ELb0ES3_PKdPddZZZN2at6native31launch_logcumsumexp_cuda_kernelERKNSB_10TensorBaseESF_lENKUlvE_clEvENKUlvE_clEvEUlddE_dEEDaPvRmT3_T4_T5_mT6_P12ihipStream_tbENKUlT_T0_E_clISt17integral_constantIbLb0EESW_EEDaSR_SS_EUlSR_E_NS1_11comp_targetILNS1_3genE10ELNS1_11target_archE1200ELNS1_3gpuE4ELNS1_3repE0EEENS1_30default_config_static_selectorELNS0_4arch9wavefront6targetE0EEEvT1_, .Lfunc_end7-_ZN7rocprim17ROCPRIM_400000_NS6detail17trampoline_kernelINS0_14default_configENS1_20scan_config_selectorIdEEZZNS1_9scan_implILNS1_25lookback_scan_determinismE0ELb0ELb0ES3_PKdPddZZZN2at6native31launch_logcumsumexp_cuda_kernelERKNSB_10TensorBaseESF_lENKUlvE_clEvENKUlvE_clEvEUlddE_dEEDaPvRmT3_T4_T5_mT6_P12ihipStream_tbENKUlT_T0_E_clISt17integral_constantIbLb0EESW_EEDaSR_SS_EUlSR_E_NS1_11comp_targetILNS1_3genE10ELNS1_11target_archE1200ELNS1_3gpuE4ELNS1_3repE0EEENS1_30default_config_static_selectorELNS0_4arch9wavefront6targetE0EEEvT1_
                                        ; -- End function
	.set _ZN7rocprim17ROCPRIM_400000_NS6detail17trampoline_kernelINS0_14default_configENS1_20scan_config_selectorIdEEZZNS1_9scan_implILNS1_25lookback_scan_determinismE0ELb0ELb0ES3_PKdPddZZZN2at6native31launch_logcumsumexp_cuda_kernelERKNSB_10TensorBaseESF_lENKUlvE_clEvENKUlvE_clEvEUlddE_dEEDaPvRmT3_T4_T5_mT6_P12ihipStream_tbENKUlT_T0_E_clISt17integral_constantIbLb0EESW_EEDaSR_SS_EUlSR_E_NS1_11comp_targetILNS1_3genE10ELNS1_11target_archE1200ELNS1_3gpuE4ELNS1_3repE0EEENS1_30default_config_static_selectorELNS0_4arch9wavefront6targetE0EEEvT1_.num_vgpr, 0
	.set _ZN7rocprim17ROCPRIM_400000_NS6detail17trampoline_kernelINS0_14default_configENS1_20scan_config_selectorIdEEZZNS1_9scan_implILNS1_25lookback_scan_determinismE0ELb0ELb0ES3_PKdPddZZZN2at6native31launch_logcumsumexp_cuda_kernelERKNSB_10TensorBaseESF_lENKUlvE_clEvENKUlvE_clEvEUlddE_dEEDaPvRmT3_T4_T5_mT6_P12ihipStream_tbENKUlT_T0_E_clISt17integral_constantIbLb0EESW_EEDaSR_SS_EUlSR_E_NS1_11comp_targetILNS1_3genE10ELNS1_11target_archE1200ELNS1_3gpuE4ELNS1_3repE0EEENS1_30default_config_static_selectorELNS0_4arch9wavefront6targetE0EEEvT1_.num_agpr, 0
	.set _ZN7rocprim17ROCPRIM_400000_NS6detail17trampoline_kernelINS0_14default_configENS1_20scan_config_selectorIdEEZZNS1_9scan_implILNS1_25lookback_scan_determinismE0ELb0ELb0ES3_PKdPddZZZN2at6native31launch_logcumsumexp_cuda_kernelERKNSB_10TensorBaseESF_lENKUlvE_clEvENKUlvE_clEvEUlddE_dEEDaPvRmT3_T4_T5_mT6_P12ihipStream_tbENKUlT_T0_E_clISt17integral_constantIbLb0EESW_EEDaSR_SS_EUlSR_E_NS1_11comp_targetILNS1_3genE10ELNS1_11target_archE1200ELNS1_3gpuE4ELNS1_3repE0EEENS1_30default_config_static_selectorELNS0_4arch9wavefront6targetE0EEEvT1_.numbered_sgpr, 0
	.set _ZN7rocprim17ROCPRIM_400000_NS6detail17trampoline_kernelINS0_14default_configENS1_20scan_config_selectorIdEEZZNS1_9scan_implILNS1_25lookback_scan_determinismE0ELb0ELb0ES3_PKdPddZZZN2at6native31launch_logcumsumexp_cuda_kernelERKNSB_10TensorBaseESF_lENKUlvE_clEvENKUlvE_clEvEUlddE_dEEDaPvRmT3_T4_T5_mT6_P12ihipStream_tbENKUlT_T0_E_clISt17integral_constantIbLb0EESW_EEDaSR_SS_EUlSR_E_NS1_11comp_targetILNS1_3genE10ELNS1_11target_archE1200ELNS1_3gpuE4ELNS1_3repE0EEENS1_30default_config_static_selectorELNS0_4arch9wavefront6targetE0EEEvT1_.num_named_barrier, 0
	.set _ZN7rocprim17ROCPRIM_400000_NS6detail17trampoline_kernelINS0_14default_configENS1_20scan_config_selectorIdEEZZNS1_9scan_implILNS1_25lookback_scan_determinismE0ELb0ELb0ES3_PKdPddZZZN2at6native31launch_logcumsumexp_cuda_kernelERKNSB_10TensorBaseESF_lENKUlvE_clEvENKUlvE_clEvEUlddE_dEEDaPvRmT3_T4_T5_mT6_P12ihipStream_tbENKUlT_T0_E_clISt17integral_constantIbLb0EESW_EEDaSR_SS_EUlSR_E_NS1_11comp_targetILNS1_3genE10ELNS1_11target_archE1200ELNS1_3gpuE4ELNS1_3repE0EEENS1_30default_config_static_selectorELNS0_4arch9wavefront6targetE0EEEvT1_.private_seg_size, 0
	.set _ZN7rocprim17ROCPRIM_400000_NS6detail17trampoline_kernelINS0_14default_configENS1_20scan_config_selectorIdEEZZNS1_9scan_implILNS1_25lookback_scan_determinismE0ELb0ELb0ES3_PKdPddZZZN2at6native31launch_logcumsumexp_cuda_kernelERKNSB_10TensorBaseESF_lENKUlvE_clEvENKUlvE_clEvEUlddE_dEEDaPvRmT3_T4_T5_mT6_P12ihipStream_tbENKUlT_T0_E_clISt17integral_constantIbLb0EESW_EEDaSR_SS_EUlSR_E_NS1_11comp_targetILNS1_3genE10ELNS1_11target_archE1200ELNS1_3gpuE4ELNS1_3repE0EEENS1_30default_config_static_selectorELNS0_4arch9wavefront6targetE0EEEvT1_.uses_vcc, 0
	.set _ZN7rocprim17ROCPRIM_400000_NS6detail17trampoline_kernelINS0_14default_configENS1_20scan_config_selectorIdEEZZNS1_9scan_implILNS1_25lookback_scan_determinismE0ELb0ELb0ES3_PKdPddZZZN2at6native31launch_logcumsumexp_cuda_kernelERKNSB_10TensorBaseESF_lENKUlvE_clEvENKUlvE_clEvEUlddE_dEEDaPvRmT3_T4_T5_mT6_P12ihipStream_tbENKUlT_T0_E_clISt17integral_constantIbLb0EESW_EEDaSR_SS_EUlSR_E_NS1_11comp_targetILNS1_3genE10ELNS1_11target_archE1200ELNS1_3gpuE4ELNS1_3repE0EEENS1_30default_config_static_selectorELNS0_4arch9wavefront6targetE0EEEvT1_.uses_flat_scratch, 0
	.set _ZN7rocprim17ROCPRIM_400000_NS6detail17trampoline_kernelINS0_14default_configENS1_20scan_config_selectorIdEEZZNS1_9scan_implILNS1_25lookback_scan_determinismE0ELb0ELb0ES3_PKdPddZZZN2at6native31launch_logcumsumexp_cuda_kernelERKNSB_10TensorBaseESF_lENKUlvE_clEvENKUlvE_clEvEUlddE_dEEDaPvRmT3_T4_T5_mT6_P12ihipStream_tbENKUlT_T0_E_clISt17integral_constantIbLb0EESW_EEDaSR_SS_EUlSR_E_NS1_11comp_targetILNS1_3genE10ELNS1_11target_archE1200ELNS1_3gpuE4ELNS1_3repE0EEENS1_30default_config_static_selectorELNS0_4arch9wavefront6targetE0EEEvT1_.has_dyn_sized_stack, 0
	.set _ZN7rocprim17ROCPRIM_400000_NS6detail17trampoline_kernelINS0_14default_configENS1_20scan_config_selectorIdEEZZNS1_9scan_implILNS1_25lookback_scan_determinismE0ELb0ELb0ES3_PKdPddZZZN2at6native31launch_logcumsumexp_cuda_kernelERKNSB_10TensorBaseESF_lENKUlvE_clEvENKUlvE_clEvEUlddE_dEEDaPvRmT3_T4_T5_mT6_P12ihipStream_tbENKUlT_T0_E_clISt17integral_constantIbLb0EESW_EEDaSR_SS_EUlSR_E_NS1_11comp_targetILNS1_3genE10ELNS1_11target_archE1200ELNS1_3gpuE4ELNS1_3repE0EEENS1_30default_config_static_selectorELNS0_4arch9wavefront6targetE0EEEvT1_.has_recursion, 0
	.set _ZN7rocprim17ROCPRIM_400000_NS6detail17trampoline_kernelINS0_14default_configENS1_20scan_config_selectorIdEEZZNS1_9scan_implILNS1_25lookback_scan_determinismE0ELb0ELb0ES3_PKdPddZZZN2at6native31launch_logcumsumexp_cuda_kernelERKNSB_10TensorBaseESF_lENKUlvE_clEvENKUlvE_clEvEUlddE_dEEDaPvRmT3_T4_T5_mT6_P12ihipStream_tbENKUlT_T0_E_clISt17integral_constantIbLb0EESW_EEDaSR_SS_EUlSR_E_NS1_11comp_targetILNS1_3genE10ELNS1_11target_archE1200ELNS1_3gpuE4ELNS1_3repE0EEENS1_30default_config_static_selectorELNS0_4arch9wavefront6targetE0EEEvT1_.has_indirect_call, 0
	.section	.AMDGPU.csdata,"",@progbits
; Kernel info:
; codeLenInByte = 0
; TotalNumSgprs: 0
; NumVgprs: 0
; ScratchSize: 0
; MemoryBound: 0
; FloatMode: 240
; IeeeMode: 1
; LDSByteSize: 0 bytes/workgroup (compile time only)
; SGPRBlocks: 0
; VGPRBlocks: 0
; NumSGPRsForWavesPerEU: 1
; NumVGPRsForWavesPerEU: 1
; Occupancy: 16
; WaveLimiterHint : 0
; COMPUTE_PGM_RSRC2:SCRATCH_EN: 0
; COMPUTE_PGM_RSRC2:USER_SGPR: 2
; COMPUTE_PGM_RSRC2:TRAP_HANDLER: 0
; COMPUTE_PGM_RSRC2:TGID_X_EN: 1
; COMPUTE_PGM_RSRC2:TGID_Y_EN: 0
; COMPUTE_PGM_RSRC2:TGID_Z_EN: 0
; COMPUTE_PGM_RSRC2:TIDIG_COMP_CNT: 0
	.section	.text._ZN7rocprim17ROCPRIM_400000_NS6detail17trampoline_kernelINS0_14default_configENS1_20scan_config_selectorIdEEZZNS1_9scan_implILNS1_25lookback_scan_determinismE0ELb0ELb0ES3_PKdPddZZZN2at6native31launch_logcumsumexp_cuda_kernelERKNSB_10TensorBaseESF_lENKUlvE_clEvENKUlvE_clEvEUlddE_dEEDaPvRmT3_T4_T5_mT6_P12ihipStream_tbENKUlT_T0_E_clISt17integral_constantIbLb0EESW_EEDaSR_SS_EUlSR_E_NS1_11comp_targetILNS1_3genE9ELNS1_11target_archE1100ELNS1_3gpuE3ELNS1_3repE0EEENS1_30default_config_static_selectorELNS0_4arch9wavefront6targetE0EEEvT1_,"axG",@progbits,_ZN7rocprim17ROCPRIM_400000_NS6detail17trampoline_kernelINS0_14default_configENS1_20scan_config_selectorIdEEZZNS1_9scan_implILNS1_25lookback_scan_determinismE0ELb0ELb0ES3_PKdPddZZZN2at6native31launch_logcumsumexp_cuda_kernelERKNSB_10TensorBaseESF_lENKUlvE_clEvENKUlvE_clEvEUlddE_dEEDaPvRmT3_T4_T5_mT6_P12ihipStream_tbENKUlT_T0_E_clISt17integral_constantIbLb0EESW_EEDaSR_SS_EUlSR_E_NS1_11comp_targetILNS1_3genE9ELNS1_11target_archE1100ELNS1_3gpuE3ELNS1_3repE0EEENS1_30default_config_static_selectorELNS0_4arch9wavefront6targetE0EEEvT1_,comdat
	.globl	_ZN7rocprim17ROCPRIM_400000_NS6detail17trampoline_kernelINS0_14default_configENS1_20scan_config_selectorIdEEZZNS1_9scan_implILNS1_25lookback_scan_determinismE0ELb0ELb0ES3_PKdPddZZZN2at6native31launch_logcumsumexp_cuda_kernelERKNSB_10TensorBaseESF_lENKUlvE_clEvENKUlvE_clEvEUlddE_dEEDaPvRmT3_T4_T5_mT6_P12ihipStream_tbENKUlT_T0_E_clISt17integral_constantIbLb0EESW_EEDaSR_SS_EUlSR_E_NS1_11comp_targetILNS1_3genE9ELNS1_11target_archE1100ELNS1_3gpuE3ELNS1_3repE0EEENS1_30default_config_static_selectorELNS0_4arch9wavefront6targetE0EEEvT1_ ; -- Begin function _ZN7rocprim17ROCPRIM_400000_NS6detail17trampoline_kernelINS0_14default_configENS1_20scan_config_selectorIdEEZZNS1_9scan_implILNS1_25lookback_scan_determinismE0ELb0ELb0ES3_PKdPddZZZN2at6native31launch_logcumsumexp_cuda_kernelERKNSB_10TensorBaseESF_lENKUlvE_clEvENKUlvE_clEvEUlddE_dEEDaPvRmT3_T4_T5_mT6_P12ihipStream_tbENKUlT_T0_E_clISt17integral_constantIbLb0EESW_EEDaSR_SS_EUlSR_E_NS1_11comp_targetILNS1_3genE9ELNS1_11target_archE1100ELNS1_3gpuE3ELNS1_3repE0EEENS1_30default_config_static_selectorELNS0_4arch9wavefront6targetE0EEEvT1_
	.p2align	8
	.type	_ZN7rocprim17ROCPRIM_400000_NS6detail17trampoline_kernelINS0_14default_configENS1_20scan_config_selectorIdEEZZNS1_9scan_implILNS1_25lookback_scan_determinismE0ELb0ELb0ES3_PKdPddZZZN2at6native31launch_logcumsumexp_cuda_kernelERKNSB_10TensorBaseESF_lENKUlvE_clEvENKUlvE_clEvEUlddE_dEEDaPvRmT3_T4_T5_mT6_P12ihipStream_tbENKUlT_T0_E_clISt17integral_constantIbLb0EESW_EEDaSR_SS_EUlSR_E_NS1_11comp_targetILNS1_3genE9ELNS1_11target_archE1100ELNS1_3gpuE3ELNS1_3repE0EEENS1_30default_config_static_selectorELNS0_4arch9wavefront6targetE0EEEvT1_,@function
_ZN7rocprim17ROCPRIM_400000_NS6detail17trampoline_kernelINS0_14default_configENS1_20scan_config_selectorIdEEZZNS1_9scan_implILNS1_25lookback_scan_determinismE0ELb0ELb0ES3_PKdPddZZZN2at6native31launch_logcumsumexp_cuda_kernelERKNSB_10TensorBaseESF_lENKUlvE_clEvENKUlvE_clEvEUlddE_dEEDaPvRmT3_T4_T5_mT6_P12ihipStream_tbENKUlT_T0_E_clISt17integral_constantIbLb0EESW_EEDaSR_SS_EUlSR_E_NS1_11comp_targetILNS1_3genE9ELNS1_11target_archE1100ELNS1_3gpuE3ELNS1_3repE0EEENS1_30default_config_static_selectorELNS0_4arch9wavefront6targetE0EEEvT1_: ; @_ZN7rocprim17ROCPRIM_400000_NS6detail17trampoline_kernelINS0_14default_configENS1_20scan_config_selectorIdEEZZNS1_9scan_implILNS1_25lookback_scan_determinismE0ELb0ELb0ES3_PKdPddZZZN2at6native31launch_logcumsumexp_cuda_kernelERKNSB_10TensorBaseESF_lENKUlvE_clEvENKUlvE_clEvEUlddE_dEEDaPvRmT3_T4_T5_mT6_P12ihipStream_tbENKUlT_T0_E_clISt17integral_constantIbLb0EESW_EEDaSR_SS_EUlSR_E_NS1_11comp_targetILNS1_3genE9ELNS1_11target_archE1100ELNS1_3gpuE3ELNS1_3repE0EEENS1_30default_config_static_selectorELNS0_4arch9wavefront6targetE0EEEvT1_
; %bb.0:
	.section	.rodata,"a",@progbits
	.p2align	6, 0x0
	.amdhsa_kernel _ZN7rocprim17ROCPRIM_400000_NS6detail17trampoline_kernelINS0_14default_configENS1_20scan_config_selectorIdEEZZNS1_9scan_implILNS1_25lookback_scan_determinismE0ELb0ELb0ES3_PKdPddZZZN2at6native31launch_logcumsumexp_cuda_kernelERKNSB_10TensorBaseESF_lENKUlvE_clEvENKUlvE_clEvEUlddE_dEEDaPvRmT3_T4_T5_mT6_P12ihipStream_tbENKUlT_T0_E_clISt17integral_constantIbLb0EESW_EEDaSR_SS_EUlSR_E_NS1_11comp_targetILNS1_3genE9ELNS1_11target_archE1100ELNS1_3gpuE3ELNS1_3repE0EEENS1_30default_config_static_selectorELNS0_4arch9wavefront6targetE0EEEvT1_
		.amdhsa_group_segment_fixed_size 0
		.amdhsa_private_segment_fixed_size 0
		.amdhsa_kernarg_size 104
		.amdhsa_user_sgpr_count 2
		.amdhsa_user_sgpr_dispatch_ptr 0
		.amdhsa_user_sgpr_queue_ptr 0
		.amdhsa_user_sgpr_kernarg_segment_ptr 1
		.amdhsa_user_sgpr_dispatch_id 0
		.amdhsa_user_sgpr_private_segment_size 0
		.amdhsa_wavefront_size32 1
		.amdhsa_uses_dynamic_stack 0
		.amdhsa_enable_private_segment 0
		.amdhsa_system_sgpr_workgroup_id_x 1
		.amdhsa_system_sgpr_workgroup_id_y 0
		.amdhsa_system_sgpr_workgroup_id_z 0
		.amdhsa_system_sgpr_workgroup_info 0
		.amdhsa_system_vgpr_workitem_id 0
		.amdhsa_next_free_vgpr 1
		.amdhsa_next_free_sgpr 1
		.amdhsa_reserve_vcc 0
		.amdhsa_float_round_mode_32 0
		.amdhsa_float_round_mode_16_64 0
		.amdhsa_float_denorm_mode_32 3
		.amdhsa_float_denorm_mode_16_64 3
		.amdhsa_fp16_overflow 0
		.amdhsa_workgroup_processor_mode 1
		.amdhsa_memory_ordered 1
		.amdhsa_forward_progress 1
		.amdhsa_inst_pref_size 0
		.amdhsa_round_robin_scheduling 0
		.amdhsa_exception_fp_ieee_invalid_op 0
		.amdhsa_exception_fp_denorm_src 0
		.amdhsa_exception_fp_ieee_div_zero 0
		.amdhsa_exception_fp_ieee_overflow 0
		.amdhsa_exception_fp_ieee_underflow 0
		.amdhsa_exception_fp_ieee_inexact 0
		.amdhsa_exception_int_div_zero 0
	.end_amdhsa_kernel
	.section	.text._ZN7rocprim17ROCPRIM_400000_NS6detail17trampoline_kernelINS0_14default_configENS1_20scan_config_selectorIdEEZZNS1_9scan_implILNS1_25lookback_scan_determinismE0ELb0ELb0ES3_PKdPddZZZN2at6native31launch_logcumsumexp_cuda_kernelERKNSB_10TensorBaseESF_lENKUlvE_clEvENKUlvE_clEvEUlddE_dEEDaPvRmT3_T4_T5_mT6_P12ihipStream_tbENKUlT_T0_E_clISt17integral_constantIbLb0EESW_EEDaSR_SS_EUlSR_E_NS1_11comp_targetILNS1_3genE9ELNS1_11target_archE1100ELNS1_3gpuE3ELNS1_3repE0EEENS1_30default_config_static_selectorELNS0_4arch9wavefront6targetE0EEEvT1_,"axG",@progbits,_ZN7rocprim17ROCPRIM_400000_NS6detail17trampoline_kernelINS0_14default_configENS1_20scan_config_selectorIdEEZZNS1_9scan_implILNS1_25lookback_scan_determinismE0ELb0ELb0ES3_PKdPddZZZN2at6native31launch_logcumsumexp_cuda_kernelERKNSB_10TensorBaseESF_lENKUlvE_clEvENKUlvE_clEvEUlddE_dEEDaPvRmT3_T4_T5_mT6_P12ihipStream_tbENKUlT_T0_E_clISt17integral_constantIbLb0EESW_EEDaSR_SS_EUlSR_E_NS1_11comp_targetILNS1_3genE9ELNS1_11target_archE1100ELNS1_3gpuE3ELNS1_3repE0EEENS1_30default_config_static_selectorELNS0_4arch9wavefront6targetE0EEEvT1_,comdat
.Lfunc_end8:
	.size	_ZN7rocprim17ROCPRIM_400000_NS6detail17trampoline_kernelINS0_14default_configENS1_20scan_config_selectorIdEEZZNS1_9scan_implILNS1_25lookback_scan_determinismE0ELb0ELb0ES3_PKdPddZZZN2at6native31launch_logcumsumexp_cuda_kernelERKNSB_10TensorBaseESF_lENKUlvE_clEvENKUlvE_clEvEUlddE_dEEDaPvRmT3_T4_T5_mT6_P12ihipStream_tbENKUlT_T0_E_clISt17integral_constantIbLb0EESW_EEDaSR_SS_EUlSR_E_NS1_11comp_targetILNS1_3genE9ELNS1_11target_archE1100ELNS1_3gpuE3ELNS1_3repE0EEENS1_30default_config_static_selectorELNS0_4arch9wavefront6targetE0EEEvT1_, .Lfunc_end8-_ZN7rocprim17ROCPRIM_400000_NS6detail17trampoline_kernelINS0_14default_configENS1_20scan_config_selectorIdEEZZNS1_9scan_implILNS1_25lookback_scan_determinismE0ELb0ELb0ES3_PKdPddZZZN2at6native31launch_logcumsumexp_cuda_kernelERKNSB_10TensorBaseESF_lENKUlvE_clEvENKUlvE_clEvEUlddE_dEEDaPvRmT3_T4_T5_mT6_P12ihipStream_tbENKUlT_T0_E_clISt17integral_constantIbLb0EESW_EEDaSR_SS_EUlSR_E_NS1_11comp_targetILNS1_3genE9ELNS1_11target_archE1100ELNS1_3gpuE3ELNS1_3repE0EEENS1_30default_config_static_selectorELNS0_4arch9wavefront6targetE0EEEvT1_
                                        ; -- End function
	.set _ZN7rocprim17ROCPRIM_400000_NS6detail17trampoline_kernelINS0_14default_configENS1_20scan_config_selectorIdEEZZNS1_9scan_implILNS1_25lookback_scan_determinismE0ELb0ELb0ES3_PKdPddZZZN2at6native31launch_logcumsumexp_cuda_kernelERKNSB_10TensorBaseESF_lENKUlvE_clEvENKUlvE_clEvEUlddE_dEEDaPvRmT3_T4_T5_mT6_P12ihipStream_tbENKUlT_T0_E_clISt17integral_constantIbLb0EESW_EEDaSR_SS_EUlSR_E_NS1_11comp_targetILNS1_3genE9ELNS1_11target_archE1100ELNS1_3gpuE3ELNS1_3repE0EEENS1_30default_config_static_selectorELNS0_4arch9wavefront6targetE0EEEvT1_.num_vgpr, 0
	.set _ZN7rocprim17ROCPRIM_400000_NS6detail17trampoline_kernelINS0_14default_configENS1_20scan_config_selectorIdEEZZNS1_9scan_implILNS1_25lookback_scan_determinismE0ELb0ELb0ES3_PKdPddZZZN2at6native31launch_logcumsumexp_cuda_kernelERKNSB_10TensorBaseESF_lENKUlvE_clEvENKUlvE_clEvEUlddE_dEEDaPvRmT3_T4_T5_mT6_P12ihipStream_tbENKUlT_T0_E_clISt17integral_constantIbLb0EESW_EEDaSR_SS_EUlSR_E_NS1_11comp_targetILNS1_3genE9ELNS1_11target_archE1100ELNS1_3gpuE3ELNS1_3repE0EEENS1_30default_config_static_selectorELNS0_4arch9wavefront6targetE0EEEvT1_.num_agpr, 0
	.set _ZN7rocprim17ROCPRIM_400000_NS6detail17trampoline_kernelINS0_14default_configENS1_20scan_config_selectorIdEEZZNS1_9scan_implILNS1_25lookback_scan_determinismE0ELb0ELb0ES3_PKdPddZZZN2at6native31launch_logcumsumexp_cuda_kernelERKNSB_10TensorBaseESF_lENKUlvE_clEvENKUlvE_clEvEUlddE_dEEDaPvRmT3_T4_T5_mT6_P12ihipStream_tbENKUlT_T0_E_clISt17integral_constantIbLb0EESW_EEDaSR_SS_EUlSR_E_NS1_11comp_targetILNS1_3genE9ELNS1_11target_archE1100ELNS1_3gpuE3ELNS1_3repE0EEENS1_30default_config_static_selectorELNS0_4arch9wavefront6targetE0EEEvT1_.numbered_sgpr, 0
	.set _ZN7rocprim17ROCPRIM_400000_NS6detail17trampoline_kernelINS0_14default_configENS1_20scan_config_selectorIdEEZZNS1_9scan_implILNS1_25lookback_scan_determinismE0ELb0ELb0ES3_PKdPddZZZN2at6native31launch_logcumsumexp_cuda_kernelERKNSB_10TensorBaseESF_lENKUlvE_clEvENKUlvE_clEvEUlddE_dEEDaPvRmT3_T4_T5_mT6_P12ihipStream_tbENKUlT_T0_E_clISt17integral_constantIbLb0EESW_EEDaSR_SS_EUlSR_E_NS1_11comp_targetILNS1_3genE9ELNS1_11target_archE1100ELNS1_3gpuE3ELNS1_3repE0EEENS1_30default_config_static_selectorELNS0_4arch9wavefront6targetE0EEEvT1_.num_named_barrier, 0
	.set _ZN7rocprim17ROCPRIM_400000_NS6detail17trampoline_kernelINS0_14default_configENS1_20scan_config_selectorIdEEZZNS1_9scan_implILNS1_25lookback_scan_determinismE0ELb0ELb0ES3_PKdPddZZZN2at6native31launch_logcumsumexp_cuda_kernelERKNSB_10TensorBaseESF_lENKUlvE_clEvENKUlvE_clEvEUlddE_dEEDaPvRmT3_T4_T5_mT6_P12ihipStream_tbENKUlT_T0_E_clISt17integral_constantIbLb0EESW_EEDaSR_SS_EUlSR_E_NS1_11comp_targetILNS1_3genE9ELNS1_11target_archE1100ELNS1_3gpuE3ELNS1_3repE0EEENS1_30default_config_static_selectorELNS0_4arch9wavefront6targetE0EEEvT1_.private_seg_size, 0
	.set _ZN7rocprim17ROCPRIM_400000_NS6detail17trampoline_kernelINS0_14default_configENS1_20scan_config_selectorIdEEZZNS1_9scan_implILNS1_25lookback_scan_determinismE0ELb0ELb0ES3_PKdPddZZZN2at6native31launch_logcumsumexp_cuda_kernelERKNSB_10TensorBaseESF_lENKUlvE_clEvENKUlvE_clEvEUlddE_dEEDaPvRmT3_T4_T5_mT6_P12ihipStream_tbENKUlT_T0_E_clISt17integral_constantIbLb0EESW_EEDaSR_SS_EUlSR_E_NS1_11comp_targetILNS1_3genE9ELNS1_11target_archE1100ELNS1_3gpuE3ELNS1_3repE0EEENS1_30default_config_static_selectorELNS0_4arch9wavefront6targetE0EEEvT1_.uses_vcc, 0
	.set _ZN7rocprim17ROCPRIM_400000_NS6detail17trampoline_kernelINS0_14default_configENS1_20scan_config_selectorIdEEZZNS1_9scan_implILNS1_25lookback_scan_determinismE0ELb0ELb0ES3_PKdPddZZZN2at6native31launch_logcumsumexp_cuda_kernelERKNSB_10TensorBaseESF_lENKUlvE_clEvENKUlvE_clEvEUlddE_dEEDaPvRmT3_T4_T5_mT6_P12ihipStream_tbENKUlT_T0_E_clISt17integral_constantIbLb0EESW_EEDaSR_SS_EUlSR_E_NS1_11comp_targetILNS1_3genE9ELNS1_11target_archE1100ELNS1_3gpuE3ELNS1_3repE0EEENS1_30default_config_static_selectorELNS0_4arch9wavefront6targetE0EEEvT1_.uses_flat_scratch, 0
	.set _ZN7rocprim17ROCPRIM_400000_NS6detail17trampoline_kernelINS0_14default_configENS1_20scan_config_selectorIdEEZZNS1_9scan_implILNS1_25lookback_scan_determinismE0ELb0ELb0ES3_PKdPddZZZN2at6native31launch_logcumsumexp_cuda_kernelERKNSB_10TensorBaseESF_lENKUlvE_clEvENKUlvE_clEvEUlddE_dEEDaPvRmT3_T4_T5_mT6_P12ihipStream_tbENKUlT_T0_E_clISt17integral_constantIbLb0EESW_EEDaSR_SS_EUlSR_E_NS1_11comp_targetILNS1_3genE9ELNS1_11target_archE1100ELNS1_3gpuE3ELNS1_3repE0EEENS1_30default_config_static_selectorELNS0_4arch9wavefront6targetE0EEEvT1_.has_dyn_sized_stack, 0
	.set _ZN7rocprim17ROCPRIM_400000_NS6detail17trampoline_kernelINS0_14default_configENS1_20scan_config_selectorIdEEZZNS1_9scan_implILNS1_25lookback_scan_determinismE0ELb0ELb0ES3_PKdPddZZZN2at6native31launch_logcumsumexp_cuda_kernelERKNSB_10TensorBaseESF_lENKUlvE_clEvENKUlvE_clEvEUlddE_dEEDaPvRmT3_T4_T5_mT6_P12ihipStream_tbENKUlT_T0_E_clISt17integral_constantIbLb0EESW_EEDaSR_SS_EUlSR_E_NS1_11comp_targetILNS1_3genE9ELNS1_11target_archE1100ELNS1_3gpuE3ELNS1_3repE0EEENS1_30default_config_static_selectorELNS0_4arch9wavefront6targetE0EEEvT1_.has_recursion, 0
	.set _ZN7rocprim17ROCPRIM_400000_NS6detail17trampoline_kernelINS0_14default_configENS1_20scan_config_selectorIdEEZZNS1_9scan_implILNS1_25lookback_scan_determinismE0ELb0ELb0ES3_PKdPddZZZN2at6native31launch_logcumsumexp_cuda_kernelERKNSB_10TensorBaseESF_lENKUlvE_clEvENKUlvE_clEvEUlddE_dEEDaPvRmT3_T4_T5_mT6_P12ihipStream_tbENKUlT_T0_E_clISt17integral_constantIbLb0EESW_EEDaSR_SS_EUlSR_E_NS1_11comp_targetILNS1_3genE9ELNS1_11target_archE1100ELNS1_3gpuE3ELNS1_3repE0EEENS1_30default_config_static_selectorELNS0_4arch9wavefront6targetE0EEEvT1_.has_indirect_call, 0
	.section	.AMDGPU.csdata,"",@progbits
; Kernel info:
; codeLenInByte = 0
; TotalNumSgprs: 0
; NumVgprs: 0
; ScratchSize: 0
; MemoryBound: 0
; FloatMode: 240
; IeeeMode: 1
; LDSByteSize: 0 bytes/workgroup (compile time only)
; SGPRBlocks: 0
; VGPRBlocks: 0
; NumSGPRsForWavesPerEU: 1
; NumVGPRsForWavesPerEU: 1
; Occupancy: 16
; WaveLimiterHint : 0
; COMPUTE_PGM_RSRC2:SCRATCH_EN: 0
; COMPUTE_PGM_RSRC2:USER_SGPR: 2
; COMPUTE_PGM_RSRC2:TRAP_HANDLER: 0
; COMPUTE_PGM_RSRC2:TGID_X_EN: 1
; COMPUTE_PGM_RSRC2:TGID_Y_EN: 0
; COMPUTE_PGM_RSRC2:TGID_Z_EN: 0
; COMPUTE_PGM_RSRC2:TIDIG_COMP_CNT: 0
	.section	.text._ZN7rocprim17ROCPRIM_400000_NS6detail17trampoline_kernelINS0_14default_configENS1_20scan_config_selectorIdEEZZNS1_9scan_implILNS1_25lookback_scan_determinismE0ELb0ELb0ES3_PKdPddZZZN2at6native31launch_logcumsumexp_cuda_kernelERKNSB_10TensorBaseESF_lENKUlvE_clEvENKUlvE_clEvEUlddE_dEEDaPvRmT3_T4_T5_mT6_P12ihipStream_tbENKUlT_T0_E_clISt17integral_constantIbLb0EESW_EEDaSR_SS_EUlSR_E_NS1_11comp_targetILNS1_3genE8ELNS1_11target_archE1030ELNS1_3gpuE2ELNS1_3repE0EEENS1_30default_config_static_selectorELNS0_4arch9wavefront6targetE0EEEvT1_,"axG",@progbits,_ZN7rocprim17ROCPRIM_400000_NS6detail17trampoline_kernelINS0_14default_configENS1_20scan_config_selectorIdEEZZNS1_9scan_implILNS1_25lookback_scan_determinismE0ELb0ELb0ES3_PKdPddZZZN2at6native31launch_logcumsumexp_cuda_kernelERKNSB_10TensorBaseESF_lENKUlvE_clEvENKUlvE_clEvEUlddE_dEEDaPvRmT3_T4_T5_mT6_P12ihipStream_tbENKUlT_T0_E_clISt17integral_constantIbLb0EESW_EEDaSR_SS_EUlSR_E_NS1_11comp_targetILNS1_3genE8ELNS1_11target_archE1030ELNS1_3gpuE2ELNS1_3repE0EEENS1_30default_config_static_selectorELNS0_4arch9wavefront6targetE0EEEvT1_,comdat
	.globl	_ZN7rocprim17ROCPRIM_400000_NS6detail17trampoline_kernelINS0_14default_configENS1_20scan_config_selectorIdEEZZNS1_9scan_implILNS1_25lookback_scan_determinismE0ELb0ELb0ES3_PKdPddZZZN2at6native31launch_logcumsumexp_cuda_kernelERKNSB_10TensorBaseESF_lENKUlvE_clEvENKUlvE_clEvEUlddE_dEEDaPvRmT3_T4_T5_mT6_P12ihipStream_tbENKUlT_T0_E_clISt17integral_constantIbLb0EESW_EEDaSR_SS_EUlSR_E_NS1_11comp_targetILNS1_3genE8ELNS1_11target_archE1030ELNS1_3gpuE2ELNS1_3repE0EEENS1_30default_config_static_selectorELNS0_4arch9wavefront6targetE0EEEvT1_ ; -- Begin function _ZN7rocprim17ROCPRIM_400000_NS6detail17trampoline_kernelINS0_14default_configENS1_20scan_config_selectorIdEEZZNS1_9scan_implILNS1_25lookback_scan_determinismE0ELb0ELb0ES3_PKdPddZZZN2at6native31launch_logcumsumexp_cuda_kernelERKNSB_10TensorBaseESF_lENKUlvE_clEvENKUlvE_clEvEUlddE_dEEDaPvRmT3_T4_T5_mT6_P12ihipStream_tbENKUlT_T0_E_clISt17integral_constantIbLb0EESW_EEDaSR_SS_EUlSR_E_NS1_11comp_targetILNS1_3genE8ELNS1_11target_archE1030ELNS1_3gpuE2ELNS1_3repE0EEENS1_30default_config_static_selectorELNS0_4arch9wavefront6targetE0EEEvT1_
	.p2align	8
	.type	_ZN7rocprim17ROCPRIM_400000_NS6detail17trampoline_kernelINS0_14default_configENS1_20scan_config_selectorIdEEZZNS1_9scan_implILNS1_25lookback_scan_determinismE0ELb0ELb0ES3_PKdPddZZZN2at6native31launch_logcumsumexp_cuda_kernelERKNSB_10TensorBaseESF_lENKUlvE_clEvENKUlvE_clEvEUlddE_dEEDaPvRmT3_T4_T5_mT6_P12ihipStream_tbENKUlT_T0_E_clISt17integral_constantIbLb0EESW_EEDaSR_SS_EUlSR_E_NS1_11comp_targetILNS1_3genE8ELNS1_11target_archE1030ELNS1_3gpuE2ELNS1_3repE0EEENS1_30default_config_static_selectorELNS0_4arch9wavefront6targetE0EEEvT1_,@function
_ZN7rocprim17ROCPRIM_400000_NS6detail17trampoline_kernelINS0_14default_configENS1_20scan_config_selectorIdEEZZNS1_9scan_implILNS1_25lookback_scan_determinismE0ELb0ELb0ES3_PKdPddZZZN2at6native31launch_logcumsumexp_cuda_kernelERKNSB_10TensorBaseESF_lENKUlvE_clEvENKUlvE_clEvEUlddE_dEEDaPvRmT3_T4_T5_mT6_P12ihipStream_tbENKUlT_T0_E_clISt17integral_constantIbLb0EESW_EEDaSR_SS_EUlSR_E_NS1_11comp_targetILNS1_3genE8ELNS1_11target_archE1030ELNS1_3gpuE2ELNS1_3repE0EEENS1_30default_config_static_selectorELNS0_4arch9wavefront6targetE0EEEvT1_: ; @_ZN7rocprim17ROCPRIM_400000_NS6detail17trampoline_kernelINS0_14default_configENS1_20scan_config_selectorIdEEZZNS1_9scan_implILNS1_25lookback_scan_determinismE0ELb0ELb0ES3_PKdPddZZZN2at6native31launch_logcumsumexp_cuda_kernelERKNSB_10TensorBaseESF_lENKUlvE_clEvENKUlvE_clEvEUlddE_dEEDaPvRmT3_T4_T5_mT6_P12ihipStream_tbENKUlT_T0_E_clISt17integral_constantIbLb0EESW_EEDaSR_SS_EUlSR_E_NS1_11comp_targetILNS1_3genE8ELNS1_11target_archE1030ELNS1_3gpuE2ELNS1_3repE0EEENS1_30default_config_static_selectorELNS0_4arch9wavefront6targetE0EEEvT1_
; %bb.0:
	.section	.rodata,"a",@progbits
	.p2align	6, 0x0
	.amdhsa_kernel _ZN7rocprim17ROCPRIM_400000_NS6detail17trampoline_kernelINS0_14default_configENS1_20scan_config_selectorIdEEZZNS1_9scan_implILNS1_25lookback_scan_determinismE0ELb0ELb0ES3_PKdPddZZZN2at6native31launch_logcumsumexp_cuda_kernelERKNSB_10TensorBaseESF_lENKUlvE_clEvENKUlvE_clEvEUlddE_dEEDaPvRmT3_T4_T5_mT6_P12ihipStream_tbENKUlT_T0_E_clISt17integral_constantIbLb0EESW_EEDaSR_SS_EUlSR_E_NS1_11comp_targetILNS1_3genE8ELNS1_11target_archE1030ELNS1_3gpuE2ELNS1_3repE0EEENS1_30default_config_static_selectorELNS0_4arch9wavefront6targetE0EEEvT1_
		.amdhsa_group_segment_fixed_size 0
		.amdhsa_private_segment_fixed_size 0
		.amdhsa_kernarg_size 104
		.amdhsa_user_sgpr_count 2
		.amdhsa_user_sgpr_dispatch_ptr 0
		.amdhsa_user_sgpr_queue_ptr 0
		.amdhsa_user_sgpr_kernarg_segment_ptr 1
		.amdhsa_user_sgpr_dispatch_id 0
		.amdhsa_user_sgpr_private_segment_size 0
		.amdhsa_wavefront_size32 1
		.amdhsa_uses_dynamic_stack 0
		.amdhsa_enable_private_segment 0
		.amdhsa_system_sgpr_workgroup_id_x 1
		.amdhsa_system_sgpr_workgroup_id_y 0
		.amdhsa_system_sgpr_workgroup_id_z 0
		.amdhsa_system_sgpr_workgroup_info 0
		.amdhsa_system_vgpr_workitem_id 0
		.amdhsa_next_free_vgpr 1
		.amdhsa_next_free_sgpr 1
		.amdhsa_reserve_vcc 0
		.amdhsa_float_round_mode_32 0
		.amdhsa_float_round_mode_16_64 0
		.amdhsa_float_denorm_mode_32 3
		.amdhsa_float_denorm_mode_16_64 3
		.amdhsa_fp16_overflow 0
		.amdhsa_workgroup_processor_mode 1
		.amdhsa_memory_ordered 1
		.amdhsa_forward_progress 1
		.amdhsa_inst_pref_size 0
		.amdhsa_round_robin_scheduling 0
		.amdhsa_exception_fp_ieee_invalid_op 0
		.amdhsa_exception_fp_denorm_src 0
		.amdhsa_exception_fp_ieee_div_zero 0
		.amdhsa_exception_fp_ieee_overflow 0
		.amdhsa_exception_fp_ieee_underflow 0
		.amdhsa_exception_fp_ieee_inexact 0
		.amdhsa_exception_int_div_zero 0
	.end_amdhsa_kernel
	.section	.text._ZN7rocprim17ROCPRIM_400000_NS6detail17trampoline_kernelINS0_14default_configENS1_20scan_config_selectorIdEEZZNS1_9scan_implILNS1_25lookback_scan_determinismE0ELb0ELb0ES3_PKdPddZZZN2at6native31launch_logcumsumexp_cuda_kernelERKNSB_10TensorBaseESF_lENKUlvE_clEvENKUlvE_clEvEUlddE_dEEDaPvRmT3_T4_T5_mT6_P12ihipStream_tbENKUlT_T0_E_clISt17integral_constantIbLb0EESW_EEDaSR_SS_EUlSR_E_NS1_11comp_targetILNS1_3genE8ELNS1_11target_archE1030ELNS1_3gpuE2ELNS1_3repE0EEENS1_30default_config_static_selectorELNS0_4arch9wavefront6targetE0EEEvT1_,"axG",@progbits,_ZN7rocprim17ROCPRIM_400000_NS6detail17trampoline_kernelINS0_14default_configENS1_20scan_config_selectorIdEEZZNS1_9scan_implILNS1_25lookback_scan_determinismE0ELb0ELb0ES3_PKdPddZZZN2at6native31launch_logcumsumexp_cuda_kernelERKNSB_10TensorBaseESF_lENKUlvE_clEvENKUlvE_clEvEUlddE_dEEDaPvRmT3_T4_T5_mT6_P12ihipStream_tbENKUlT_T0_E_clISt17integral_constantIbLb0EESW_EEDaSR_SS_EUlSR_E_NS1_11comp_targetILNS1_3genE8ELNS1_11target_archE1030ELNS1_3gpuE2ELNS1_3repE0EEENS1_30default_config_static_selectorELNS0_4arch9wavefront6targetE0EEEvT1_,comdat
.Lfunc_end9:
	.size	_ZN7rocprim17ROCPRIM_400000_NS6detail17trampoline_kernelINS0_14default_configENS1_20scan_config_selectorIdEEZZNS1_9scan_implILNS1_25lookback_scan_determinismE0ELb0ELb0ES3_PKdPddZZZN2at6native31launch_logcumsumexp_cuda_kernelERKNSB_10TensorBaseESF_lENKUlvE_clEvENKUlvE_clEvEUlddE_dEEDaPvRmT3_T4_T5_mT6_P12ihipStream_tbENKUlT_T0_E_clISt17integral_constantIbLb0EESW_EEDaSR_SS_EUlSR_E_NS1_11comp_targetILNS1_3genE8ELNS1_11target_archE1030ELNS1_3gpuE2ELNS1_3repE0EEENS1_30default_config_static_selectorELNS0_4arch9wavefront6targetE0EEEvT1_, .Lfunc_end9-_ZN7rocprim17ROCPRIM_400000_NS6detail17trampoline_kernelINS0_14default_configENS1_20scan_config_selectorIdEEZZNS1_9scan_implILNS1_25lookback_scan_determinismE0ELb0ELb0ES3_PKdPddZZZN2at6native31launch_logcumsumexp_cuda_kernelERKNSB_10TensorBaseESF_lENKUlvE_clEvENKUlvE_clEvEUlddE_dEEDaPvRmT3_T4_T5_mT6_P12ihipStream_tbENKUlT_T0_E_clISt17integral_constantIbLb0EESW_EEDaSR_SS_EUlSR_E_NS1_11comp_targetILNS1_3genE8ELNS1_11target_archE1030ELNS1_3gpuE2ELNS1_3repE0EEENS1_30default_config_static_selectorELNS0_4arch9wavefront6targetE0EEEvT1_
                                        ; -- End function
	.set _ZN7rocprim17ROCPRIM_400000_NS6detail17trampoline_kernelINS0_14default_configENS1_20scan_config_selectorIdEEZZNS1_9scan_implILNS1_25lookback_scan_determinismE0ELb0ELb0ES3_PKdPddZZZN2at6native31launch_logcumsumexp_cuda_kernelERKNSB_10TensorBaseESF_lENKUlvE_clEvENKUlvE_clEvEUlddE_dEEDaPvRmT3_T4_T5_mT6_P12ihipStream_tbENKUlT_T0_E_clISt17integral_constantIbLb0EESW_EEDaSR_SS_EUlSR_E_NS1_11comp_targetILNS1_3genE8ELNS1_11target_archE1030ELNS1_3gpuE2ELNS1_3repE0EEENS1_30default_config_static_selectorELNS0_4arch9wavefront6targetE0EEEvT1_.num_vgpr, 0
	.set _ZN7rocprim17ROCPRIM_400000_NS6detail17trampoline_kernelINS0_14default_configENS1_20scan_config_selectorIdEEZZNS1_9scan_implILNS1_25lookback_scan_determinismE0ELb0ELb0ES3_PKdPddZZZN2at6native31launch_logcumsumexp_cuda_kernelERKNSB_10TensorBaseESF_lENKUlvE_clEvENKUlvE_clEvEUlddE_dEEDaPvRmT3_T4_T5_mT6_P12ihipStream_tbENKUlT_T0_E_clISt17integral_constantIbLb0EESW_EEDaSR_SS_EUlSR_E_NS1_11comp_targetILNS1_3genE8ELNS1_11target_archE1030ELNS1_3gpuE2ELNS1_3repE0EEENS1_30default_config_static_selectorELNS0_4arch9wavefront6targetE0EEEvT1_.num_agpr, 0
	.set _ZN7rocprim17ROCPRIM_400000_NS6detail17trampoline_kernelINS0_14default_configENS1_20scan_config_selectorIdEEZZNS1_9scan_implILNS1_25lookback_scan_determinismE0ELb0ELb0ES3_PKdPddZZZN2at6native31launch_logcumsumexp_cuda_kernelERKNSB_10TensorBaseESF_lENKUlvE_clEvENKUlvE_clEvEUlddE_dEEDaPvRmT3_T4_T5_mT6_P12ihipStream_tbENKUlT_T0_E_clISt17integral_constantIbLb0EESW_EEDaSR_SS_EUlSR_E_NS1_11comp_targetILNS1_3genE8ELNS1_11target_archE1030ELNS1_3gpuE2ELNS1_3repE0EEENS1_30default_config_static_selectorELNS0_4arch9wavefront6targetE0EEEvT1_.numbered_sgpr, 0
	.set _ZN7rocprim17ROCPRIM_400000_NS6detail17trampoline_kernelINS0_14default_configENS1_20scan_config_selectorIdEEZZNS1_9scan_implILNS1_25lookback_scan_determinismE0ELb0ELb0ES3_PKdPddZZZN2at6native31launch_logcumsumexp_cuda_kernelERKNSB_10TensorBaseESF_lENKUlvE_clEvENKUlvE_clEvEUlddE_dEEDaPvRmT3_T4_T5_mT6_P12ihipStream_tbENKUlT_T0_E_clISt17integral_constantIbLb0EESW_EEDaSR_SS_EUlSR_E_NS1_11comp_targetILNS1_3genE8ELNS1_11target_archE1030ELNS1_3gpuE2ELNS1_3repE0EEENS1_30default_config_static_selectorELNS0_4arch9wavefront6targetE0EEEvT1_.num_named_barrier, 0
	.set _ZN7rocprim17ROCPRIM_400000_NS6detail17trampoline_kernelINS0_14default_configENS1_20scan_config_selectorIdEEZZNS1_9scan_implILNS1_25lookback_scan_determinismE0ELb0ELb0ES3_PKdPddZZZN2at6native31launch_logcumsumexp_cuda_kernelERKNSB_10TensorBaseESF_lENKUlvE_clEvENKUlvE_clEvEUlddE_dEEDaPvRmT3_T4_T5_mT6_P12ihipStream_tbENKUlT_T0_E_clISt17integral_constantIbLb0EESW_EEDaSR_SS_EUlSR_E_NS1_11comp_targetILNS1_3genE8ELNS1_11target_archE1030ELNS1_3gpuE2ELNS1_3repE0EEENS1_30default_config_static_selectorELNS0_4arch9wavefront6targetE0EEEvT1_.private_seg_size, 0
	.set _ZN7rocprim17ROCPRIM_400000_NS6detail17trampoline_kernelINS0_14default_configENS1_20scan_config_selectorIdEEZZNS1_9scan_implILNS1_25lookback_scan_determinismE0ELb0ELb0ES3_PKdPddZZZN2at6native31launch_logcumsumexp_cuda_kernelERKNSB_10TensorBaseESF_lENKUlvE_clEvENKUlvE_clEvEUlddE_dEEDaPvRmT3_T4_T5_mT6_P12ihipStream_tbENKUlT_T0_E_clISt17integral_constantIbLb0EESW_EEDaSR_SS_EUlSR_E_NS1_11comp_targetILNS1_3genE8ELNS1_11target_archE1030ELNS1_3gpuE2ELNS1_3repE0EEENS1_30default_config_static_selectorELNS0_4arch9wavefront6targetE0EEEvT1_.uses_vcc, 0
	.set _ZN7rocprim17ROCPRIM_400000_NS6detail17trampoline_kernelINS0_14default_configENS1_20scan_config_selectorIdEEZZNS1_9scan_implILNS1_25lookback_scan_determinismE0ELb0ELb0ES3_PKdPddZZZN2at6native31launch_logcumsumexp_cuda_kernelERKNSB_10TensorBaseESF_lENKUlvE_clEvENKUlvE_clEvEUlddE_dEEDaPvRmT3_T4_T5_mT6_P12ihipStream_tbENKUlT_T0_E_clISt17integral_constantIbLb0EESW_EEDaSR_SS_EUlSR_E_NS1_11comp_targetILNS1_3genE8ELNS1_11target_archE1030ELNS1_3gpuE2ELNS1_3repE0EEENS1_30default_config_static_selectorELNS0_4arch9wavefront6targetE0EEEvT1_.uses_flat_scratch, 0
	.set _ZN7rocprim17ROCPRIM_400000_NS6detail17trampoline_kernelINS0_14default_configENS1_20scan_config_selectorIdEEZZNS1_9scan_implILNS1_25lookback_scan_determinismE0ELb0ELb0ES3_PKdPddZZZN2at6native31launch_logcumsumexp_cuda_kernelERKNSB_10TensorBaseESF_lENKUlvE_clEvENKUlvE_clEvEUlddE_dEEDaPvRmT3_T4_T5_mT6_P12ihipStream_tbENKUlT_T0_E_clISt17integral_constantIbLb0EESW_EEDaSR_SS_EUlSR_E_NS1_11comp_targetILNS1_3genE8ELNS1_11target_archE1030ELNS1_3gpuE2ELNS1_3repE0EEENS1_30default_config_static_selectorELNS0_4arch9wavefront6targetE0EEEvT1_.has_dyn_sized_stack, 0
	.set _ZN7rocprim17ROCPRIM_400000_NS6detail17trampoline_kernelINS0_14default_configENS1_20scan_config_selectorIdEEZZNS1_9scan_implILNS1_25lookback_scan_determinismE0ELb0ELb0ES3_PKdPddZZZN2at6native31launch_logcumsumexp_cuda_kernelERKNSB_10TensorBaseESF_lENKUlvE_clEvENKUlvE_clEvEUlddE_dEEDaPvRmT3_T4_T5_mT6_P12ihipStream_tbENKUlT_T0_E_clISt17integral_constantIbLb0EESW_EEDaSR_SS_EUlSR_E_NS1_11comp_targetILNS1_3genE8ELNS1_11target_archE1030ELNS1_3gpuE2ELNS1_3repE0EEENS1_30default_config_static_selectorELNS0_4arch9wavefront6targetE0EEEvT1_.has_recursion, 0
	.set _ZN7rocprim17ROCPRIM_400000_NS6detail17trampoline_kernelINS0_14default_configENS1_20scan_config_selectorIdEEZZNS1_9scan_implILNS1_25lookback_scan_determinismE0ELb0ELb0ES3_PKdPddZZZN2at6native31launch_logcumsumexp_cuda_kernelERKNSB_10TensorBaseESF_lENKUlvE_clEvENKUlvE_clEvEUlddE_dEEDaPvRmT3_T4_T5_mT6_P12ihipStream_tbENKUlT_T0_E_clISt17integral_constantIbLb0EESW_EEDaSR_SS_EUlSR_E_NS1_11comp_targetILNS1_3genE8ELNS1_11target_archE1030ELNS1_3gpuE2ELNS1_3repE0EEENS1_30default_config_static_selectorELNS0_4arch9wavefront6targetE0EEEvT1_.has_indirect_call, 0
	.section	.AMDGPU.csdata,"",@progbits
; Kernel info:
; codeLenInByte = 0
; TotalNumSgprs: 0
; NumVgprs: 0
; ScratchSize: 0
; MemoryBound: 0
; FloatMode: 240
; IeeeMode: 1
; LDSByteSize: 0 bytes/workgroup (compile time only)
; SGPRBlocks: 0
; VGPRBlocks: 0
; NumSGPRsForWavesPerEU: 1
; NumVGPRsForWavesPerEU: 1
; Occupancy: 16
; WaveLimiterHint : 0
; COMPUTE_PGM_RSRC2:SCRATCH_EN: 0
; COMPUTE_PGM_RSRC2:USER_SGPR: 2
; COMPUTE_PGM_RSRC2:TRAP_HANDLER: 0
; COMPUTE_PGM_RSRC2:TGID_X_EN: 1
; COMPUTE_PGM_RSRC2:TGID_Y_EN: 0
; COMPUTE_PGM_RSRC2:TGID_Z_EN: 0
; COMPUTE_PGM_RSRC2:TIDIG_COMP_CNT: 0
	.section	.text._ZN7rocprim17ROCPRIM_400000_NS6detail17trampoline_kernelINS0_14default_configENS1_25transform_config_selectorIdLb1EEEZNS1_14transform_implILb1ES3_S5_PdS7_NS0_8identityIdEEEE10hipError_tT2_T3_mT4_P12ihipStream_tbEUlT_E_NS1_11comp_targetILNS1_3genE0ELNS1_11target_archE4294967295ELNS1_3gpuE0ELNS1_3repE0EEENS1_30default_config_static_selectorELNS0_4arch9wavefront6targetE0EEEvT1_,"axG",@progbits,_ZN7rocprim17ROCPRIM_400000_NS6detail17trampoline_kernelINS0_14default_configENS1_25transform_config_selectorIdLb1EEEZNS1_14transform_implILb1ES3_S5_PdS7_NS0_8identityIdEEEE10hipError_tT2_T3_mT4_P12ihipStream_tbEUlT_E_NS1_11comp_targetILNS1_3genE0ELNS1_11target_archE4294967295ELNS1_3gpuE0ELNS1_3repE0EEENS1_30default_config_static_selectorELNS0_4arch9wavefront6targetE0EEEvT1_,comdat
	.protected	_ZN7rocprim17ROCPRIM_400000_NS6detail17trampoline_kernelINS0_14default_configENS1_25transform_config_selectorIdLb1EEEZNS1_14transform_implILb1ES3_S5_PdS7_NS0_8identityIdEEEE10hipError_tT2_T3_mT4_P12ihipStream_tbEUlT_E_NS1_11comp_targetILNS1_3genE0ELNS1_11target_archE4294967295ELNS1_3gpuE0ELNS1_3repE0EEENS1_30default_config_static_selectorELNS0_4arch9wavefront6targetE0EEEvT1_ ; -- Begin function _ZN7rocprim17ROCPRIM_400000_NS6detail17trampoline_kernelINS0_14default_configENS1_25transform_config_selectorIdLb1EEEZNS1_14transform_implILb1ES3_S5_PdS7_NS0_8identityIdEEEE10hipError_tT2_T3_mT4_P12ihipStream_tbEUlT_E_NS1_11comp_targetILNS1_3genE0ELNS1_11target_archE4294967295ELNS1_3gpuE0ELNS1_3repE0EEENS1_30default_config_static_selectorELNS0_4arch9wavefront6targetE0EEEvT1_
	.globl	_ZN7rocprim17ROCPRIM_400000_NS6detail17trampoline_kernelINS0_14default_configENS1_25transform_config_selectorIdLb1EEEZNS1_14transform_implILb1ES3_S5_PdS7_NS0_8identityIdEEEE10hipError_tT2_T3_mT4_P12ihipStream_tbEUlT_E_NS1_11comp_targetILNS1_3genE0ELNS1_11target_archE4294967295ELNS1_3gpuE0ELNS1_3repE0EEENS1_30default_config_static_selectorELNS0_4arch9wavefront6targetE0EEEvT1_
	.p2align	8
	.type	_ZN7rocprim17ROCPRIM_400000_NS6detail17trampoline_kernelINS0_14default_configENS1_25transform_config_selectorIdLb1EEEZNS1_14transform_implILb1ES3_S5_PdS7_NS0_8identityIdEEEE10hipError_tT2_T3_mT4_P12ihipStream_tbEUlT_E_NS1_11comp_targetILNS1_3genE0ELNS1_11target_archE4294967295ELNS1_3gpuE0ELNS1_3repE0EEENS1_30default_config_static_selectorELNS0_4arch9wavefront6targetE0EEEvT1_,@function
_ZN7rocprim17ROCPRIM_400000_NS6detail17trampoline_kernelINS0_14default_configENS1_25transform_config_selectorIdLb1EEEZNS1_14transform_implILb1ES3_S5_PdS7_NS0_8identityIdEEEE10hipError_tT2_T3_mT4_P12ihipStream_tbEUlT_E_NS1_11comp_targetILNS1_3genE0ELNS1_11target_archE4294967295ELNS1_3gpuE0ELNS1_3repE0EEENS1_30default_config_static_selectorELNS0_4arch9wavefront6targetE0EEEvT1_: ; @_ZN7rocprim17ROCPRIM_400000_NS6detail17trampoline_kernelINS0_14default_configENS1_25transform_config_selectorIdLb1EEEZNS1_14transform_implILb1ES3_S5_PdS7_NS0_8identityIdEEEE10hipError_tT2_T3_mT4_P12ihipStream_tbEUlT_E_NS1_11comp_targetILNS1_3genE0ELNS1_11target_archE4294967295ELNS1_3gpuE0ELNS1_3repE0EEENS1_30default_config_static_selectorELNS0_4arch9wavefront6targetE0EEEvT1_
; %bb.0:
	.section	.rodata,"a",@progbits
	.p2align	6, 0x0
	.amdhsa_kernel _ZN7rocprim17ROCPRIM_400000_NS6detail17trampoline_kernelINS0_14default_configENS1_25transform_config_selectorIdLb1EEEZNS1_14transform_implILb1ES3_S5_PdS7_NS0_8identityIdEEEE10hipError_tT2_T3_mT4_P12ihipStream_tbEUlT_E_NS1_11comp_targetILNS1_3genE0ELNS1_11target_archE4294967295ELNS1_3gpuE0ELNS1_3repE0EEENS1_30default_config_static_selectorELNS0_4arch9wavefront6targetE0EEEvT1_
		.amdhsa_group_segment_fixed_size 0
		.amdhsa_private_segment_fixed_size 0
		.amdhsa_kernarg_size 40
		.amdhsa_user_sgpr_count 2
		.amdhsa_user_sgpr_dispatch_ptr 0
		.amdhsa_user_sgpr_queue_ptr 0
		.amdhsa_user_sgpr_kernarg_segment_ptr 1
		.amdhsa_user_sgpr_dispatch_id 0
		.amdhsa_user_sgpr_private_segment_size 0
		.amdhsa_wavefront_size32 1
		.amdhsa_uses_dynamic_stack 0
		.amdhsa_enable_private_segment 0
		.amdhsa_system_sgpr_workgroup_id_x 1
		.amdhsa_system_sgpr_workgroup_id_y 0
		.amdhsa_system_sgpr_workgroup_id_z 0
		.amdhsa_system_sgpr_workgroup_info 0
		.amdhsa_system_vgpr_workitem_id 0
		.amdhsa_next_free_vgpr 1
		.amdhsa_next_free_sgpr 1
		.amdhsa_reserve_vcc 0
		.amdhsa_float_round_mode_32 0
		.amdhsa_float_round_mode_16_64 0
		.amdhsa_float_denorm_mode_32 3
		.amdhsa_float_denorm_mode_16_64 3
		.amdhsa_fp16_overflow 0
		.amdhsa_workgroup_processor_mode 1
		.amdhsa_memory_ordered 1
		.amdhsa_forward_progress 1
		.amdhsa_inst_pref_size 0
		.amdhsa_round_robin_scheduling 0
		.amdhsa_exception_fp_ieee_invalid_op 0
		.amdhsa_exception_fp_denorm_src 0
		.amdhsa_exception_fp_ieee_div_zero 0
		.amdhsa_exception_fp_ieee_overflow 0
		.amdhsa_exception_fp_ieee_underflow 0
		.amdhsa_exception_fp_ieee_inexact 0
		.amdhsa_exception_int_div_zero 0
	.end_amdhsa_kernel
	.section	.text._ZN7rocprim17ROCPRIM_400000_NS6detail17trampoline_kernelINS0_14default_configENS1_25transform_config_selectorIdLb1EEEZNS1_14transform_implILb1ES3_S5_PdS7_NS0_8identityIdEEEE10hipError_tT2_T3_mT4_P12ihipStream_tbEUlT_E_NS1_11comp_targetILNS1_3genE0ELNS1_11target_archE4294967295ELNS1_3gpuE0ELNS1_3repE0EEENS1_30default_config_static_selectorELNS0_4arch9wavefront6targetE0EEEvT1_,"axG",@progbits,_ZN7rocprim17ROCPRIM_400000_NS6detail17trampoline_kernelINS0_14default_configENS1_25transform_config_selectorIdLb1EEEZNS1_14transform_implILb1ES3_S5_PdS7_NS0_8identityIdEEEE10hipError_tT2_T3_mT4_P12ihipStream_tbEUlT_E_NS1_11comp_targetILNS1_3genE0ELNS1_11target_archE4294967295ELNS1_3gpuE0ELNS1_3repE0EEENS1_30default_config_static_selectorELNS0_4arch9wavefront6targetE0EEEvT1_,comdat
.Lfunc_end10:
	.size	_ZN7rocprim17ROCPRIM_400000_NS6detail17trampoline_kernelINS0_14default_configENS1_25transform_config_selectorIdLb1EEEZNS1_14transform_implILb1ES3_S5_PdS7_NS0_8identityIdEEEE10hipError_tT2_T3_mT4_P12ihipStream_tbEUlT_E_NS1_11comp_targetILNS1_3genE0ELNS1_11target_archE4294967295ELNS1_3gpuE0ELNS1_3repE0EEENS1_30default_config_static_selectorELNS0_4arch9wavefront6targetE0EEEvT1_, .Lfunc_end10-_ZN7rocprim17ROCPRIM_400000_NS6detail17trampoline_kernelINS0_14default_configENS1_25transform_config_selectorIdLb1EEEZNS1_14transform_implILb1ES3_S5_PdS7_NS0_8identityIdEEEE10hipError_tT2_T3_mT4_P12ihipStream_tbEUlT_E_NS1_11comp_targetILNS1_3genE0ELNS1_11target_archE4294967295ELNS1_3gpuE0ELNS1_3repE0EEENS1_30default_config_static_selectorELNS0_4arch9wavefront6targetE0EEEvT1_
                                        ; -- End function
	.set _ZN7rocprim17ROCPRIM_400000_NS6detail17trampoline_kernelINS0_14default_configENS1_25transform_config_selectorIdLb1EEEZNS1_14transform_implILb1ES3_S5_PdS7_NS0_8identityIdEEEE10hipError_tT2_T3_mT4_P12ihipStream_tbEUlT_E_NS1_11comp_targetILNS1_3genE0ELNS1_11target_archE4294967295ELNS1_3gpuE0ELNS1_3repE0EEENS1_30default_config_static_selectorELNS0_4arch9wavefront6targetE0EEEvT1_.num_vgpr, 0
	.set _ZN7rocprim17ROCPRIM_400000_NS6detail17trampoline_kernelINS0_14default_configENS1_25transform_config_selectorIdLb1EEEZNS1_14transform_implILb1ES3_S5_PdS7_NS0_8identityIdEEEE10hipError_tT2_T3_mT4_P12ihipStream_tbEUlT_E_NS1_11comp_targetILNS1_3genE0ELNS1_11target_archE4294967295ELNS1_3gpuE0ELNS1_3repE0EEENS1_30default_config_static_selectorELNS0_4arch9wavefront6targetE0EEEvT1_.num_agpr, 0
	.set _ZN7rocprim17ROCPRIM_400000_NS6detail17trampoline_kernelINS0_14default_configENS1_25transform_config_selectorIdLb1EEEZNS1_14transform_implILb1ES3_S5_PdS7_NS0_8identityIdEEEE10hipError_tT2_T3_mT4_P12ihipStream_tbEUlT_E_NS1_11comp_targetILNS1_3genE0ELNS1_11target_archE4294967295ELNS1_3gpuE0ELNS1_3repE0EEENS1_30default_config_static_selectorELNS0_4arch9wavefront6targetE0EEEvT1_.numbered_sgpr, 0
	.set _ZN7rocprim17ROCPRIM_400000_NS6detail17trampoline_kernelINS0_14default_configENS1_25transform_config_selectorIdLb1EEEZNS1_14transform_implILb1ES3_S5_PdS7_NS0_8identityIdEEEE10hipError_tT2_T3_mT4_P12ihipStream_tbEUlT_E_NS1_11comp_targetILNS1_3genE0ELNS1_11target_archE4294967295ELNS1_3gpuE0ELNS1_3repE0EEENS1_30default_config_static_selectorELNS0_4arch9wavefront6targetE0EEEvT1_.num_named_barrier, 0
	.set _ZN7rocprim17ROCPRIM_400000_NS6detail17trampoline_kernelINS0_14default_configENS1_25transform_config_selectorIdLb1EEEZNS1_14transform_implILb1ES3_S5_PdS7_NS0_8identityIdEEEE10hipError_tT2_T3_mT4_P12ihipStream_tbEUlT_E_NS1_11comp_targetILNS1_3genE0ELNS1_11target_archE4294967295ELNS1_3gpuE0ELNS1_3repE0EEENS1_30default_config_static_selectorELNS0_4arch9wavefront6targetE0EEEvT1_.private_seg_size, 0
	.set _ZN7rocprim17ROCPRIM_400000_NS6detail17trampoline_kernelINS0_14default_configENS1_25transform_config_selectorIdLb1EEEZNS1_14transform_implILb1ES3_S5_PdS7_NS0_8identityIdEEEE10hipError_tT2_T3_mT4_P12ihipStream_tbEUlT_E_NS1_11comp_targetILNS1_3genE0ELNS1_11target_archE4294967295ELNS1_3gpuE0ELNS1_3repE0EEENS1_30default_config_static_selectorELNS0_4arch9wavefront6targetE0EEEvT1_.uses_vcc, 0
	.set _ZN7rocprim17ROCPRIM_400000_NS6detail17trampoline_kernelINS0_14default_configENS1_25transform_config_selectorIdLb1EEEZNS1_14transform_implILb1ES3_S5_PdS7_NS0_8identityIdEEEE10hipError_tT2_T3_mT4_P12ihipStream_tbEUlT_E_NS1_11comp_targetILNS1_3genE0ELNS1_11target_archE4294967295ELNS1_3gpuE0ELNS1_3repE0EEENS1_30default_config_static_selectorELNS0_4arch9wavefront6targetE0EEEvT1_.uses_flat_scratch, 0
	.set _ZN7rocprim17ROCPRIM_400000_NS6detail17trampoline_kernelINS0_14default_configENS1_25transform_config_selectorIdLb1EEEZNS1_14transform_implILb1ES3_S5_PdS7_NS0_8identityIdEEEE10hipError_tT2_T3_mT4_P12ihipStream_tbEUlT_E_NS1_11comp_targetILNS1_3genE0ELNS1_11target_archE4294967295ELNS1_3gpuE0ELNS1_3repE0EEENS1_30default_config_static_selectorELNS0_4arch9wavefront6targetE0EEEvT1_.has_dyn_sized_stack, 0
	.set _ZN7rocprim17ROCPRIM_400000_NS6detail17trampoline_kernelINS0_14default_configENS1_25transform_config_selectorIdLb1EEEZNS1_14transform_implILb1ES3_S5_PdS7_NS0_8identityIdEEEE10hipError_tT2_T3_mT4_P12ihipStream_tbEUlT_E_NS1_11comp_targetILNS1_3genE0ELNS1_11target_archE4294967295ELNS1_3gpuE0ELNS1_3repE0EEENS1_30default_config_static_selectorELNS0_4arch9wavefront6targetE0EEEvT1_.has_recursion, 0
	.set _ZN7rocprim17ROCPRIM_400000_NS6detail17trampoline_kernelINS0_14default_configENS1_25transform_config_selectorIdLb1EEEZNS1_14transform_implILb1ES3_S5_PdS7_NS0_8identityIdEEEE10hipError_tT2_T3_mT4_P12ihipStream_tbEUlT_E_NS1_11comp_targetILNS1_3genE0ELNS1_11target_archE4294967295ELNS1_3gpuE0ELNS1_3repE0EEENS1_30default_config_static_selectorELNS0_4arch9wavefront6targetE0EEEvT1_.has_indirect_call, 0
	.section	.AMDGPU.csdata,"",@progbits
; Kernel info:
; codeLenInByte = 0
; TotalNumSgprs: 0
; NumVgprs: 0
; ScratchSize: 0
; MemoryBound: 0
; FloatMode: 240
; IeeeMode: 1
; LDSByteSize: 0 bytes/workgroup (compile time only)
; SGPRBlocks: 0
; VGPRBlocks: 0
; NumSGPRsForWavesPerEU: 1
; NumVGPRsForWavesPerEU: 1
; Occupancy: 16
; WaveLimiterHint : 0
; COMPUTE_PGM_RSRC2:SCRATCH_EN: 0
; COMPUTE_PGM_RSRC2:USER_SGPR: 2
; COMPUTE_PGM_RSRC2:TRAP_HANDLER: 0
; COMPUTE_PGM_RSRC2:TGID_X_EN: 1
; COMPUTE_PGM_RSRC2:TGID_Y_EN: 0
; COMPUTE_PGM_RSRC2:TGID_Z_EN: 0
; COMPUTE_PGM_RSRC2:TIDIG_COMP_CNT: 0
	.section	.text._ZN7rocprim17ROCPRIM_400000_NS6detail17trampoline_kernelINS0_14default_configENS1_25transform_config_selectorIdLb1EEEZNS1_14transform_implILb1ES3_S5_PdS7_NS0_8identityIdEEEE10hipError_tT2_T3_mT4_P12ihipStream_tbEUlT_E_NS1_11comp_targetILNS1_3genE10ELNS1_11target_archE1201ELNS1_3gpuE5ELNS1_3repE0EEENS1_30default_config_static_selectorELNS0_4arch9wavefront6targetE0EEEvT1_,"axG",@progbits,_ZN7rocprim17ROCPRIM_400000_NS6detail17trampoline_kernelINS0_14default_configENS1_25transform_config_selectorIdLb1EEEZNS1_14transform_implILb1ES3_S5_PdS7_NS0_8identityIdEEEE10hipError_tT2_T3_mT4_P12ihipStream_tbEUlT_E_NS1_11comp_targetILNS1_3genE10ELNS1_11target_archE1201ELNS1_3gpuE5ELNS1_3repE0EEENS1_30default_config_static_selectorELNS0_4arch9wavefront6targetE0EEEvT1_,comdat
	.protected	_ZN7rocprim17ROCPRIM_400000_NS6detail17trampoline_kernelINS0_14default_configENS1_25transform_config_selectorIdLb1EEEZNS1_14transform_implILb1ES3_S5_PdS7_NS0_8identityIdEEEE10hipError_tT2_T3_mT4_P12ihipStream_tbEUlT_E_NS1_11comp_targetILNS1_3genE10ELNS1_11target_archE1201ELNS1_3gpuE5ELNS1_3repE0EEENS1_30default_config_static_selectorELNS0_4arch9wavefront6targetE0EEEvT1_ ; -- Begin function _ZN7rocprim17ROCPRIM_400000_NS6detail17trampoline_kernelINS0_14default_configENS1_25transform_config_selectorIdLb1EEEZNS1_14transform_implILb1ES3_S5_PdS7_NS0_8identityIdEEEE10hipError_tT2_T3_mT4_P12ihipStream_tbEUlT_E_NS1_11comp_targetILNS1_3genE10ELNS1_11target_archE1201ELNS1_3gpuE5ELNS1_3repE0EEENS1_30default_config_static_selectorELNS0_4arch9wavefront6targetE0EEEvT1_
	.globl	_ZN7rocprim17ROCPRIM_400000_NS6detail17trampoline_kernelINS0_14default_configENS1_25transform_config_selectorIdLb1EEEZNS1_14transform_implILb1ES3_S5_PdS7_NS0_8identityIdEEEE10hipError_tT2_T3_mT4_P12ihipStream_tbEUlT_E_NS1_11comp_targetILNS1_3genE10ELNS1_11target_archE1201ELNS1_3gpuE5ELNS1_3repE0EEENS1_30default_config_static_selectorELNS0_4arch9wavefront6targetE0EEEvT1_
	.p2align	8
	.type	_ZN7rocprim17ROCPRIM_400000_NS6detail17trampoline_kernelINS0_14default_configENS1_25transform_config_selectorIdLb1EEEZNS1_14transform_implILb1ES3_S5_PdS7_NS0_8identityIdEEEE10hipError_tT2_T3_mT4_P12ihipStream_tbEUlT_E_NS1_11comp_targetILNS1_3genE10ELNS1_11target_archE1201ELNS1_3gpuE5ELNS1_3repE0EEENS1_30default_config_static_selectorELNS0_4arch9wavefront6targetE0EEEvT1_,@function
_ZN7rocprim17ROCPRIM_400000_NS6detail17trampoline_kernelINS0_14default_configENS1_25transform_config_selectorIdLb1EEEZNS1_14transform_implILb1ES3_S5_PdS7_NS0_8identityIdEEEE10hipError_tT2_T3_mT4_P12ihipStream_tbEUlT_E_NS1_11comp_targetILNS1_3genE10ELNS1_11target_archE1201ELNS1_3gpuE5ELNS1_3repE0EEENS1_30default_config_static_selectorELNS0_4arch9wavefront6targetE0EEEvT1_: ; @_ZN7rocprim17ROCPRIM_400000_NS6detail17trampoline_kernelINS0_14default_configENS1_25transform_config_selectorIdLb1EEEZNS1_14transform_implILb1ES3_S5_PdS7_NS0_8identityIdEEEE10hipError_tT2_T3_mT4_P12ihipStream_tbEUlT_E_NS1_11comp_targetILNS1_3genE10ELNS1_11target_archE1201ELNS1_3gpuE5ELNS1_3repE0EEENS1_30default_config_static_selectorELNS0_4arch9wavefront6targetE0EEEvT1_
; %bb.0:
	s_clause 0x1
	s_load_b256 s[4:11], s[0:1], 0x0
	s_load_b32 s12, s[0:1], 0x28
	s_lshl_b32 s0, ttmp9, 11
	s_mov_b32 s1, 0
	s_wait_kmcnt 0x0
	s_mov_b32 s9, -1
	s_lshl_b64 s[2:3], s[6:7], 3
	s_add_co_i32 s12, s12, -1
	s_add_nc_u64 s[6:7], s[4:5], s[2:3]
	s_lshl_b64 s[4:5], s[0:1], 3
	s_add_nc_u64 s[2:3], s[10:11], s[2:3]
	s_cmp_lg_u32 ttmp9, s12
	s_add_nc_u64 s[6:7], s[6:7], s[4:5]
	s_cbranch_scc0 .LBB11_2
; %bb.1:
	v_lshlrev_b32_e32 v5, 4, v0
	s_add_nc_u64 s[10:11], s[2:3], s[4:5]
	s_mov_b32 s9, 0
	global_load_b128 v[1:4], v5, s[6:7] th:TH_LOAD_NT
	s_wait_loadcnt 0x0
	global_store_b128 v5, v[1:4], s[10:11]
.LBB11_2:
	s_and_not1_b32 vcc_lo, exec_lo, s9
	s_cbranch_vccnz .LBB11_11
; %bb.3:
	v_mov_b32_e32 v1, 0
	s_sub_co_i32 s1, s8, s0
	s_delay_alu instid0(SALU_CYCLE_1) | instskip(NEXT) | instid1(VALU_DEP_2)
	v_cmp_gt_u32_e32 vcc_lo, s1, v0
	v_dual_mov_b32 v2, v1 :: v_dual_mov_b32 v3, v1
	v_mov_b32_e32 v4, v1
	s_and_saveexec_b32 s0, vcc_lo
	s_cbranch_execz .LBB11_5
; %bb.4:
	v_dual_mov_b32 v5, v1 :: v_dual_lshlrev_b32 v2, 3, v0
	v_mov_b32_e32 v4, v1
	global_load_b64 v[2:3], v2, s[6:7]
	s_wait_loadcnt 0x0
	v_mov_b32_e32 v1, v2
	v_mov_b32_e32 v2, v3
	;; [unrolled: 1-line block ×4, first 2 shown]
.LBB11_5:
	s_wait_alu 0xfffe
	s_or_b32 exec_lo, exec_lo, s0
	v_or_b32_e32 v5, 0x400, v0
	s_delay_alu instid0(VALU_DEP_1) | instskip(SKIP_2) | instid1(SALU_CYCLE_1)
	v_cmp_gt_u32_e64 s0, s1, v5
	v_cmp_le_u32_e64 s1, s1, v5
	s_and_saveexec_b32 s8, s1
	s_xor_b32 s1, exec_lo, s8
	s_wait_alu 0xfffe
	s_and_not1_saveexec_b32 s1, s1
	s_cbranch_execz .LBB11_7
; %bb.6:
	v_lshlrev_b32_e32 v3, 3, v0
	global_load_b64 v[3:4], v3, s[6:7] offset:8192
.LBB11_7:
	s_wait_alu 0xfffe
	s_or_b32 exec_lo, exec_lo, s1
	v_dual_cndmask_b32 v5, 0, v1 :: v_dual_lshlrev_b32 v0, 3, v0
	s_add_nc_u64 s[2:3], s[2:3], s[4:5]
	v_cndmask_b32_e32 v6, 0, v2, vcc_lo
	s_delay_alu instid0(VALU_DEP_2)
	v_add_co_u32 v0, s1, s2, v0
	s_wait_alu 0xf1ff
	v_add_co_ci_u32_e64 v1, null, s3, 0, s1
	s_and_saveexec_b32 s1, vcc_lo
	s_cbranch_execz .LBB11_9
; %bb.8:
	global_store_b64 v[0:1], v[5:6], off
.LBB11_9:
	s_wait_alu 0xfffe
	s_or_b32 exec_lo, exec_lo, s1
	s_and_saveexec_b32 s1, s0
	s_cbranch_execz .LBB11_11
; %bb.10:
	s_wait_loadcnt 0x0
	v_cndmask_b32_e64 v4, 0, v4, s0
	v_cndmask_b32_e64 v3, 0, v3, s0
	global_store_b64 v[0:1], v[3:4], off offset:8192
.LBB11_11:
	s_endpgm
	.section	.rodata,"a",@progbits
	.p2align	6, 0x0
	.amdhsa_kernel _ZN7rocprim17ROCPRIM_400000_NS6detail17trampoline_kernelINS0_14default_configENS1_25transform_config_selectorIdLb1EEEZNS1_14transform_implILb1ES3_S5_PdS7_NS0_8identityIdEEEE10hipError_tT2_T3_mT4_P12ihipStream_tbEUlT_E_NS1_11comp_targetILNS1_3genE10ELNS1_11target_archE1201ELNS1_3gpuE5ELNS1_3repE0EEENS1_30default_config_static_selectorELNS0_4arch9wavefront6targetE0EEEvT1_
		.amdhsa_group_segment_fixed_size 0
		.amdhsa_private_segment_fixed_size 0
		.amdhsa_kernarg_size 296
		.amdhsa_user_sgpr_count 2
		.amdhsa_user_sgpr_dispatch_ptr 0
		.amdhsa_user_sgpr_queue_ptr 0
		.amdhsa_user_sgpr_kernarg_segment_ptr 1
		.amdhsa_user_sgpr_dispatch_id 0
		.amdhsa_user_sgpr_private_segment_size 0
		.amdhsa_wavefront_size32 1
		.amdhsa_uses_dynamic_stack 0
		.amdhsa_enable_private_segment 0
		.amdhsa_system_sgpr_workgroup_id_x 1
		.amdhsa_system_sgpr_workgroup_id_y 0
		.amdhsa_system_sgpr_workgroup_id_z 0
		.amdhsa_system_sgpr_workgroup_info 0
		.amdhsa_system_vgpr_workitem_id 0
		.amdhsa_next_free_vgpr 7
		.amdhsa_next_free_sgpr 13
		.amdhsa_reserve_vcc 1
		.amdhsa_float_round_mode_32 0
		.amdhsa_float_round_mode_16_64 0
		.amdhsa_float_denorm_mode_32 3
		.amdhsa_float_denorm_mode_16_64 3
		.amdhsa_fp16_overflow 0
		.amdhsa_workgroup_processor_mode 1
		.amdhsa_memory_ordered 1
		.amdhsa_forward_progress 1
		.amdhsa_inst_pref_size 4
		.amdhsa_round_robin_scheduling 0
		.amdhsa_exception_fp_ieee_invalid_op 0
		.amdhsa_exception_fp_denorm_src 0
		.amdhsa_exception_fp_ieee_div_zero 0
		.amdhsa_exception_fp_ieee_overflow 0
		.amdhsa_exception_fp_ieee_underflow 0
		.amdhsa_exception_fp_ieee_inexact 0
		.amdhsa_exception_int_div_zero 0
	.end_amdhsa_kernel
	.section	.text._ZN7rocprim17ROCPRIM_400000_NS6detail17trampoline_kernelINS0_14default_configENS1_25transform_config_selectorIdLb1EEEZNS1_14transform_implILb1ES3_S5_PdS7_NS0_8identityIdEEEE10hipError_tT2_T3_mT4_P12ihipStream_tbEUlT_E_NS1_11comp_targetILNS1_3genE10ELNS1_11target_archE1201ELNS1_3gpuE5ELNS1_3repE0EEENS1_30default_config_static_selectorELNS0_4arch9wavefront6targetE0EEEvT1_,"axG",@progbits,_ZN7rocprim17ROCPRIM_400000_NS6detail17trampoline_kernelINS0_14default_configENS1_25transform_config_selectorIdLb1EEEZNS1_14transform_implILb1ES3_S5_PdS7_NS0_8identityIdEEEE10hipError_tT2_T3_mT4_P12ihipStream_tbEUlT_E_NS1_11comp_targetILNS1_3genE10ELNS1_11target_archE1201ELNS1_3gpuE5ELNS1_3repE0EEENS1_30default_config_static_selectorELNS0_4arch9wavefront6targetE0EEEvT1_,comdat
.Lfunc_end11:
	.size	_ZN7rocprim17ROCPRIM_400000_NS6detail17trampoline_kernelINS0_14default_configENS1_25transform_config_selectorIdLb1EEEZNS1_14transform_implILb1ES3_S5_PdS7_NS0_8identityIdEEEE10hipError_tT2_T3_mT4_P12ihipStream_tbEUlT_E_NS1_11comp_targetILNS1_3genE10ELNS1_11target_archE1201ELNS1_3gpuE5ELNS1_3repE0EEENS1_30default_config_static_selectorELNS0_4arch9wavefront6targetE0EEEvT1_, .Lfunc_end11-_ZN7rocprim17ROCPRIM_400000_NS6detail17trampoline_kernelINS0_14default_configENS1_25transform_config_selectorIdLb1EEEZNS1_14transform_implILb1ES3_S5_PdS7_NS0_8identityIdEEEE10hipError_tT2_T3_mT4_P12ihipStream_tbEUlT_E_NS1_11comp_targetILNS1_3genE10ELNS1_11target_archE1201ELNS1_3gpuE5ELNS1_3repE0EEENS1_30default_config_static_selectorELNS0_4arch9wavefront6targetE0EEEvT1_
                                        ; -- End function
	.set _ZN7rocprim17ROCPRIM_400000_NS6detail17trampoline_kernelINS0_14default_configENS1_25transform_config_selectorIdLb1EEEZNS1_14transform_implILb1ES3_S5_PdS7_NS0_8identityIdEEEE10hipError_tT2_T3_mT4_P12ihipStream_tbEUlT_E_NS1_11comp_targetILNS1_3genE10ELNS1_11target_archE1201ELNS1_3gpuE5ELNS1_3repE0EEENS1_30default_config_static_selectorELNS0_4arch9wavefront6targetE0EEEvT1_.num_vgpr, 7
	.set _ZN7rocprim17ROCPRIM_400000_NS6detail17trampoline_kernelINS0_14default_configENS1_25transform_config_selectorIdLb1EEEZNS1_14transform_implILb1ES3_S5_PdS7_NS0_8identityIdEEEE10hipError_tT2_T3_mT4_P12ihipStream_tbEUlT_E_NS1_11comp_targetILNS1_3genE10ELNS1_11target_archE1201ELNS1_3gpuE5ELNS1_3repE0EEENS1_30default_config_static_selectorELNS0_4arch9wavefront6targetE0EEEvT1_.num_agpr, 0
	.set _ZN7rocprim17ROCPRIM_400000_NS6detail17trampoline_kernelINS0_14default_configENS1_25transform_config_selectorIdLb1EEEZNS1_14transform_implILb1ES3_S5_PdS7_NS0_8identityIdEEEE10hipError_tT2_T3_mT4_P12ihipStream_tbEUlT_E_NS1_11comp_targetILNS1_3genE10ELNS1_11target_archE1201ELNS1_3gpuE5ELNS1_3repE0EEENS1_30default_config_static_selectorELNS0_4arch9wavefront6targetE0EEEvT1_.numbered_sgpr, 13
	.set _ZN7rocprim17ROCPRIM_400000_NS6detail17trampoline_kernelINS0_14default_configENS1_25transform_config_selectorIdLb1EEEZNS1_14transform_implILb1ES3_S5_PdS7_NS0_8identityIdEEEE10hipError_tT2_T3_mT4_P12ihipStream_tbEUlT_E_NS1_11comp_targetILNS1_3genE10ELNS1_11target_archE1201ELNS1_3gpuE5ELNS1_3repE0EEENS1_30default_config_static_selectorELNS0_4arch9wavefront6targetE0EEEvT1_.num_named_barrier, 0
	.set _ZN7rocprim17ROCPRIM_400000_NS6detail17trampoline_kernelINS0_14default_configENS1_25transform_config_selectorIdLb1EEEZNS1_14transform_implILb1ES3_S5_PdS7_NS0_8identityIdEEEE10hipError_tT2_T3_mT4_P12ihipStream_tbEUlT_E_NS1_11comp_targetILNS1_3genE10ELNS1_11target_archE1201ELNS1_3gpuE5ELNS1_3repE0EEENS1_30default_config_static_selectorELNS0_4arch9wavefront6targetE0EEEvT1_.private_seg_size, 0
	.set _ZN7rocprim17ROCPRIM_400000_NS6detail17trampoline_kernelINS0_14default_configENS1_25transform_config_selectorIdLb1EEEZNS1_14transform_implILb1ES3_S5_PdS7_NS0_8identityIdEEEE10hipError_tT2_T3_mT4_P12ihipStream_tbEUlT_E_NS1_11comp_targetILNS1_3genE10ELNS1_11target_archE1201ELNS1_3gpuE5ELNS1_3repE0EEENS1_30default_config_static_selectorELNS0_4arch9wavefront6targetE0EEEvT1_.uses_vcc, 1
	.set _ZN7rocprim17ROCPRIM_400000_NS6detail17trampoline_kernelINS0_14default_configENS1_25transform_config_selectorIdLb1EEEZNS1_14transform_implILb1ES3_S5_PdS7_NS0_8identityIdEEEE10hipError_tT2_T3_mT4_P12ihipStream_tbEUlT_E_NS1_11comp_targetILNS1_3genE10ELNS1_11target_archE1201ELNS1_3gpuE5ELNS1_3repE0EEENS1_30default_config_static_selectorELNS0_4arch9wavefront6targetE0EEEvT1_.uses_flat_scratch, 0
	.set _ZN7rocprim17ROCPRIM_400000_NS6detail17trampoline_kernelINS0_14default_configENS1_25transform_config_selectorIdLb1EEEZNS1_14transform_implILb1ES3_S5_PdS7_NS0_8identityIdEEEE10hipError_tT2_T3_mT4_P12ihipStream_tbEUlT_E_NS1_11comp_targetILNS1_3genE10ELNS1_11target_archE1201ELNS1_3gpuE5ELNS1_3repE0EEENS1_30default_config_static_selectorELNS0_4arch9wavefront6targetE0EEEvT1_.has_dyn_sized_stack, 0
	.set _ZN7rocprim17ROCPRIM_400000_NS6detail17trampoline_kernelINS0_14default_configENS1_25transform_config_selectorIdLb1EEEZNS1_14transform_implILb1ES3_S5_PdS7_NS0_8identityIdEEEE10hipError_tT2_T3_mT4_P12ihipStream_tbEUlT_E_NS1_11comp_targetILNS1_3genE10ELNS1_11target_archE1201ELNS1_3gpuE5ELNS1_3repE0EEENS1_30default_config_static_selectorELNS0_4arch9wavefront6targetE0EEEvT1_.has_recursion, 0
	.set _ZN7rocprim17ROCPRIM_400000_NS6detail17trampoline_kernelINS0_14default_configENS1_25transform_config_selectorIdLb1EEEZNS1_14transform_implILb1ES3_S5_PdS7_NS0_8identityIdEEEE10hipError_tT2_T3_mT4_P12ihipStream_tbEUlT_E_NS1_11comp_targetILNS1_3genE10ELNS1_11target_archE1201ELNS1_3gpuE5ELNS1_3repE0EEENS1_30default_config_static_selectorELNS0_4arch9wavefront6targetE0EEEvT1_.has_indirect_call, 0
	.section	.AMDGPU.csdata,"",@progbits
; Kernel info:
; codeLenInByte = 388
; TotalNumSgprs: 15
; NumVgprs: 7
; ScratchSize: 0
; MemoryBound: 1
; FloatMode: 240
; IeeeMode: 1
; LDSByteSize: 0 bytes/workgroup (compile time only)
; SGPRBlocks: 0
; VGPRBlocks: 0
; NumSGPRsForWavesPerEU: 15
; NumVGPRsForWavesPerEU: 7
; Occupancy: 16
; WaveLimiterHint : 0
; COMPUTE_PGM_RSRC2:SCRATCH_EN: 0
; COMPUTE_PGM_RSRC2:USER_SGPR: 2
; COMPUTE_PGM_RSRC2:TRAP_HANDLER: 0
; COMPUTE_PGM_RSRC2:TGID_X_EN: 1
; COMPUTE_PGM_RSRC2:TGID_Y_EN: 0
; COMPUTE_PGM_RSRC2:TGID_Z_EN: 0
; COMPUTE_PGM_RSRC2:TIDIG_COMP_CNT: 0
	.section	.text._ZN7rocprim17ROCPRIM_400000_NS6detail17trampoline_kernelINS0_14default_configENS1_25transform_config_selectorIdLb1EEEZNS1_14transform_implILb1ES3_S5_PdS7_NS0_8identityIdEEEE10hipError_tT2_T3_mT4_P12ihipStream_tbEUlT_E_NS1_11comp_targetILNS1_3genE5ELNS1_11target_archE942ELNS1_3gpuE9ELNS1_3repE0EEENS1_30default_config_static_selectorELNS0_4arch9wavefront6targetE0EEEvT1_,"axG",@progbits,_ZN7rocprim17ROCPRIM_400000_NS6detail17trampoline_kernelINS0_14default_configENS1_25transform_config_selectorIdLb1EEEZNS1_14transform_implILb1ES3_S5_PdS7_NS0_8identityIdEEEE10hipError_tT2_T3_mT4_P12ihipStream_tbEUlT_E_NS1_11comp_targetILNS1_3genE5ELNS1_11target_archE942ELNS1_3gpuE9ELNS1_3repE0EEENS1_30default_config_static_selectorELNS0_4arch9wavefront6targetE0EEEvT1_,comdat
	.protected	_ZN7rocprim17ROCPRIM_400000_NS6detail17trampoline_kernelINS0_14default_configENS1_25transform_config_selectorIdLb1EEEZNS1_14transform_implILb1ES3_S5_PdS7_NS0_8identityIdEEEE10hipError_tT2_T3_mT4_P12ihipStream_tbEUlT_E_NS1_11comp_targetILNS1_3genE5ELNS1_11target_archE942ELNS1_3gpuE9ELNS1_3repE0EEENS1_30default_config_static_selectorELNS0_4arch9wavefront6targetE0EEEvT1_ ; -- Begin function _ZN7rocprim17ROCPRIM_400000_NS6detail17trampoline_kernelINS0_14default_configENS1_25transform_config_selectorIdLb1EEEZNS1_14transform_implILb1ES3_S5_PdS7_NS0_8identityIdEEEE10hipError_tT2_T3_mT4_P12ihipStream_tbEUlT_E_NS1_11comp_targetILNS1_3genE5ELNS1_11target_archE942ELNS1_3gpuE9ELNS1_3repE0EEENS1_30default_config_static_selectorELNS0_4arch9wavefront6targetE0EEEvT1_
	.globl	_ZN7rocprim17ROCPRIM_400000_NS6detail17trampoline_kernelINS0_14default_configENS1_25transform_config_selectorIdLb1EEEZNS1_14transform_implILb1ES3_S5_PdS7_NS0_8identityIdEEEE10hipError_tT2_T3_mT4_P12ihipStream_tbEUlT_E_NS1_11comp_targetILNS1_3genE5ELNS1_11target_archE942ELNS1_3gpuE9ELNS1_3repE0EEENS1_30default_config_static_selectorELNS0_4arch9wavefront6targetE0EEEvT1_
	.p2align	8
	.type	_ZN7rocprim17ROCPRIM_400000_NS6detail17trampoline_kernelINS0_14default_configENS1_25transform_config_selectorIdLb1EEEZNS1_14transform_implILb1ES3_S5_PdS7_NS0_8identityIdEEEE10hipError_tT2_T3_mT4_P12ihipStream_tbEUlT_E_NS1_11comp_targetILNS1_3genE5ELNS1_11target_archE942ELNS1_3gpuE9ELNS1_3repE0EEENS1_30default_config_static_selectorELNS0_4arch9wavefront6targetE0EEEvT1_,@function
_ZN7rocprim17ROCPRIM_400000_NS6detail17trampoline_kernelINS0_14default_configENS1_25transform_config_selectorIdLb1EEEZNS1_14transform_implILb1ES3_S5_PdS7_NS0_8identityIdEEEE10hipError_tT2_T3_mT4_P12ihipStream_tbEUlT_E_NS1_11comp_targetILNS1_3genE5ELNS1_11target_archE942ELNS1_3gpuE9ELNS1_3repE0EEENS1_30default_config_static_selectorELNS0_4arch9wavefront6targetE0EEEvT1_: ; @_ZN7rocprim17ROCPRIM_400000_NS6detail17trampoline_kernelINS0_14default_configENS1_25transform_config_selectorIdLb1EEEZNS1_14transform_implILb1ES3_S5_PdS7_NS0_8identityIdEEEE10hipError_tT2_T3_mT4_P12ihipStream_tbEUlT_E_NS1_11comp_targetILNS1_3genE5ELNS1_11target_archE942ELNS1_3gpuE9ELNS1_3repE0EEENS1_30default_config_static_selectorELNS0_4arch9wavefront6targetE0EEEvT1_
; %bb.0:
	.section	.rodata,"a",@progbits
	.p2align	6, 0x0
	.amdhsa_kernel _ZN7rocprim17ROCPRIM_400000_NS6detail17trampoline_kernelINS0_14default_configENS1_25transform_config_selectorIdLb1EEEZNS1_14transform_implILb1ES3_S5_PdS7_NS0_8identityIdEEEE10hipError_tT2_T3_mT4_P12ihipStream_tbEUlT_E_NS1_11comp_targetILNS1_3genE5ELNS1_11target_archE942ELNS1_3gpuE9ELNS1_3repE0EEENS1_30default_config_static_selectorELNS0_4arch9wavefront6targetE0EEEvT1_
		.amdhsa_group_segment_fixed_size 0
		.amdhsa_private_segment_fixed_size 0
		.amdhsa_kernarg_size 40
		.amdhsa_user_sgpr_count 2
		.amdhsa_user_sgpr_dispatch_ptr 0
		.amdhsa_user_sgpr_queue_ptr 0
		.amdhsa_user_sgpr_kernarg_segment_ptr 1
		.amdhsa_user_sgpr_dispatch_id 0
		.amdhsa_user_sgpr_private_segment_size 0
		.amdhsa_wavefront_size32 1
		.amdhsa_uses_dynamic_stack 0
		.amdhsa_enable_private_segment 0
		.amdhsa_system_sgpr_workgroup_id_x 1
		.amdhsa_system_sgpr_workgroup_id_y 0
		.amdhsa_system_sgpr_workgroup_id_z 0
		.amdhsa_system_sgpr_workgroup_info 0
		.amdhsa_system_vgpr_workitem_id 0
		.amdhsa_next_free_vgpr 1
		.amdhsa_next_free_sgpr 1
		.amdhsa_reserve_vcc 0
		.amdhsa_float_round_mode_32 0
		.amdhsa_float_round_mode_16_64 0
		.amdhsa_float_denorm_mode_32 3
		.amdhsa_float_denorm_mode_16_64 3
		.amdhsa_fp16_overflow 0
		.amdhsa_workgroup_processor_mode 1
		.amdhsa_memory_ordered 1
		.amdhsa_forward_progress 1
		.amdhsa_inst_pref_size 0
		.amdhsa_round_robin_scheduling 0
		.amdhsa_exception_fp_ieee_invalid_op 0
		.amdhsa_exception_fp_denorm_src 0
		.amdhsa_exception_fp_ieee_div_zero 0
		.amdhsa_exception_fp_ieee_overflow 0
		.amdhsa_exception_fp_ieee_underflow 0
		.amdhsa_exception_fp_ieee_inexact 0
		.amdhsa_exception_int_div_zero 0
	.end_amdhsa_kernel
	.section	.text._ZN7rocprim17ROCPRIM_400000_NS6detail17trampoline_kernelINS0_14default_configENS1_25transform_config_selectorIdLb1EEEZNS1_14transform_implILb1ES3_S5_PdS7_NS0_8identityIdEEEE10hipError_tT2_T3_mT4_P12ihipStream_tbEUlT_E_NS1_11comp_targetILNS1_3genE5ELNS1_11target_archE942ELNS1_3gpuE9ELNS1_3repE0EEENS1_30default_config_static_selectorELNS0_4arch9wavefront6targetE0EEEvT1_,"axG",@progbits,_ZN7rocprim17ROCPRIM_400000_NS6detail17trampoline_kernelINS0_14default_configENS1_25transform_config_selectorIdLb1EEEZNS1_14transform_implILb1ES3_S5_PdS7_NS0_8identityIdEEEE10hipError_tT2_T3_mT4_P12ihipStream_tbEUlT_E_NS1_11comp_targetILNS1_3genE5ELNS1_11target_archE942ELNS1_3gpuE9ELNS1_3repE0EEENS1_30default_config_static_selectorELNS0_4arch9wavefront6targetE0EEEvT1_,comdat
.Lfunc_end12:
	.size	_ZN7rocprim17ROCPRIM_400000_NS6detail17trampoline_kernelINS0_14default_configENS1_25transform_config_selectorIdLb1EEEZNS1_14transform_implILb1ES3_S5_PdS7_NS0_8identityIdEEEE10hipError_tT2_T3_mT4_P12ihipStream_tbEUlT_E_NS1_11comp_targetILNS1_3genE5ELNS1_11target_archE942ELNS1_3gpuE9ELNS1_3repE0EEENS1_30default_config_static_selectorELNS0_4arch9wavefront6targetE0EEEvT1_, .Lfunc_end12-_ZN7rocprim17ROCPRIM_400000_NS6detail17trampoline_kernelINS0_14default_configENS1_25transform_config_selectorIdLb1EEEZNS1_14transform_implILb1ES3_S5_PdS7_NS0_8identityIdEEEE10hipError_tT2_T3_mT4_P12ihipStream_tbEUlT_E_NS1_11comp_targetILNS1_3genE5ELNS1_11target_archE942ELNS1_3gpuE9ELNS1_3repE0EEENS1_30default_config_static_selectorELNS0_4arch9wavefront6targetE0EEEvT1_
                                        ; -- End function
	.set _ZN7rocprim17ROCPRIM_400000_NS6detail17trampoline_kernelINS0_14default_configENS1_25transform_config_selectorIdLb1EEEZNS1_14transform_implILb1ES3_S5_PdS7_NS0_8identityIdEEEE10hipError_tT2_T3_mT4_P12ihipStream_tbEUlT_E_NS1_11comp_targetILNS1_3genE5ELNS1_11target_archE942ELNS1_3gpuE9ELNS1_3repE0EEENS1_30default_config_static_selectorELNS0_4arch9wavefront6targetE0EEEvT1_.num_vgpr, 0
	.set _ZN7rocprim17ROCPRIM_400000_NS6detail17trampoline_kernelINS0_14default_configENS1_25transform_config_selectorIdLb1EEEZNS1_14transform_implILb1ES3_S5_PdS7_NS0_8identityIdEEEE10hipError_tT2_T3_mT4_P12ihipStream_tbEUlT_E_NS1_11comp_targetILNS1_3genE5ELNS1_11target_archE942ELNS1_3gpuE9ELNS1_3repE0EEENS1_30default_config_static_selectorELNS0_4arch9wavefront6targetE0EEEvT1_.num_agpr, 0
	.set _ZN7rocprim17ROCPRIM_400000_NS6detail17trampoline_kernelINS0_14default_configENS1_25transform_config_selectorIdLb1EEEZNS1_14transform_implILb1ES3_S5_PdS7_NS0_8identityIdEEEE10hipError_tT2_T3_mT4_P12ihipStream_tbEUlT_E_NS1_11comp_targetILNS1_3genE5ELNS1_11target_archE942ELNS1_3gpuE9ELNS1_3repE0EEENS1_30default_config_static_selectorELNS0_4arch9wavefront6targetE0EEEvT1_.numbered_sgpr, 0
	.set _ZN7rocprim17ROCPRIM_400000_NS6detail17trampoline_kernelINS0_14default_configENS1_25transform_config_selectorIdLb1EEEZNS1_14transform_implILb1ES3_S5_PdS7_NS0_8identityIdEEEE10hipError_tT2_T3_mT4_P12ihipStream_tbEUlT_E_NS1_11comp_targetILNS1_3genE5ELNS1_11target_archE942ELNS1_3gpuE9ELNS1_3repE0EEENS1_30default_config_static_selectorELNS0_4arch9wavefront6targetE0EEEvT1_.num_named_barrier, 0
	.set _ZN7rocprim17ROCPRIM_400000_NS6detail17trampoline_kernelINS0_14default_configENS1_25transform_config_selectorIdLb1EEEZNS1_14transform_implILb1ES3_S5_PdS7_NS0_8identityIdEEEE10hipError_tT2_T3_mT4_P12ihipStream_tbEUlT_E_NS1_11comp_targetILNS1_3genE5ELNS1_11target_archE942ELNS1_3gpuE9ELNS1_3repE0EEENS1_30default_config_static_selectorELNS0_4arch9wavefront6targetE0EEEvT1_.private_seg_size, 0
	.set _ZN7rocprim17ROCPRIM_400000_NS6detail17trampoline_kernelINS0_14default_configENS1_25transform_config_selectorIdLb1EEEZNS1_14transform_implILb1ES3_S5_PdS7_NS0_8identityIdEEEE10hipError_tT2_T3_mT4_P12ihipStream_tbEUlT_E_NS1_11comp_targetILNS1_3genE5ELNS1_11target_archE942ELNS1_3gpuE9ELNS1_3repE0EEENS1_30default_config_static_selectorELNS0_4arch9wavefront6targetE0EEEvT1_.uses_vcc, 0
	.set _ZN7rocprim17ROCPRIM_400000_NS6detail17trampoline_kernelINS0_14default_configENS1_25transform_config_selectorIdLb1EEEZNS1_14transform_implILb1ES3_S5_PdS7_NS0_8identityIdEEEE10hipError_tT2_T3_mT4_P12ihipStream_tbEUlT_E_NS1_11comp_targetILNS1_3genE5ELNS1_11target_archE942ELNS1_3gpuE9ELNS1_3repE0EEENS1_30default_config_static_selectorELNS0_4arch9wavefront6targetE0EEEvT1_.uses_flat_scratch, 0
	.set _ZN7rocprim17ROCPRIM_400000_NS6detail17trampoline_kernelINS0_14default_configENS1_25transform_config_selectorIdLb1EEEZNS1_14transform_implILb1ES3_S5_PdS7_NS0_8identityIdEEEE10hipError_tT2_T3_mT4_P12ihipStream_tbEUlT_E_NS1_11comp_targetILNS1_3genE5ELNS1_11target_archE942ELNS1_3gpuE9ELNS1_3repE0EEENS1_30default_config_static_selectorELNS0_4arch9wavefront6targetE0EEEvT1_.has_dyn_sized_stack, 0
	.set _ZN7rocprim17ROCPRIM_400000_NS6detail17trampoline_kernelINS0_14default_configENS1_25transform_config_selectorIdLb1EEEZNS1_14transform_implILb1ES3_S5_PdS7_NS0_8identityIdEEEE10hipError_tT2_T3_mT4_P12ihipStream_tbEUlT_E_NS1_11comp_targetILNS1_3genE5ELNS1_11target_archE942ELNS1_3gpuE9ELNS1_3repE0EEENS1_30default_config_static_selectorELNS0_4arch9wavefront6targetE0EEEvT1_.has_recursion, 0
	.set _ZN7rocprim17ROCPRIM_400000_NS6detail17trampoline_kernelINS0_14default_configENS1_25transform_config_selectorIdLb1EEEZNS1_14transform_implILb1ES3_S5_PdS7_NS0_8identityIdEEEE10hipError_tT2_T3_mT4_P12ihipStream_tbEUlT_E_NS1_11comp_targetILNS1_3genE5ELNS1_11target_archE942ELNS1_3gpuE9ELNS1_3repE0EEENS1_30default_config_static_selectorELNS0_4arch9wavefront6targetE0EEEvT1_.has_indirect_call, 0
	.section	.AMDGPU.csdata,"",@progbits
; Kernel info:
; codeLenInByte = 0
; TotalNumSgprs: 0
; NumVgprs: 0
; ScratchSize: 0
; MemoryBound: 0
; FloatMode: 240
; IeeeMode: 1
; LDSByteSize: 0 bytes/workgroup (compile time only)
; SGPRBlocks: 0
; VGPRBlocks: 0
; NumSGPRsForWavesPerEU: 1
; NumVGPRsForWavesPerEU: 1
; Occupancy: 16
; WaveLimiterHint : 0
; COMPUTE_PGM_RSRC2:SCRATCH_EN: 0
; COMPUTE_PGM_RSRC2:USER_SGPR: 2
; COMPUTE_PGM_RSRC2:TRAP_HANDLER: 0
; COMPUTE_PGM_RSRC2:TGID_X_EN: 1
; COMPUTE_PGM_RSRC2:TGID_Y_EN: 0
; COMPUTE_PGM_RSRC2:TGID_Z_EN: 0
; COMPUTE_PGM_RSRC2:TIDIG_COMP_CNT: 0
	.section	.text._ZN7rocprim17ROCPRIM_400000_NS6detail17trampoline_kernelINS0_14default_configENS1_25transform_config_selectorIdLb1EEEZNS1_14transform_implILb1ES3_S5_PdS7_NS0_8identityIdEEEE10hipError_tT2_T3_mT4_P12ihipStream_tbEUlT_E_NS1_11comp_targetILNS1_3genE4ELNS1_11target_archE910ELNS1_3gpuE8ELNS1_3repE0EEENS1_30default_config_static_selectorELNS0_4arch9wavefront6targetE0EEEvT1_,"axG",@progbits,_ZN7rocprim17ROCPRIM_400000_NS6detail17trampoline_kernelINS0_14default_configENS1_25transform_config_selectorIdLb1EEEZNS1_14transform_implILb1ES3_S5_PdS7_NS0_8identityIdEEEE10hipError_tT2_T3_mT4_P12ihipStream_tbEUlT_E_NS1_11comp_targetILNS1_3genE4ELNS1_11target_archE910ELNS1_3gpuE8ELNS1_3repE0EEENS1_30default_config_static_selectorELNS0_4arch9wavefront6targetE0EEEvT1_,comdat
	.protected	_ZN7rocprim17ROCPRIM_400000_NS6detail17trampoline_kernelINS0_14default_configENS1_25transform_config_selectorIdLb1EEEZNS1_14transform_implILb1ES3_S5_PdS7_NS0_8identityIdEEEE10hipError_tT2_T3_mT4_P12ihipStream_tbEUlT_E_NS1_11comp_targetILNS1_3genE4ELNS1_11target_archE910ELNS1_3gpuE8ELNS1_3repE0EEENS1_30default_config_static_selectorELNS0_4arch9wavefront6targetE0EEEvT1_ ; -- Begin function _ZN7rocprim17ROCPRIM_400000_NS6detail17trampoline_kernelINS0_14default_configENS1_25transform_config_selectorIdLb1EEEZNS1_14transform_implILb1ES3_S5_PdS7_NS0_8identityIdEEEE10hipError_tT2_T3_mT4_P12ihipStream_tbEUlT_E_NS1_11comp_targetILNS1_3genE4ELNS1_11target_archE910ELNS1_3gpuE8ELNS1_3repE0EEENS1_30default_config_static_selectorELNS0_4arch9wavefront6targetE0EEEvT1_
	.globl	_ZN7rocprim17ROCPRIM_400000_NS6detail17trampoline_kernelINS0_14default_configENS1_25transform_config_selectorIdLb1EEEZNS1_14transform_implILb1ES3_S5_PdS7_NS0_8identityIdEEEE10hipError_tT2_T3_mT4_P12ihipStream_tbEUlT_E_NS1_11comp_targetILNS1_3genE4ELNS1_11target_archE910ELNS1_3gpuE8ELNS1_3repE0EEENS1_30default_config_static_selectorELNS0_4arch9wavefront6targetE0EEEvT1_
	.p2align	8
	.type	_ZN7rocprim17ROCPRIM_400000_NS6detail17trampoline_kernelINS0_14default_configENS1_25transform_config_selectorIdLb1EEEZNS1_14transform_implILb1ES3_S5_PdS7_NS0_8identityIdEEEE10hipError_tT2_T3_mT4_P12ihipStream_tbEUlT_E_NS1_11comp_targetILNS1_3genE4ELNS1_11target_archE910ELNS1_3gpuE8ELNS1_3repE0EEENS1_30default_config_static_selectorELNS0_4arch9wavefront6targetE0EEEvT1_,@function
_ZN7rocprim17ROCPRIM_400000_NS6detail17trampoline_kernelINS0_14default_configENS1_25transform_config_selectorIdLb1EEEZNS1_14transform_implILb1ES3_S5_PdS7_NS0_8identityIdEEEE10hipError_tT2_T3_mT4_P12ihipStream_tbEUlT_E_NS1_11comp_targetILNS1_3genE4ELNS1_11target_archE910ELNS1_3gpuE8ELNS1_3repE0EEENS1_30default_config_static_selectorELNS0_4arch9wavefront6targetE0EEEvT1_: ; @_ZN7rocprim17ROCPRIM_400000_NS6detail17trampoline_kernelINS0_14default_configENS1_25transform_config_selectorIdLb1EEEZNS1_14transform_implILb1ES3_S5_PdS7_NS0_8identityIdEEEE10hipError_tT2_T3_mT4_P12ihipStream_tbEUlT_E_NS1_11comp_targetILNS1_3genE4ELNS1_11target_archE910ELNS1_3gpuE8ELNS1_3repE0EEENS1_30default_config_static_selectorELNS0_4arch9wavefront6targetE0EEEvT1_
; %bb.0:
	.section	.rodata,"a",@progbits
	.p2align	6, 0x0
	.amdhsa_kernel _ZN7rocprim17ROCPRIM_400000_NS6detail17trampoline_kernelINS0_14default_configENS1_25transform_config_selectorIdLb1EEEZNS1_14transform_implILb1ES3_S5_PdS7_NS0_8identityIdEEEE10hipError_tT2_T3_mT4_P12ihipStream_tbEUlT_E_NS1_11comp_targetILNS1_3genE4ELNS1_11target_archE910ELNS1_3gpuE8ELNS1_3repE0EEENS1_30default_config_static_selectorELNS0_4arch9wavefront6targetE0EEEvT1_
		.amdhsa_group_segment_fixed_size 0
		.amdhsa_private_segment_fixed_size 0
		.amdhsa_kernarg_size 40
		.amdhsa_user_sgpr_count 2
		.amdhsa_user_sgpr_dispatch_ptr 0
		.amdhsa_user_sgpr_queue_ptr 0
		.amdhsa_user_sgpr_kernarg_segment_ptr 1
		.amdhsa_user_sgpr_dispatch_id 0
		.amdhsa_user_sgpr_private_segment_size 0
		.amdhsa_wavefront_size32 1
		.amdhsa_uses_dynamic_stack 0
		.amdhsa_enable_private_segment 0
		.amdhsa_system_sgpr_workgroup_id_x 1
		.amdhsa_system_sgpr_workgroup_id_y 0
		.amdhsa_system_sgpr_workgroup_id_z 0
		.amdhsa_system_sgpr_workgroup_info 0
		.amdhsa_system_vgpr_workitem_id 0
		.amdhsa_next_free_vgpr 1
		.amdhsa_next_free_sgpr 1
		.amdhsa_reserve_vcc 0
		.amdhsa_float_round_mode_32 0
		.amdhsa_float_round_mode_16_64 0
		.amdhsa_float_denorm_mode_32 3
		.amdhsa_float_denorm_mode_16_64 3
		.amdhsa_fp16_overflow 0
		.amdhsa_workgroup_processor_mode 1
		.amdhsa_memory_ordered 1
		.amdhsa_forward_progress 1
		.amdhsa_inst_pref_size 0
		.amdhsa_round_robin_scheduling 0
		.amdhsa_exception_fp_ieee_invalid_op 0
		.amdhsa_exception_fp_denorm_src 0
		.amdhsa_exception_fp_ieee_div_zero 0
		.amdhsa_exception_fp_ieee_overflow 0
		.amdhsa_exception_fp_ieee_underflow 0
		.amdhsa_exception_fp_ieee_inexact 0
		.amdhsa_exception_int_div_zero 0
	.end_amdhsa_kernel
	.section	.text._ZN7rocprim17ROCPRIM_400000_NS6detail17trampoline_kernelINS0_14default_configENS1_25transform_config_selectorIdLb1EEEZNS1_14transform_implILb1ES3_S5_PdS7_NS0_8identityIdEEEE10hipError_tT2_T3_mT4_P12ihipStream_tbEUlT_E_NS1_11comp_targetILNS1_3genE4ELNS1_11target_archE910ELNS1_3gpuE8ELNS1_3repE0EEENS1_30default_config_static_selectorELNS0_4arch9wavefront6targetE0EEEvT1_,"axG",@progbits,_ZN7rocprim17ROCPRIM_400000_NS6detail17trampoline_kernelINS0_14default_configENS1_25transform_config_selectorIdLb1EEEZNS1_14transform_implILb1ES3_S5_PdS7_NS0_8identityIdEEEE10hipError_tT2_T3_mT4_P12ihipStream_tbEUlT_E_NS1_11comp_targetILNS1_3genE4ELNS1_11target_archE910ELNS1_3gpuE8ELNS1_3repE0EEENS1_30default_config_static_selectorELNS0_4arch9wavefront6targetE0EEEvT1_,comdat
.Lfunc_end13:
	.size	_ZN7rocprim17ROCPRIM_400000_NS6detail17trampoline_kernelINS0_14default_configENS1_25transform_config_selectorIdLb1EEEZNS1_14transform_implILb1ES3_S5_PdS7_NS0_8identityIdEEEE10hipError_tT2_T3_mT4_P12ihipStream_tbEUlT_E_NS1_11comp_targetILNS1_3genE4ELNS1_11target_archE910ELNS1_3gpuE8ELNS1_3repE0EEENS1_30default_config_static_selectorELNS0_4arch9wavefront6targetE0EEEvT1_, .Lfunc_end13-_ZN7rocprim17ROCPRIM_400000_NS6detail17trampoline_kernelINS0_14default_configENS1_25transform_config_selectorIdLb1EEEZNS1_14transform_implILb1ES3_S5_PdS7_NS0_8identityIdEEEE10hipError_tT2_T3_mT4_P12ihipStream_tbEUlT_E_NS1_11comp_targetILNS1_3genE4ELNS1_11target_archE910ELNS1_3gpuE8ELNS1_3repE0EEENS1_30default_config_static_selectorELNS0_4arch9wavefront6targetE0EEEvT1_
                                        ; -- End function
	.set _ZN7rocprim17ROCPRIM_400000_NS6detail17trampoline_kernelINS0_14default_configENS1_25transform_config_selectorIdLb1EEEZNS1_14transform_implILb1ES3_S5_PdS7_NS0_8identityIdEEEE10hipError_tT2_T3_mT4_P12ihipStream_tbEUlT_E_NS1_11comp_targetILNS1_3genE4ELNS1_11target_archE910ELNS1_3gpuE8ELNS1_3repE0EEENS1_30default_config_static_selectorELNS0_4arch9wavefront6targetE0EEEvT1_.num_vgpr, 0
	.set _ZN7rocprim17ROCPRIM_400000_NS6detail17trampoline_kernelINS0_14default_configENS1_25transform_config_selectorIdLb1EEEZNS1_14transform_implILb1ES3_S5_PdS7_NS0_8identityIdEEEE10hipError_tT2_T3_mT4_P12ihipStream_tbEUlT_E_NS1_11comp_targetILNS1_3genE4ELNS1_11target_archE910ELNS1_3gpuE8ELNS1_3repE0EEENS1_30default_config_static_selectorELNS0_4arch9wavefront6targetE0EEEvT1_.num_agpr, 0
	.set _ZN7rocprim17ROCPRIM_400000_NS6detail17trampoline_kernelINS0_14default_configENS1_25transform_config_selectorIdLb1EEEZNS1_14transform_implILb1ES3_S5_PdS7_NS0_8identityIdEEEE10hipError_tT2_T3_mT4_P12ihipStream_tbEUlT_E_NS1_11comp_targetILNS1_3genE4ELNS1_11target_archE910ELNS1_3gpuE8ELNS1_3repE0EEENS1_30default_config_static_selectorELNS0_4arch9wavefront6targetE0EEEvT1_.numbered_sgpr, 0
	.set _ZN7rocprim17ROCPRIM_400000_NS6detail17trampoline_kernelINS0_14default_configENS1_25transform_config_selectorIdLb1EEEZNS1_14transform_implILb1ES3_S5_PdS7_NS0_8identityIdEEEE10hipError_tT2_T3_mT4_P12ihipStream_tbEUlT_E_NS1_11comp_targetILNS1_3genE4ELNS1_11target_archE910ELNS1_3gpuE8ELNS1_3repE0EEENS1_30default_config_static_selectorELNS0_4arch9wavefront6targetE0EEEvT1_.num_named_barrier, 0
	.set _ZN7rocprim17ROCPRIM_400000_NS6detail17trampoline_kernelINS0_14default_configENS1_25transform_config_selectorIdLb1EEEZNS1_14transform_implILb1ES3_S5_PdS7_NS0_8identityIdEEEE10hipError_tT2_T3_mT4_P12ihipStream_tbEUlT_E_NS1_11comp_targetILNS1_3genE4ELNS1_11target_archE910ELNS1_3gpuE8ELNS1_3repE0EEENS1_30default_config_static_selectorELNS0_4arch9wavefront6targetE0EEEvT1_.private_seg_size, 0
	.set _ZN7rocprim17ROCPRIM_400000_NS6detail17trampoline_kernelINS0_14default_configENS1_25transform_config_selectorIdLb1EEEZNS1_14transform_implILb1ES3_S5_PdS7_NS0_8identityIdEEEE10hipError_tT2_T3_mT4_P12ihipStream_tbEUlT_E_NS1_11comp_targetILNS1_3genE4ELNS1_11target_archE910ELNS1_3gpuE8ELNS1_3repE0EEENS1_30default_config_static_selectorELNS0_4arch9wavefront6targetE0EEEvT1_.uses_vcc, 0
	.set _ZN7rocprim17ROCPRIM_400000_NS6detail17trampoline_kernelINS0_14default_configENS1_25transform_config_selectorIdLb1EEEZNS1_14transform_implILb1ES3_S5_PdS7_NS0_8identityIdEEEE10hipError_tT2_T3_mT4_P12ihipStream_tbEUlT_E_NS1_11comp_targetILNS1_3genE4ELNS1_11target_archE910ELNS1_3gpuE8ELNS1_3repE0EEENS1_30default_config_static_selectorELNS0_4arch9wavefront6targetE0EEEvT1_.uses_flat_scratch, 0
	.set _ZN7rocprim17ROCPRIM_400000_NS6detail17trampoline_kernelINS0_14default_configENS1_25transform_config_selectorIdLb1EEEZNS1_14transform_implILb1ES3_S5_PdS7_NS0_8identityIdEEEE10hipError_tT2_T3_mT4_P12ihipStream_tbEUlT_E_NS1_11comp_targetILNS1_3genE4ELNS1_11target_archE910ELNS1_3gpuE8ELNS1_3repE0EEENS1_30default_config_static_selectorELNS0_4arch9wavefront6targetE0EEEvT1_.has_dyn_sized_stack, 0
	.set _ZN7rocprim17ROCPRIM_400000_NS6detail17trampoline_kernelINS0_14default_configENS1_25transform_config_selectorIdLb1EEEZNS1_14transform_implILb1ES3_S5_PdS7_NS0_8identityIdEEEE10hipError_tT2_T3_mT4_P12ihipStream_tbEUlT_E_NS1_11comp_targetILNS1_3genE4ELNS1_11target_archE910ELNS1_3gpuE8ELNS1_3repE0EEENS1_30default_config_static_selectorELNS0_4arch9wavefront6targetE0EEEvT1_.has_recursion, 0
	.set _ZN7rocprim17ROCPRIM_400000_NS6detail17trampoline_kernelINS0_14default_configENS1_25transform_config_selectorIdLb1EEEZNS1_14transform_implILb1ES3_S5_PdS7_NS0_8identityIdEEEE10hipError_tT2_T3_mT4_P12ihipStream_tbEUlT_E_NS1_11comp_targetILNS1_3genE4ELNS1_11target_archE910ELNS1_3gpuE8ELNS1_3repE0EEENS1_30default_config_static_selectorELNS0_4arch9wavefront6targetE0EEEvT1_.has_indirect_call, 0
	.section	.AMDGPU.csdata,"",@progbits
; Kernel info:
; codeLenInByte = 0
; TotalNumSgprs: 0
; NumVgprs: 0
; ScratchSize: 0
; MemoryBound: 0
; FloatMode: 240
; IeeeMode: 1
; LDSByteSize: 0 bytes/workgroup (compile time only)
; SGPRBlocks: 0
; VGPRBlocks: 0
; NumSGPRsForWavesPerEU: 1
; NumVGPRsForWavesPerEU: 1
; Occupancy: 16
; WaveLimiterHint : 0
; COMPUTE_PGM_RSRC2:SCRATCH_EN: 0
; COMPUTE_PGM_RSRC2:USER_SGPR: 2
; COMPUTE_PGM_RSRC2:TRAP_HANDLER: 0
; COMPUTE_PGM_RSRC2:TGID_X_EN: 1
; COMPUTE_PGM_RSRC2:TGID_Y_EN: 0
; COMPUTE_PGM_RSRC2:TGID_Z_EN: 0
; COMPUTE_PGM_RSRC2:TIDIG_COMP_CNT: 0
	.section	.text._ZN7rocprim17ROCPRIM_400000_NS6detail17trampoline_kernelINS0_14default_configENS1_25transform_config_selectorIdLb1EEEZNS1_14transform_implILb1ES3_S5_PdS7_NS0_8identityIdEEEE10hipError_tT2_T3_mT4_P12ihipStream_tbEUlT_E_NS1_11comp_targetILNS1_3genE3ELNS1_11target_archE908ELNS1_3gpuE7ELNS1_3repE0EEENS1_30default_config_static_selectorELNS0_4arch9wavefront6targetE0EEEvT1_,"axG",@progbits,_ZN7rocprim17ROCPRIM_400000_NS6detail17trampoline_kernelINS0_14default_configENS1_25transform_config_selectorIdLb1EEEZNS1_14transform_implILb1ES3_S5_PdS7_NS0_8identityIdEEEE10hipError_tT2_T3_mT4_P12ihipStream_tbEUlT_E_NS1_11comp_targetILNS1_3genE3ELNS1_11target_archE908ELNS1_3gpuE7ELNS1_3repE0EEENS1_30default_config_static_selectorELNS0_4arch9wavefront6targetE0EEEvT1_,comdat
	.protected	_ZN7rocprim17ROCPRIM_400000_NS6detail17trampoline_kernelINS0_14default_configENS1_25transform_config_selectorIdLb1EEEZNS1_14transform_implILb1ES3_S5_PdS7_NS0_8identityIdEEEE10hipError_tT2_T3_mT4_P12ihipStream_tbEUlT_E_NS1_11comp_targetILNS1_3genE3ELNS1_11target_archE908ELNS1_3gpuE7ELNS1_3repE0EEENS1_30default_config_static_selectorELNS0_4arch9wavefront6targetE0EEEvT1_ ; -- Begin function _ZN7rocprim17ROCPRIM_400000_NS6detail17trampoline_kernelINS0_14default_configENS1_25transform_config_selectorIdLb1EEEZNS1_14transform_implILb1ES3_S5_PdS7_NS0_8identityIdEEEE10hipError_tT2_T3_mT4_P12ihipStream_tbEUlT_E_NS1_11comp_targetILNS1_3genE3ELNS1_11target_archE908ELNS1_3gpuE7ELNS1_3repE0EEENS1_30default_config_static_selectorELNS0_4arch9wavefront6targetE0EEEvT1_
	.globl	_ZN7rocprim17ROCPRIM_400000_NS6detail17trampoline_kernelINS0_14default_configENS1_25transform_config_selectorIdLb1EEEZNS1_14transform_implILb1ES3_S5_PdS7_NS0_8identityIdEEEE10hipError_tT2_T3_mT4_P12ihipStream_tbEUlT_E_NS1_11comp_targetILNS1_3genE3ELNS1_11target_archE908ELNS1_3gpuE7ELNS1_3repE0EEENS1_30default_config_static_selectorELNS0_4arch9wavefront6targetE0EEEvT1_
	.p2align	8
	.type	_ZN7rocprim17ROCPRIM_400000_NS6detail17trampoline_kernelINS0_14default_configENS1_25transform_config_selectorIdLb1EEEZNS1_14transform_implILb1ES3_S5_PdS7_NS0_8identityIdEEEE10hipError_tT2_T3_mT4_P12ihipStream_tbEUlT_E_NS1_11comp_targetILNS1_3genE3ELNS1_11target_archE908ELNS1_3gpuE7ELNS1_3repE0EEENS1_30default_config_static_selectorELNS0_4arch9wavefront6targetE0EEEvT1_,@function
_ZN7rocprim17ROCPRIM_400000_NS6detail17trampoline_kernelINS0_14default_configENS1_25transform_config_selectorIdLb1EEEZNS1_14transform_implILb1ES3_S5_PdS7_NS0_8identityIdEEEE10hipError_tT2_T3_mT4_P12ihipStream_tbEUlT_E_NS1_11comp_targetILNS1_3genE3ELNS1_11target_archE908ELNS1_3gpuE7ELNS1_3repE0EEENS1_30default_config_static_selectorELNS0_4arch9wavefront6targetE0EEEvT1_: ; @_ZN7rocprim17ROCPRIM_400000_NS6detail17trampoline_kernelINS0_14default_configENS1_25transform_config_selectorIdLb1EEEZNS1_14transform_implILb1ES3_S5_PdS7_NS0_8identityIdEEEE10hipError_tT2_T3_mT4_P12ihipStream_tbEUlT_E_NS1_11comp_targetILNS1_3genE3ELNS1_11target_archE908ELNS1_3gpuE7ELNS1_3repE0EEENS1_30default_config_static_selectorELNS0_4arch9wavefront6targetE0EEEvT1_
; %bb.0:
	.section	.rodata,"a",@progbits
	.p2align	6, 0x0
	.amdhsa_kernel _ZN7rocprim17ROCPRIM_400000_NS6detail17trampoline_kernelINS0_14default_configENS1_25transform_config_selectorIdLb1EEEZNS1_14transform_implILb1ES3_S5_PdS7_NS0_8identityIdEEEE10hipError_tT2_T3_mT4_P12ihipStream_tbEUlT_E_NS1_11comp_targetILNS1_3genE3ELNS1_11target_archE908ELNS1_3gpuE7ELNS1_3repE0EEENS1_30default_config_static_selectorELNS0_4arch9wavefront6targetE0EEEvT1_
		.amdhsa_group_segment_fixed_size 0
		.amdhsa_private_segment_fixed_size 0
		.amdhsa_kernarg_size 40
		.amdhsa_user_sgpr_count 2
		.amdhsa_user_sgpr_dispatch_ptr 0
		.amdhsa_user_sgpr_queue_ptr 0
		.amdhsa_user_sgpr_kernarg_segment_ptr 1
		.amdhsa_user_sgpr_dispatch_id 0
		.amdhsa_user_sgpr_private_segment_size 0
		.amdhsa_wavefront_size32 1
		.amdhsa_uses_dynamic_stack 0
		.amdhsa_enable_private_segment 0
		.amdhsa_system_sgpr_workgroup_id_x 1
		.amdhsa_system_sgpr_workgroup_id_y 0
		.amdhsa_system_sgpr_workgroup_id_z 0
		.amdhsa_system_sgpr_workgroup_info 0
		.amdhsa_system_vgpr_workitem_id 0
		.amdhsa_next_free_vgpr 1
		.amdhsa_next_free_sgpr 1
		.amdhsa_reserve_vcc 0
		.amdhsa_float_round_mode_32 0
		.amdhsa_float_round_mode_16_64 0
		.amdhsa_float_denorm_mode_32 3
		.amdhsa_float_denorm_mode_16_64 3
		.amdhsa_fp16_overflow 0
		.amdhsa_workgroup_processor_mode 1
		.amdhsa_memory_ordered 1
		.amdhsa_forward_progress 1
		.amdhsa_inst_pref_size 0
		.amdhsa_round_robin_scheduling 0
		.amdhsa_exception_fp_ieee_invalid_op 0
		.amdhsa_exception_fp_denorm_src 0
		.amdhsa_exception_fp_ieee_div_zero 0
		.amdhsa_exception_fp_ieee_overflow 0
		.amdhsa_exception_fp_ieee_underflow 0
		.amdhsa_exception_fp_ieee_inexact 0
		.amdhsa_exception_int_div_zero 0
	.end_amdhsa_kernel
	.section	.text._ZN7rocprim17ROCPRIM_400000_NS6detail17trampoline_kernelINS0_14default_configENS1_25transform_config_selectorIdLb1EEEZNS1_14transform_implILb1ES3_S5_PdS7_NS0_8identityIdEEEE10hipError_tT2_T3_mT4_P12ihipStream_tbEUlT_E_NS1_11comp_targetILNS1_3genE3ELNS1_11target_archE908ELNS1_3gpuE7ELNS1_3repE0EEENS1_30default_config_static_selectorELNS0_4arch9wavefront6targetE0EEEvT1_,"axG",@progbits,_ZN7rocprim17ROCPRIM_400000_NS6detail17trampoline_kernelINS0_14default_configENS1_25transform_config_selectorIdLb1EEEZNS1_14transform_implILb1ES3_S5_PdS7_NS0_8identityIdEEEE10hipError_tT2_T3_mT4_P12ihipStream_tbEUlT_E_NS1_11comp_targetILNS1_3genE3ELNS1_11target_archE908ELNS1_3gpuE7ELNS1_3repE0EEENS1_30default_config_static_selectorELNS0_4arch9wavefront6targetE0EEEvT1_,comdat
.Lfunc_end14:
	.size	_ZN7rocprim17ROCPRIM_400000_NS6detail17trampoline_kernelINS0_14default_configENS1_25transform_config_selectorIdLb1EEEZNS1_14transform_implILb1ES3_S5_PdS7_NS0_8identityIdEEEE10hipError_tT2_T3_mT4_P12ihipStream_tbEUlT_E_NS1_11comp_targetILNS1_3genE3ELNS1_11target_archE908ELNS1_3gpuE7ELNS1_3repE0EEENS1_30default_config_static_selectorELNS0_4arch9wavefront6targetE0EEEvT1_, .Lfunc_end14-_ZN7rocprim17ROCPRIM_400000_NS6detail17trampoline_kernelINS0_14default_configENS1_25transform_config_selectorIdLb1EEEZNS1_14transform_implILb1ES3_S5_PdS7_NS0_8identityIdEEEE10hipError_tT2_T3_mT4_P12ihipStream_tbEUlT_E_NS1_11comp_targetILNS1_3genE3ELNS1_11target_archE908ELNS1_3gpuE7ELNS1_3repE0EEENS1_30default_config_static_selectorELNS0_4arch9wavefront6targetE0EEEvT1_
                                        ; -- End function
	.set _ZN7rocprim17ROCPRIM_400000_NS6detail17trampoline_kernelINS0_14default_configENS1_25transform_config_selectorIdLb1EEEZNS1_14transform_implILb1ES3_S5_PdS7_NS0_8identityIdEEEE10hipError_tT2_T3_mT4_P12ihipStream_tbEUlT_E_NS1_11comp_targetILNS1_3genE3ELNS1_11target_archE908ELNS1_3gpuE7ELNS1_3repE0EEENS1_30default_config_static_selectorELNS0_4arch9wavefront6targetE0EEEvT1_.num_vgpr, 0
	.set _ZN7rocprim17ROCPRIM_400000_NS6detail17trampoline_kernelINS0_14default_configENS1_25transform_config_selectorIdLb1EEEZNS1_14transform_implILb1ES3_S5_PdS7_NS0_8identityIdEEEE10hipError_tT2_T3_mT4_P12ihipStream_tbEUlT_E_NS1_11comp_targetILNS1_3genE3ELNS1_11target_archE908ELNS1_3gpuE7ELNS1_3repE0EEENS1_30default_config_static_selectorELNS0_4arch9wavefront6targetE0EEEvT1_.num_agpr, 0
	.set _ZN7rocprim17ROCPRIM_400000_NS6detail17trampoline_kernelINS0_14default_configENS1_25transform_config_selectorIdLb1EEEZNS1_14transform_implILb1ES3_S5_PdS7_NS0_8identityIdEEEE10hipError_tT2_T3_mT4_P12ihipStream_tbEUlT_E_NS1_11comp_targetILNS1_3genE3ELNS1_11target_archE908ELNS1_3gpuE7ELNS1_3repE0EEENS1_30default_config_static_selectorELNS0_4arch9wavefront6targetE0EEEvT1_.numbered_sgpr, 0
	.set _ZN7rocprim17ROCPRIM_400000_NS6detail17trampoline_kernelINS0_14default_configENS1_25transform_config_selectorIdLb1EEEZNS1_14transform_implILb1ES3_S5_PdS7_NS0_8identityIdEEEE10hipError_tT2_T3_mT4_P12ihipStream_tbEUlT_E_NS1_11comp_targetILNS1_3genE3ELNS1_11target_archE908ELNS1_3gpuE7ELNS1_3repE0EEENS1_30default_config_static_selectorELNS0_4arch9wavefront6targetE0EEEvT1_.num_named_barrier, 0
	.set _ZN7rocprim17ROCPRIM_400000_NS6detail17trampoline_kernelINS0_14default_configENS1_25transform_config_selectorIdLb1EEEZNS1_14transform_implILb1ES3_S5_PdS7_NS0_8identityIdEEEE10hipError_tT2_T3_mT4_P12ihipStream_tbEUlT_E_NS1_11comp_targetILNS1_3genE3ELNS1_11target_archE908ELNS1_3gpuE7ELNS1_3repE0EEENS1_30default_config_static_selectorELNS0_4arch9wavefront6targetE0EEEvT1_.private_seg_size, 0
	.set _ZN7rocprim17ROCPRIM_400000_NS6detail17trampoline_kernelINS0_14default_configENS1_25transform_config_selectorIdLb1EEEZNS1_14transform_implILb1ES3_S5_PdS7_NS0_8identityIdEEEE10hipError_tT2_T3_mT4_P12ihipStream_tbEUlT_E_NS1_11comp_targetILNS1_3genE3ELNS1_11target_archE908ELNS1_3gpuE7ELNS1_3repE0EEENS1_30default_config_static_selectorELNS0_4arch9wavefront6targetE0EEEvT1_.uses_vcc, 0
	.set _ZN7rocprim17ROCPRIM_400000_NS6detail17trampoline_kernelINS0_14default_configENS1_25transform_config_selectorIdLb1EEEZNS1_14transform_implILb1ES3_S5_PdS7_NS0_8identityIdEEEE10hipError_tT2_T3_mT4_P12ihipStream_tbEUlT_E_NS1_11comp_targetILNS1_3genE3ELNS1_11target_archE908ELNS1_3gpuE7ELNS1_3repE0EEENS1_30default_config_static_selectorELNS0_4arch9wavefront6targetE0EEEvT1_.uses_flat_scratch, 0
	.set _ZN7rocprim17ROCPRIM_400000_NS6detail17trampoline_kernelINS0_14default_configENS1_25transform_config_selectorIdLb1EEEZNS1_14transform_implILb1ES3_S5_PdS7_NS0_8identityIdEEEE10hipError_tT2_T3_mT4_P12ihipStream_tbEUlT_E_NS1_11comp_targetILNS1_3genE3ELNS1_11target_archE908ELNS1_3gpuE7ELNS1_3repE0EEENS1_30default_config_static_selectorELNS0_4arch9wavefront6targetE0EEEvT1_.has_dyn_sized_stack, 0
	.set _ZN7rocprim17ROCPRIM_400000_NS6detail17trampoline_kernelINS0_14default_configENS1_25transform_config_selectorIdLb1EEEZNS1_14transform_implILb1ES3_S5_PdS7_NS0_8identityIdEEEE10hipError_tT2_T3_mT4_P12ihipStream_tbEUlT_E_NS1_11comp_targetILNS1_3genE3ELNS1_11target_archE908ELNS1_3gpuE7ELNS1_3repE0EEENS1_30default_config_static_selectorELNS0_4arch9wavefront6targetE0EEEvT1_.has_recursion, 0
	.set _ZN7rocprim17ROCPRIM_400000_NS6detail17trampoline_kernelINS0_14default_configENS1_25transform_config_selectorIdLb1EEEZNS1_14transform_implILb1ES3_S5_PdS7_NS0_8identityIdEEEE10hipError_tT2_T3_mT4_P12ihipStream_tbEUlT_E_NS1_11comp_targetILNS1_3genE3ELNS1_11target_archE908ELNS1_3gpuE7ELNS1_3repE0EEENS1_30default_config_static_selectorELNS0_4arch9wavefront6targetE0EEEvT1_.has_indirect_call, 0
	.section	.AMDGPU.csdata,"",@progbits
; Kernel info:
; codeLenInByte = 0
; TotalNumSgprs: 0
; NumVgprs: 0
; ScratchSize: 0
; MemoryBound: 0
; FloatMode: 240
; IeeeMode: 1
; LDSByteSize: 0 bytes/workgroup (compile time only)
; SGPRBlocks: 0
; VGPRBlocks: 0
; NumSGPRsForWavesPerEU: 1
; NumVGPRsForWavesPerEU: 1
; Occupancy: 16
; WaveLimiterHint : 0
; COMPUTE_PGM_RSRC2:SCRATCH_EN: 0
; COMPUTE_PGM_RSRC2:USER_SGPR: 2
; COMPUTE_PGM_RSRC2:TRAP_HANDLER: 0
; COMPUTE_PGM_RSRC2:TGID_X_EN: 1
; COMPUTE_PGM_RSRC2:TGID_Y_EN: 0
; COMPUTE_PGM_RSRC2:TGID_Z_EN: 0
; COMPUTE_PGM_RSRC2:TIDIG_COMP_CNT: 0
	.section	.text._ZN7rocprim17ROCPRIM_400000_NS6detail17trampoline_kernelINS0_14default_configENS1_25transform_config_selectorIdLb1EEEZNS1_14transform_implILb1ES3_S5_PdS7_NS0_8identityIdEEEE10hipError_tT2_T3_mT4_P12ihipStream_tbEUlT_E_NS1_11comp_targetILNS1_3genE2ELNS1_11target_archE906ELNS1_3gpuE6ELNS1_3repE0EEENS1_30default_config_static_selectorELNS0_4arch9wavefront6targetE0EEEvT1_,"axG",@progbits,_ZN7rocprim17ROCPRIM_400000_NS6detail17trampoline_kernelINS0_14default_configENS1_25transform_config_selectorIdLb1EEEZNS1_14transform_implILb1ES3_S5_PdS7_NS0_8identityIdEEEE10hipError_tT2_T3_mT4_P12ihipStream_tbEUlT_E_NS1_11comp_targetILNS1_3genE2ELNS1_11target_archE906ELNS1_3gpuE6ELNS1_3repE0EEENS1_30default_config_static_selectorELNS0_4arch9wavefront6targetE0EEEvT1_,comdat
	.protected	_ZN7rocprim17ROCPRIM_400000_NS6detail17trampoline_kernelINS0_14default_configENS1_25transform_config_selectorIdLb1EEEZNS1_14transform_implILb1ES3_S5_PdS7_NS0_8identityIdEEEE10hipError_tT2_T3_mT4_P12ihipStream_tbEUlT_E_NS1_11comp_targetILNS1_3genE2ELNS1_11target_archE906ELNS1_3gpuE6ELNS1_3repE0EEENS1_30default_config_static_selectorELNS0_4arch9wavefront6targetE0EEEvT1_ ; -- Begin function _ZN7rocprim17ROCPRIM_400000_NS6detail17trampoline_kernelINS0_14default_configENS1_25transform_config_selectorIdLb1EEEZNS1_14transform_implILb1ES3_S5_PdS7_NS0_8identityIdEEEE10hipError_tT2_T3_mT4_P12ihipStream_tbEUlT_E_NS1_11comp_targetILNS1_3genE2ELNS1_11target_archE906ELNS1_3gpuE6ELNS1_3repE0EEENS1_30default_config_static_selectorELNS0_4arch9wavefront6targetE0EEEvT1_
	.globl	_ZN7rocprim17ROCPRIM_400000_NS6detail17trampoline_kernelINS0_14default_configENS1_25transform_config_selectorIdLb1EEEZNS1_14transform_implILb1ES3_S5_PdS7_NS0_8identityIdEEEE10hipError_tT2_T3_mT4_P12ihipStream_tbEUlT_E_NS1_11comp_targetILNS1_3genE2ELNS1_11target_archE906ELNS1_3gpuE6ELNS1_3repE0EEENS1_30default_config_static_selectorELNS0_4arch9wavefront6targetE0EEEvT1_
	.p2align	8
	.type	_ZN7rocprim17ROCPRIM_400000_NS6detail17trampoline_kernelINS0_14default_configENS1_25transform_config_selectorIdLb1EEEZNS1_14transform_implILb1ES3_S5_PdS7_NS0_8identityIdEEEE10hipError_tT2_T3_mT4_P12ihipStream_tbEUlT_E_NS1_11comp_targetILNS1_3genE2ELNS1_11target_archE906ELNS1_3gpuE6ELNS1_3repE0EEENS1_30default_config_static_selectorELNS0_4arch9wavefront6targetE0EEEvT1_,@function
_ZN7rocprim17ROCPRIM_400000_NS6detail17trampoline_kernelINS0_14default_configENS1_25transform_config_selectorIdLb1EEEZNS1_14transform_implILb1ES3_S5_PdS7_NS0_8identityIdEEEE10hipError_tT2_T3_mT4_P12ihipStream_tbEUlT_E_NS1_11comp_targetILNS1_3genE2ELNS1_11target_archE906ELNS1_3gpuE6ELNS1_3repE0EEENS1_30default_config_static_selectorELNS0_4arch9wavefront6targetE0EEEvT1_: ; @_ZN7rocprim17ROCPRIM_400000_NS6detail17trampoline_kernelINS0_14default_configENS1_25transform_config_selectorIdLb1EEEZNS1_14transform_implILb1ES3_S5_PdS7_NS0_8identityIdEEEE10hipError_tT2_T3_mT4_P12ihipStream_tbEUlT_E_NS1_11comp_targetILNS1_3genE2ELNS1_11target_archE906ELNS1_3gpuE6ELNS1_3repE0EEENS1_30default_config_static_selectorELNS0_4arch9wavefront6targetE0EEEvT1_
; %bb.0:
	.section	.rodata,"a",@progbits
	.p2align	6, 0x0
	.amdhsa_kernel _ZN7rocprim17ROCPRIM_400000_NS6detail17trampoline_kernelINS0_14default_configENS1_25transform_config_selectorIdLb1EEEZNS1_14transform_implILb1ES3_S5_PdS7_NS0_8identityIdEEEE10hipError_tT2_T3_mT4_P12ihipStream_tbEUlT_E_NS1_11comp_targetILNS1_3genE2ELNS1_11target_archE906ELNS1_3gpuE6ELNS1_3repE0EEENS1_30default_config_static_selectorELNS0_4arch9wavefront6targetE0EEEvT1_
		.amdhsa_group_segment_fixed_size 0
		.amdhsa_private_segment_fixed_size 0
		.amdhsa_kernarg_size 40
		.amdhsa_user_sgpr_count 2
		.amdhsa_user_sgpr_dispatch_ptr 0
		.amdhsa_user_sgpr_queue_ptr 0
		.amdhsa_user_sgpr_kernarg_segment_ptr 1
		.amdhsa_user_sgpr_dispatch_id 0
		.amdhsa_user_sgpr_private_segment_size 0
		.amdhsa_wavefront_size32 1
		.amdhsa_uses_dynamic_stack 0
		.amdhsa_enable_private_segment 0
		.amdhsa_system_sgpr_workgroup_id_x 1
		.amdhsa_system_sgpr_workgroup_id_y 0
		.amdhsa_system_sgpr_workgroup_id_z 0
		.amdhsa_system_sgpr_workgroup_info 0
		.amdhsa_system_vgpr_workitem_id 0
		.amdhsa_next_free_vgpr 1
		.amdhsa_next_free_sgpr 1
		.amdhsa_reserve_vcc 0
		.amdhsa_float_round_mode_32 0
		.amdhsa_float_round_mode_16_64 0
		.amdhsa_float_denorm_mode_32 3
		.amdhsa_float_denorm_mode_16_64 3
		.amdhsa_fp16_overflow 0
		.amdhsa_workgroup_processor_mode 1
		.amdhsa_memory_ordered 1
		.amdhsa_forward_progress 1
		.amdhsa_inst_pref_size 0
		.amdhsa_round_robin_scheduling 0
		.amdhsa_exception_fp_ieee_invalid_op 0
		.amdhsa_exception_fp_denorm_src 0
		.amdhsa_exception_fp_ieee_div_zero 0
		.amdhsa_exception_fp_ieee_overflow 0
		.amdhsa_exception_fp_ieee_underflow 0
		.amdhsa_exception_fp_ieee_inexact 0
		.amdhsa_exception_int_div_zero 0
	.end_amdhsa_kernel
	.section	.text._ZN7rocprim17ROCPRIM_400000_NS6detail17trampoline_kernelINS0_14default_configENS1_25transform_config_selectorIdLb1EEEZNS1_14transform_implILb1ES3_S5_PdS7_NS0_8identityIdEEEE10hipError_tT2_T3_mT4_P12ihipStream_tbEUlT_E_NS1_11comp_targetILNS1_3genE2ELNS1_11target_archE906ELNS1_3gpuE6ELNS1_3repE0EEENS1_30default_config_static_selectorELNS0_4arch9wavefront6targetE0EEEvT1_,"axG",@progbits,_ZN7rocprim17ROCPRIM_400000_NS6detail17trampoline_kernelINS0_14default_configENS1_25transform_config_selectorIdLb1EEEZNS1_14transform_implILb1ES3_S5_PdS7_NS0_8identityIdEEEE10hipError_tT2_T3_mT4_P12ihipStream_tbEUlT_E_NS1_11comp_targetILNS1_3genE2ELNS1_11target_archE906ELNS1_3gpuE6ELNS1_3repE0EEENS1_30default_config_static_selectorELNS0_4arch9wavefront6targetE0EEEvT1_,comdat
.Lfunc_end15:
	.size	_ZN7rocprim17ROCPRIM_400000_NS6detail17trampoline_kernelINS0_14default_configENS1_25transform_config_selectorIdLb1EEEZNS1_14transform_implILb1ES3_S5_PdS7_NS0_8identityIdEEEE10hipError_tT2_T3_mT4_P12ihipStream_tbEUlT_E_NS1_11comp_targetILNS1_3genE2ELNS1_11target_archE906ELNS1_3gpuE6ELNS1_3repE0EEENS1_30default_config_static_selectorELNS0_4arch9wavefront6targetE0EEEvT1_, .Lfunc_end15-_ZN7rocprim17ROCPRIM_400000_NS6detail17trampoline_kernelINS0_14default_configENS1_25transform_config_selectorIdLb1EEEZNS1_14transform_implILb1ES3_S5_PdS7_NS0_8identityIdEEEE10hipError_tT2_T3_mT4_P12ihipStream_tbEUlT_E_NS1_11comp_targetILNS1_3genE2ELNS1_11target_archE906ELNS1_3gpuE6ELNS1_3repE0EEENS1_30default_config_static_selectorELNS0_4arch9wavefront6targetE0EEEvT1_
                                        ; -- End function
	.set _ZN7rocprim17ROCPRIM_400000_NS6detail17trampoline_kernelINS0_14default_configENS1_25transform_config_selectorIdLb1EEEZNS1_14transform_implILb1ES3_S5_PdS7_NS0_8identityIdEEEE10hipError_tT2_T3_mT4_P12ihipStream_tbEUlT_E_NS1_11comp_targetILNS1_3genE2ELNS1_11target_archE906ELNS1_3gpuE6ELNS1_3repE0EEENS1_30default_config_static_selectorELNS0_4arch9wavefront6targetE0EEEvT1_.num_vgpr, 0
	.set _ZN7rocprim17ROCPRIM_400000_NS6detail17trampoline_kernelINS0_14default_configENS1_25transform_config_selectorIdLb1EEEZNS1_14transform_implILb1ES3_S5_PdS7_NS0_8identityIdEEEE10hipError_tT2_T3_mT4_P12ihipStream_tbEUlT_E_NS1_11comp_targetILNS1_3genE2ELNS1_11target_archE906ELNS1_3gpuE6ELNS1_3repE0EEENS1_30default_config_static_selectorELNS0_4arch9wavefront6targetE0EEEvT1_.num_agpr, 0
	.set _ZN7rocprim17ROCPRIM_400000_NS6detail17trampoline_kernelINS0_14default_configENS1_25transform_config_selectorIdLb1EEEZNS1_14transform_implILb1ES3_S5_PdS7_NS0_8identityIdEEEE10hipError_tT2_T3_mT4_P12ihipStream_tbEUlT_E_NS1_11comp_targetILNS1_3genE2ELNS1_11target_archE906ELNS1_3gpuE6ELNS1_3repE0EEENS1_30default_config_static_selectorELNS0_4arch9wavefront6targetE0EEEvT1_.numbered_sgpr, 0
	.set _ZN7rocprim17ROCPRIM_400000_NS6detail17trampoline_kernelINS0_14default_configENS1_25transform_config_selectorIdLb1EEEZNS1_14transform_implILb1ES3_S5_PdS7_NS0_8identityIdEEEE10hipError_tT2_T3_mT4_P12ihipStream_tbEUlT_E_NS1_11comp_targetILNS1_3genE2ELNS1_11target_archE906ELNS1_3gpuE6ELNS1_3repE0EEENS1_30default_config_static_selectorELNS0_4arch9wavefront6targetE0EEEvT1_.num_named_barrier, 0
	.set _ZN7rocprim17ROCPRIM_400000_NS6detail17trampoline_kernelINS0_14default_configENS1_25transform_config_selectorIdLb1EEEZNS1_14transform_implILb1ES3_S5_PdS7_NS0_8identityIdEEEE10hipError_tT2_T3_mT4_P12ihipStream_tbEUlT_E_NS1_11comp_targetILNS1_3genE2ELNS1_11target_archE906ELNS1_3gpuE6ELNS1_3repE0EEENS1_30default_config_static_selectorELNS0_4arch9wavefront6targetE0EEEvT1_.private_seg_size, 0
	.set _ZN7rocprim17ROCPRIM_400000_NS6detail17trampoline_kernelINS0_14default_configENS1_25transform_config_selectorIdLb1EEEZNS1_14transform_implILb1ES3_S5_PdS7_NS0_8identityIdEEEE10hipError_tT2_T3_mT4_P12ihipStream_tbEUlT_E_NS1_11comp_targetILNS1_3genE2ELNS1_11target_archE906ELNS1_3gpuE6ELNS1_3repE0EEENS1_30default_config_static_selectorELNS0_4arch9wavefront6targetE0EEEvT1_.uses_vcc, 0
	.set _ZN7rocprim17ROCPRIM_400000_NS6detail17trampoline_kernelINS0_14default_configENS1_25transform_config_selectorIdLb1EEEZNS1_14transform_implILb1ES3_S5_PdS7_NS0_8identityIdEEEE10hipError_tT2_T3_mT4_P12ihipStream_tbEUlT_E_NS1_11comp_targetILNS1_3genE2ELNS1_11target_archE906ELNS1_3gpuE6ELNS1_3repE0EEENS1_30default_config_static_selectorELNS0_4arch9wavefront6targetE0EEEvT1_.uses_flat_scratch, 0
	.set _ZN7rocprim17ROCPRIM_400000_NS6detail17trampoline_kernelINS0_14default_configENS1_25transform_config_selectorIdLb1EEEZNS1_14transform_implILb1ES3_S5_PdS7_NS0_8identityIdEEEE10hipError_tT2_T3_mT4_P12ihipStream_tbEUlT_E_NS1_11comp_targetILNS1_3genE2ELNS1_11target_archE906ELNS1_3gpuE6ELNS1_3repE0EEENS1_30default_config_static_selectorELNS0_4arch9wavefront6targetE0EEEvT1_.has_dyn_sized_stack, 0
	.set _ZN7rocprim17ROCPRIM_400000_NS6detail17trampoline_kernelINS0_14default_configENS1_25transform_config_selectorIdLb1EEEZNS1_14transform_implILb1ES3_S5_PdS7_NS0_8identityIdEEEE10hipError_tT2_T3_mT4_P12ihipStream_tbEUlT_E_NS1_11comp_targetILNS1_3genE2ELNS1_11target_archE906ELNS1_3gpuE6ELNS1_3repE0EEENS1_30default_config_static_selectorELNS0_4arch9wavefront6targetE0EEEvT1_.has_recursion, 0
	.set _ZN7rocprim17ROCPRIM_400000_NS6detail17trampoline_kernelINS0_14default_configENS1_25transform_config_selectorIdLb1EEEZNS1_14transform_implILb1ES3_S5_PdS7_NS0_8identityIdEEEE10hipError_tT2_T3_mT4_P12ihipStream_tbEUlT_E_NS1_11comp_targetILNS1_3genE2ELNS1_11target_archE906ELNS1_3gpuE6ELNS1_3repE0EEENS1_30default_config_static_selectorELNS0_4arch9wavefront6targetE0EEEvT1_.has_indirect_call, 0
	.section	.AMDGPU.csdata,"",@progbits
; Kernel info:
; codeLenInByte = 0
; TotalNumSgprs: 0
; NumVgprs: 0
; ScratchSize: 0
; MemoryBound: 0
; FloatMode: 240
; IeeeMode: 1
; LDSByteSize: 0 bytes/workgroup (compile time only)
; SGPRBlocks: 0
; VGPRBlocks: 0
; NumSGPRsForWavesPerEU: 1
; NumVGPRsForWavesPerEU: 1
; Occupancy: 16
; WaveLimiterHint : 0
; COMPUTE_PGM_RSRC2:SCRATCH_EN: 0
; COMPUTE_PGM_RSRC2:USER_SGPR: 2
; COMPUTE_PGM_RSRC2:TRAP_HANDLER: 0
; COMPUTE_PGM_RSRC2:TGID_X_EN: 1
; COMPUTE_PGM_RSRC2:TGID_Y_EN: 0
; COMPUTE_PGM_RSRC2:TGID_Z_EN: 0
; COMPUTE_PGM_RSRC2:TIDIG_COMP_CNT: 0
	.section	.text._ZN7rocprim17ROCPRIM_400000_NS6detail17trampoline_kernelINS0_14default_configENS1_25transform_config_selectorIdLb1EEEZNS1_14transform_implILb1ES3_S5_PdS7_NS0_8identityIdEEEE10hipError_tT2_T3_mT4_P12ihipStream_tbEUlT_E_NS1_11comp_targetILNS1_3genE9ELNS1_11target_archE1100ELNS1_3gpuE3ELNS1_3repE0EEENS1_30default_config_static_selectorELNS0_4arch9wavefront6targetE0EEEvT1_,"axG",@progbits,_ZN7rocprim17ROCPRIM_400000_NS6detail17trampoline_kernelINS0_14default_configENS1_25transform_config_selectorIdLb1EEEZNS1_14transform_implILb1ES3_S5_PdS7_NS0_8identityIdEEEE10hipError_tT2_T3_mT4_P12ihipStream_tbEUlT_E_NS1_11comp_targetILNS1_3genE9ELNS1_11target_archE1100ELNS1_3gpuE3ELNS1_3repE0EEENS1_30default_config_static_selectorELNS0_4arch9wavefront6targetE0EEEvT1_,comdat
	.protected	_ZN7rocprim17ROCPRIM_400000_NS6detail17trampoline_kernelINS0_14default_configENS1_25transform_config_selectorIdLb1EEEZNS1_14transform_implILb1ES3_S5_PdS7_NS0_8identityIdEEEE10hipError_tT2_T3_mT4_P12ihipStream_tbEUlT_E_NS1_11comp_targetILNS1_3genE9ELNS1_11target_archE1100ELNS1_3gpuE3ELNS1_3repE0EEENS1_30default_config_static_selectorELNS0_4arch9wavefront6targetE0EEEvT1_ ; -- Begin function _ZN7rocprim17ROCPRIM_400000_NS6detail17trampoline_kernelINS0_14default_configENS1_25transform_config_selectorIdLb1EEEZNS1_14transform_implILb1ES3_S5_PdS7_NS0_8identityIdEEEE10hipError_tT2_T3_mT4_P12ihipStream_tbEUlT_E_NS1_11comp_targetILNS1_3genE9ELNS1_11target_archE1100ELNS1_3gpuE3ELNS1_3repE0EEENS1_30default_config_static_selectorELNS0_4arch9wavefront6targetE0EEEvT1_
	.globl	_ZN7rocprim17ROCPRIM_400000_NS6detail17trampoline_kernelINS0_14default_configENS1_25transform_config_selectorIdLb1EEEZNS1_14transform_implILb1ES3_S5_PdS7_NS0_8identityIdEEEE10hipError_tT2_T3_mT4_P12ihipStream_tbEUlT_E_NS1_11comp_targetILNS1_3genE9ELNS1_11target_archE1100ELNS1_3gpuE3ELNS1_3repE0EEENS1_30default_config_static_selectorELNS0_4arch9wavefront6targetE0EEEvT1_
	.p2align	8
	.type	_ZN7rocprim17ROCPRIM_400000_NS6detail17trampoline_kernelINS0_14default_configENS1_25transform_config_selectorIdLb1EEEZNS1_14transform_implILb1ES3_S5_PdS7_NS0_8identityIdEEEE10hipError_tT2_T3_mT4_P12ihipStream_tbEUlT_E_NS1_11comp_targetILNS1_3genE9ELNS1_11target_archE1100ELNS1_3gpuE3ELNS1_3repE0EEENS1_30default_config_static_selectorELNS0_4arch9wavefront6targetE0EEEvT1_,@function
_ZN7rocprim17ROCPRIM_400000_NS6detail17trampoline_kernelINS0_14default_configENS1_25transform_config_selectorIdLb1EEEZNS1_14transform_implILb1ES3_S5_PdS7_NS0_8identityIdEEEE10hipError_tT2_T3_mT4_P12ihipStream_tbEUlT_E_NS1_11comp_targetILNS1_3genE9ELNS1_11target_archE1100ELNS1_3gpuE3ELNS1_3repE0EEENS1_30default_config_static_selectorELNS0_4arch9wavefront6targetE0EEEvT1_: ; @_ZN7rocprim17ROCPRIM_400000_NS6detail17trampoline_kernelINS0_14default_configENS1_25transform_config_selectorIdLb1EEEZNS1_14transform_implILb1ES3_S5_PdS7_NS0_8identityIdEEEE10hipError_tT2_T3_mT4_P12ihipStream_tbEUlT_E_NS1_11comp_targetILNS1_3genE9ELNS1_11target_archE1100ELNS1_3gpuE3ELNS1_3repE0EEENS1_30default_config_static_selectorELNS0_4arch9wavefront6targetE0EEEvT1_
; %bb.0:
	.section	.rodata,"a",@progbits
	.p2align	6, 0x0
	.amdhsa_kernel _ZN7rocprim17ROCPRIM_400000_NS6detail17trampoline_kernelINS0_14default_configENS1_25transform_config_selectorIdLb1EEEZNS1_14transform_implILb1ES3_S5_PdS7_NS0_8identityIdEEEE10hipError_tT2_T3_mT4_P12ihipStream_tbEUlT_E_NS1_11comp_targetILNS1_3genE9ELNS1_11target_archE1100ELNS1_3gpuE3ELNS1_3repE0EEENS1_30default_config_static_selectorELNS0_4arch9wavefront6targetE0EEEvT1_
		.amdhsa_group_segment_fixed_size 0
		.amdhsa_private_segment_fixed_size 0
		.amdhsa_kernarg_size 40
		.amdhsa_user_sgpr_count 2
		.amdhsa_user_sgpr_dispatch_ptr 0
		.amdhsa_user_sgpr_queue_ptr 0
		.amdhsa_user_sgpr_kernarg_segment_ptr 1
		.amdhsa_user_sgpr_dispatch_id 0
		.amdhsa_user_sgpr_private_segment_size 0
		.amdhsa_wavefront_size32 1
		.amdhsa_uses_dynamic_stack 0
		.amdhsa_enable_private_segment 0
		.amdhsa_system_sgpr_workgroup_id_x 1
		.amdhsa_system_sgpr_workgroup_id_y 0
		.amdhsa_system_sgpr_workgroup_id_z 0
		.amdhsa_system_sgpr_workgroup_info 0
		.amdhsa_system_vgpr_workitem_id 0
		.amdhsa_next_free_vgpr 1
		.amdhsa_next_free_sgpr 1
		.amdhsa_reserve_vcc 0
		.amdhsa_float_round_mode_32 0
		.amdhsa_float_round_mode_16_64 0
		.amdhsa_float_denorm_mode_32 3
		.amdhsa_float_denorm_mode_16_64 3
		.amdhsa_fp16_overflow 0
		.amdhsa_workgroup_processor_mode 1
		.amdhsa_memory_ordered 1
		.amdhsa_forward_progress 1
		.amdhsa_inst_pref_size 0
		.amdhsa_round_robin_scheduling 0
		.amdhsa_exception_fp_ieee_invalid_op 0
		.amdhsa_exception_fp_denorm_src 0
		.amdhsa_exception_fp_ieee_div_zero 0
		.amdhsa_exception_fp_ieee_overflow 0
		.amdhsa_exception_fp_ieee_underflow 0
		.amdhsa_exception_fp_ieee_inexact 0
		.amdhsa_exception_int_div_zero 0
	.end_amdhsa_kernel
	.section	.text._ZN7rocprim17ROCPRIM_400000_NS6detail17trampoline_kernelINS0_14default_configENS1_25transform_config_selectorIdLb1EEEZNS1_14transform_implILb1ES3_S5_PdS7_NS0_8identityIdEEEE10hipError_tT2_T3_mT4_P12ihipStream_tbEUlT_E_NS1_11comp_targetILNS1_3genE9ELNS1_11target_archE1100ELNS1_3gpuE3ELNS1_3repE0EEENS1_30default_config_static_selectorELNS0_4arch9wavefront6targetE0EEEvT1_,"axG",@progbits,_ZN7rocprim17ROCPRIM_400000_NS6detail17trampoline_kernelINS0_14default_configENS1_25transform_config_selectorIdLb1EEEZNS1_14transform_implILb1ES3_S5_PdS7_NS0_8identityIdEEEE10hipError_tT2_T3_mT4_P12ihipStream_tbEUlT_E_NS1_11comp_targetILNS1_3genE9ELNS1_11target_archE1100ELNS1_3gpuE3ELNS1_3repE0EEENS1_30default_config_static_selectorELNS0_4arch9wavefront6targetE0EEEvT1_,comdat
.Lfunc_end16:
	.size	_ZN7rocprim17ROCPRIM_400000_NS6detail17trampoline_kernelINS0_14default_configENS1_25transform_config_selectorIdLb1EEEZNS1_14transform_implILb1ES3_S5_PdS7_NS0_8identityIdEEEE10hipError_tT2_T3_mT4_P12ihipStream_tbEUlT_E_NS1_11comp_targetILNS1_3genE9ELNS1_11target_archE1100ELNS1_3gpuE3ELNS1_3repE0EEENS1_30default_config_static_selectorELNS0_4arch9wavefront6targetE0EEEvT1_, .Lfunc_end16-_ZN7rocprim17ROCPRIM_400000_NS6detail17trampoline_kernelINS0_14default_configENS1_25transform_config_selectorIdLb1EEEZNS1_14transform_implILb1ES3_S5_PdS7_NS0_8identityIdEEEE10hipError_tT2_T3_mT4_P12ihipStream_tbEUlT_E_NS1_11comp_targetILNS1_3genE9ELNS1_11target_archE1100ELNS1_3gpuE3ELNS1_3repE0EEENS1_30default_config_static_selectorELNS0_4arch9wavefront6targetE0EEEvT1_
                                        ; -- End function
	.set _ZN7rocprim17ROCPRIM_400000_NS6detail17trampoline_kernelINS0_14default_configENS1_25transform_config_selectorIdLb1EEEZNS1_14transform_implILb1ES3_S5_PdS7_NS0_8identityIdEEEE10hipError_tT2_T3_mT4_P12ihipStream_tbEUlT_E_NS1_11comp_targetILNS1_3genE9ELNS1_11target_archE1100ELNS1_3gpuE3ELNS1_3repE0EEENS1_30default_config_static_selectorELNS0_4arch9wavefront6targetE0EEEvT1_.num_vgpr, 0
	.set _ZN7rocprim17ROCPRIM_400000_NS6detail17trampoline_kernelINS0_14default_configENS1_25transform_config_selectorIdLb1EEEZNS1_14transform_implILb1ES3_S5_PdS7_NS0_8identityIdEEEE10hipError_tT2_T3_mT4_P12ihipStream_tbEUlT_E_NS1_11comp_targetILNS1_3genE9ELNS1_11target_archE1100ELNS1_3gpuE3ELNS1_3repE0EEENS1_30default_config_static_selectorELNS0_4arch9wavefront6targetE0EEEvT1_.num_agpr, 0
	.set _ZN7rocprim17ROCPRIM_400000_NS6detail17trampoline_kernelINS0_14default_configENS1_25transform_config_selectorIdLb1EEEZNS1_14transform_implILb1ES3_S5_PdS7_NS0_8identityIdEEEE10hipError_tT2_T3_mT4_P12ihipStream_tbEUlT_E_NS1_11comp_targetILNS1_3genE9ELNS1_11target_archE1100ELNS1_3gpuE3ELNS1_3repE0EEENS1_30default_config_static_selectorELNS0_4arch9wavefront6targetE0EEEvT1_.numbered_sgpr, 0
	.set _ZN7rocprim17ROCPRIM_400000_NS6detail17trampoline_kernelINS0_14default_configENS1_25transform_config_selectorIdLb1EEEZNS1_14transform_implILb1ES3_S5_PdS7_NS0_8identityIdEEEE10hipError_tT2_T3_mT4_P12ihipStream_tbEUlT_E_NS1_11comp_targetILNS1_3genE9ELNS1_11target_archE1100ELNS1_3gpuE3ELNS1_3repE0EEENS1_30default_config_static_selectorELNS0_4arch9wavefront6targetE0EEEvT1_.num_named_barrier, 0
	.set _ZN7rocprim17ROCPRIM_400000_NS6detail17trampoline_kernelINS0_14default_configENS1_25transform_config_selectorIdLb1EEEZNS1_14transform_implILb1ES3_S5_PdS7_NS0_8identityIdEEEE10hipError_tT2_T3_mT4_P12ihipStream_tbEUlT_E_NS1_11comp_targetILNS1_3genE9ELNS1_11target_archE1100ELNS1_3gpuE3ELNS1_3repE0EEENS1_30default_config_static_selectorELNS0_4arch9wavefront6targetE0EEEvT1_.private_seg_size, 0
	.set _ZN7rocprim17ROCPRIM_400000_NS6detail17trampoline_kernelINS0_14default_configENS1_25transform_config_selectorIdLb1EEEZNS1_14transform_implILb1ES3_S5_PdS7_NS0_8identityIdEEEE10hipError_tT2_T3_mT4_P12ihipStream_tbEUlT_E_NS1_11comp_targetILNS1_3genE9ELNS1_11target_archE1100ELNS1_3gpuE3ELNS1_3repE0EEENS1_30default_config_static_selectorELNS0_4arch9wavefront6targetE0EEEvT1_.uses_vcc, 0
	.set _ZN7rocprim17ROCPRIM_400000_NS6detail17trampoline_kernelINS0_14default_configENS1_25transform_config_selectorIdLb1EEEZNS1_14transform_implILb1ES3_S5_PdS7_NS0_8identityIdEEEE10hipError_tT2_T3_mT4_P12ihipStream_tbEUlT_E_NS1_11comp_targetILNS1_3genE9ELNS1_11target_archE1100ELNS1_3gpuE3ELNS1_3repE0EEENS1_30default_config_static_selectorELNS0_4arch9wavefront6targetE0EEEvT1_.uses_flat_scratch, 0
	.set _ZN7rocprim17ROCPRIM_400000_NS6detail17trampoline_kernelINS0_14default_configENS1_25transform_config_selectorIdLb1EEEZNS1_14transform_implILb1ES3_S5_PdS7_NS0_8identityIdEEEE10hipError_tT2_T3_mT4_P12ihipStream_tbEUlT_E_NS1_11comp_targetILNS1_3genE9ELNS1_11target_archE1100ELNS1_3gpuE3ELNS1_3repE0EEENS1_30default_config_static_selectorELNS0_4arch9wavefront6targetE0EEEvT1_.has_dyn_sized_stack, 0
	.set _ZN7rocprim17ROCPRIM_400000_NS6detail17trampoline_kernelINS0_14default_configENS1_25transform_config_selectorIdLb1EEEZNS1_14transform_implILb1ES3_S5_PdS7_NS0_8identityIdEEEE10hipError_tT2_T3_mT4_P12ihipStream_tbEUlT_E_NS1_11comp_targetILNS1_3genE9ELNS1_11target_archE1100ELNS1_3gpuE3ELNS1_3repE0EEENS1_30default_config_static_selectorELNS0_4arch9wavefront6targetE0EEEvT1_.has_recursion, 0
	.set _ZN7rocprim17ROCPRIM_400000_NS6detail17trampoline_kernelINS0_14default_configENS1_25transform_config_selectorIdLb1EEEZNS1_14transform_implILb1ES3_S5_PdS7_NS0_8identityIdEEEE10hipError_tT2_T3_mT4_P12ihipStream_tbEUlT_E_NS1_11comp_targetILNS1_3genE9ELNS1_11target_archE1100ELNS1_3gpuE3ELNS1_3repE0EEENS1_30default_config_static_selectorELNS0_4arch9wavefront6targetE0EEEvT1_.has_indirect_call, 0
	.section	.AMDGPU.csdata,"",@progbits
; Kernel info:
; codeLenInByte = 0
; TotalNumSgprs: 0
; NumVgprs: 0
; ScratchSize: 0
; MemoryBound: 0
; FloatMode: 240
; IeeeMode: 1
; LDSByteSize: 0 bytes/workgroup (compile time only)
; SGPRBlocks: 0
; VGPRBlocks: 0
; NumSGPRsForWavesPerEU: 1
; NumVGPRsForWavesPerEU: 1
; Occupancy: 16
; WaveLimiterHint : 0
; COMPUTE_PGM_RSRC2:SCRATCH_EN: 0
; COMPUTE_PGM_RSRC2:USER_SGPR: 2
; COMPUTE_PGM_RSRC2:TRAP_HANDLER: 0
; COMPUTE_PGM_RSRC2:TGID_X_EN: 1
; COMPUTE_PGM_RSRC2:TGID_Y_EN: 0
; COMPUTE_PGM_RSRC2:TGID_Z_EN: 0
; COMPUTE_PGM_RSRC2:TIDIG_COMP_CNT: 0
	.section	.text._ZN7rocprim17ROCPRIM_400000_NS6detail17trampoline_kernelINS0_14default_configENS1_25transform_config_selectorIdLb1EEEZNS1_14transform_implILb1ES3_S5_PdS7_NS0_8identityIdEEEE10hipError_tT2_T3_mT4_P12ihipStream_tbEUlT_E_NS1_11comp_targetILNS1_3genE8ELNS1_11target_archE1030ELNS1_3gpuE2ELNS1_3repE0EEENS1_30default_config_static_selectorELNS0_4arch9wavefront6targetE0EEEvT1_,"axG",@progbits,_ZN7rocprim17ROCPRIM_400000_NS6detail17trampoline_kernelINS0_14default_configENS1_25transform_config_selectorIdLb1EEEZNS1_14transform_implILb1ES3_S5_PdS7_NS0_8identityIdEEEE10hipError_tT2_T3_mT4_P12ihipStream_tbEUlT_E_NS1_11comp_targetILNS1_3genE8ELNS1_11target_archE1030ELNS1_3gpuE2ELNS1_3repE0EEENS1_30default_config_static_selectorELNS0_4arch9wavefront6targetE0EEEvT1_,comdat
	.protected	_ZN7rocprim17ROCPRIM_400000_NS6detail17trampoline_kernelINS0_14default_configENS1_25transform_config_selectorIdLb1EEEZNS1_14transform_implILb1ES3_S5_PdS7_NS0_8identityIdEEEE10hipError_tT2_T3_mT4_P12ihipStream_tbEUlT_E_NS1_11comp_targetILNS1_3genE8ELNS1_11target_archE1030ELNS1_3gpuE2ELNS1_3repE0EEENS1_30default_config_static_selectorELNS0_4arch9wavefront6targetE0EEEvT1_ ; -- Begin function _ZN7rocprim17ROCPRIM_400000_NS6detail17trampoline_kernelINS0_14default_configENS1_25transform_config_selectorIdLb1EEEZNS1_14transform_implILb1ES3_S5_PdS7_NS0_8identityIdEEEE10hipError_tT2_T3_mT4_P12ihipStream_tbEUlT_E_NS1_11comp_targetILNS1_3genE8ELNS1_11target_archE1030ELNS1_3gpuE2ELNS1_3repE0EEENS1_30default_config_static_selectorELNS0_4arch9wavefront6targetE0EEEvT1_
	.globl	_ZN7rocprim17ROCPRIM_400000_NS6detail17trampoline_kernelINS0_14default_configENS1_25transform_config_selectorIdLb1EEEZNS1_14transform_implILb1ES3_S5_PdS7_NS0_8identityIdEEEE10hipError_tT2_T3_mT4_P12ihipStream_tbEUlT_E_NS1_11comp_targetILNS1_3genE8ELNS1_11target_archE1030ELNS1_3gpuE2ELNS1_3repE0EEENS1_30default_config_static_selectorELNS0_4arch9wavefront6targetE0EEEvT1_
	.p2align	8
	.type	_ZN7rocprim17ROCPRIM_400000_NS6detail17trampoline_kernelINS0_14default_configENS1_25transform_config_selectorIdLb1EEEZNS1_14transform_implILb1ES3_S5_PdS7_NS0_8identityIdEEEE10hipError_tT2_T3_mT4_P12ihipStream_tbEUlT_E_NS1_11comp_targetILNS1_3genE8ELNS1_11target_archE1030ELNS1_3gpuE2ELNS1_3repE0EEENS1_30default_config_static_selectorELNS0_4arch9wavefront6targetE0EEEvT1_,@function
_ZN7rocprim17ROCPRIM_400000_NS6detail17trampoline_kernelINS0_14default_configENS1_25transform_config_selectorIdLb1EEEZNS1_14transform_implILb1ES3_S5_PdS7_NS0_8identityIdEEEE10hipError_tT2_T3_mT4_P12ihipStream_tbEUlT_E_NS1_11comp_targetILNS1_3genE8ELNS1_11target_archE1030ELNS1_3gpuE2ELNS1_3repE0EEENS1_30default_config_static_selectorELNS0_4arch9wavefront6targetE0EEEvT1_: ; @_ZN7rocprim17ROCPRIM_400000_NS6detail17trampoline_kernelINS0_14default_configENS1_25transform_config_selectorIdLb1EEEZNS1_14transform_implILb1ES3_S5_PdS7_NS0_8identityIdEEEE10hipError_tT2_T3_mT4_P12ihipStream_tbEUlT_E_NS1_11comp_targetILNS1_3genE8ELNS1_11target_archE1030ELNS1_3gpuE2ELNS1_3repE0EEENS1_30default_config_static_selectorELNS0_4arch9wavefront6targetE0EEEvT1_
; %bb.0:
	.section	.rodata,"a",@progbits
	.p2align	6, 0x0
	.amdhsa_kernel _ZN7rocprim17ROCPRIM_400000_NS6detail17trampoline_kernelINS0_14default_configENS1_25transform_config_selectorIdLb1EEEZNS1_14transform_implILb1ES3_S5_PdS7_NS0_8identityIdEEEE10hipError_tT2_T3_mT4_P12ihipStream_tbEUlT_E_NS1_11comp_targetILNS1_3genE8ELNS1_11target_archE1030ELNS1_3gpuE2ELNS1_3repE0EEENS1_30default_config_static_selectorELNS0_4arch9wavefront6targetE0EEEvT1_
		.amdhsa_group_segment_fixed_size 0
		.amdhsa_private_segment_fixed_size 0
		.amdhsa_kernarg_size 40
		.amdhsa_user_sgpr_count 2
		.amdhsa_user_sgpr_dispatch_ptr 0
		.amdhsa_user_sgpr_queue_ptr 0
		.amdhsa_user_sgpr_kernarg_segment_ptr 1
		.amdhsa_user_sgpr_dispatch_id 0
		.amdhsa_user_sgpr_private_segment_size 0
		.amdhsa_wavefront_size32 1
		.amdhsa_uses_dynamic_stack 0
		.amdhsa_enable_private_segment 0
		.amdhsa_system_sgpr_workgroup_id_x 1
		.amdhsa_system_sgpr_workgroup_id_y 0
		.amdhsa_system_sgpr_workgroup_id_z 0
		.amdhsa_system_sgpr_workgroup_info 0
		.amdhsa_system_vgpr_workitem_id 0
		.amdhsa_next_free_vgpr 1
		.amdhsa_next_free_sgpr 1
		.amdhsa_reserve_vcc 0
		.amdhsa_float_round_mode_32 0
		.amdhsa_float_round_mode_16_64 0
		.amdhsa_float_denorm_mode_32 3
		.amdhsa_float_denorm_mode_16_64 3
		.amdhsa_fp16_overflow 0
		.amdhsa_workgroup_processor_mode 1
		.amdhsa_memory_ordered 1
		.amdhsa_forward_progress 1
		.amdhsa_inst_pref_size 0
		.amdhsa_round_robin_scheduling 0
		.amdhsa_exception_fp_ieee_invalid_op 0
		.amdhsa_exception_fp_denorm_src 0
		.amdhsa_exception_fp_ieee_div_zero 0
		.amdhsa_exception_fp_ieee_overflow 0
		.amdhsa_exception_fp_ieee_underflow 0
		.amdhsa_exception_fp_ieee_inexact 0
		.amdhsa_exception_int_div_zero 0
	.end_amdhsa_kernel
	.section	.text._ZN7rocprim17ROCPRIM_400000_NS6detail17trampoline_kernelINS0_14default_configENS1_25transform_config_selectorIdLb1EEEZNS1_14transform_implILb1ES3_S5_PdS7_NS0_8identityIdEEEE10hipError_tT2_T3_mT4_P12ihipStream_tbEUlT_E_NS1_11comp_targetILNS1_3genE8ELNS1_11target_archE1030ELNS1_3gpuE2ELNS1_3repE0EEENS1_30default_config_static_selectorELNS0_4arch9wavefront6targetE0EEEvT1_,"axG",@progbits,_ZN7rocprim17ROCPRIM_400000_NS6detail17trampoline_kernelINS0_14default_configENS1_25transform_config_selectorIdLb1EEEZNS1_14transform_implILb1ES3_S5_PdS7_NS0_8identityIdEEEE10hipError_tT2_T3_mT4_P12ihipStream_tbEUlT_E_NS1_11comp_targetILNS1_3genE8ELNS1_11target_archE1030ELNS1_3gpuE2ELNS1_3repE0EEENS1_30default_config_static_selectorELNS0_4arch9wavefront6targetE0EEEvT1_,comdat
.Lfunc_end17:
	.size	_ZN7rocprim17ROCPRIM_400000_NS6detail17trampoline_kernelINS0_14default_configENS1_25transform_config_selectorIdLb1EEEZNS1_14transform_implILb1ES3_S5_PdS7_NS0_8identityIdEEEE10hipError_tT2_T3_mT4_P12ihipStream_tbEUlT_E_NS1_11comp_targetILNS1_3genE8ELNS1_11target_archE1030ELNS1_3gpuE2ELNS1_3repE0EEENS1_30default_config_static_selectorELNS0_4arch9wavefront6targetE0EEEvT1_, .Lfunc_end17-_ZN7rocprim17ROCPRIM_400000_NS6detail17trampoline_kernelINS0_14default_configENS1_25transform_config_selectorIdLb1EEEZNS1_14transform_implILb1ES3_S5_PdS7_NS0_8identityIdEEEE10hipError_tT2_T3_mT4_P12ihipStream_tbEUlT_E_NS1_11comp_targetILNS1_3genE8ELNS1_11target_archE1030ELNS1_3gpuE2ELNS1_3repE0EEENS1_30default_config_static_selectorELNS0_4arch9wavefront6targetE0EEEvT1_
                                        ; -- End function
	.set _ZN7rocprim17ROCPRIM_400000_NS6detail17trampoline_kernelINS0_14default_configENS1_25transform_config_selectorIdLb1EEEZNS1_14transform_implILb1ES3_S5_PdS7_NS0_8identityIdEEEE10hipError_tT2_T3_mT4_P12ihipStream_tbEUlT_E_NS1_11comp_targetILNS1_3genE8ELNS1_11target_archE1030ELNS1_3gpuE2ELNS1_3repE0EEENS1_30default_config_static_selectorELNS0_4arch9wavefront6targetE0EEEvT1_.num_vgpr, 0
	.set _ZN7rocprim17ROCPRIM_400000_NS6detail17trampoline_kernelINS0_14default_configENS1_25transform_config_selectorIdLb1EEEZNS1_14transform_implILb1ES3_S5_PdS7_NS0_8identityIdEEEE10hipError_tT2_T3_mT4_P12ihipStream_tbEUlT_E_NS1_11comp_targetILNS1_3genE8ELNS1_11target_archE1030ELNS1_3gpuE2ELNS1_3repE0EEENS1_30default_config_static_selectorELNS0_4arch9wavefront6targetE0EEEvT1_.num_agpr, 0
	.set _ZN7rocprim17ROCPRIM_400000_NS6detail17trampoline_kernelINS0_14default_configENS1_25transform_config_selectorIdLb1EEEZNS1_14transform_implILb1ES3_S5_PdS7_NS0_8identityIdEEEE10hipError_tT2_T3_mT4_P12ihipStream_tbEUlT_E_NS1_11comp_targetILNS1_3genE8ELNS1_11target_archE1030ELNS1_3gpuE2ELNS1_3repE0EEENS1_30default_config_static_selectorELNS0_4arch9wavefront6targetE0EEEvT1_.numbered_sgpr, 0
	.set _ZN7rocprim17ROCPRIM_400000_NS6detail17trampoline_kernelINS0_14default_configENS1_25transform_config_selectorIdLb1EEEZNS1_14transform_implILb1ES3_S5_PdS7_NS0_8identityIdEEEE10hipError_tT2_T3_mT4_P12ihipStream_tbEUlT_E_NS1_11comp_targetILNS1_3genE8ELNS1_11target_archE1030ELNS1_3gpuE2ELNS1_3repE0EEENS1_30default_config_static_selectorELNS0_4arch9wavefront6targetE0EEEvT1_.num_named_barrier, 0
	.set _ZN7rocprim17ROCPRIM_400000_NS6detail17trampoline_kernelINS0_14default_configENS1_25transform_config_selectorIdLb1EEEZNS1_14transform_implILb1ES3_S5_PdS7_NS0_8identityIdEEEE10hipError_tT2_T3_mT4_P12ihipStream_tbEUlT_E_NS1_11comp_targetILNS1_3genE8ELNS1_11target_archE1030ELNS1_3gpuE2ELNS1_3repE0EEENS1_30default_config_static_selectorELNS0_4arch9wavefront6targetE0EEEvT1_.private_seg_size, 0
	.set _ZN7rocprim17ROCPRIM_400000_NS6detail17trampoline_kernelINS0_14default_configENS1_25transform_config_selectorIdLb1EEEZNS1_14transform_implILb1ES3_S5_PdS7_NS0_8identityIdEEEE10hipError_tT2_T3_mT4_P12ihipStream_tbEUlT_E_NS1_11comp_targetILNS1_3genE8ELNS1_11target_archE1030ELNS1_3gpuE2ELNS1_3repE0EEENS1_30default_config_static_selectorELNS0_4arch9wavefront6targetE0EEEvT1_.uses_vcc, 0
	.set _ZN7rocprim17ROCPRIM_400000_NS6detail17trampoline_kernelINS0_14default_configENS1_25transform_config_selectorIdLb1EEEZNS1_14transform_implILb1ES3_S5_PdS7_NS0_8identityIdEEEE10hipError_tT2_T3_mT4_P12ihipStream_tbEUlT_E_NS1_11comp_targetILNS1_3genE8ELNS1_11target_archE1030ELNS1_3gpuE2ELNS1_3repE0EEENS1_30default_config_static_selectorELNS0_4arch9wavefront6targetE0EEEvT1_.uses_flat_scratch, 0
	.set _ZN7rocprim17ROCPRIM_400000_NS6detail17trampoline_kernelINS0_14default_configENS1_25transform_config_selectorIdLb1EEEZNS1_14transform_implILb1ES3_S5_PdS7_NS0_8identityIdEEEE10hipError_tT2_T3_mT4_P12ihipStream_tbEUlT_E_NS1_11comp_targetILNS1_3genE8ELNS1_11target_archE1030ELNS1_3gpuE2ELNS1_3repE0EEENS1_30default_config_static_selectorELNS0_4arch9wavefront6targetE0EEEvT1_.has_dyn_sized_stack, 0
	.set _ZN7rocprim17ROCPRIM_400000_NS6detail17trampoline_kernelINS0_14default_configENS1_25transform_config_selectorIdLb1EEEZNS1_14transform_implILb1ES3_S5_PdS7_NS0_8identityIdEEEE10hipError_tT2_T3_mT4_P12ihipStream_tbEUlT_E_NS1_11comp_targetILNS1_3genE8ELNS1_11target_archE1030ELNS1_3gpuE2ELNS1_3repE0EEENS1_30default_config_static_selectorELNS0_4arch9wavefront6targetE0EEEvT1_.has_recursion, 0
	.set _ZN7rocprim17ROCPRIM_400000_NS6detail17trampoline_kernelINS0_14default_configENS1_25transform_config_selectorIdLb1EEEZNS1_14transform_implILb1ES3_S5_PdS7_NS0_8identityIdEEEE10hipError_tT2_T3_mT4_P12ihipStream_tbEUlT_E_NS1_11comp_targetILNS1_3genE8ELNS1_11target_archE1030ELNS1_3gpuE2ELNS1_3repE0EEENS1_30default_config_static_selectorELNS0_4arch9wavefront6targetE0EEEvT1_.has_indirect_call, 0
	.section	.AMDGPU.csdata,"",@progbits
; Kernel info:
; codeLenInByte = 0
; TotalNumSgprs: 0
; NumVgprs: 0
; ScratchSize: 0
; MemoryBound: 0
; FloatMode: 240
; IeeeMode: 1
; LDSByteSize: 0 bytes/workgroup (compile time only)
; SGPRBlocks: 0
; VGPRBlocks: 0
; NumSGPRsForWavesPerEU: 1
; NumVGPRsForWavesPerEU: 1
; Occupancy: 16
; WaveLimiterHint : 0
; COMPUTE_PGM_RSRC2:SCRATCH_EN: 0
; COMPUTE_PGM_RSRC2:USER_SGPR: 2
; COMPUTE_PGM_RSRC2:TRAP_HANDLER: 0
; COMPUTE_PGM_RSRC2:TGID_X_EN: 1
; COMPUTE_PGM_RSRC2:TGID_Y_EN: 0
; COMPUTE_PGM_RSRC2:TGID_Z_EN: 0
; COMPUTE_PGM_RSRC2:TIDIG_COMP_CNT: 0
	.section	.text._ZN7rocprim17ROCPRIM_400000_NS6detail17trampoline_kernelINS0_14default_configENS1_20scan_config_selectorIdEEZZNS1_9scan_implILNS1_25lookback_scan_determinismE0ELb0ELb0ES3_PKdPddZZZN2at6native31launch_logcumsumexp_cuda_kernelERKNSB_10TensorBaseESF_lENKUlvE_clEvENKUlvE_clEvEUlddE_dEEDaPvRmT3_T4_T5_mT6_P12ihipStream_tbENKUlT_T0_E_clISt17integral_constantIbLb0EESW_EEDaSR_SS_EUlSR_E0_NS1_11comp_targetILNS1_3genE0ELNS1_11target_archE4294967295ELNS1_3gpuE0ELNS1_3repE0EEENS1_30default_config_static_selectorELNS0_4arch9wavefront6targetE0EEEvT1_,"axG",@progbits,_ZN7rocprim17ROCPRIM_400000_NS6detail17trampoline_kernelINS0_14default_configENS1_20scan_config_selectorIdEEZZNS1_9scan_implILNS1_25lookback_scan_determinismE0ELb0ELb0ES3_PKdPddZZZN2at6native31launch_logcumsumexp_cuda_kernelERKNSB_10TensorBaseESF_lENKUlvE_clEvENKUlvE_clEvEUlddE_dEEDaPvRmT3_T4_T5_mT6_P12ihipStream_tbENKUlT_T0_E_clISt17integral_constantIbLb0EESW_EEDaSR_SS_EUlSR_E0_NS1_11comp_targetILNS1_3genE0ELNS1_11target_archE4294967295ELNS1_3gpuE0ELNS1_3repE0EEENS1_30default_config_static_selectorELNS0_4arch9wavefront6targetE0EEEvT1_,comdat
	.globl	_ZN7rocprim17ROCPRIM_400000_NS6detail17trampoline_kernelINS0_14default_configENS1_20scan_config_selectorIdEEZZNS1_9scan_implILNS1_25lookback_scan_determinismE0ELb0ELb0ES3_PKdPddZZZN2at6native31launch_logcumsumexp_cuda_kernelERKNSB_10TensorBaseESF_lENKUlvE_clEvENKUlvE_clEvEUlddE_dEEDaPvRmT3_T4_T5_mT6_P12ihipStream_tbENKUlT_T0_E_clISt17integral_constantIbLb0EESW_EEDaSR_SS_EUlSR_E0_NS1_11comp_targetILNS1_3genE0ELNS1_11target_archE4294967295ELNS1_3gpuE0ELNS1_3repE0EEENS1_30default_config_static_selectorELNS0_4arch9wavefront6targetE0EEEvT1_ ; -- Begin function _ZN7rocprim17ROCPRIM_400000_NS6detail17trampoline_kernelINS0_14default_configENS1_20scan_config_selectorIdEEZZNS1_9scan_implILNS1_25lookback_scan_determinismE0ELb0ELb0ES3_PKdPddZZZN2at6native31launch_logcumsumexp_cuda_kernelERKNSB_10TensorBaseESF_lENKUlvE_clEvENKUlvE_clEvEUlddE_dEEDaPvRmT3_T4_T5_mT6_P12ihipStream_tbENKUlT_T0_E_clISt17integral_constantIbLb0EESW_EEDaSR_SS_EUlSR_E0_NS1_11comp_targetILNS1_3genE0ELNS1_11target_archE4294967295ELNS1_3gpuE0ELNS1_3repE0EEENS1_30default_config_static_selectorELNS0_4arch9wavefront6targetE0EEEvT1_
	.p2align	8
	.type	_ZN7rocprim17ROCPRIM_400000_NS6detail17trampoline_kernelINS0_14default_configENS1_20scan_config_selectorIdEEZZNS1_9scan_implILNS1_25lookback_scan_determinismE0ELb0ELb0ES3_PKdPddZZZN2at6native31launch_logcumsumexp_cuda_kernelERKNSB_10TensorBaseESF_lENKUlvE_clEvENKUlvE_clEvEUlddE_dEEDaPvRmT3_T4_T5_mT6_P12ihipStream_tbENKUlT_T0_E_clISt17integral_constantIbLb0EESW_EEDaSR_SS_EUlSR_E0_NS1_11comp_targetILNS1_3genE0ELNS1_11target_archE4294967295ELNS1_3gpuE0ELNS1_3repE0EEENS1_30default_config_static_selectorELNS0_4arch9wavefront6targetE0EEEvT1_,@function
_ZN7rocprim17ROCPRIM_400000_NS6detail17trampoline_kernelINS0_14default_configENS1_20scan_config_selectorIdEEZZNS1_9scan_implILNS1_25lookback_scan_determinismE0ELb0ELb0ES3_PKdPddZZZN2at6native31launch_logcumsumexp_cuda_kernelERKNSB_10TensorBaseESF_lENKUlvE_clEvENKUlvE_clEvEUlddE_dEEDaPvRmT3_T4_T5_mT6_P12ihipStream_tbENKUlT_T0_E_clISt17integral_constantIbLb0EESW_EEDaSR_SS_EUlSR_E0_NS1_11comp_targetILNS1_3genE0ELNS1_11target_archE4294967295ELNS1_3gpuE0ELNS1_3repE0EEENS1_30default_config_static_selectorELNS0_4arch9wavefront6targetE0EEEvT1_: ; @_ZN7rocprim17ROCPRIM_400000_NS6detail17trampoline_kernelINS0_14default_configENS1_20scan_config_selectorIdEEZZNS1_9scan_implILNS1_25lookback_scan_determinismE0ELb0ELb0ES3_PKdPddZZZN2at6native31launch_logcumsumexp_cuda_kernelERKNSB_10TensorBaseESF_lENKUlvE_clEvENKUlvE_clEvEUlddE_dEEDaPvRmT3_T4_T5_mT6_P12ihipStream_tbENKUlT_T0_E_clISt17integral_constantIbLb0EESW_EEDaSR_SS_EUlSR_E0_NS1_11comp_targetILNS1_3genE0ELNS1_11target_archE4294967295ELNS1_3gpuE0ELNS1_3repE0EEENS1_30default_config_static_selectorELNS0_4arch9wavefront6targetE0EEEvT1_
; %bb.0:
	.section	.rodata,"a",@progbits
	.p2align	6, 0x0
	.amdhsa_kernel _ZN7rocprim17ROCPRIM_400000_NS6detail17trampoline_kernelINS0_14default_configENS1_20scan_config_selectorIdEEZZNS1_9scan_implILNS1_25lookback_scan_determinismE0ELb0ELb0ES3_PKdPddZZZN2at6native31launch_logcumsumexp_cuda_kernelERKNSB_10TensorBaseESF_lENKUlvE_clEvENKUlvE_clEvEUlddE_dEEDaPvRmT3_T4_T5_mT6_P12ihipStream_tbENKUlT_T0_E_clISt17integral_constantIbLb0EESW_EEDaSR_SS_EUlSR_E0_NS1_11comp_targetILNS1_3genE0ELNS1_11target_archE4294967295ELNS1_3gpuE0ELNS1_3repE0EEENS1_30default_config_static_selectorELNS0_4arch9wavefront6targetE0EEEvT1_
		.amdhsa_group_segment_fixed_size 0
		.amdhsa_private_segment_fixed_size 0
		.amdhsa_kernarg_size 40
		.amdhsa_user_sgpr_count 2
		.amdhsa_user_sgpr_dispatch_ptr 0
		.amdhsa_user_sgpr_queue_ptr 0
		.amdhsa_user_sgpr_kernarg_segment_ptr 1
		.amdhsa_user_sgpr_dispatch_id 0
		.amdhsa_user_sgpr_private_segment_size 0
		.amdhsa_wavefront_size32 1
		.amdhsa_uses_dynamic_stack 0
		.amdhsa_enable_private_segment 0
		.amdhsa_system_sgpr_workgroup_id_x 1
		.amdhsa_system_sgpr_workgroup_id_y 0
		.amdhsa_system_sgpr_workgroup_id_z 0
		.amdhsa_system_sgpr_workgroup_info 0
		.amdhsa_system_vgpr_workitem_id 0
		.amdhsa_next_free_vgpr 1
		.amdhsa_next_free_sgpr 1
		.amdhsa_reserve_vcc 0
		.amdhsa_float_round_mode_32 0
		.amdhsa_float_round_mode_16_64 0
		.amdhsa_float_denorm_mode_32 3
		.amdhsa_float_denorm_mode_16_64 3
		.amdhsa_fp16_overflow 0
		.amdhsa_workgroup_processor_mode 1
		.amdhsa_memory_ordered 1
		.amdhsa_forward_progress 1
		.amdhsa_inst_pref_size 0
		.amdhsa_round_robin_scheduling 0
		.amdhsa_exception_fp_ieee_invalid_op 0
		.amdhsa_exception_fp_denorm_src 0
		.amdhsa_exception_fp_ieee_div_zero 0
		.amdhsa_exception_fp_ieee_overflow 0
		.amdhsa_exception_fp_ieee_underflow 0
		.amdhsa_exception_fp_ieee_inexact 0
		.amdhsa_exception_int_div_zero 0
	.end_amdhsa_kernel
	.section	.text._ZN7rocprim17ROCPRIM_400000_NS6detail17trampoline_kernelINS0_14default_configENS1_20scan_config_selectorIdEEZZNS1_9scan_implILNS1_25lookback_scan_determinismE0ELb0ELb0ES3_PKdPddZZZN2at6native31launch_logcumsumexp_cuda_kernelERKNSB_10TensorBaseESF_lENKUlvE_clEvENKUlvE_clEvEUlddE_dEEDaPvRmT3_T4_T5_mT6_P12ihipStream_tbENKUlT_T0_E_clISt17integral_constantIbLb0EESW_EEDaSR_SS_EUlSR_E0_NS1_11comp_targetILNS1_3genE0ELNS1_11target_archE4294967295ELNS1_3gpuE0ELNS1_3repE0EEENS1_30default_config_static_selectorELNS0_4arch9wavefront6targetE0EEEvT1_,"axG",@progbits,_ZN7rocprim17ROCPRIM_400000_NS6detail17trampoline_kernelINS0_14default_configENS1_20scan_config_selectorIdEEZZNS1_9scan_implILNS1_25lookback_scan_determinismE0ELb0ELb0ES3_PKdPddZZZN2at6native31launch_logcumsumexp_cuda_kernelERKNSB_10TensorBaseESF_lENKUlvE_clEvENKUlvE_clEvEUlddE_dEEDaPvRmT3_T4_T5_mT6_P12ihipStream_tbENKUlT_T0_E_clISt17integral_constantIbLb0EESW_EEDaSR_SS_EUlSR_E0_NS1_11comp_targetILNS1_3genE0ELNS1_11target_archE4294967295ELNS1_3gpuE0ELNS1_3repE0EEENS1_30default_config_static_selectorELNS0_4arch9wavefront6targetE0EEEvT1_,comdat
.Lfunc_end18:
	.size	_ZN7rocprim17ROCPRIM_400000_NS6detail17trampoline_kernelINS0_14default_configENS1_20scan_config_selectorIdEEZZNS1_9scan_implILNS1_25lookback_scan_determinismE0ELb0ELb0ES3_PKdPddZZZN2at6native31launch_logcumsumexp_cuda_kernelERKNSB_10TensorBaseESF_lENKUlvE_clEvENKUlvE_clEvEUlddE_dEEDaPvRmT3_T4_T5_mT6_P12ihipStream_tbENKUlT_T0_E_clISt17integral_constantIbLb0EESW_EEDaSR_SS_EUlSR_E0_NS1_11comp_targetILNS1_3genE0ELNS1_11target_archE4294967295ELNS1_3gpuE0ELNS1_3repE0EEENS1_30default_config_static_selectorELNS0_4arch9wavefront6targetE0EEEvT1_, .Lfunc_end18-_ZN7rocprim17ROCPRIM_400000_NS6detail17trampoline_kernelINS0_14default_configENS1_20scan_config_selectorIdEEZZNS1_9scan_implILNS1_25lookback_scan_determinismE0ELb0ELb0ES3_PKdPddZZZN2at6native31launch_logcumsumexp_cuda_kernelERKNSB_10TensorBaseESF_lENKUlvE_clEvENKUlvE_clEvEUlddE_dEEDaPvRmT3_T4_T5_mT6_P12ihipStream_tbENKUlT_T0_E_clISt17integral_constantIbLb0EESW_EEDaSR_SS_EUlSR_E0_NS1_11comp_targetILNS1_3genE0ELNS1_11target_archE4294967295ELNS1_3gpuE0ELNS1_3repE0EEENS1_30default_config_static_selectorELNS0_4arch9wavefront6targetE0EEEvT1_
                                        ; -- End function
	.set _ZN7rocprim17ROCPRIM_400000_NS6detail17trampoline_kernelINS0_14default_configENS1_20scan_config_selectorIdEEZZNS1_9scan_implILNS1_25lookback_scan_determinismE0ELb0ELb0ES3_PKdPddZZZN2at6native31launch_logcumsumexp_cuda_kernelERKNSB_10TensorBaseESF_lENKUlvE_clEvENKUlvE_clEvEUlddE_dEEDaPvRmT3_T4_T5_mT6_P12ihipStream_tbENKUlT_T0_E_clISt17integral_constantIbLb0EESW_EEDaSR_SS_EUlSR_E0_NS1_11comp_targetILNS1_3genE0ELNS1_11target_archE4294967295ELNS1_3gpuE0ELNS1_3repE0EEENS1_30default_config_static_selectorELNS0_4arch9wavefront6targetE0EEEvT1_.num_vgpr, 0
	.set _ZN7rocprim17ROCPRIM_400000_NS6detail17trampoline_kernelINS0_14default_configENS1_20scan_config_selectorIdEEZZNS1_9scan_implILNS1_25lookback_scan_determinismE0ELb0ELb0ES3_PKdPddZZZN2at6native31launch_logcumsumexp_cuda_kernelERKNSB_10TensorBaseESF_lENKUlvE_clEvENKUlvE_clEvEUlddE_dEEDaPvRmT3_T4_T5_mT6_P12ihipStream_tbENKUlT_T0_E_clISt17integral_constantIbLb0EESW_EEDaSR_SS_EUlSR_E0_NS1_11comp_targetILNS1_3genE0ELNS1_11target_archE4294967295ELNS1_3gpuE0ELNS1_3repE0EEENS1_30default_config_static_selectorELNS0_4arch9wavefront6targetE0EEEvT1_.num_agpr, 0
	.set _ZN7rocprim17ROCPRIM_400000_NS6detail17trampoline_kernelINS0_14default_configENS1_20scan_config_selectorIdEEZZNS1_9scan_implILNS1_25lookback_scan_determinismE0ELb0ELb0ES3_PKdPddZZZN2at6native31launch_logcumsumexp_cuda_kernelERKNSB_10TensorBaseESF_lENKUlvE_clEvENKUlvE_clEvEUlddE_dEEDaPvRmT3_T4_T5_mT6_P12ihipStream_tbENKUlT_T0_E_clISt17integral_constantIbLb0EESW_EEDaSR_SS_EUlSR_E0_NS1_11comp_targetILNS1_3genE0ELNS1_11target_archE4294967295ELNS1_3gpuE0ELNS1_3repE0EEENS1_30default_config_static_selectorELNS0_4arch9wavefront6targetE0EEEvT1_.numbered_sgpr, 0
	.set _ZN7rocprim17ROCPRIM_400000_NS6detail17trampoline_kernelINS0_14default_configENS1_20scan_config_selectorIdEEZZNS1_9scan_implILNS1_25lookback_scan_determinismE0ELb0ELb0ES3_PKdPddZZZN2at6native31launch_logcumsumexp_cuda_kernelERKNSB_10TensorBaseESF_lENKUlvE_clEvENKUlvE_clEvEUlddE_dEEDaPvRmT3_T4_T5_mT6_P12ihipStream_tbENKUlT_T0_E_clISt17integral_constantIbLb0EESW_EEDaSR_SS_EUlSR_E0_NS1_11comp_targetILNS1_3genE0ELNS1_11target_archE4294967295ELNS1_3gpuE0ELNS1_3repE0EEENS1_30default_config_static_selectorELNS0_4arch9wavefront6targetE0EEEvT1_.num_named_barrier, 0
	.set _ZN7rocprim17ROCPRIM_400000_NS6detail17trampoline_kernelINS0_14default_configENS1_20scan_config_selectorIdEEZZNS1_9scan_implILNS1_25lookback_scan_determinismE0ELb0ELb0ES3_PKdPddZZZN2at6native31launch_logcumsumexp_cuda_kernelERKNSB_10TensorBaseESF_lENKUlvE_clEvENKUlvE_clEvEUlddE_dEEDaPvRmT3_T4_T5_mT6_P12ihipStream_tbENKUlT_T0_E_clISt17integral_constantIbLb0EESW_EEDaSR_SS_EUlSR_E0_NS1_11comp_targetILNS1_3genE0ELNS1_11target_archE4294967295ELNS1_3gpuE0ELNS1_3repE0EEENS1_30default_config_static_selectorELNS0_4arch9wavefront6targetE0EEEvT1_.private_seg_size, 0
	.set _ZN7rocprim17ROCPRIM_400000_NS6detail17trampoline_kernelINS0_14default_configENS1_20scan_config_selectorIdEEZZNS1_9scan_implILNS1_25lookback_scan_determinismE0ELb0ELb0ES3_PKdPddZZZN2at6native31launch_logcumsumexp_cuda_kernelERKNSB_10TensorBaseESF_lENKUlvE_clEvENKUlvE_clEvEUlddE_dEEDaPvRmT3_T4_T5_mT6_P12ihipStream_tbENKUlT_T0_E_clISt17integral_constantIbLb0EESW_EEDaSR_SS_EUlSR_E0_NS1_11comp_targetILNS1_3genE0ELNS1_11target_archE4294967295ELNS1_3gpuE0ELNS1_3repE0EEENS1_30default_config_static_selectorELNS0_4arch9wavefront6targetE0EEEvT1_.uses_vcc, 0
	.set _ZN7rocprim17ROCPRIM_400000_NS6detail17trampoline_kernelINS0_14default_configENS1_20scan_config_selectorIdEEZZNS1_9scan_implILNS1_25lookback_scan_determinismE0ELb0ELb0ES3_PKdPddZZZN2at6native31launch_logcumsumexp_cuda_kernelERKNSB_10TensorBaseESF_lENKUlvE_clEvENKUlvE_clEvEUlddE_dEEDaPvRmT3_T4_T5_mT6_P12ihipStream_tbENKUlT_T0_E_clISt17integral_constantIbLb0EESW_EEDaSR_SS_EUlSR_E0_NS1_11comp_targetILNS1_3genE0ELNS1_11target_archE4294967295ELNS1_3gpuE0ELNS1_3repE0EEENS1_30default_config_static_selectorELNS0_4arch9wavefront6targetE0EEEvT1_.uses_flat_scratch, 0
	.set _ZN7rocprim17ROCPRIM_400000_NS6detail17trampoline_kernelINS0_14default_configENS1_20scan_config_selectorIdEEZZNS1_9scan_implILNS1_25lookback_scan_determinismE0ELb0ELb0ES3_PKdPddZZZN2at6native31launch_logcumsumexp_cuda_kernelERKNSB_10TensorBaseESF_lENKUlvE_clEvENKUlvE_clEvEUlddE_dEEDaPvRmT3_T4_T5_mT6_P12ihipStream_tbENKUlT_T0_E_clISt17integral_constantIbLb0EESW_EEDaSR_SS_EUlSR_E0_NS1_11comp_targetILNS1_3genE0ELNS1_11target_archE4294967295ELNS1_3gpuE0ELNS1_3repE0EEENS1_30default_config_static_selectorELNS0_4arch9wavefront6targetE0EEEvT1_.has_dyn_sized_stack, 0
	.set _ZN7rocprim17ROCPRIM_400000_NS6detail17trampoline_kernelINS0_14default_configENS1_20scan_config_selectorIdEEZZNS1_9scan_implILNS1_25lookback_scan_determinismE0ELb0ELb0ES3_PKdPddZZZN2at6native31launch_logcumsumexp_cuda_kernelERKNSB_10TensorBaseESF_lENKUlvE_clEvENKUlvE_clEvEUlddE_dEEDaPvRmT3_T4_T5_mT6_P12ihipStream_tbENKUlT_T0_E_clISt17integral_constantIbLb0EESW_EEDaSR_SS_EUlSR_E0_NS1_11comp_targetILNS1_3genE0ELNS1_11target_archE4294967295ELNS1_3gpuE0ELNS1_3repE0EEENS1_30default_config_static_selectorELNS0_4arch9wavefront6targetE0EEEvT1_.has_recursion, 0
	.set _ZN7rocprim17ROCPRIM_400000_NS6detail17trampoline_kernelINS0_14default_configENS1_20scan_config_selectorIdEEZZNS1_9scan_implILNS1_25lookback_scan_determinismE0ELb0ELb0ES3_PKdPddZZZN2at6native31launch_logcumsumexp_cuda_kernelERKNSB_10TensorBaseESF_lENKUlvE_clEvENKUlvE_clEvEUlddE_dEEDaPvRmT3_T4_T5_mT6_P12ihipStream_tbENKUlT_T0_E_clISt17integral_constantIbLb0EESW_EEDaSR_SS_EUlSR_E0_NS1_11comp_targetILNS1_3genE0ELNS1_11target_archE4294967295ELNS1_3gpuE0ELNS1_3repE0EEENS1_30default_config_static_selectorELNS0_4arch9wavefront6targetE0EEEvT1_.has_indirect_call, 0
	.section	.AMDGPU.csdata,"",@progbits
; Kernel info:
; codeLenInByte = 0
; TotalNumSgprs: 0
; NumVgprs: 0
; ScratchSize: 0
; MemoryBound: 0
; FloatMode: 240
; IeeeMode: 1
; LDSByteSize: 0 bytes/workgroup (compile time only)
; SGPRBlocks: 0
; VGPRBlocks: 0
; NumSGPRsForWavesPerEU: 1
; NumVGPRsForWavesPerEU: 1
; Occupancy: 16
; WaveLimiterHint : 0
; COMPUTE_PGM_RSRC2:SCRATCH_EN: 0
; COMPUTE_PGM_RSRC2:USER_SGPR: 2
; COMPUTE_PGM_RSRC2:TRAP_HANDLER: 0
; COMPUTE_PGM_RSRC2:TGID_X_EN: 1
; COMPUTE_PGM_RSRC2:TGID_Y_EN: 0
; COMPUTE_PGM_RSRC2:TGID_Z_EN: 0
; COMPUTE_PGM_RSRC2:TIDIG_COMP_CNT: 0
	.section	.text._ZN7rocprim17ROCPRIM_400000_NS6detail17trampoline_kernelINS0_14default_configENS1_20scan_config_selectorIdEEZZNS1_9scan_implILNS1_25lookback_scan_determinismE0ELb0ELb0ES3_PKdPddZZZN2at6native31launch_logcumsumexp_cuda_kernelERKNSB_10TensorBaseESF_lENKUlvE_clEvENKUlvE_clEvEUlddE_dEEDaPvRmT3_T4_T5_mT6_P12ihipStream_tbENKUlT_T0_E_clISt17integral_constantIbLb0EESW_EEDaSR_SS_EUlSR_E0_NS1_11comp_targetILNS1_3genE5ELNS1_11target_archE942ELNS1_3gpuE9ELNS1_3repE0EEENS1_30default_config_static_selectorELNS0_4arch9wavefront6targetE0EEEvT1_,"axG",@progbits,_ZN7rocprim17ROCPRIM_400000_NS6detail17trampoline_kernelINS0_14default_configENS1_20scan_config_selectorIdEEZZNS1_9scan_implILNS1_25lookback_scan_determinismE0ELb0ELb0ES3_PKdPddZZZN2at6native31launch_logcumsumexp_cuda_kernelERKNSB_10TensorBaseESF_lENKUlvE_clEvENKUlvE_clEvEUlddE_dEEDaPvRmT3_T4_T5_mT6_P12ihipStream_tbENKUlT_T0_E_clISt17integral_constantIbLb0EESW_EEDaSR_SS_EUlSR_E0_NS1_11comp_targetILNS1_3genE5ELNS1_11target_archE942ELNS1_3gpuE9ELNS1_3repE0EEENS1_30default_config_static_selectorELNS0_4arch9wavefront6targetE0EEEvT1_,comdat
	.globl	_ZN7rocprim17ROCPRIM_400000_NS6detail17trampoline_kernelINS0_14default_configENS1_20scan_config_selectorIdEEZZNS1_9scan_implILNS1_25lookback_scan_determinismE0ELb0ELb0ES3_PKdPddZZZN2at6native31launch_logcumsumexp_cuda_kernelERKNSB_10TensorBaseESF_lENKUlvE_clEvENKUlvE_clEvEUlddE_dEEDaPvRmT3_T4_T5_mT6_P12ihipStream_tbENKUlT_T0_E_clISt17integral_constantIbLb0EESW_EEDaSR_SS_EUlSR_E0_NS1_11comp_targetILNS1_3genE5ELNS1_11target_archE942ELNS1_3gpuE9ELNS1_3repE0EEENS1_30default_config_static_selectorELNS0_4arch9wavefront6targetE0EEEvT1_ ; -- Begin function _ZN7rocprim17ROCPRIM_400000_NS6detail17trampoline_kernelINS0_14default_configENS1_20scan_config_selectorIdEEZZNS1_9scan_implILNS1_25lookback_scan_determinismE0ELb0ELb0ES3_PKdPddZZZN2at6native31launch_logcumsumexp_cuda_kernelERKNSB_10TensorBaseESF_lENKUlvE_clEvENKUlvE_clEvEUlddE_dEEDaPvRmT3_T4_T5_mT6_P12ihipStream_tbENKUlT_T0_E_clISt17integral_constantIbLb0EESW_EEDaSR_SS_EUlSR_E0_NS1_11comp_targetILNS1_3genE5ELNS1_11target_archE942ELNS1_3gpuE9ELNS1_3repE0EEENS1_30default_config_static_selectorELNS0_4arch9wavefront6targetE0EEEvT1_
	.p2align	8
	.type	_ZN7rocprim17ROCPRIM_400000_NS6detail17trampoline_kernelINS0_14default_configENS1_20scan_config_selectorIdEEZZNS1_9scan_implILNS1_25lookback_scan_determinismE0ELb0ELb0ES3_PKdPddZZZN2at6native31launch_logcumsumexp_cuda_kernelERKNSB_10TensorBaseESF_lENKUlvE_clEvENKUlvE_clEvEUlddE_dEEDaPvRmT3_T4_T5_mT6_P12ihipStream_tbENKUlT_T0_E_clISt17integral_constantIbLb0EESW_EEDaSR_SS_EUlSR_E0_NS1_11comp_targetILNS1_3genE5ELNS1_11target_archE942ELNS1_3gpuE9ELNS1_3repE0EEENS1_30default_config_static_selectorELNS0_4arch9wavefront6targetE0EEEvT1_,@function
_ZN7rocprim17ROCPRIM_400000_NS6detail17trampoline_kernelINS0_14default_configENS1_20scan_config_selectorIdEEZZNS1_9scan_implILNS1_25lookback_scan_determinismE0ELb0ELb0ES3_PKdPddZZZN2at6native31launch_logcumsumexp_cuda_kernelERKNSB_10TensorBaseESF_lENKUlvE_clEvENKUlvE_clEvEUlddE_dEEDaPvRmT3_T4_T5_mT6_P12ihipStream_tbENKUlT_T0_E_clISt17integral_constantIbLb0EESW_EEDaSR_SS_EUlSR_E0_NS1_11comp_targetILNS1_3genE5ELNS1_11target_archE942ELNS1_3gpuE9ELNS1_3repE0EEENS1_30default_config_static_selectorELNS0_4arch9wavefront6targetE0EEEvT1_: ; @_ZN7rocprim17ROCPRIM_400000_NS6detail17trampoline_kernelINS0_14default_configENS1_20scan_config_selectorIdEEZZNS1_9scan_implILNS1_25lookback_scan_determinismE0ELb0ELb0ES3_PKdPddZZZN2at6native31launch_logcumsumexp_cuda_kernelERKNSB_10TensorBaseESF_lENKUlvE_clEvENKUlvE_clEvEUlddE_dEEDaPvRmT3_T4_T5_mT6_P12ihipStream_tbENKUlT_T0_E_clISt17integral_constantIbLb0EESW_EEDaSR_SS_EUlSR_E0_NS1_11comp_targetILNS1_3genE5ELNS1_11target_archE942ELNS1_3gpuE9ELNS1_3repE0EEENS1_30default_config_static_selectorELNS0_4arch9wavefront6targetE0EEEvT1_
; %bb.0:
	.section	.rodata,"a",@progbits
	.p2align	6, 0x0
	.amdhsa_kernel _ZN7rocprim17ROCPRIM_400000_NS6detail17trampoline_kernelINS0_14default_configENS1_20scan_config_selectorIdEEZZNS1_9scan_implILNS1_25lookback_scan_determinismE0ELb0ELb0ES3_PKdPddZZZN2at6native31launch_logcumsumexp_cuda_kernelERKNSB_10TensorBaseESF_lENKUlvE_clEvENKUlvE_clEvEUlddE_dEEDaPvRmT3_T4_T5_mT6_P12ihipStream_tbENKUlT_T0_E_clISt17integral_constantIbLb0EESW_EEDaSR_SS_EUlSR_E0_NS1_11comp_targetILNS1_3genE5ELNS1_11target_archE942ELNS1_3gpuE9ELNS1_3repE0EEENS1_30default_config_static_selectorELNS0_4arch9wavefront6targetE0EEEvT1_
		.amdhsa_group_segment_fixed_size 0
		.amdhsa_private_segment_fixed_size 0
		.amdhsa_kernarg_size 40
		.amdhsa_user_sgpr_count 2
		.amdhsa_user_sgpr_dispatch_ptr 0
		.amdhsa_user_sgpr_queue_ptr 0
		.amdhsa_user_sgpr_kernarg_segment_ptr 1
		.amdhsa_user_sgpr_dispatch_id 0
		.amdhsa_user_sgpr_private_segment_size 0
		.amdhsa_wavefront_size32 1
		.amdhsa_uses_dynamic_stack 0
		.amdhsa_enable_private_segment 0
		.amdhsa_system_sgpr_workgroup_id_x 1
		.amdhsa_system_sgpr_workgroup_id_y 0
		.amdhsa_system_sgpr_workgroup_id_z 0
		.amdhsa_system_sgpr_workgroup_info 0
		.amdhsa_system_vgpr_workitem_id 0
		.amdhsa_next_free_vgpr 1
		.amdhsa_next_free_sgpr 1
		.amdhsa_reserve_vcc 0
		.amdhsa_float_round_mode_32 0
		.amdhsa_float_round_mode_16_64 0
		.amdhsa_float_denorm_mode_32 3
		.amdhsa_float_denorm_mode_16_64 3
		.amdhsa_fp16_overflow 0
		.amdhsa_workgroup_processor_mode 1
		.amdhsa_memory_ordered 1
		.amdhsa_forward_progress 1
		.amdhsa_inst_pref_size 0
		.amdhsa_round_robin_scheduling 0
		.amdhsa_exception_fp_ieee_invalid_op 0
		.amdhsa_exception_fp_denorm_src 0
		.amdhsa_exception_fp_ieee_div_zero 0
		.amdhsa_exception_fp_ieee_overflow 0
		.amdhsa_exception_fp_ieee_underflow 0
		.amdhsa_exception_fp_ieee_inexact 0
		.amdhsa_exception_int_div_zero 0
	.end_amdhsa_kernel
	.section	.text._ZN7rocprim17ROCPRIM_400000_NS6detail17trampoline_kernelINS0_14default_configENS1_20scan_config_selectorIdEEZZNS1_9scan_implILNS1_25lookback_scan_determinismE0ELb0ELb0ES3_PKdPddZZZN2at6native31launch_logcumsumexp_cuda_kernelERKNSB_10TensorBaseESF_lENKUlvE_clEvENKUlvE_clEvEUlddE_dEEDaPvRmT3_T4_T5_mT6_P12ihipStream_tbENKUlT_T0_E_clISt17integral_constantIbLb0EESW_EEDaSR_SS_EUlSR_E0_NS1_11comp_targetILNS1_3genE5ELNS1_11target_archE942ELNS1_3gpuE9ELNS1_3repE0EEENS1_30default_config_static_selectorELNS0_4arch9wavefront6targetE0EEEvT1_,"axG",@progbits,_ZN7rocprim17ROCPRIM_400000_NS6detail17trampoline_kernelINS0_14default_configENS1_20scan_config_selectorIdEEZZNS1_9scan_implILNS1_25lookback_scan_determinismE0ELb0ELb0ES3_PKdPddZZZN2at6native31launch_logcumsumexp_cuda_kernelERKNSB_10TensorBaseESF_lENKUlvE_clEvENKUlvE_clEvEUlddE_dEEDaPvRmT3_T4_T5_mT6_P12ihipStream_tbENKUlT_T0_E_clISt17integral_constantIbLb0EESW_EEDaSR_SS_EUlSR_E0_NS1_11comp_targetILNS1_3genE5ELNS1_11target_archE942ELNS1_3gpuE9ELNS1_3repE0EEENS1_30default_config_static_selectorELNS0_4arch9wavefront6targetE0EEEvT1_,comdat
.Lfunc_end19:
	.size	_ZN7rocprim17ROCPRIM_400000_NS6detail17trampoline_kernelINS0_14default_configENS1_20scan_config_selectorIdEEZZNS1_9scan_implILNS1_25lookback_scan_determinismE0ELb0ELb0ES3_PKdPddZZZN2at6native31launch_logcumsumexp_cuda_kernelERKNSB_10TensorBaseESF_lENKUlvE_clEvENKUlvE_clEvEUlddE_dEEDaPvRmT3_T4_T5_mT6_P12ihipStream_tbENKUlT_T0_E_clISt17integral_constantIbLb0EESW_EEDaSR_SS_EUlSR_E0_NS1_11comp_targetILNS1_3genE5ELNS1_11target_archE942ELNS1_3gpuE9ELNS1_3repE0EEENS1_30default_config_static_selectorELNS0_4arch9wavefront6targetE0EEEvT1_, .Lfunc_end19-_ZN7rocprim17ROCPRIM_400000_NS6detail17trampoline_kernelINS0_14default_configENS1_20scan_config_selectorIdEEZZNS1_9scan_implILNS1_25lookback_scan_determinismE0ELb0ELb0ES3_PKdPddZZZN2at6native31launch_logcumsumexp_cuda_kernelERKNSB_10TensorBaseESF_lENKUlvE_clEvENKUlvE_clEvEUlddE_dEEDaPvRmT3_T4_T5_mT6_P12ihipStream_tbENKUlT_T0_E_clISt17integral_constantIbLb0EESW_EEDaSR_SS_EUlSR_E0_NS1_11comp_targetILNS1_3genE5ELNS1_11target_archE942ELNS1_3gpuE9ELNS1_3repE0EEENS1_30default_config_static_selectorELNS0_4arch9wavefront6targetE0EEEvT1_
                                        ; -- End function
	.set _ZN7rocprim17ROCPRIM_400000_NS6detail17trampoline_kernelINS0_14default_configENS1_20scan_config_selectorIdEEZZNS1_9scan_implILNS1_25lookback_scan_determinismE0ELb0ELb0ES3_PKdPddZZZN2at6native31launch_logcumsumexp_cuda_kernelERKNSB_10TensorBaseESF_lENKUlvE_clEvENKUlvE_clEvEUlddE_dEEDaPvRmT3_T4_T5_mT6_P12ihipStream_tbENKUlT_T0_E_clISt17integral_constantIbLb0EESW_EEDaSR_SS_EUlSR_E0_NS1_11comp_targetILNS1_3genE5ELNS1_11target_archE942ELNS1_3gpuE9ELNS1_3repE0EEENS1_30default_config_static_selectorELNS0_4arch9wavefront6targetE0EEEvT1_.num_vgpr, 0
	.set _ZN7rocprim17ROCPRIM_400000_NS6detail17trampoline_kernelINS0_14default_configENS1_20scan_config_selectorIdEEZZNS1_9scan_implILNS1_25lookback_scan_determinismE0ELb0ELb0ES3_PKdPddZZZN2at6native31launch_logcumsumexp_cuda_kernelERKNSB_10TensorBaseESF_lENKUlvE_clEvENKUlvE_clEvEUlddE_dEEDaPvRmT3_T4_T5_mT6_P12ihipStream_tbENKUlT_T0_E_clISt17integral_constantIbLb0EESW_EEDaSR_SS_EUlSR_E0_NS1_11comp_targetILNS1_3genE5ELNS1_11target_archE942ELNS1_3gpuE9ELNS1_3repE0EEENS1_30default_config_static_selectorELNS0_4arch9wavefront6targetE0EEEvT1_.num_agpr, 0
	.set _ZN7rocprim17ROCPRIM_400000_NS6detail17trampoline_kernelINS0_14default_configENS1_20scan_config_selectorIdEEZZNS1_9scan_implILNS1_25lookback_scan_determinismE0ELb0ELb0ES3_PKdPddZZZN2at6native31launch_logcumsumexp_cuda_kernelERKNSB_10TensorBaseESF_lENKUlvE_clEvENKUlvE_clEvEUlddE_dEEDaPvRmT3_T4_T5_mT6_P12ihipStream_tbENKUlT_T0_E_clISt17integral_constantIbLb0EESW_EEDaSR_SS_EUlSR_E0_NS1_11comp_targetILNS1_3genE5ELNS1_11target_archE942ELNS1_3gpuE9ELNS1_3repE0EEENS1_30default_config_static_selectorELNS0_4arch9wavefront6targetE0EEEvT1_.numbered_sgpr, 0
	.set _ZN7rocprim17ROCPRIM_400000_NS6detail17trampoline_kernelINS0_14default_configENS1_20scan_config_selectorIdEEZZNS1_9scan_implILNS1_25lookback_scan_determinismE0ELb0ELb0ES3_PKdPddZZZN2at6native31launch_logcumsumexp_cuda_kernelERKNSB_10TensorBaseESF_lENKUlvE_clEvENKUlvE_clEvEUlddE_dEEDaPvRmT3_T4_T5_mT6_P12ihipStream_tbENKUlT_T0_E_clISt17integral_constantIbLb0EESW_EEDaSR_SS_EUlSR_E0_NS1_11comp_targetILNS1_3genE5ELNS1_11target_archE942ELNS1_3gpuE9ELNS1_3repE0EEENS1_30default_config_static_selectorELNS0_4arch9wavefront6targetE0EEEvT1_.num_named_barrier, 0
	.set _ZN7rocprim17ROCPRIM_400000_NS6detail17trampoline_kernelINS0_14default_configENS1_20scan_config_selectorIdEEZZNS1_9scan_implILNS1_25lookback_scan_determinismE0ELb0ELb0ES3_PKdPddZZZN2at6native31launch_logcumsumexp_cuda_kernelERKNSB_10TensorBaseESF_lENKUlvE_clEvENKUlvE_clEvEUlddE_dEEDaPvRmT3_T4_T5_mT6_P12ihipStream_tbENKUlT_T0_E_clISt17integral_constantIbLb0EESW_EEDaSR_SS_EUlSR_E0_NS1_11comp_targetILNS1_3genE5ELNS1_11target_archE942ELNS1_3gpuE9ELNS1_3repE0EEENS1_30default_config_static_selectorELNS0_4arch9wavefront6targetE0EEEvT1_.private_seg_size, 0
	.set _ZN7rocprim17ROCPRIM_400000_NS6detail17trampoline_kernelINS0_14default_configENS1_20scan_config_selectorIdEEZZNS1_9scan_implILNS1_25lookback_scan_determinismE0ELb0ELb0ES3_PKdPddZZZN2at6native31launch_logcumsumexp_cuda_kernelERKNSB_10TensorBaseESF_lENKUlvE_clEvENKUlvE_clEvEUlddE_dEEDaPvRmT3_T4_T5_mT6_P12ihipStream_tbENKUlT_T0_E_clISt17integral_constantIbLb0EESW_EEDaSR_SS_EUlSR_E0_NS1_11comp_targetILNS1_3genE5ELNS1_11target_archE942ELNS1_3gpuE9ELNS1_3repE0EEENS1_30default_config_static_selectorELNS0_4arch9wavefront6targetE0EEEvT1_.uses_vcc, 0
	.set _ZN7rocprim17ROCPRIM_400000_NS6detail17trampoline_kernelINS0_14default_configENS1_20scan_config_selectorIdEEZZNS1_9scan_implILNS1_25lookback_scan_determinismE0ELb0ELb0ES3_PKdPddZZZN2at6native31launch_logcumsumexp_cuda_kernelERKNSB_10TensorBaseESF_lENKUlvE_clEvENKUlvE_clEvEUlddE_dEEDaPvRmT3_T4_T5_mT6_P12ihipStream_tbENKUlT_T0_E_clISt17integral_constantIbLb0EESW_EEDaSR_SS_EUlSR_E0_NS1_11comp_targetILNS1_3genE5ELNS1_11target_archE942ELNS1_3gpuE9ELNS1_3repE0EEENS1_30default_config_static_selectorELNS0_4arch9wavefront6targetE0EEEvT1_.uses_flat_scratch, 0
	.set _ZN7rocprim17ROCPRIM_400000_NS6detail17trampoline_kernelINS0_14default_configENS1_20scan_config_selectorIdEEZZNS1_9scan_implILNS1_25lookback_scan_determinismE0ELb0ELb0ES3_PKdPddZZZN2at6native31launch_logcumsumexp_cuda_kernelERKNSB_10TensorBaseESF_lENKUlvE_clEvENKUlvE_clEvEUlddE_dEEDaPvRmT3_T4_T5_mT6_P12ihipStream_tbENKUlT_T0_E_clISt17integral_constantIbLb0EESW_EEDaSR_SS_EUlSR_E0_NS1_11comp_targetILNS1_3genE5ELNS1_11target_archE942ELNS1_3gpuE9ELNS1_3repE0EEENS1_30default_config_static_selectorELNS0_4arch9wavefront6targetE0EEEvT1_.has_dyn_sized_stack, 0
	.set _ZN7rocprim17ROCPRIM_400000_NS6detail17trampoline_kernelINS0_14default_configENS1_20scan_config_selectorIdEEZZNS1_9scan_implILNS1_25lookback_scan_determinismE0ELb0ELb0ES3_PKdPddZZZN2at6native31launch_logcumsumexp_cuda_kernelERKNSB_10TensorBaseESF_lENKUlvE_clEvENKUlvE_clEvEUlddE_dEEDaPvRmT3_T4_T5_mT6_P12ihipStream_tbENKUlT_T0_E_clISt17integral_constantIbLb0EESW_EEDaSR_SS_EUlSR_E0_NS1_11comp_targetILNS1_3genE5ELNS1_11target_archE942ELNS1_3gpuE9ELNS1_3repE0EEENS1_30default_config_static_selectorELNS0_4arch9wavefront6targetE0EEEvT1_.has_recursion, 0
	.set _ZN7rocprim17ROCPRIM_400000_NS6detail17trampoline_kernelINS0_14default_configENS1_20scan_config_selectorIdEEZZNS1_9scan_implILNS1_25lookback_scan_determinismE0ELb0ELb0ES3_PKdPddZZZN2at6native31launch_logcumsumexp_cuda_kernelERKNSB_10TensorBaseESF_lENKUlvE_clEvENKUlvE_clEvEUlddE_dEEDaPvRmT3_T4_T5_mT6_P12ihipStream_tbENKUlT_T0_E_clISt17integral_constantIbLb0EESW_EEDaSR_SS_EUlSR_E0_NS1_11comp_targetILNS1_3genE5ELNS1_11target_archE942ELNS1_3gpuE9ELNS1_3repE0EEENS1_30default_config_static_selectorELNS0_4arch9wavefront6targetE0EEEvT1_.has_indirect_call, 0
	.section	.AMDGPU.csdata,"",@progbits
; Kernel info:
; codeLenInByte = 0
; TotalNumSgprs: 0
; NumVgprs: 0
; ScratchSize: 0
; MemoryBound: 0
; FloatMode: 240
; IeeeMode: 1
; LDSByteSize: 0 bytes/workgroup (compile time only)
; SGPRBlocks: 0
; VGPRBlocks: 0
; NumSGPRsForWavesPerEU: 1
; NumVGPRsForWavesPerEU: 1
; Occupancy: 16
; WaveLimiterHint : 0
; COMPUTE_PGM_RSRC2:SCRATCH_EN: 0
; COMPUTE_PGM_RSRC2:USER_SGPR: 2
; COMPUTE_PGM_RSRC2:TRAP_HANDLER: 0
; COMPUTE_PGM_RSRC2:TGID_X_EN: 1
; COMPUTE_PGM_RSRC2:TGID_Y_EN: 0
; COMPUTE_PGM_RSRC2:TGID_Z_EN: 0
; COMPUTE_PGM_RSRC2:TIDIG_COMP_CNT: 0
	.section	.text._ZN7rocprim17ROCPRIM_400000_NS6detail17trampoline_kernelINS0_14default_configENS1_20scan_config_selectorIdEEZZNS1_9scan_implILNS1_25lookback_scan_determinismE0ELb0ELb0ES3_PKdPddZZZN2at6native31launch_logcumsumexp_cuda_kernelERKNSB_10TensorBaseESF_lENKUlvE_clEvENKUlvE_clEvEUlddE_dEEDaPvRmT3_T4_T5_mT6_P12ihipStream_tbENKUlT_T0_E_clISt17integral_constantIbLb0EESW_EEDaSR_SS_EUlSR_E0_NS1_11comp_targetILNS1_3genE4ELNS1_11target_archE910ELNS1_3gpuE8ELNS1_3repE0EEENS1_30default_config_static_selectorELNS0_4arch9wavefront6targetE0EEEvT1_,"axG",@progbits,_ZN7rocprim17ROCPRIM_400000_NS6detail17trampoline_kernelINS0_14default_configENS1_20scan_config_selectorIdEEZZNS1_9scan_implILNS1_25lookback_scan_determinismE0ELb0ELb0ES3_PKdPddZZZN2at6native31launch_logcumsumexp_cuda_kernelERKNSB_10TensorBaseESF_lENKUlvE_clEvENKUlvE_clEvEUlddE_dEEDaPvRmT3_T4_T5_mT6_P12ihipStream_tbENKUlT_T0_E_clISt17integral_constantIbLb0EESW_EEDaSR_SS_EUlSR_E0_NS1_11comp_targetILNS1_3genE4ELNS1_11target_archE910ELNS1_3gpuE8ELNS1_3repE0EEENS1_30default_config_static_selectorELNS0_4arch9wavefront6targetE0EEEvT1_,comdat
	.globl	_ZN7rocprim17ROCPRIM_400000_NS6detail17trampoline_kernelINS0_14default_configENS1_20scan_config_selectorIdEEZZNS1_9scan_implILNS1_25lookback_scan_determinismE0ELb0ELb0ES3_PKdPddZZZN2at6native31launch_logcumsumexp_cuda_kernelERKNSB_10TensorBaseESF_lENKUlvE_clEvENKUlvE_clEvEUlddE_dEEDaPvRmT3_T4_T5_mT6_P12ihipStream_tbENKUlT_T0_E_clISt17integral_constantIbLb0EESW_EEDaSR_SS_EUlSR_E0_NS1_11comp_targetILNS1_3genE4ELNS1_11target_archE910ELNS1_3gpuE8ELNS1_3repE0EEENS1_30default_config_static_selectorELNS0_4arch9wavefront6targetE0EEEvT1_ ; -- Begin function _ZN7rocprim17ROCPRIM_400000_NS6detail17trampoline_kernelINS0_14default_configENS1_20scan_config_selectorIdEEZZNS1_9scan_implILNS1_25lookback_scan_determinismE0ELb0ELb0ES3_PKdPddZZZN2at6native31launch_logcumsumexp_cuda_kernelERKNSB_10TensorBaseESF_lENKUlvE_clEvENKUlvE_clEvEUlddE_dEEDaPvRmT3_T4_T5_mT6_P12ihipStream_tbENKUlT_T0_E_clISt17integral_constantIbLb0EESW_EEDaSR_SS_EUlSR_E0_NS1_11comp_targetILNS1_3genE4ELNS1_11target_archE910ELNS1_3gpuE8ELNS1_3repE0EEENS1_30default_config_static_selectorELNS0_4arch9wavefront6targetE0EEEvT1_
	.p2align	8
	.type	_ZN7rocprim17ROCPRIM_400000_NS6detail17trampoline_kernelINS0_14default_configENS1_20scan_config_selectorIdEEZZNS1_9scan_implILNS1_25lookback_scan_determinismE0ELb0ELb0ES3_PKdPddZZZN2at6native31launch_logcumsumexp_cuda_kernelERKNSB_10TensorBaseESF_lENKUlvE_clEvENKUlvE_clEvEUlddE_dEEDaPvRmT3_T4_T5_mT6_P12ihipStream_tbENKUlT_T0_E_clISt17integral_constantIbLb0EESW_EEDaSR_SS_EUlSR_E0_NS1_11comp_targetILNS1_3genE4ELNS1_11target_archE910ELNS1_3gpuE8ELNS1_3repE0EEENS1_30default_config_static_selectorELNS0_4arch9wavefront6targetE0EEEvT1_,@function
_ZN7rocprim17ROCPRIM_400000_NS6detail17trampoline_kernelINS0_14default_configENS1_20scan_config_selectorIdEEZZNS1_9scan_implILNS1_25lookback_scan_determinismE0ELb0ELb0ES3_PKdPddZZZN2at6native31launch_logcumsumexp_cuda_kernelERKNSB_10TensorBaseESF_lENKUlvE_clEvENKUlvE_clEvEUlddE_dEEDaPvRmT3_T4_T5_mT6_P12ihipStream_tbENKUlT_T0_E_clISt17integral_constantIbLb0EESW_EEDaSR_SS_EUlSR_E0_NS1_11comp_targetILNS1_3genE4ELNS1_11target_archE910ELNS1_3gpuE8ELNS1_3repE0EEENS1_30default_config_static_selectorELNS0_4arch9wavefront6targetE0EEEvT1_: ; @_ZN7rocprim17ROCPRIM_400000_NS6detail17trampoline_kernelINS0_14default_configENS1_20scan_config_selectorIdEEZZNS1_9scan_implILNS1_25lookback_scan_determinismE0ELb0ELb0ES3_PKdPddZZZN2at6native31launch_logcumsumexp_cuda_kernelERKNSB_10TensorBaseESF_lENKUlvE_clEvENKUlvE_clEvEUlddE_dEEDaPvRmT3_T4_T5_mT6_P12ihipStream_tbENKUlT_T0_E_clISt17integral_constantIbLb0EESW_EEDaSR_SS_EUlSR_E0_NS1_11comp_targetILNS1_3genE4ELNS1_11target_archE910ELNS1_3gpuE8ELNS1_3repE0EEENS1_30default_config_static_selectorELNS0_4arch9wavefront6targetE0EEEvT1_
; %bb.0:
	.section	.rodata,"a",@progbits
	.p2align	6, 0x0
	.amdhsa_kernel _ZN7rocprim17ROCPRIM_400000_NS6detail17trampoline_kernelINS0_14default_configENS1_20scan_config_selectorIdEEZZNS1_9scan_implILNS1_25lookback_scan_determinismE0ELb0ELb0ES3_PKdPddZZZN2at6native31launch_logcumsumexp_cuda_kernelERKNSB_10TensorBaseESF_lENKUlvE_clEvENKUlvE_clEvEUlddE_dEEDaPvRmT3_T4_T5_mT6_P12ihipStream_tbENKUlT_T0_E_clISt17integral_constantIbLb0EESW_EEDaSR_SS_EUlSR_E0_NS1_11comp_targetILNS1_3genE4ELNS1_11target_archE910ELNS1_3gpuE8ELNS1_3repE0EEENS1_30default_config_static_selectorELNS0_4arch9wavefront6targetE0EEEvT1_
		.amdhsa_group_segment_fixed_size 0
		.amdhsa_private_segment_fixed_size 0
		.amdhsa_kernarg_size 40
		.amdhsa_user_sgpr_count 2
		.amdhsa_user_sgpr_dispatch_ptr 0
		.amdhsa_user_sgpr_queue_ptr 0
		.amdhsa_user_sgpr_kernarg_segment_ptr 1
		.amdhsa_user_sgpr_dispatch_id 0
		.amdhsa_user_sgpr_private_segment_size 0
		.amdhsa_wavefront_size32 1
		.amdhsa_uses_dynamic_stack 0
		.amdhsa_enable_private_segment 0
		.amdhsa_system_sgpr_workgroup_id_x 1
		.amdhsa_system_sgpr_workgroup_id_y 0
		.amdhsa_system_sgpr_workgroup_id_z 0
		.amdhsa_system_sgpr_workgroup_info 0
		.amdhsa_system_vgpr_workitem_id 0
		.amdhsa_next_free_vgpr 1
		.amdhsa_next_free_sgpr 1
		.amdhsa_reserve_vcc 0
		.amdhsa_float_round_mode_32 0
		.amdhsa_float_round_mode_16_64 0
		.amdhsa_float_denorm_mode_32 3
		.amdhsa_float_denorm_mode_16_64 3
		.amdhsa_fp16_overflow 0
		.amdhsa_workgroup_processor_mode 1
		.amdhsa_memory_ordered 1
		.amdhsa_forward_progress 1
		.amdhsa_inst_pref_size 0
		.amdhsa_round_robin_scheduling 0
		.amdhsa_exception_fp_ieee_invalid_op 0
		.amdhsa_exception_fp_denorm_src 0
		.amdhsa_exception_fp_ieee_div_zero 0
		.amdhsa_exception_fp_ieee_overflow 0
		.amdhsa_exception_fp_ieee_underflow 0
		.amdhsa_exception_fp_ieee_inexact 0
		.amdhsa_exception_int_div_zero 0
	.end_amdhsa_kernel
	.section	.text._ZN7rocprim17ROCPRIM_400000_NS6detail17trampoline_kernelINS0_14default_configENS1_20scan_config_selectorIdEEZZNS1_9scan_implILNS1_25lookback_scan_determinismE0ELb0ELb0ES3_PKdPddZZZN2at6native31launch_logcumsumexp_cuda_kernelERKNSB_10TensorBaseESF_lENKUlvE_clEvENKUlvE_clEvEUlddE_dEEDaPvRmT3_T4_T5_mT6_P12ihipStream_tbENKUlT_T0_E_clISt17integral_constantIbLb0EESW_EEDaSR_SS_EUlSR_E0_NS1_11comp_targetILNS1_3genE4ELNS1_11target_archE910ELNS1_3gpuE8ELNS1_3repE0EEENS1_30default_config_static_selectorELNS0_4arch9wavefront6targetE0EEEvT1_,"axG",@progbits,_ZN7rocprim17ROCPRIM_400000_NS6detail17trampoline_kernelINS0_14default_configENS1_20scan_config_selectorIdEEZZNS1_9scan_implILNS1_25lookback_scan_determinismE0ELb0ELb0ES3_PKdPddZZZN2at6native31launch_logcumsumexp_cuda_kernelERKNSB_10TensorBaseESF_lENKUlvE_clEvENKUlvE_clEvEUlddE_dEEDaPvRmT3_T4_T5_mT6_P12ihipStream_tbENKUlT_T0_E_clISt17integral_constantIbLb0EESW_EEDaSR_SS_EUlSR_E0_NS1_11comp_targetILNS1_3genE4ELNS1_11target_archE910ELNS1_3gpuE8ELNS1_3repE0EEENS1_30default_config_static_selectorELNS0_4arch9wavefront6targetE0EEEvT1_,comdat
.Lfunc_end20:
	.size	_ZN7rocprim17ROCPRIM_400000_NS6detail17trampoline_kernelINS0_14default_configENS1_20scan_config_selectorIdEEZZNS1_9scan_implILNS1_25lookback_scan_determinismE0ELb0ELb0ES3_PKdPddZZZN2at6native31launch_logcumsumexp_cuda_kernelERKNSB_10TensorBaseESF_lENKUlvE_clEvENKUlvE_clEvEUlddE_dEEDaPvRmT3_T4_T5_mT6_P12ihipStream_tbENKUlT_T0_E_clISt17integral_constantIbLb0EESW_EEDaSR_SS_EUlSR_E0_NS1_11comp_targetILNS1_3genE4ELNS1_11target_archE910ELNS1_3gpuE8ELNS1_3repE0EEENS1_30default_config_static_selectorELNS0_4arch9wavefront6targetE0EEEvT1_, .Lfunc_end20-_ZN7rocprim17ROCPRIM_400000_NS6detail17trampoline_kernelINS0_14default_configENS1_20scan_config_selectorIdEEZZNS1_9scan_implILNS1_25lookback_scan_determinismE0ELb0ELb0ES3_PKdPddZZZN2at6native31launch_logcumsumexp_cuda_kernelERKNSB_10TensorBaseESF_lENKUlvE_clEvENKUlvE_clEvEUlddE_dEEDaPvRmT3_T4_T5_mT6_P12ihipStream_tbENKUlT_T0_E_clISt17integral_constantIbLb0EESW_EEDaSR_SS_EUlSR_E0_NS1_11comp_targetILNS1_3genE4ELNS1_11target_archE910ELNS1_3gpuE8ELNS1_3repE0EEENS1_30default_config_static_selectorELNS0_4arch9wavefront6targetE0EEEvT1_
                                        ; -- End function
	.set _ZN7rocprim17ROCPRIM_400000_NS6detail17trampoline_kernelINS0_14default_configENS1_20scan_config_selectorIdEEZZNS1_9scan_implILNS1_25lookback_scan_determinismE0ELb0ELb0ES3_PKdPddZZZN2at6native31launch_logcumsumexp_cuda_kernelERKNSB_10TensorBaseESF_lENKUlvE_clEvENKUlvE_clEvEUlddE_dEEDaPvRmT3_T4_T5_mT6_P12ihipStream_tbENKUlT_T0_E_clISt17integral_constantIbLb0EESW_EEDaSR_SS_EUlSR_E0_NS1_11comp_targetILNS1_3genE4ELNS1_11target_archE910ELNS1_3gpuE8ELNS1_3repE0EEENS1_30default_config_static_selectorELNS0_4arch9wavefront6targetE0EEEvT1_.num_vgpr, 0
	.set _ZN7rocprim17ROCPRIM_400000_NS6detail17trampoline_kernelINS0_14default_configENS1_20scan_config_selectorIdEEZZNS1_9scan_implILNS1_25lookback_scan_determinismE0ELb0ELb0ES3_PKdPddZZZN2at6native31launch_logcumsumexp_cuda_kernelERKNSB_10TensorBaseESF_lENKUlvE_clEvENKUlvE_clEvEUlddE_dEEDaPvRmT3_T4_T5_mT6_P12ihipStream_tbENKUlT_T0_E_clISt17integral_constantIbLb0EESW_EEDaSR_SS_EUlSR_E0_NS1_11comp_targetILNS1_3genE4ELNS1_11target_archE910ELNS1_3gpuE8ELNS1_3repE0EEENS1_30default_config_static_selectorELNS0_4arch9wavefront6targetE0EEEvT1_.num_agpr, 0
	.set _ZN7rocprim17ROCPRIM_400000_NS6detail17trampoline_kernelINS0_14default_configENS1_20scan_config_selectorIdEEZZNS1_9scan_implILNS1_25lookback_scan_determinismE0ELb0ELb0ES3_PKdPddZZZN2at6native31launch_logcumsumexp_cuda_kernelERKNSB_10TensorBaseESF_lENKUlvE_clEvENKUlvE_clEvEUlddE_dEEDaPvRmT3_T4_T5_mT6_P12ihipStream_tbENKUlT_T0_E_clISt17integral_constantIbLb0EESW_EEDaSR_SS_EUlSR_E0_NS1_11comp_targetILNS1_3genE4ELNS1_11target_archE910ELNS1_3gpuE8ELNS1_3repE0EEENS1_30default_config_static_selectorELNS0_4arch9wavefront6targetE0EEEvT1_.numbered_sgpr, 0
	.set _ZN7rocprim17ROCPRIM_400000_NS6detail17trampoline_kernelINS0_14default_configENS1_20scan_config_selectorIdEEZZNS1_9scan_implILNS1_25lookback_scan_determinismE0ELb0ELb0ES3_PKdPddZZZN2at6native31launch_logcumsumexp_cuda_kernelERKNSB_10TensorBaseESF_lENKUlvE_clEvENKUlvE_clEvEUlddE_dEEDaPvRmT3_T4_T5_mT6_P12ihipStream_tbENKUlT_T0_E_clISt17integral_constantIbLb0EESW_EEDaSR_SS_EUlSR_E0_NS1_11comp_targetILNS1_3genE4ELNS1_11target_archE910ELNS1_3gpuE8ELNS1_3repE0EEENS1_30default_config_static_selectorELNS0_4arch9wavefront6targetE0EEEvT1_.num_named_barrier, 0
	.set _ZN7rocprim17ROCPRIM_400000_NS6detail17trampoline_kernelINS0_14default_configENS1_20scan_config_selectorIdEEZZNS1_9scan_implILNS1_25lookback_scan_determinismE0ELb0ELb0ES3_PKdPddZZZN2at6native31launch_logcumsumexp_cuda_kernelERKNSB_10TensorBaseESF_lENKUlvE_clEvENKUlvE_clEvEUlddE_dEEDaPvRmT3_T4_T5_mT6_P12ihipStream_tbENKUlT_T0_E_clISt17integral_constantIbLb0EESW_EEDaSR_SS_EUlSR_E0_NS1_11comp_targetILNS1_3genE4ELNS1_11target_archE910ELNS1_3gpuE8ELNS1_3repE0EEENS1_30default_config_static_selectorELNS0_4arch9wavefront6targetE0EEEvT1_.private_seg_size, 0
	.set _ZN7rocprim17ROCPRIM_400000_NS6detail17trampoline_kernelINS0_14default_configENS1_20scan_config_selectorIdEEZZNS1_9scan_implILNS1_25lookback_scan_determinismE0ELb0ELb0ES3_PKdPddZZZN2at6native31launch_logcumsumexp_cuda_kernelERKNSB_10TensorBaseESF_lENKUlvE_clEvENKUlvE_clEvEUlddE_dEEDaPvRmT3_T4_T5_mT6_P12ihipStream_tbENKUlT_T0_E_clISt17integral_constantIbLb0EESW_EEDaSR_SS_EUlSR_E0_NS1_11comp_targetILNS1_3genE4ELNS1_11target_archE910ELNS1_3gpuE8ELNS1_3repE0EEENS1_30default_config_static_selectorELNS0_4arch9wavefront6targetE0EEEvT1_.uses_vcc, 0
	.set _ZN7rocprim17ROCPRIM_400000_NS6detail17trampoline_kernelINS0_14default_configENS1_20scan_config_selectorIdEEZZNS1_9scan_implILNS1_25lookback_scan_determinismE0ELb0ELb0ES3_PKdPddZZZN2at6native31launch_logcumsumexp_cuda_kernelERKNSB_10TensorBaseESF_lENKUlvE_clEvENKUlvE_clEvEUlddE_dEEDaPvRmT3_T4_T5_mT6_P12ihipStream_tbENKUlT_T0_E_clISt17integral_constantIbLb0EESW_EEDaSR_SS_EUlSR_E0_NS1_11comp_targetILNS1_3genE4ELNS1_11target_archE910ELNS1_3gpuE8ELNS1_3repE0EEENS1_30default_config_static_selectorELNS0_4arch9wavefront6targetE0EEEvT1_.uses_flat_scratch, 0
	.set _ZN7rocprim17ROCPRIM_400000_NS6detail17trampoline_kernelINS0_14default_configENS1_20scan_config_selectorIdEEZZNS1_9scan_implILNS1_25lookback_scan_determinismE0ELb0ELb0ES3_PKdPddZZZN2at6native31launch_logcumsumexp_cuda_kernelERKNSB_10TensorBaseESF_lENKUlvE_clEvENKUlvE_clEvEUlddE_dEEDaPvRmT3_T4_T5_mT6_P12ihipStream_tbENKUlT_T0_E_clISt17integral_constantIbLb0EESW_EEDaSR_SS_EUlSR_E0_NS1_11comp_targetILNS1_3genE4ELNS1_11target_archE910ELNS1_3gpuE8ELNS1_3repE0EEENS1_30default_config_static_selectorELNS0_4arch9wavefront6targetE0EEEvT1_.has_dyn_sized_stack, 0
	.set _ZN7rocprim17ROCPRIM_400000_NS6detail17trampoline_kernelINS0_14default_configENS1_20scan_config_selectorIdEEZZNS1_9scan_implILNS1_25lookback_scan_determinismE0ELb0ELb0ES3_PKdPddZZZN2at6native31launch_logcumsumexp_cuda_kernelERKNSB_10TensorBaseESF_lENKUlvE_clEvENKUlvE_clEvEUlddE_dEEDaPvRmT3_T4_T5_mT6_P12ihipStream_tbENKUlT_T0_E_clISt17integral_constantIbLb0EESW_EEDaSR_SS_EUlSR_E0_NS1_11comp_targetILNS1_3genE4ELNS1_11target_archE910ELNS1_3gpuE8ELNS1_3repE0EEENS1_30default_config_static_selectorELNS0_4arch9wavefront6targetE0EEEvT1_.has_recursion, 0
	.set _ZN7rocprim17ROCPRIM_400000_NS6detail17trampoline_kernelINS0_14default_configENS1_20scan_config_selectorIdEEZZNS1_9scan_implILNS1_25lookback_scan_determinismE0ELb0ELb0ES3_PKdPddZZZN2at6native31launch_logcumsumexp_cuda_kernelERKNSB_10TensorBaseESF_lENKUlvE_clEvENKUlvE_clEvEUlddE_dEEDaPvRmT3_T4_T5_mT6_P12ihipStream_tbENKUlT_T0_E_clISt17integral_constantIbLb0EESW_EEDaSR_SS_EUlSR_E0_NS1_11comp_targetILNS1_3genE4ELNS1_11target_archE910ELNS1_3gpuE8ELNS1_3repE0EEENS1_30default_config_static_selectorELNS0_4arch9wavefront6targetE0EEEvT1_.has_indirect_call, 0
	.section	.AMDGPU.csdata,"",@progbits
; Kernel info:
; codeLenInByte = 0
; TotalNumSgprs: 0
; NumVgprs: 0
; ScratchSize: 0
; MemoryBound: 0
; FloatMode: 240
; IeeeMode: 1
; LDSByteSize: 0 bytes/workgroup (compile time only)
; SGPRBlocks: 0
; VGPRBlocks: 0
; NumSGPRsForWavesPerEU: 1
; NumVGPRsForWavesPerEU: 1
; Occupancy: 16
; WaveLimiterHint : 0
; COMPUTE_PGM_RSRC2:SCRATCH_EN: 0
; COMPUTE_PGM_RSRC2:USER_SGPR: 2
; COMPUTE_PGM_RSRC2:TRAP_HANDLER: 0
; COMPUTE_PGM_RSRC2:TGID_X_EN: 1
; COMPUTE_PGM_RSRC2:TGID_Y_EN: 0
; COMPUTE_PGM_RSRC2:TGID_Z_EN: 0
; COMPUTE_PGM_RSRC2:TIDIG_COMP_CNT: 0
	.section	.text._ZN7rocprim17ROCPRIM_400000_NS6detail17trampoline_kernelINS0_14default_configENS1_20scan_config_selectorIdEEZZNS1_9scan_implILNS1_25lookback_scan_determinismE0ELb0ELb0ES3_PKdPddZZZN2at6native31launch_logcumsumexp_cuda_kernelERKNSB_10TensorBaseESF_lENKUlvE_clEvENKUlvE_clEvEUlddE_dEEDaPvRmT3_T4_T5_mT6_P12ihipStream_tbENKUlT_T0_E_clISt17integral_constantIbLb0EESW_EEDaSR_SS_EUlSR_E0_NS1_11comp_targetILNS1_3genE3ELNS1_11target_archE908ELNS1_3gpuE7ELNS1_3repE0EEENS1_30default_config_static_selectorELNS0_4arch9wavefront6targetE0EEEvT1_,"axG",@progbits,_ZN7rocprim17ROCPRIM_400000_NS6detail17trampoline_kernelINS0_14default_configENS1_20scan_config_selectorIdEEZZNS1_9scan_implILNS1_25lookback_scan_determinismE0ELb0ELb0ES3_PKdPddZZZN2at6native31launch_logcumsumexp_cuda_kernelERKNSB_10TensorBaseESF_lENKUlvE_clEvENKUlvE_clEvEUlddE_dEEDaPvRmT3_T4_T5_mT6_P12ihipStream_tbENKUlT_T0_E_clISt17integral_constantIbLb0EESW_EEDaSR_SS_EUlSR_E0_NS1_11comp_targetILNS1_3genE3ELNS1_11target_archE908ELNS1_3gpuE7ELNS1_3repE0EEENS1_30default_config_static_selectorELNS0_4arch9wavefront6targetE0EEEvT1_,comdat
	.globl	_ZN7rocprim17ROCPRIM_400000_NS6detail17trampoline_kernelINS0_14default_configENS1_20scan_config_selectorIdEEZZNS1_9scan_implILNS1_25lookback_scan_determinismE0ELb0ELb0ES3_PKdPddZZZN2at6native31launch_logcumsumexp_cuda_kernelERKNSB_10TensorBaseESF_lENKUlvE_clEvENKUlvE_clEvEUlddE_dEEDaPvRmT3_T4_T5_mT6_P12ihipStream_tbENKUlT_T0_E_clISt17integral_constantIbLb0EESW_EEDaSR_SS_EUlSR_E0_NS1_11comp_targetILNS1_3genE3ELNS1_11target_archE908ELNS1_3gpuE7ELNS1_3repE0EEENS1_30default_config_static_selectorELNS0_4arch9wavefront6targetE0EEEvT1_ ; -- Begin function _ZN7rocprim17ROCPRIM_400000_NS6detail17trampoline_kernelINS0_14default_configENS1_20scan_config_selectorIdEEZZNS1_9scan_implILNS1_25lookback_scan_determinismE0ELb0ELb0ES3_PKdPddZZZN2at6native31launch_logcumsumexp_cuda_kernelERKNSB_10TensorBaseESF_lENKUlvE_clEvENKUlvE_clEvEUlddE_dEEDaPvRmT3_T4_T5_mT6_P12ihipStream_tbENKUlT_T0_E_clISt17integral_constantIbLb0EESW_EEDaSR_SS_EUlSR_E0_NS1_11comp_targetILNS1_3genE3ELNS1_11target_archE908ELNS1_3gpuE7ELNS1_3repE0EEENS1_30default_config_static_selectorELNS0_4arch9wavefront6targetE0EEEvT1_
	.p2align	8
	.type	_ZN7rocprim17ROCPRIM_400000_NS6detail17trampoline_kernelINS0_14default_configENS1_20scan_config_selectorIdEEZZNS1_9scan_implILNS1_25lookback_scan_determinismE0ELb0ELb0ES3_PKdPddZZZN2at6native31launch_logcumsumexp_cuda_kernelERKNSB_10TensorBaseESF_lENKUlvE_clEvENKUlvE_clEvEUlddE_dEEDaPvRmT3_T4_T5_mT6_P12ihipStream_tbENKUlT_T0_E_clISt17integral_constantIbLb0EESW_EEDaSR_SS_EUlSR_E0_NS1_11comp_targetILNS1_3genE3ELNS1_11target_archE908ELNS1_3gpuE7ELNS1_3repE0EEENS1_30default_config_static_selectorELNS0_4arch9wavefront6targetE0EEEvT1_,@function
_ZN7rocprim17ROCPRIM_400000_NS6detail17trampoline_kernelINS0_14default_configENS1_20scan_config_selectorIdEEZZNS1_9scan_implILNS1_25lookback_scan_determinismE0ELb0ELb0ES3_PKdPddZZZN2at6native31launch_logcumsumexp_cuda_kernelERKNSB_10TensorBaseESF_lENKUlvE_clEvENKUlvE_clEvEUlddE_dEEDaPvRmT3_T4_T5_mT6_P12ihipStream_tbENKUlT_T0_E_clISt17integral_constantIbLb0EESW_EEDaSR_SS_EUlSR_E0_NS1_11comp_targetILNS1_3genE3ELNS1_11target_archE908ELNS1_3gpuE7ELNS1_3repE0EEENS1_30default_config_static_selectorELNS0_4arch9wavefront6targetE0EEEvT1_: ; @_ZN7rocprim17ROCPRIM_400000_NS6detail17trampoline_kernelINS0_14default_configENS1_20scan_config_selectorIdEEZZNS1_9scan_implILNS1_25lookback_scan_determinismE0ELb0ELb0ES3_PKdPddZZZN2at6native31launch_logcumsumexp_cuda_kernelERKNSB_10TensorBaseESF_lENKUlvE_clEvENKUlvE_clEvEUlddE_dEEDaPvRmT3_T4_T5_mT6_P12ihipStream_tbENKUlT_T0_E_clISt17integral_constantIbLb0EESW_EEDaSR_SS_EUlSR_E0_NS1_11comp_targetILNS1_3genE3ELNS1_11target_archE908ELNS1_3gpuE7ELNS1_3repE0EEENS1_30default_config_static_selectorELNS0_4arch9wavefront6targetE0EEEvT1_
; %bb.0:
	.section	.rodata,"a",@progbits
	.p2align	6, 0x0
	.amdhsa_kernel _ZN7rocprim17ROCPRIM_400000_NS6detail17trampoline_kernelINS0_14default_configENS1_20scan_config_selectorIdEEZZNS1_9scan_implILNS1_25lookback_scan_determinismE0ELb0ELb0ES3_PKdPddZZZN2at6native31launch_logcumsumexp_cuda_kernelERKNSB_10TensorBaseESF_lENKUlvE_clEvENKUlvE_clEvEUlddE_dEEDaPvRmT3_T4_T5_mT6_P12ihipStream_tbENKUlT_T0_E_clISt17integral_constantIbLb0EESW_EEDaSR_SS_EUlSR_E0_NS1_11comp_targetILNS1_3genE3ELNS1_11target_archE908ELNS1_3gpuE7ELNS1_3repE0EEENS1_30default_config_static_selectorELNS0_4arch9wavefront6targetE0EEEvT1_
		.amdhsa_group_segment_fixed_size 0
		.amdhsa_private_segment_fixed_size 0
		.amdhsa_kernarg_size 40
		.amdhsa_user_sgpr_count 2
		.amdhsa_user_sgpr_dispatch_ptr 0
		.amdhsa_user_sgpr_queue_ptr 0
		.amdhsa_user_sgpr_kernarg_segment_ptr 1
		.amdhsa_user_sgpr_dispatch_id 0
		.amdhsa_user_sgpr_private_segment_size 0
		.amdhsa_wavefront_size32 1
		.amdhsa_uses_dynamic_stack 0
		.amdhsa_enable_private_segment 0
		.amdhsa_system_sgpr_workgroup_id_x 1
		.amdhsa_system_sgpr_workgroup_id_y 0
		.amdhsa_system_sgpr_workgroup_id_z 0
		.amdhsa_system_sgpr_workgroup_info 0
		.amdhsa_system_vgpr_workitem_id 0
		.amdhsa_next_free_vgpr 1
		.amdhsa_next_free_sgpr 1
		.amdhsa_reserve_vcc 0
		.amdhsa_float_round_mode_32 0
		.amdhsa_float_round_mode_16_64 0
		.amdhsa_float_denorm_mode_32 3
		.amdhsa_float_denorm_mode_16_64 3
		.amdhsa_fp16_overflow 0
		.amdhsa_workgroup_processor_mode 1
		.amdhsa_memory_ordered 1
		.amdhsa_forward_progress 1
		.amdhsa_inst_pref_size 0
		.amdhsa_round_robin_scheduling 0
		.amdhsa_exception_fp_ieee_invalid_op 0
		.amdhsa_exception_fp_denorm_src 0
		.amdhsa_exception_fp_ieee_div_zero 0
		.amdhsa_exception_fp_ieee_overflow 0
		.amdhsa_exception_fp_ieee_underflow 0
		.amdhsa_exception_fp_ieee_inexact 0
		.amdhsa_exception_int_div_zero 0
	.end_amdhsa_kernel
	.section	.text._ZN7rocprim17ROCPRIM_400000_NS6detail17trampoline_kernelINS0_14default_configENS1_20scan_config_selectorIdEEZZNS1_9scan_implILNS1_25lookback_scan_determinismE0ELb0ELb0ES3_PKdPddZZZN2at6native31launch_logcumsumexp_cuda_kernelERKNSB_10TensorBaseESF_lENKUlvE_clEvENKUlvE_clEvEUlddE_dEEDaPvRmT3_T4_T5_mT6_P12ihipStream_tbENKUlT_T0_E_clISt17integral_constantIbLb0EESW_EEDaSR_SS_EUlSR_E0_NS1_11comp_targetILNS1_3genE3ELNS1_11target_archE908ELNS1_3gpuE7ELNS1_3repE0EEENS1_30default_config_static_selectorELNS0_4arch9wavefront6targetE0EEEvT1_,"axG",@progbits,_ZN7rocprim17ROCPRIM_400000_NS6detail17trampoline_kernelINS0_14default_configENS1_20scan_config_selectorIdEEZZNS1_9scan_implILNS1_25lookback_scan_determinismE0ELb0ELb0ES3_PKdPddZZZN2at6native31launch_logcumsumexp_cuda_kernelERKNSB_10TensorBaseESF_lENKUlvE_clEvENKUlvE_clEvEUlddE_dEEDaPvRmT3_T4_T5_mT6_P12ihipStream_tbENKUlT_T0_E_clISt17integral_constantIbLb0EESW_EEDaSR_SS_EUlSR_E0_NS1_11comp_targetILNS1_3genE3ELNS1_11target_archE908ELNS1_3gpuE7ELNS1_3repE0EEENS1_30default_config_static_selectorELNS0_4arch9wavefront6targetE0EEEvT1_,comdat
.Lfunc_end21:
	.size	_ZN7rocprim17ROCPRIM_400000_NS6detail17trampoline_kernelINS0_14default_configENS1_20scan_config_selectorIdEEZZNS1_9scan_implILNS1_25lookback_scan_determinismE0ELb0ELb0ES3_PKdPddZZZN2at6native31launch_logcumsumexp_cuda_kernelERKNSB_10TensorBaseESF_lENKUlvE_clEvENKUlvE_clEvEUlddE_dEEDaPvRmT3_T4_T5_mT6_P12ihipStream_tbENKUlT_T0_E_clISt17integral_constantIbLb0EESW_EEDaSR_SS_EUlSR_E0_NS1_11comp_targetILNS1_3genE3ELNS1_11target_archE908ELNS1_3gpuE7ELNS1_3repE0EEENS1_30default_config_static_selectorELNS0_4arch9wavefront6targetE0EEEvT1_, .Lfunc_end21-_ZN7rocprim17ROCPRIM_400000_NS6detail17trampoline_kernelINS0_14default_configENS1_20scan_config_selectorIdEEZZNS1_9scan_implILNS1_25lookback_scan_determinismE0ELb0ELb0ES3_PKdPddZZZN2at6native31launch_logcumsumexp_cuda_kernelERKNSB_10TensorBaseESF_lENKUlvE_clEvENKUlvE_clEvEUlddE_dEEDaPvRmT3_T4_T5_mT6_P12ihipStream_tbENKUlT_T0_E_clISt17integral_constantIbLb0EESW_EEDaSR_SS_EUlSR_E0_NS1_11comp_targetILNS1_3genE3ELNS1_11target_archE908ELNS1_3gpuE7ELNS1_3repE0EEENS1_30default_config_static_selectorELNS0_4arch9wavefront6targetE0EEEvT1_
                                        ; -- End function
	.set _ZN7rocprim17ROCPRIM_400000_NS6detail17trampoline_kernelINS0_14default_configENS1_20scan_config_selectorIdEEZZNS1_9scan_implILNS1_25lookback_scan_determinismE0ELb0ELb0ES3_PKdPddZZZN2at6native31launch_logcumsumexp_cuda_kernelERKNSB_10TensorBaseESF_lENKUlvE_clEvENKUlvE_clEvEUlddE_dEEDaPvRmT3_T4_T5_mT6_P12ihipStream_tbENKUlT_T0_E_clISt17integral_constantIbLb0EESW_EEDaSR_SS_EUlSR_E0_NS1_11comp_targetILNS1_3genE3ELNS1_11target_archE908ELNS1_3gpuE7ELNS1_3repE0EEENS1_30default_config_static_selectorELNS0_4arch9wavefront6targetE0EEEvT1_.num_vgpr, 0
	.set _ZN7rocprim17ROCPRIM_400000_NS6detail17trampoline_kernelINS0_14default_configENS1_20scan_config_selectorIdEEZZNS1_9scan_implILNS1_25lookback_scan_determinismE0ELb0ELb0ES3_PKdPddZZZN2at6native31launch_logcumsumexp_cuda_kernelERKNSB_10TensorBaseESF_lENKUlvE_clEvENKUlvE_clEvEUlddE_dEEDaPvRmT3_T4_T5_mT6_P12ihipStream_tbENKUlT_T0_E_clISt17integral_constantIbLb0EESW_EEDaSR_SS_EUlSR_E0_NS1_11comp_targetILNS1_3genE3ELNS1_11target_archE908ELNS1_3gpuE7ELNS1_3repE0EEENS1_30default_config_static_selectorELNS0_4arch9wavefront6targetE0EEEvT1_.num_agpr, 0
	.set _ZN7rocprim17ROCPRIM_400000_NS6detail17trampoline_kernelINS0_14default_configENS1_20scan_config_selectorIdEEZZNS1_9scan_implILNS1_25lookback_scan_determinismE0ELb0ELb0ES3_PKdPddZZZN2at6native31launch_logcumsumexp_cuda_kernelERKNSB_10TensorBaseESF_lENKUlvE_clEvENKUlvE_clEvEUlddE_dEEDaPvRmT3_T4_T5_mT6_P12ihipStream_tbENKUlT_T0_E_clISt17integral_constantIbLb0EESW_EEDaSR_SS_EUlSR_E0_NS1_11comp_targetILNS1_3genE3ELNS1_11target_archE908ELNS1_3gpuE7ELNS1_3repE0EEENS1_30default_config_static_selectorELNS0_4arch9wavefront6targetE0EEEvT1_.numbered_sgpr, 0
	.set _ZN7rocprim17ROCPRIM_400000_NS6detail17trampoline_kernelINS0_14default_configENS1_20scan_config_selectorIdEEZZNS1_9scan_implILNS1_25lookback_scan_determinismE0ELb0ELb0ES3_PKdPddZZZN2at6native31launch_logcumsumexp_cuda_kernelERKNSB_10TensorBaseESF_lENKUlvE_clEvENKUlvE_clEvEUlddE_dEEDaPvRmT3_T4_T5_mT6_P12ihipStream_tbENKUlT_T0_E_clISt17integral_constantIbLb0EESW_EEDaSR_SS_EUlSR_E0_NS1_11comp_targetILNS1_3genE3ELNS1_11target_archE908ELNS1_3gpuE7ELNS1_3repE0EEENS1_30default_config_static_selectorELNS0_4arch9wavefront6targetE0EEEvT1_.num_named_barrier, 0
	.set _ZN7rocprim17ROCPRIM_400000_NS6detail17trampoline_kernelINS0_14default_configENS1_20scan_config_selectorIdEEZZNS1_9scan_implILNS1_25lookback_scan_determinismE0ELb0ELb0ES3_PKdPddZZZN2at6native31launch_logcumsumexp_cuda_kernelERKNSB_10TensorBaseESF_lENKUlvE_clEvENKUlvE_clEvEUlddE_dEEDaPvRmT3_T4_T5_mT6_P12ihipStream_tbENKUlT_T0_E_clISt17integral_constantIbLb0EESW_EEDaSR_SS_EUlSR_E0_NS1_11comp_targetILNS1_3genE3ELNS1_11target_archE908ELNS1_3gpuE7ELNS1_3repE0EEENS1_30default_config_static_selectorELNS0_4arch9wavefront6targetE0EEEvT1_.private_seg_size, 0
	.set _ZN7rocprim17ROCPRIM_400000_NS6detail17trampoline_kernelINS0_14default_configENS1_20scan_config_selectorIdEEZZNS1_9scan_implILNS1_25lookback_scan_determinismE0ELb0ELb0ES3_PKdPddZZZN2at6native31launch_logcumsumexp_cuda_kernelERKNSB_10TensorBaseESF_lENKUlvE_clEvENKUlvE_clEvEUlddE_dEEDaPvRmT3_T4_T5_mT6_P12ihipStream_tbENKUlT_T0_E_clISt17integral_constantIbLb0EESW_EEDaSR_SS_EUlSR_E0_NS1_11comp_targetILNS1_3genE3ELNS1_11target_archE908ELNS1_3gpuE7ELNS1_3repE0EEENS1_30default_config_static_selectorELNS0_4arch9wavefront6targetE0EEEvT1_.uses_vcc, 0
	.set _ZN7rocprim17ROCPRIM_400000_NS6detail17trampoline_kernelINS0_14default_configENS1_20scan_config_selectorIdEEZZNS1_9scan_implILNS1_25lookback_scan_determinismE0ELb0ELb0ES3_PKdPddZZZN2at6native31launch_logcumsumexp_cuda_kernelERKNSB_10TensorBaseESF_lENKUlvE_clEvENKUlvE_clEvEUlddE_dEEDaPvRmT3_T4_T5_mT6_P12ihipStream_tbENKUlT_T0_E_clISt17integral_constantIbLb0EESW_EEDaSR_SS_EUlSR_E0_NS1_11comp_targetILNS1_3genE3ELNS1_11target_archE908ELNS1_3gpuE7ELNS1_3repE0EEENS1_30default_config_static_selectorELNS0_4arch9wavefront6targetE0EEEvT1_.uses_flat_scratch, 0
	.set _ZN7rocprim17ROCPRIM_400000_NS6detail17trampoline_kernelINS0_14default_configENS1_20scan_config_selectorIdEEZZNS1_9scan_implILNS1_25lookback_scan_determinismE0ELb0ELb0ES3_PKdPddZZZN2at6native31launch_logcumsumexp_cuda_kernelERKNSB_10TensorBaseESF_lENKUlvE_clEvENKUlvE_clEvEUlddE_dEEDaPvRmT3_T4_T5_mT6_P12ihipStream_tbENKUlT_T0_E_clISt17integral_constantIbLb0EESW_EEDaSR_SS_EUlSR_E0_NS1_11comp_targetILNS1_3genE3ELNS1_11target_archE908ELNS1_3gpuE7ELNS1_3repE0EEENS1_30default_config_static_selectorELNS0_4arch9wavefront6targetE0EEEvT1_.has_dyn_sized_stack, 0
	.set _ZN7rocprim17ROCPRIM_400000_NS6detail17trampoline_kernelINS0_14default_configENS1_20scan_config_selectorIdEEZZNS1_9scan_implILNS1_25lookback_scan_determinismE0ELb0ELb0ES3_PKdPddZZZN2at6native31launch_logcumsumexp_cuda_kernelERKNSB_10TensorBaseESF_lENKUlvE_clEvENKUlvE_clEvEUlddE_dEEDaPvRmT3_T4_T5_mT6_P12ihipStream_tbENKUlT_T0_E_clISt17integral_constantIbLb0EESW_EEDaSR_SS_EUlSR_E0_NS1_11comp_targetILNS1_3genE3ELNS1_11target_archE908ELNS1_3gpuE7ELNS1_3repE0EEENS1_30default_config_static_selectorELNS0_4arch9wavefront6targetE0EEEvT1_.has_recursion, 0
	.set _ZN7rocprim17ROCPRIM_400000_NS6detail17trampoline_kernelINS0_14default_configENS1_20scan_config_selectorIdEEZZNS1_9scan_implILNS1_25lookback_scan_determinismE0ELb0ELb0ES3_PKdPddZZZN2at6native31launch_logcumsumexp_cuda_kernelERKNSB_10TensorBaseESF_lENKUlvE_clEvENKUlvE_clEvEUlddE_dEEDaPvRmT3_T4_T5_mT6_P12ihipStream_tbENKUlT_T0_E_clISt17integral_constantIbLb0EESW_EEDaSR_SS_EUlSR_E0_NS1_11comp_targetILNS1_3genE3ELNS1_11target_archE908ELNS1_3gpuE7ELNS1_3repE0EEENS1_30default_config_static_selectorELNS0_4arch9wavefront6targetE0EEEvT1_.has_indirect_call, 0
	.section	.AMDGPU.csdata,"",@progbits
; Kernel info:
; codeLenInByte = 0
; TotalNumSgprs: 0
; NumVgprs: 0
; ScratchSize: 0
; MemoryBound: 0
; FloatMode: 240
; IeeeMode: 1
; LDSByteSize: 0 bytes/workgroup (compile time only)
; SGPRBlocks: 0
; VGPRBlocks: 0
; NumSGPRsForWavesPerEU: 1
; NumVGPRsForWavesPerEU: 1
; Occupancy: 16
; WaveLimiterHint : 0
; COMPUTE_PGM_RSRC2:SCRATCH_EN: 0
; COMPUTE_PGM_RSRC2:USER_SGPR: 2
; COMPUTE_PGM_RSRC2:TRAP_HANDLER: 0
; COMPUTE_PGM_RSRC2:TGID_X_EN: 1
; COMPUTE_PGM_RSRC2:TGID_Y_EN: 0
; COMPUTE_PGM_RSRC2:TGID_Z_EN: 0
; COMPUTE_PGM_RSRC2:TIDIG_COMP_CNT: 0
	.section	.text._ZN7rocprim17ROCPRIM_400000_NS6detail17trampoline_kernelINS0_14default_configENS1_20scan_config_selectorIdEEZZNS1_9scan_implILNS1_25lookback_scan_determinismE0ELb0ELb0ES3_PKdPddZZZN2at6native31launch_logcumsumexp_cuda_kernelERKNSB_10TensorBaseESF_lENKUlvE_clEvENKUlvE_clEvEUlddE_dEEDaPvRmT3_T4_T5_mT6_P12ihipStream_tbENKUlT_T0_E_clISt17integral_constantIbLb0EESW_EEDaSR_SS_EUlSR_E0_NS1_11comp_targetILNS1_3genE2ELNS1_11target_archE906ELNS1_3gpuE6ELNS1_3repE0EEENS1_30default_config_static_selectorELNS0_4arch9wavefront6targetE0EEEvT1_,"axG",@progbits,_ZN7rocprim17ROCPRIM_400000_NS6detail17trampoline_kernelINS0_14default_configENS1_20scan_config_selectorIdEEZZNS1_9scan_implILNS1_25lookback_scan_determinismE0ELb0ELb0ES3_PKdPddZZZN2at6native31launch_logcumsumexp_cuda_kernelERKNSB_10TensorBaseESF_lENKUlvE_clEvENKUlvE_clEvEUlddE_dEEDaPvRmT3_T4_T5_mT6_P12ihipStream_tbENKUlT_T0_E_clISt17integral_constantIbLb0EESW_EEDaSR_SS_EUlSR_E0_NS1_11comp_targetILNS1_3genE2ELNS1_11target_archE906ELNS1_3gpuE6ELNS1_3repE0EEENS1_30default_config_static_selectorELNS0_4arch9wavefront6targetE0EEEvT1_,comdat
	.globl	_ZN7rocprim17ROCPRIM_400000_NS6detail17trampoline_kernelINS0_14default_configENS1_20scan_config_selectorIdEEZZNS1_9scan_implILNS1_25lookback_scan_determinismE0ELb0ELb0ES3_PKdPddZZZN2at6native31launch_logcumsumexp_cuda_kernelERKNSB_10TensorBaseESF_lENKUlvE_clEvENKUlvE_clEvEUlddE_dEEDaPvRmT3_T4_T5_mT6_P12ihipStream_tbENKUlT_T0_E_clISt17integral_constantIbLb0EESW_EEDaSR_SS_EUlSR_E0_NS1_11comp_targetILNS1_3genE2ELNS1_11target_archE906ELNS1_3gpuE6ELNS1_3repE0EEENS1_30default_config_static_selectorELNS0_4arch9wavefront6targetE0EEEvT1_ ; -- Begin function _ZN7rocprim17ROCPRIM_400000_NS6detail17trampoline_kernelINS0_14default_configENS1_20scan_config_selectorIdEEZZNS1_9scan_implILNS1_25lookback_scan_determinismE0ELb0ELb0ES3_PKdPddZZZN2at6native31launch_logcumsumexp_cuda_kernelERKNSB_10TensorBaseESF_lENKUlvE_clEvENKUlvE_clEvEUlddE_dEEDaPvRmT3_T4_T5_mT6_P12ihipStream_tbENKUlT_T0_E_clISt17integral_constantIbLb0EESW_EEDaSR_SS_EUlSR_E0_NS1_11comp_targetILNS1_3genE2ELNS1_11target_archE906ELNS1_3gpuE6ELNS1_3repE0EEENS1_30default_config_static_selectorELNS0_4arch9wavefront6targetE0EEEvT1_
	.p2align	8
	.type	_ZN7rocprim17ROCPRIM_400000_NS6detail17trampoline_kernelINS0_14default_configENS1_20scan_config_selectorIdEEZZNS1_9scan_implILNS1_25lookback_scan_determinismE0ELb0ELb0ES3_PKdPddZZZN2at6native31launch_logcumsumexp_cuda_kernelERKNSB_10TensorBaseESF_lENKUlvE_clEvENKUlvE_clEvEUlddE_dEEDaPvRmT3_T4_T5_mT6_P12ihipStream_tbENKUlT_T0_E_clISt17integral_constantIbLb0EESW_EEDaSR_SS_EUlSR_E0_NS1_11comp_targetILNS1_3genE2ELNS1_11target_archE906ELNS1_3gpuE6ELNS1_3repE0EEENS1_30default_config_static_selectorELNS0_4arch9wavefront6targetE0EEEvT1_,@function
_ZN7rocprim17ROCPRIM_400000_NS6detail17trampoline_kernelINS0_14default_configENS1_20scan_config_selectorIdEEZZNS1_9scan_implILNS1_25lookback_scan_determinismE0ELb0ELb0ES3_PKdPddZZZN2at6native31launch_logcumsumexp_cuda_kernelERKNSB_10TensorBaseESF_lENKUlvE_clEvENKUlvE_clEvEUlddE_dEEDaPvRmT3_T4_T5_mT6_P12ihipStream_tbENKUlT_T0_E_clISt17integral_constantIbLb0EESW_EEDaSR_SS_EUlSR_E0_NS1_11comp_targetILNS1_3genE2ELNS1_11target_archE906ELNS1_3gpuE6ELNS1_3repE0EEENS1_30default_config_static_selectorELNS0_4arch9wavefront6targetE0EEEvT1_: ; @_ZN7rocprim17ROCPRIM_400000_NS6detail17trampoline_kernelINS0_14default_configENS1_20scan_config_selectorIdEEZZNS1_9scan_implILNS1_25lookback_scan_determinismE0ELb0ELb0ES3_PKdPddZZZN2at6native31launch_logcumsumexp_cuda_kernelERKNSB_10TensorBaseESF_lENKUlvE_clEvENKUlvE_clEvEUlddE_dEEDaPvRmT3_T4_T5_mT6_P12ihipStream_tbENKUlT_T0_E_clISt17integral_constantIbLb0EESW_EEDaSR_SS_EUlSR_E0_NS1_11comp_targetILNS1_3genE2ELNS1_11target_archE906ELNS1_3gpuE6ELNS1_3repE0EEENS1_30default_config_static_selectorELNS0_4arch9wavefront6targetE0EEEvT1_
; %bb.0:
	.section	.rodata,"a",@progbits
	.p2align	6, 0x0
	.amdhsa_kernel _ZN7rocprim17ROCPRIM_400000_NS6detail17trampoline_kernelINS0_14default_configENS1_20scan_config_selectorIdEEZZNS1_9scan_implILNS1_25lookback_scan_determinismE0ELb0ELb0ES3_PKdPddZZZN2at6native31launch_logcumsumexp_cuda_kernelERKNSB_10TensorBaseESF_lENKUlvE_clEvENKUlvE_clEvEUlddE_dEEDaPvRmT3_T4_T5_mT6_P12ihipStream_tbENKUlT_T0_E_clISt17integral_constantIbLb0EESW_EEDaSR_SS_EUlSR_E0_NS1_11comp_targetILNS1_3genE2ELNS1_11target_archE906ELNS1_3gpuE6ELNS1_3repE0EEENS1_30default_config_static_selectorELNS0_4arch9wavefront6targetE0EEEvT1_
		.amdhsa_group_segment_fixed_size 0
		.amdhsa_private_segment_fixed_size 0
		.amdhsa_kernarg_size 40
		.amdhsa_user_sgpr_count 2
		.amdhsa_user_sgpr_dispatch_ptr 0
		.amdhsa_user_sgpr_queue_ptr 0
		.amdhsa_user_sgpr_kernarg_segment_ptr 1
		.amdhsa_user_sgpr_dispatch_id 0
		.amdhsa_user_sgpr_private_segment_size 0
		.amdhsa_wavefront_size32 1
		.amdhsa_uses_dynamic_stack 0
		.amdhsa_enable_private_segment 0
		.amdhsa_system_sgpr_workgroup_id_x 1
		.amdhsa_system_sgpr_workgroup_id_y 0
		.amdhsa_system_sgpr_workgroup_id_z 0
		.amdhsa_system_sgpr_workgroup_info 0
		.amdhsa_system_vgpr_workitem_id 0
		.amdhsa_next_free_vgpr 1
		.amdhsa_next_free_sgpr 1
		.amdhsa_reserve_vcc 0
		.amdhsa_float_round_mode_32 0
		.amdhsa_float_round_mode_16_64 0
		.amdhsa_float_denorm_mode_32 3
		.amdhsa_float_denorm_mode_16_64 3
		.amdhsa_fp16_overflow 0
		.amdhsa_workgroup_processor_mode 1
		.amdhsa_memory_ordered 1
		.amdhsa_forward_progress 1
		.amdhsa_inst_pref_size 0
		.amdhsa_round_robin_scheduling 0
		.amdhsa_exception_fp_ieee_invalid_op 0
		.amdhsa_exception_fp_denorm_src 0
		.amdhsa_exception_fp_ieee_div_zero 0
		.amdhsa_exception_fp_ieee_overflow 0
		.amdhsa_exception_fp_ieee_underflow 0
		.amdhsa_exception_fp_ieee_inexact 0
		.amdhsa_exception_int_div_zero 0
	.end_amdhsa_kernel
	.section	.text._ZN7rocprim17ROCPRIM_400000_NS6detail17trampoline_kernelINS0_14default_configENS1_20scan_config_selectorIdEEZZNS1_9scan_implILNS1_25lookback_scan_determinismE0ELb0ELb0ES3_PKdPddZZZN2at6native31launch_logcumsumexp_cuda_kernelERKNSB_10TensorBaseESF_lENKUlvE_clEvENKUlvE_clEvEUlddE_dEEDaPvRmT3_T4_T5_mT6_P12ihipStream_tbENKUlT_T0_E_clISt17integral_constantIbLb0EESW_EEDaSR_SS_EUlSR_E0_NS1_11comp_targetILNS1_3genE2ELNS1_11target_archE906ELNS1_3gpuE6ELNS1_3repE0EEENS1_30default_config_static_selectorELNS0_4arch9wavefront6targetE0EEEvT1_,"axG",@progbits,_ZN7rocprim17ROCPRIM_400000_NS6detail17trampoline_kernelINS0_14default_configENS1_20scan_config_selectorIdEEZZNS1_9scan_implILNS1_25lookback_scan_determinismE0ELb0ELb0ES3_PKdPddZZZN2at6native31launch_logcumsumexp_cuda_kernelERKNSB_10TensorBaseESF_lENKUlvE_clEvENKUlvE_clEvEUlddE_dEEDaPvRmT3_T4_T5_mT6_P12ihipStream_tbENKUlT_T0_E_clISt17integral_constantIbLb0EESW_EEDaSR_SS_EUlSR_E0_NS1_11comp_targetILNS1_3genE2ELNS1_11target_archE906ELNS1_3gpuE6ELNS1_3repE0EEENS1_30default_config_static_selectorELNS0_4arch9wavefront6targetE0EEEvT1_,comdat
.Lfunc_end22:
	.size	_ZN7rocprim17ROCPRIM_400000_NS6detail17trampoline_kernelINS0_14default_configENS1_20scan_config_selectorIdEEZZNS1_9scan_implILNS1_25lookback_scan_determinismE0ELb0ELb0ES3_PKdPddZZZN2at6native31launch_logcumsumexp_cuda_kernelERKNSB_10TensorBaseESF_lENKUlvE_clEvENKUlvE_clEvEUlddE_dEEDaPvRmT3_T4_T5_mT6_P12ihipStream_tbENKUlT_T0_E_clISt17integral_constantIbLb0EESW_EEDaSR_SS_EUlSR_E0_NS1_11comp_targetILNS1_3genE2ELNS1_11target_archE906ELNS1_3gpuE6ELNS1_3repE0EEENS1_30default_config_static_selectorELNS0_4arch9wavefront6targetE0EEEvT1_, .Lfunc_end22-_ZN7rocprim17ROCPRIM_400000_NS6detail17trampoline_kernelINS0_14default_configENS1_20scan_config_selectorIdEEZZNS1_9scan_implILNS1_25lookback_scan_determinismE0ELb0ELb0ES3_PKdPddZZZN2at6native31launch_logcumsumexp_cuda_kernelERKNSB_10TensorBaseESF_lENKUlvE_clEvENKUlvE_clEvEUlddE_dEEDaPvRmT3_T4_T5_mT6_P12ihipStream_tbENKUlT_T0_E_clISt17integral_constantIbLb0EESW_EEDaSR_SS_EUlSR_E0_NS1_11comp_targetILNS1_3genE2ELNS1_11target_archE906ELNS1_3gpuE6ELNS1_3repE0EEENS1_30default_config_static_selectorELNS0_4arch9wavefront6targetE0EEEvT1_
                                        ; -- End function
	.set _ZN7rocprim17ROCPRIM_400000_NS6detail17trampoline_kernelINS0_14default_configENS1_20scan_config_selectorIdEEZZNS1_9scan_implILNS1_25lookback_scan_determinismE0ELb0ELb0ES3_PKdPddZZZN2at6native31launch_logcumsumexp_cuda_kernelERKNSB_10TensorBaseESF_lENKUlvE_clEvENKUlvE_clEvEUlddE_dEEDaPvRmT3_T4_T5_mT6_P12ihipStream_tbENKUlT_T0_E_clISt17integral_constantIbLb0EESW_EEDaSR_SS_EUlSR_E0_NS1_11comp_targetILNS1_3genE2ELNS1_11target_archE906ELNS1_3gpuE6ELNS1_3repE0EEENS1_30default_config_static_selectorELNS0_4arch9wavefront6targetE0EEEvT1_.num_vgpr, 0
	.set _ZN7rocprim17ROCPRIM_400000_NS6detail17trampoline_kernelINS0_14default_configENS1_20scan_config_selectorIdEEZZNS1_9scan_implILNS1_25lookback_scan_determinismE0ELb0ELb0ES3_PKdPddZZZN2at6native31launch_logcumsumexp_cuda_kernelERKNSB_10TensorBaseESF_lENKUlvE_clEvENKUlvE_clEvEUlddE_dEEDaPvRmT3_T4_T5_mT6_P12ihipStream_tbENKUlT_T0_E_clISt17integral_constantIbLb0EESW_EEDaSR_SS_EUlSR_E0_NS1_11comp_targetILNS1_3genE2ELNS1_11target_archE906ELNS1_3gpuE6ELNS1_3repE0EEENS1_30default_config_static_selectorELNS0_4arch9wavefront6targetE0EEEvT1_.num_agpr, 0
	.set _ZN7rocprim17ROCPRIM_400000_NS6detail17trampoline_kernelINS0_14default_configENS1_20scan_config_selectorIdEEZZNS1_9scan_implILNS1_25lookback_scan_determinismE0ELb0ELb0ES3_PKdPddZZZN2at6native31launch_logcumsumexp_cuda_kernelERKNSB_10TensorBaseESF_lENKUlvE_clEvENKUlvE_clEvEUlddE_dEEDaPvRmT3_T4_T5_mT6_P12ihipStream_tbENKUlT_T0_E_clISt17integral_constantIbLb0EESW_EEDaSR_SS_EUlSR_E0_NS1_11comp_targetILNS1_3genE2ELNS1_11target_archE906ELNS1_3gpuE6ELNS1_3repE0EEENS1_30default_config_static_selectorELNS0_4arch9wavefront6targetE0EEEvT1_.numbered_sgpr, 0
	.set _ZN7rocprim17ROCPRIM_400000_NS6detail17trampoline_kernelINS0_14default_configENS1_20scan_config_selectorIdEEZZNS1_9scan_implILNS1_25lookback_scan_determinismE0ELb0ELb0ES3_PKdPddZZZN2at6native31launch_logcumsumexp_cuda_kernelERKNSB_10TensorBaseESF_lENKUlvE_clEvENKUlvE_clEvEUlddE_dEEDaPvRmT3_T4_T5_mT6_P12ihipStream_tbENKUlT_T0_E_clISt17integral_constantIbLb0EESW_EEDaSR_SS_EUlSR_E0_NS1_11comp_targetILNS1_3genE2ELNS1_11target_archE906ELNS1_3gpuE6ELNS1_3repE0EEENS1_30default_config_static_selectorELNS0_4arch9wavefront6targetE0EEEvT1_.num_named_barrier, 0
	.set _ZN7rocprim17ROCPRIM_400000_NS6detail17trampoline_kernelINS0_14default_configENS1_20scan_config_selectorIdEEZZNS1_9scan_implILNS1_25lookback_scan_determinismE0ELb0ELb0ES3_PKdPddZZZN2at6native31launch_logcumsumexp_cuda_kernelERKNSB_10TensorBaseESF_lENKUlvE_clEvENKUlvE_clEvEUlddE_dEEDaPvRmT3_T4_T5_mT6_P12ihipStream_tbENKUlT_T0_E_clISt17integral_constantIbLb0EESW_EEDaSR_SS_EUlSR_E0_NS1_11comp_targetILNS1_3genE2ELNS1_11target_archE906ELNS1_3gpuE6ELNS1_3repE0EEENS1_30default_config_static_selectorELNS0_4arch9wavefront6targetE0EEEvT1_.private_seg_size, 0
	.set _ZN7rocprim17ROCPRIM_400000_NS6detail17trampoline_kernelINS0_14default_configENS1_20scan_config_selectorIdEEZZNS1_9scan_implILNS1_25lookback_scan_determinismE0ELb0ELb0ES3_PKdPddZZZN2at6native31launch_logcumsumexp_cuda_kernelERKNSB_10TensorBaseESF_lENKUlvE_clEvENKUlvE_clEvEUlddE_dEEDaPvRmT3_T4_T5_mT6_P12ihipStream_tbENKUlT_T0_E_clISt17integral_constantIbLb0EESW_EEDaSR_SS_EUlSR_E0_NS1_11comp_targetILNS1_3genE2ELNS1_11target_archE906ELNS1_3gpuE6ELNS1_3repE0EEENS1_30default_config_static_selectorELNS0_4arch9wavefront6targetE0EEEvT1_.uses_vcc, 0
	.set _ZN7rocprim17ROCPRIM_400000_NS6detail17trampoline_kernelINS0_14default_configENS1_20scan_config_selectorIdEEZZNS1_9scan_implILNS1_25lookback_scan_determinismE0ELb0ELb0ES3_PKdPddZZZN2at6native31launch_logcumsumexp_cuda_kernelERKNSB_10TensorBaseESF_lENKUlvE_clEvENKUlvE_clEvEUlddE_dEEDaPvRmT3_T4_T5_mT6_P12ihipStream_tbENKUlT_T0_E_clISt17integral_constantIbLb0EESW_EEDaSR_SS_EUlSR_E0_NS1_11comp_targetILNS1_3genE2ELNS1_11target_archE906ELNS1_3gpuE6ELNS1_3repE0EEENS1_30default_config_static_selectorELNS0_4arch9wavefront6targetE0EEEvT1_.uses_flat_scratch, 0
	.set _ZN7rocprim17ROCPRIM_400000_NS6detail17trampoline_kernelINS0_14default_configENS1_20scan_config_selectorIdEEZZNS1_9scan_implILNS1_25lookback_scan_determinismE0ELb0ELb0ES3_PKdPddZZZN2at6native31launch_logcumsumexp_cuda_kernelERKNSB_10TensorBaseESF_lENKUlvE_clEvENKUlvE_clEvEUlddE_dEEDaPvRmT3_T4_T5_mT6_P12ihipStream_tbENKUlT_T0_E_clISt17integral_constantIbLb0EESW_EEDaSR_SS_EUlSR_E0_NS1_11comp_targetILNS1_3genE2ELNS1_11target_archE906ELNS1_3gpuE6ELNS1_3repE0EEENS1_30default_config_static_selectorELNS0_4arch9wavefront6targetE0EEEvT1_.has_dyn_sized_stack, 0
	.set _ZN7rocprim17ROCPRIM_400000_NS6detail17trampoline_kernelINS0_14default_configENS1_20scan_config_selectorIdEEZZNS1_9scan_implILNS1_25lookback_scan_determinismE0ELb0ELb0ES3_PKdPddZZZN2at6native31launch_logcumsumexp_cuda_kernelERKNSB_10TensorBaseESF_lENKUlvE_clEvENKUlvE_clEvEUlddE_dEEDaPvRmT3_T4_T5_mT6_P12ihipStream_tbENKUlT_T0_E_clISt17integral_constantIbLb0EESW_EEDaSR_SS_EUlSR_E0_NS1_11comp_targetILNS1_3genE2ELNS1_11target_archE906ELNS1_3gpuE6ELNS1_3repE0EEENS1_30default_config_static_selectorELNS0_4arch9wavefront6targetE0EEEvT1_.has_recursion, 0
	.set _ZN7rocprim17ROCPRIM_400000_NS6detail17trampoline_kernelINS0_14default_configENS1_20scan_config_selectorIdEEZZNS1_9scan_implILNS1_25lookback_scan_determinismE0ELb0ELb0ES3_PKdPddZZZN2at6native31launch_logcumsumexp_cuda_kernelERKNSB_10TensorBaseESF_lENKUlvE_clEvENKUlvE_clEvEUlddE_dEEDaPvRmT3_T4_T5_mT6_P12ihipStream_tbENKUlT_T0_E_clISt17integral_constantIbLb0EESW_EEDaSR_SS_EUlSR_E0_NS1_11comp_targetILNS1_3genE2ELNS1_11target_archE906ELNS1_3gpuE6ELNS1_3repE0EEENS1_30default_config_static_selectorELNS0_4arch9wavefront6targetE0EEEvT1_.has_indirect_call, 0
	.section	.AMDGPU.csdata,"",@progbits
; Kernel info:
; codeLenInByte = 0
; TotalNumSgprs: 0
; NumVgprs: 0
; ScratchSize: 0
; MemoryBound: 0
; FloatMode: 240
; IeeeMode: 1
; LDSByteSize: 0 bytes/workgroup (compile time only)
; SGPRBlocks: 0
; VGPRBlocks: 0
; NumSGPRsForWavesPerEU: 1
; NumVGPRsForWavesPerEU: 1
; Occupancy: 16
; WaveLimiterHint : 0
; COMPUTE_PGM_RSRC2:SCRATCH_EN: 0
; COMPUTE_PGM_RSRC2:USER_SGPR: 2
; COMPUTE_PGM_RSRC2:TRAP_HANDLER: 0
; COMPUTE_PGM_RSRC2:TGID_X_EN: 1
; COMPUTE_PGM_RSRC2:TGID_Y_EN: 0
; COMPUTE_PGM_RSRC2:TGID_Z_EN: 0
; COMPUTE_PGM_RSRC2:TIDIG_COMP_CNT: 0
	.section	.text._ZN7rocprim17ROCPRIM_400000_NS6detail17trampoline_kernelINS0_14default_configENS1_20scan_config_selectorIdEEZZNS1_9scan_implILNS1_25lookback_scan_determinismE0ELb0ELb0ES3_PKdPddZZZN2at6native31launch_logcumsumexp_cuda_kernelERKNSB_10TensorBaseESF_lENKUlvE_clEvENKUlvE_clEvEUlddE_dEEDaPvRmT3_T4_T5_mT6_P12ihipStream_tbENKUlT_T0_E_clISt17integral_constantIbLb0EESW_EEDaSR_SS_EUlSR_E0_NS1_11comp_targetILNS1_3genE10ELNS1_11target_archE1201ELNS1_3gpuE5ELNS1_3repE0EEENS1_30default_config_static_selectorELNS0_4arch9wavefront6targetE0EEEvT1_,"axG",@progbits,_ZN7rocprim17ROCPRIM_400000_NS6detail17trampoline_kernelINS0_14default_configENS1_20scan_config_selectorIdEEZZNS1_9scan_implILNS1_25lookback_scan_determinismE0ELb0ELb0ES3_PKdPddZZZN2at6native31launch_logcumsumexp_cuda_kernelERKNSB_10TensorBaseESF_lENKUlvE_clEvENKUlvE_clEvEUlddE_dEEDaPvRmT3_T4_T5_mT6_P12ihipStream_tbENKUlT_T0_E_clISt17integral_constantIbLb0EESW_EEDaSR_SS_EUlSR_E0_NS1_11comp_targetILNS1_3genE10ELNS1_11target_archE1201ELNS1_3gpuE5ELNS1_3repE0EEENS1_30default_config_static_selectorELNS0_4arch9wavefront6targetE0EEEvT1_,comdat
	.globl	_ZN7rocprim17ROCPRIM_400000_NS6detail17trampoline_kernelINS0_14default_configENS1_20scan_config_selectorIdEEZZNS1_9scan_implILNS1_25lookback_scan_determinismE0ELb0ELb0ES3_PKdPddZZZN2at6native31launch_logcumsumexp_cuda_kernelERKNSB_10TensorBaseESF_lENKUlvE_clEvENKUlvE_clEvEUlddE_dEEDaPvRmT3_T4_T5_mT6_P12ihipStream_tbENKUlT_T0_E_clISt17integral_constantIbLb0EESW_EEDaSR_SS_EUlSR_E0_NS1_11comp_targetILNS1_3genE10ELNS1_11target_archE1201ELNS1_3gpuE5ELNS1_3repE0EEENS1_30default_config_static_selectorELNS0_4arch9wavefront6targetE0EEEvT1_ ; -- Begin function _ZN7rocprim17ROCPRIM_400000_NS6detail17trampoline_kernelINS0_14default_configENS1_20scan_config_selectorIdEEZZNS1_9scan_implILNS1_25lookback_scan_determinismE0ELb0ELb0ES3_PKdPddZZZN2at6native31launch_logcumsumexp_cuda_kernelERKNSB_10TensorBaseESF_lENKUlvE_clEvENKUlvE_clEvEUlddE_dEEDaPvRmT3_T4_T5_mT6_P12ihipStream_tbENKUlT_T0_E_clISt17integral_constantIbLb0EESW_EEDaSR_SS_EUlSR_E0_NS1_11comp_targetILNS1_3genE10ELNS1_11target_archE1201ELNS1_3gpuE5ELNS1_3repE0EEENS1_30default_config_static_selectorELNS0_4arch9wavefront6targetE0EEEvT1_
	.p2align	8
	.type	_ZN7rocprim17ROCPRIM_400000_NS6detail17trampoline_kernelINS0_14default_configENS1_20scan_config_selectorIdEEZZNS1_9scan_implILNS1_25lookback_scan_determinismE0ELb0ELb0ES3_PKdPddZZZN2at6native31launch_logcumsumexp_cuda_kernelERKNSB_10TensorBaseESF_lENKUlvE_clEvENKUlvE_clEvEUlddE_dEEDaPvRmT3_T4_T5_mT6_P12ihipStream_tbENKUlT_T0_E_clISt17integral_constantIbLb0EESW_EEDaSR_SS_EUlSR_E0_NS1_11comp_targetILNS1_3genE10ELNS1_11target_archE1201ELNS1_3gpuE5ELNS1_3repE0EEENS1_30default_config_static_selectorELNS0_4arch9wavefront6targetE0EEEvT1_,@function
_ZN7rocprim17ROCPRIM_400000_NS6detail17trampoline_kernelINS0_14default_configENS1_20scan_config_selectorIdEEZZNS1_9scan_implILNS1_25lookback_scan_determinismE0ELb0ELb0ES3_PKdPddZZZN2at6native31launch_logcumsumexp_cuda_kernelERKNSB_10TensorBaseESF_lENKUlvE_clEvENKUlvE_clEvEUlddE_dEEDaPvRmT3_T4_T5_mT6_P12ihipStream_tbENKUlT_T0_E_clISt17integral_constantIbLb0EESW_EEDaSR_SS_EUlSR_E0_NS1_11comp_targetILNS1_3genE10ELNS1_11target_archE1201ELNS1_3gpuE5ELNS1_3repE0EEENS1_30default_config_static_selectorELNS0_4arch9wavefront6targetE0EEEvT1_: ; @_ZN7rocprim17ROCPRIM_400000_NS6detail17trampoline_kernelINS0_14default_configENS1_20scan_config_selectorIdEEZZNS1_9scan_implILNS1_25lookback_scan_determinismE0ELb0ELb0ES3_PKdPddZZZN2at6native31launch_logcumsumexp_cuda_kernelERKNSB_10TensorBaseESF_lENKUlvE_clEvENKUlvE_clEvEUlddE_dEEDaPvRmT3_T4_T5_mT6_P12ihipStream_tbENKUlT_T0_E_clISt17integral_constantIbLb0EESW_EEDaSR_SS_EUlSR_E0_NS1_11comp_targetILNS1_3genE10ELNS1_11target_archE1201ELNS1_3gpuE5ELNS1_3repE0EEENS1_30default_config_static_selectorELNS0_4arch9wavefront6targetE0EEEvT1_
; %bb.0:
	s_load_b128 s[20:23], s[0:1], 0x0
	v_lshlrev_b32_e32 v77, 3, v0
	s_wait_kmcnt 0x0
	s_load_b64 s[18:19], s[20:21], 0x0
	v_cmp_gt_u32_e32 vcc_lo, s22, v0
	s_wait_kmcnt 0x0
	v_dual_mov_b32 v1, s18 :: v_dual_mov_b32 v2, s19
	s_and_saveexec_b32 s2, vcc_lo
	s_cbranch_execz .LBB23_2
; %bb.1:
	global_load_b64 v[1:2], v77, s[20:21]
.LBB23_2:
	s_or_b32 exec_lo, exec_lo, s2
	v_or_b32_e32 v33, 0x100, v0
	v_dual_mov_b32 v3, s18 :: v_dual_mov_b32 v4, s19
	s_delay_alu instid0(VALU_DEP_2)
	v_cmp_gt_u32_e64 s2, s22, v33
	s_and_saveexec_b32 s3, s2
	s_cbranch_execz .LBB23_4
; %bb.3:
	global_load_b64 v[3:4], v77, s[20:21] offset:2048
.LBB23_4:
	s_or_b32 exec_lo, exec_lo, s3
	v_or_b32_e32 v34, 0x200, v0
	v_dual_mov_b32 v5, s18 :: v_dual_mov_b32 v6, s19
	s_delay_alu instid0(VALU_DEP_2)
	v_cmp_gt_u32_e64 s3, s22, v34
	s_and_saveexec_b32 s4, s3
	s_cbranch_execz .LBB23_6
; %bb.5:
	global_load_b64 v[5:6], v77, s[20:21] offset:4096
.LBB23_6:
	;; [unrolled: 10-line block ×15, first 2 shown]
	s_or_b32 exec_lo, exec_lo, s17
	v_lshrrev_b32_e32 v48, 2, v0
	v_lshrrev_b32_e32 v34, 2, v34
	;; [unrolled: 1-line block ×5, first 2 shown]
	v_and_b32_e32 v95, 56, v48
	v_and_b32_e32 v34, 0xf8, v34
	;; [unrolled: 1-line block ×4, first 2 shown]
	s_delay_alu instid0(VALU_DEP_4) | instskip(NEXT) | instid1(VALU_DEP_4)
	v_add_nc_u32_e32 v78, v95, v77
	v_add_nc_u32_e32 v80, v34, v77
	v_and_b32_e32 v34, 0x1f8, v36
	v_lshrrev_b32_e32 v36, 2, v39
	v_add_nc_u32_e32 v79, v33, v77
	v_add_nc_u32_e32 v81, v35, v77
	s_wait_loadcnt 0x0
	ds_store_b64 v78, v[1:2]
	ds_store_b64 v79, v[3:4] offset:2048
	ds_store_b64 v80, v[5:6] offset:4096
	;; [unrolled: 1-line block ×3, first 2 shown]
	v_and_b32_e32 v1, 0x1f8, v36
	v_lshrrev_b32_e32 v2, 2, v40
	v_lshrrev_b32_e32 v3, 2, v41
	;; [unrolled: 1-line block ×4, first 2 shown]
	v_add_nc_u32_e32 v85, v1, v77
	v_and_b32_e32 v1, 0x3f8, v2
	v_and_b32_e32 v2, 0x3f8, v3
	;; [unrolled: 1-line block ×4, first 2 shown]
	v_lshlrev_b32_e32 v5, 2, v0
	v_add_nc_u32_e32 v86, v1, v77
	v_add_nc_u32_e32 v87, v2, v77
	v_lshrrev_b32_e32 v1, 2, v44
	v_lshrrev_b32_e32 v2, 2, v45
	;; [unrolled: 1-line block ×4, first 2 shown]
	v_add_nc_u32_e32 v88, v3, v77
	v_and_b32_e32 v1, 0x3f8, v1
	v_and_b32_e32 v2, 0x3f8, v2
	v_lshrrev_b32_e32 v3, 2, v46
	v_add_nc_u32_e32 v89, v4, v77
	v_lshrrev_b32_e32 v4, 2, v47
	v_add_nc_u32_e32 v90, v1, v77
	v_add_nc_u32_e32 v91, v2, v77
	v_and_b32_e32 v1, 0x3f8, v5
	v_lshlrev_b32_e32 v2, 7, v0
	v_and_b32_e32 v33, 0x1f8, v33
	v_and_b32_e32 v35, 0x1f8, v37
	;; [unrolled: 1-line block ×4, first 2 shown]
	v_add_nc_u32_e32 v82, v34, v77
	v_add_nc_u32_e32 v94, v1, v2
	;; [unrolled: 1-line block ×6, first 2 shown]
	ds_store_b64 v82, v[7:8] offset:8192
	ds_store_b64 v83, v[11:12] offset:10240
	;; [unrolled: 1-line block ×12, first 2 shown]
	s_wait_dscnt 0x0
	s_barrier_signal -1
	s_barrier_wait -1
	global_inv scope:SCOPE_SE
	ds_load_2addr_b64 v[1:4], v94 offset1:1
	ds_load_2addr_b64 v[29:32], v94 offset0:2 offset1:3
	s_wait_dscnt 0x1
	v_max_num_f64_e32 v[35:36], v[3:4], v[3:4]
	v_max_num_f64_e32 v[63:64], v[1:2], v[1:2]
	v_cmp_u_f64_e64 s33, v[1:2], v[1:2]
	v_cmp_u_f64_e64 s17, v[3:4], v[3:4]
	v_dual_mov_b32 v70, v2 :: v_dual_mov_b32 v69, v1
	s_delay_alu instid0(VALU_DEP_4) | instskip(SKIP_1) | instid1(VALU_DEP_2)
	v_min_num_f64_e32 v[65:66], v[63:64], v[35:36]
	v_max_num_f64_e32 v[67:68], v[63:64], v[35:36]
	v_cndmask_b32_e64 v5, v65, v1, s33
	s_delay_alu instid0(VALU_DEP_3) | instskip(NEXT) | instid1(VALU_DEP_3)
	v_cndmask_b32_e64 v6, v66, v2, s33
	v_cndmask_b32_e64 v7, v68, v2, s33
	s_delay_alu instid0(VALU_DEP_4) | instskip(NEXT) | instid1(VALU_DEP_4)
	v_cndmask_b32_e64 v8, v67, v1, s33
	v_cndmask_b32_e64 v37, v5, v3, s17
	s_delay_alu instid0(VALU_DEP_4) | instskip(NEXT) | instid1(VALU_DEP_4)
	v_cndmask_b32_e64 v38, v6, v4, s17
	v_cndmask_b32_e64 v34, v7, v4, s17
	s_delay_alu instid0(VALU_DEP_4)
	v_cndmask_b32_e64 v33, v8, v3, s17
	ds_load_2addr_b64 v[25:28], v94 offset0:4 offset1:5
	ds_load_2addr_b64 v[21:24], v94 offset0:6 offset1:7
	;; [unrolled: 1-line block ×6, first 2 shown]
	s_wait_loadcnt_dscnt 0x0
	v_cmp_class_f64_e64 s19, v[37:38], 0x1f8
	s_barrier_signal -1
	v_cmp_neq_f64_e64 s18, v[37:38], v[33:34]
	s_barrier_wait -1
	global_inv scope:SCOPE_SE
	s_or_b32 s18, s18, s19
	s_wait_alu 0xfffe
	s_and_saveexec_b32 s24, s18
	s_cbranch_execz .LBB23_34
; %bb.33:
	v_add_f64_e64 v[37:38], v[37:38], -v[33:34]
	s_mov_b32 s18, 0x652b82fe
	s_mov_b32 s19, 0x3ff71547
	;; [unrolled: 1-line block ×10, first 2 shown]
	s_wait_alu 0xfffe
	s_delay_alu instid0(VALU_DEP_1) | instskip(SKIP_2) | instid1(VALU_DEP_1)
	v_mul_f64_e32 v[39:40], s[18:19], v[37:38]
	s_mov_b32 s18, 0xfca7ab0c
	s_mov_b32 s19, 0x3e928af3
	v_rndne_f64_e32 v[39:40], v[39:40]
	s_delay_alu instid0(VALU_DEP_1) | instskip(SKIP_2) | instid1(VALU_DEP_2)
	v_fma_f64 v[41:42], v[39:40], s[20:21], v[37:38]
	v_cvt_i32_f64_e32 v45, v[39:40]
	s_mov_b32 s21, 0x3fe62e42
	v_fma_f64 v[41:42], v[39:40], s[22:23], v[41:42]
	s_mov_b32 s23, 0x3c7abc9e
	s_wait_alu 0xfffe
	s_delay_alu instid0(VALU_DEP_1)
	v_fma_f64 v[43:44], v[41:42], s[26:27], s[18:19]
	s_mov_b32 s18, 0x623fde64
	s_mov_b32 s19, 0x3ec71dee
	;; [unrolled: 1-line block ×4, first 2 shown]
	s_wait_alu 0xfffe
	s_delay_alu instid0(VALU_DEP_1) | instskip(SKIP_3) | instid1(VALU_DEP_1)
	v_fma_f64 v[43:44], v[41:42], v[43:44], s[18:19]
	s_mov_b32 s18, 0x7c89e6b0
	s_mov_b32 s19, 0x3efa0199
	s_wait_alu 0xfffe
	v_fma_f64 v[43:44], v[41:42], v[43:44], s[18:19]
	s_mov_b32 s18, 0x14761f6e
	s_mov_b32 s19, 0x3f2a01a0
	s_wait_alu 0xfffe
	s_delay_alu instid0(VALU_DEP_1) | instskip(SKIP_3) | instid1(VALU_DEP_1)
	v_fma_f64 v[43:44], v[41:42], v[43:44], s[18:19]
	s_mov_b32 s18, 0x1852b7b0
	s_mov_b32 s19, 0x3f56c16c
	s_wait_alu 0xfffe
	v_fma_f64 v[43:44], v[41:42], v[43:44], s[18:19]
	s_mov_b32 s18, 0x11122322
	s_mov_b32 s19, 0x3f811111
	;; [unrolled: 9-line block ×3, first 2 shown]
	s_wait_alu 0xfffe
	s_delay_alu instid0(VALU_DEP_1) | instskip(SKIP_3) | instid1(VALU_DEP_1)
	v_fma_f64 v[43:44], v[41:42], v[43:44], s[18:19]
	s_mov_b32 s18, 11
	s_mov_b32 s19, 0x3fe00000
	s_wait_alu 0xfffe
	v_fma_f64 v[43:44], v[41:42], v[43:44], s[18:19]
	v_cmp_nlt_f64_e64 s18, 0x40900000, v[37:38]
	v_cmp_ngt_f64_e64 s19, 0xc090cc00, v[37:38]
	s_delay_alu instid0(VALU_DEP_3) | instskip(NEXT) | instid1(VALU_DEP_1)
	v_fma_f64 v[43:44], v[41:42], v[43:44], 1.0
	v_fma_f64 v[39:40], v[41:42], v[43:44], 1.0
	s_delay_alu instid0(VALU_DEP_1) | instskip(SKIP_1) | instid1(VALU_DEP_1)
	v_ldexp_f64 v[39:40], v[39:40], v45
	s_wait_alu 0xf1ff
	v_cndmask_b32_e64 v40, 0x7ff00000, v40, s18
	s_and_b32 s18, s19, s18
	s_wait_alu 0xfffe
	s_delay_alu instid0(VALU_DEP_2) | instskip(SKIP_3) | instid1(VALU_DEP_1)
	v_cndmask_b32_e64 v37, 0, v39, s18
	s_mov_b32 s18, 0x55555555
	v_cndmask_b32_e64 v38, 0, v40, s19
	s_mov_b32 s19, 0x3fe55555
	v_add_f64_e32 v[39:40], 1.0, v[37:38]
	s_delay_alu instid0(VALU_DEP_1) | instskip(SKIP_3) | instid1(VALU_DEP_3)
	v_frexp_mant_f64_e32 v[41:42], v[39:40]
	v_frexp_exp_i32_f64_e32 v45, v[39:40]
	v_add_f64_e32 v[43:44], -1.0, v[39:40]
	s_wait_alu 0xfffe
	v_cmp_gt_f64_e64 s18, s[18:19], v[41:42]
	s_delay_alu instid0(VALU_DEP_2) | instskip(SKIP_2) | instid1(VALU_DEP_3)
	v_add_f64_e64 v[41:42], v[43:44], -v[39:40]
	v_add_f64_e64 v[43:44], v[37:38], -v[43:44]
	s_wait_alu 0xf1ff
	v_subrev_co_ci_u32_e64 v61, null, 0, v45, s18
	s_delay_alu instid0(VALU_DEP_3) | instskip(SKIP_1) | instid1(VALU_DEP_2)
	v_add_f64_e32 v[41:42], 1.0, v[41:42]
	s_mov_b32 s18, 0x55555780
	v_sub_nc_u32_e32 v47, 0, v61
	s_delay_alu instid0(VALU_DEP_1) | instskip(NEXT) | instid1(VALU_DEP_3)
	v_ldexp_f64 v[39:40], v[39:40], v47
	v_add_f64_e32 v[41:42], v[43:44], v[41:42]
	s_delay_alu instid0(VALU_DEP_2) | instskip(SKIP_1) | instid1(VALU_DEP_3)
	v_add_f64_e32 v[45:46], 1.0, v[39:40]
	v_add_f64_e32 v[51:52], -1.0, v[39:40]
	v_ldexp_f64 v[41:42], v[41:42], v47
	s_delay_alu instid0(VALU_DEP_3) | instskip(NEXT) | instid1(VALU_DEP_3)
	v_add_f64_e32 v[43:44], -1.0, v[45:46]
	v_add_f64_e32 v[53:54], 1.0, v[51:52]
	s_delay_alu instid0(VALU_DEP_2) | instskip(NEXT) | instid1(VALU_DEP_2)
	v_add_f64_e64 v[43:44], v[39:40], -v[43:44]
	v_add_f64_e64 v[39:40], v[39:40], -v[53:54]
	s_delay_alu instid0(VALU_DEP_2) | instskip(NEXT) | instid1(VALU_DEP_2)
	v_add_f64_e32 v[43:44], v[41:42], v[43:44]
	v_add_f64_e32 v[39:40], v[41:42], v[39:40]
	s_delay_alu instid0(VALU_DEP_2) | instskip(NEXT) | instid1(VALU_DEP_2)
	v_add_f64_e32 v[47:48], v[45:46], v[43:44]
	v_add_f64_e32 v[53:54], v[51:52], v[39:40]
	s_delay_alu instid0(VALU_DEP_2) | instskip(SKIP_1) | instid1(VALU_DEP_2)
	v_rcp_f64_e32 v[49:50], v[47:48]
	v_add_f64_e64 v[45:46], v[47:48], -v[45:46]
	v_add_f64_e64 v[51:52], v[53:54], -v[51:52]
	s_delay_alu instid0(VALU_DEP_2) | instskip(NEXT) | instid1(TRANS32_DEP_1)
	v_add_f64_e64 v[43:44], v[43:44], -v[45:46]
	v_fma_f64 v[55:56], -v[47:48], v[49:50], 1.0
	s_delay_alu instid0(VALU_DEP_3) | instskip(NEXT) | instid1(VALU_DEP_2)
	v_add_f64_e64 v[39:40], v[39:40], -v[51:52]
	v_fma_f64 v[49:50], v[55:56], v[49:50], v[49:50]
	s_delay_alu instid0(VALU_DEP_1) | instskip(NEXT) | instid1(VALU_DEP_1)
	v_fma_f64 v[41:42], -v[47:48], v[49:50], 1.0
	v_fma_f64 v[41:42], v[41:42], v[49:50], v[49:50]
	s_delay_alu instid0(VALU_DEP_1) | instskip(NEXT) | instid1(VALU_DEP_1)
	v_mul_f64_e32 v[49:50], v[53:54], v[41:42]
	v_mul_f64_e32 v[55:56], v[47:48], v[49:50]
	s_delay_alu instid0(VALU_DEP_1) | instskip(NEXT) | instid1(VALU_DEP_1)
	v_fma_f64 v[45:46], v[49:50], v[47:48], -v[55:56]
	v_fma_f64 v[45:46], v[49:50], v[43:44], v[45:46]
	s_delay_alu instid0(VALU_DEP_1) | instskip(NEXT) | instid1(VALU_DEP_1)
	v_add_f64_e32 v[57:58], v[55:56], v[45:46]
	v_add_f64_e64 v[59:60], v[53:54], -v[57:58]
	v_add_f64_e64 v[51:52], v[57:58], -v[55:56]
	s_delay_alu instid0(VALU_DEP_2) | instskip(NEXT) | instid1(VALU_DEP_2)
	v_add_f64_e64 v[53:54], v[53:54], -v[59:60]
	v_add_f64_e64 v[45:46], v[51:52], -v[45:46]
	s_delay_alu instid0(VALU_DEP_2) | instskip(NEXT) | instid1(VALU_DEP_1)
	v_add_f64_e64 v[53:54], v[53:54], -v[57:58]
	v_add_f64_e32 v[39:40], v[39:40], v[53:54]
	s_delay_alu instid0(VALU_DEP_1) | instskip(NEXT) | instid1(VALU_DEP_1)
	v_add_f64_e32 v[39:40], v[45:46], v[39:40]
	v_add_f64_e32 v[45:46], v[59:60], v[39:40]
	s_delay_alu instid0(VALU_DEP_1) | instskip(SKIP_1) | instid1(VALU_DEP_2)
	v_mul_f64_e32 v[51:52], v[41:42], v[45:46]
	v_add_f64_e64 v[57:58], v[59:60], -v[45:46]
	v_mul_f64_e32 v[53:54], v[47:48], v[51:52]
	s_delay_alu instid0(VALU_DEP_2) | instskip(NEXT) | instid1(VALU_DEP_2)
	v_add_f64_e32 v[39:40], v[39:40], v[57:58]
	v_fma_f64 v[47:48], v[51:52], v[47:48], -v[53:54]
	s_delay_alu instid0(VALU_DEP_1) | instskip(NEXT) | instid1(VALU_DEP_1)
	v_fma_f64 v[43:44], v[51:52], v[43:44], v[47:48]
	v_add_f64_e32 v[47:48], v[53:54], v[43:44]
	s_delay_alu instid0(VALU_DEP_1) | instskip(SKIP_1) | instid1(VALU_DEP_2)
	v_add_f64_e64 v[55:56], v[45:46], -v[47:48]
	v_add_f64_e64 v[53:54], v[47:48], -v[53:54]
	;; [unrolled: 1-line block ×3, first 2 shown]
	s_delay_alu instid0(VALU_DEP_2) | instskip(NEXT) | instid1(VALU_DEP_2)
	v_add_f64_e64 v[43:44], v[53:54], -v[43:44]
	v_add_f64_e64 v[45:46], v[45:46], -v[47:48]
	s_delay_alu instid0(VALU_DEP_1) | instskip(SKIP_1) | instid1(VALU_DEP_2)
	v_add_f64_e32 v[39:40], v[39:40], v[45:46]
	v_add_f64_e32 v[45:46], v[49:50], v[51:52]
	;; [unrolled: 1-line block ×3, first 2 shown]
	s_delay_alu instid0(VALU_DEP_2) | instskip(NEXT) | instid1(VALU_DEP_2)
	v_add_f64_e64 v[43:44], v[45:46], -v[49:50]
	v_add_f64_e32 v[39:40], v[55:56], v[39:40]
	s_delay_alu instid0(VALU_DEP_2) | instskip(NEXT) | instid1(VALU_DEP_2)
	v_add_f64_e64 v[43:44], v[51:52], -v[43:44]
	v_mul_f64_e32 v[39:40], v[41:42], v[39:40]
	s_delay_alu instid0(VALU_DEP_1) | instskip(NEXT) | instid1(VALU_DEP_1)
	v_add_f64_e32 v[39:40], v[43:44], v[39:40]
	v_add_f64_e32 v[41:42], v[45:46], v[39:40]
	s_delay_alu instid0(VALU_DEP_1) | instskip(NEXT) | instid1(VALU_DEP_1)
	v_mul_f64_e32 v[43:44], v[41:42], v[41:42]
	v_fma_f64 v[47:48], v[43:44], s[28:29], s[26:27]
	s_mov_b32 s26, 0xd7f4df2e
	s_mov_b32 s27, 0x3fc7474d
	v_mul_f64_e32 v[49:50], v[41:42], v[43:44]
	s_wait_alu 0xfffe
	s_delay_alu instid0(VALU_DEP_2) | instskip(SKIP_3) | instid1(VALU_DEP_1)
	v_fma_f64 v[47:48], v[43:44], v[47:48], s[26:27]
	s_mov_b32 s26, 0x16291751
	s_mov_b32 s27, 0x3fcc71c0
	s_wait_alu 0xfffe
	v_fma_f64 v[47:48], v[43:44], v[47:48], s[26:27]
	s_mov_b32 s26, 0x9b27acf1
	s_mov_b32 s27, 0x3fd24924
	s_wait_alu 0xfffe
	s_delay_alu instid0(VALU_DEP_1) | instskip(SKIP_3) | instid1(VALU_DEP_1)
	v_fma_f64 v[47:48], v[43:44], v[47:48], s[26:27]
	s_mov_b32 s26, 0x998ef7b6
	s_mov_b32 s27, 0x3fd99999
	s_wait_alu 0xfffe
	v_fma_f64 v[47:48], v[43:44], v[47:48], s[26:27]
	s_delay_alu instid0(VALU_DEP_1)
	v_fma_f64 v[43:44], v[43:44], v[47:48], s[18:19]
	v_ldexp_f64 v[47:48], v[41:42], 1
	v_add_f64_e64 v[41:42], v[41:42], -v[45:46]
	v_cmp_nge_f64_e64 s18, -1.0, v[37:38]
	v_cmp_neq_f64_e64 s19, 0x7ff00000, v[37:38]
	v_mul_f64_e32 v[43:44], v[49:50], v[43:44]
	v_cvt_f64_i32_e32 v[49:50], v61
	v_add_f64_e64 v[39:40], v[39:40], -v[41:42]
	s_and_b32 s18, s18, s19
	s_delay_alu instid0(VALU_DEP_3) | instskip(NEXT) | instid1(VALU_DEP_3)
	v_add_f64_e32 v[45:46], v[47:48], v[43:44]
	v_mul_f64_e32 v[51:52], s[20:21], v[49:50]
	s_delay_alu instid0(VALU_DEP_3) | instskip(NEXT) | instid1(VALU_DEP_3)
	v_ldexp_f64 v[39:40], v[39:40], 1
	v_add_f64_e64 v[41:42], v[45:46], -v[47:48]
	s_delay_alu instid0(VALU_DEP_3) | instskip(SKIP_1) | instid1(VALU_DEP_3)
	v_fma_f64 v[47:48], v[49:50], s[20:21], -v[51:52]
	v_cmp_ngt_f64_e64 s20, -1.0, v[37:38]
	v_add_f64_e64 v[41:42], v[43:44], -v[41:42]
	s_delay_alu instid0(VALU_DEP_3) | instskip(NEXT) | instid1(VALU_DEP_2)
	v_fma_f64 v[43:44], v[49:50], s[22:23], v[47:48]
	v_add_f64_e32 v[39:40], v[39:40], v[41:42]
	s_delay_alu instid0(VALU_DEP_2) | instskip(NEXT) | instid1(VALU_DEP_2)
	v_add_f64_e32 v[41:42], v[51:52], v[43:44]
	v_add_f64_e32 v[47:48], v[45:46], v[39:40]
	s_delay_alu instid0(VALU_DEP_2) | instskip(NEXT) | instid1(VALU_DEP_2)
	v_add_f64_e64 v[51:52], v[41:42], -v[51:52]
	v_add_f64_e32 v[49:50], v[41:42], v[47:48]
	v_add_f64_e64 v[45:46], v[47:48], -v[45:46]
	s_delay_alu instid0(VALU_DEP_3) | instskip(NEXT) | instid1(VALU_DEP_3)
	v_add_f64_e64 v[43:44], v[43:44], -v[51:52]
	v_add_f64_e64 v[53:54], v[49:50], -v[41:42]
	s_delay_alu instid0(VALU_DEP_3) | instskip(NEXT) | instid1(VALU_DEP_2)
	v_add_f64_e64 v[39:40], v[39:40], -v[45:46]
	v_add_f64_e64 v[55:56], v[49:50], -v[53:54]
	;; [unrolled: 1-line block ×3, first 2 shown]
	s_delay_alu instid0(VALU_DEP_3) | instskip(NEXT) | instid1(VALU_DEP_3)
	v_add_f64_e32 v[47:48], v[43:44], v[39:40]
	v_add_f64_e64 v[41:42], v[41:42], -v[55:56]
	s_delay_alu instid0(VALU_DEP_1) | instskip(NEXT) | instid1(VALU_DEP_3)
	v_add_f64_e32 v[41:42], v[45:46], v[41:42]
	v_add_f64_e64 v[45:46], v[47:48], -v[43:44]
	s_delay_alu instid0(VALU_DEP_2) | instskip(NEXT) | instid1(VALU_DEP_2)
	v_add_f64_e32 v[41:42], v[47:48], v[41:42]
	v_add_f64_e64 v[47:48], v[47:48], -v[45:46]
	v_add_f64_e64 v[39:40], v[39:40], -v[45:46]
	s_delay_alu instid0(VALU_DEP_3) | instskip(NEXT) | instid1(VALU_DEP_3)
	v_add_f64_e32 v[51:52], v[49:50], v[41:42]
	v_add_f64_e64 v[43:44], v[43:44], -v[47:48]
	s_delay_alu instid0(VALU_DEP_2) | instskip(NEXT) | instid1(VALU_DEP_2)
	v_add_f64_e64 v[45:46], v[51:52], -v[49:50]
	v_add_f64_e32 v[39:40], v[39:40], v[43:44]
	s_delay_alu instid0(VALU_DEP_2) | instskip(NEXT) | instid1(VALU_DEP_1)
	v_add_f64_e64 v[41:42], v[41:42], -v[45:46]
	v_add_f64_e32 v[39:40], v[39:40], v[41:42]
	s_delay_alu instid0(VALU_DEP_1) | instskip(SKIP_1) | instid1(VALU_DEP_1)
	v_add_f64_e32 v[39:40], v[51:52], v[39:40]
	s_wait_alu 0xfffe
	v_cndmask_b32_e64 v39, 0, v39, s18
	v_cmp_neq_f64_e64 s18, -1.0, v[37:38]
	s_delay_alu instid0(VALU_DEP_3) | instskip(SKIP_1) | instid1(VALU_DEP_1)
	v_cndmask_b32_e64 v40, 0x7ff00000, v40, s19
	s_wait_alu 0xf1ff
	v_cndmask_b32_e64 v40, 0x7ff80000, v40, s20
	s_delay_alu instid0(VALU_DEP_1) | instskip(NEXT) | instid1(VALU_DEP_1)
	v_cndmask_b32_e64 v40, 0xfff00000, v40, s18
	v_add_f64_e32 v[69:70], v[33:34], v[39:40]
.LBB23_34:
	s_or_b32 exec_lo, exec_lo, s24
	v_max_num_f64_e32 v[33:34], v[29:30], v[29:30]
	s_delay_alu instid0(VALU_DEP_2) | instskip(SKIP_2) | instid1(VALU_DEP_3)
	v_max_num_f64_e32 v[37:38], v[69:70], v[69:70]
	v_cmp_u_f64_e64 s19, v[69:70], v[69:70]
	v_cmp_u_f64_e64 s18, v[29:30], v[29:30]
	v_min_num_f64_e32 v[39:40], v[37:38], v[33:34]
	v_max_num_f64_e32 v[37:38], v[37:38], v[33:34]
	s_wait_alu 0xf1ff
	s_delay_alu instid0(VALU_DEP_2) | instskip(NEXT) | instid1(VALU_DEP_3)
	v_cndmask_b32_e64 v39, v39, v69, s19
	v_cndmask_b32_e64 v40, v40, v70, s19
	s_delay_alu instid0(VALU_DEP_3) | instskip(NEXT) | instid1(VALU_DEP_4)
	v_cndmask_b32_e64 v38, v38, v70, s19
	v_cndmask_b32_e64 v37, v37, v69, s19
	s_delay_alu instid0(VALU_DEP_4) | instskip(NEXT) | instid1(VALU_DEP_4)
	v_cndmask_b32_e64 v39, v39, v29, s18
	v_cndmask_b32_e64 v40, v40, v30, s18
	s_delay_alu instid0(VALU_DEP_4) | instskip(NEXT) | instid1(VALU_DEP_4)
	v_cndmask_b32_e64 v38, v38, v30, s18
	v_cndmask_b32_e64 v37, v37, v29, s18
	s_delay_alu instid0(VALU_DEP_3) | instskip(NEXT) | instid1(VALU_DEP_2)
	v_cmp_class_f64_e64 s20, v[39:40], 0x1f8
	v_cmp_neq_f64_e64 s19, v[39:40], v[37:38]
	s_or_b32 s19, s19, s20
	s_wait_alu 0xfffe
	s_and_saveexec_b32 s26, s19
	s_cbranch_execz .LBB23_36
; %bb.35:
	v_add_f64_e64 v[39:40], v[39:40], -v[37:38]
	s_mov_b32 s20, 0x652b82fe
	s_mov_b32 s21, 0x3ff71547
	;; [unrolled: 1-line block ×10, first 2 shown]
	s_wait_alu 0xfffe
	s_delay_alu instid0(VALU_DEP_1) | instskip(SKIP_3) | instid1(VALU_DEP_2)
	v_mul_f64_e32 v[41:42], s[20:21], v[39:40]
	s_mov_b32 s20, 0xfca7ab0c
	s_mov_b32 s21, 0x3e928af3
	v_cmp_nlt_f64_e64 s19, 0x40900000, v[39:40]
	v_rndne_f64_e32 v[41:42], v[41:42]
	s_delay_alu instid0(VALU_DEP_1) | instskip(SKIP_2) | instid1(VALU_DEP_2)
	v_fma_f64 v[43:44], v[41:42], s[22:23], v[39:40]
	v_cvt_i32_f64_e32 v47, v[41:42]
	s_mov_b32 s23, 0x3fe62e42
	v_fma_f64 v[43:44], v[41:42], s[24:25], v[43:44]
	s_mov_b32 s25, 0x3c7abc9e
	s_wait_alu 0xfffe
	s_delay_alu instid0(VALU_DEP_1)
	v_fma_f64 v[45:46], v[43:44], s[28:29], s[20:21]
	s_mov_b32 s20, 0x623fde64
	s_mov_b32 s21, 0x3ec71dee
	;; [unrolled: 1-line block ×4, first 2 shown]
	s_wait_alu 0xfffe
	s_delay_alu instid0(VALU_DEP_1) | instskip(SKIP_3) | instid1(VALU_DEP_1)
	v_fma_f64 v[45:46], v[43:44], v[45:46], s[20:21]
	s_mov_b32 s20, 0x7c89e6b0
	s_mov_b32 s21, 0x3efa0199
	s_wait_alu 0xfffe
	v_fma_f64 v[45:46], v[43:44], v[45:46], s[20:21]
	s_mov_b32 s20, 0x14761f6e
	s_mov_b32 s21, 0x3f2a01a0
	s_wait_alu 0xfffe
	s_delay_alu instid0(VALU_DEP_1) | instskip(SKIP_3) | instid1(VALU_DEP_1)
	v_fma_f64 v[45:46], v[43:44], v[45:46], s[20:21]
	s_mov_b32 s20, 0x1852b7b0
	s_mov_b32 s21, 0x3f56c16c
	s_wait_alu 0xfffe
	v_fma_f64 v[45:46], v[43:44], v[45:46], s[20:21]
	s_mov_b32 s20, 0x11122322
	s_mov_b32 s21, 0x3f811111
	;; [unrolled: 9-line block ×3, first 2 shown]
	s_wait_alu 0xfffe
	s_delay_alu instid0(VALU_DEP_1) | instskip(SKIP_3) | instid1(VALU_DEP_1)
	v_fma_f64 v[45:46], v[43:44], v[45:46], s[20:21]
	s_mov_b32 s20, 11
	s_mov_b32 s21, 0x3fe00000
	s_wait_alu 0xfffe
	v_fma_f64 v[45:46], v[43:44], v[45:46], s[20:21]
	v_cmp_ngt_f64_e64 s20, 0xc090cc00, v[39:40]
	s_mov_b32 s21, 0x3fe55555
	v_fma_f64 v[45:46], v[43:44], v[45:46], 1.0
	s_delay_alu instid0(VALU_DEP_1) | instskip(NEXT) | instid1(VALU_DEP_1)
	v_fma_f64 v[41:42], v[43:44], v[45:46], 1.0
	v_ldexp_f64 v[41:42], v[41:42], v47
	s_wait_alu 0xf1ff
	s_delay_alu instid0(VALU_DEP_1) | instskip(SKIP_2) | instid1(VALU_DEP_2)
	v_cndmask_b32_e64 v42, 0x7ff00000, v42, s19
	s_and_b32 s19, s20, s19
	s_wait_alu 0xfffe
	v_cndmask_b32_e64 v39, 0, v41, s19
	s_delay_alu instid0(VALU_DEP_2) | instskip(SKIP_1) | instid1(VALU_DEP_1)
	v_cndmask_b32_e64 v40, 0, v42, s20
	s_mov_b32 s20, 0x55555555
	v_add_f64_e32 v[41:42], 1.0, v[39:40]
	s_delay_alu instid0(VALU_DEP_1) | instskip(SKIP_3) | instid1(VALU_DEP_3)
	v_frexp_mant_f64_e32 v[43:44], v[41:42]
	v_frexp_exp_i32_f64_e32 v47, v[41:42]
	v_add_f64_e32 v[45:46], -1.0, v[41:42]
	s_wait_alu 0xfffe
	v_cmp_gt_f64_e64 s19, s[20:21], v[43:44]
	s_mov_b32 s20, 0x55555780
	v_add_f64_e64 v[43:44], v[45:46], -v[41:42]
	v_add_f64_e64 v[45:46], v[39:40], -v[45:46]
	s_wait_alu 0xf1ff
	v_subrev_co_ci_u32_e64 v69, null, 0, v47, s19
	s_delay_alu instid0(VALU_DEP_3) | instskip(SKIP_1) | instid1(VALU_DEP_3)
	v_add_f64_e32 v[43:44], 1.0, v[43:44]
	v_cmp_nge_f64_e64 s19, -1.0, v[39:40]
	v_sub_nc_u32_e32 v49, 0, v69
	s_delay_alu instid0(VALU_DEP_1) | instskip(NEXT) | instid1(VALU_DEP_4)
	v_ldexp_f64 v[41:42], v[41:42], v49
	v_add_f64_e32 v[43:44], v[45:46], v[43:44]
	s_delay_alu instid0(VALU_DEP_2) | instskip(SKIP_1) | instid1(VALU_DEP_3)
	v_add_f64_e32 v[47:48], 1.0, v[41:42]
	v_add_f64_e32 v[53:54], -1.0, v[41:42]
	v_ldexp_f64 v[43:44], v[43:44], v49
	s_delay_alu instid0(VALU_DEP_3) | instskip(NEXT) | instid1(VALU_DEP_3)
	v_add_f64_e32 v[45:46], -1.0, v[47:48]
	v_add_f64_e32 v[55:56], 1.0, v[53:54]
	s_delay_alu instid0(VALU_DEP_2) | instskip(NEXT) | instid1(VALU_DEP_2)
	v_add_f64_e64 v[45:46], v[41:42], -v[45:46]
	v_add_f64_e64 v[41:42], v[41:42], -v[55:56]
	s_delay_alu instid0(VALU_DEP_2) | instskip(NEXT) | instid1(VALU_DEP_2)
	v_add_f64_e32 v[45:46], v[43:44], v[45:46]
	v_add_f64_e32 v[41:42], v[43:44], v[41:42]
	s_delay_alu instid0(VALU_DEP_2) | instskip(NEXT) | instid1(VALU_DEP_2)
	v_add_f64_e32 v[49:50], v[47:48], v[45:46]
	v_add_f64_e32 v[55:56], v[53:54], v[41:42]
	s_delay_alu instid0(VALU_DEP_2) | instskip(SKIP_1) | instid1(VALU_DEP_2)
	v_rcp_f64_e32 v[51:52], v[49:50]
	v_add_f64_e64 v[47:48], v[49:50], -v[47:48]
	v_add_f64_e64 v[53:54], v[55:56], -v[53:54]
	s_delay_alu instid0(VALU_DEP_2) | instskip(NEXT) | instid1(TRANS32_DEP_1)
	v_add_f64_e64 v[45:46], v[45:46], -v[47:48]
	v_fma_f64 v[57:58], -v[49:50], v[51:52], 1.0
	s_delay_alu instid0(VALU_DEP_3) | instskip(NEXT) | instid1(VALU_DEP_2)
	v_add_f64_e64 v[41:42], v[41:42], -v[53:54]
	v_fma_f64 v[51:52], v[57:58], v[51:52], v[51:52]
	s_delay_alu instid0(VALU_DEP_1) | instskip(NEXT) | instid1(VALU_DEP_1)
	v_fma_f64 v[43:44], -v[49:50], v[51:52], 1.0
	v_fma_f64 v[43:44], v[43:44], v[51:52], v[51:52]
	s_delay_alu instid0(VALU_DEP_1) | instskip(NEXT) | instid1(VALU_DEP_1)
	v_mul_f64_e32 v[51:52], v[55:56], v[43:44]
	v_mul_f64_e32 v[57:58], v[49:50], v[51:52]
	s_delay_alu instid0(VALU_DEP_1) | instskip(NEXT) | instid1(VALU_DEP_1)
	v_fma_f64 v[47:48], v[51:52], v[49:50], -v[57:58]
	v_fma_f64 v[47:48], v[51:52], v[45:46], v[47:48]
	s_delay_alu instid0(VALU_DEP_1) | instskip(NEXT) | instid1(VALU_DEP_1)
	v_add_f64_e32 v[59:60], v[57:58], v[47:48]
	v_add_f64_e64 v[61:62], v[55:56], -v[59:60]
	v_add_f64_e64 v[53:54], v[59:60], -v[57:58]
	s_delay_alu instid0(VALU_DEP_2) | instskip(NEXT) | instid1(VALU_DEP_2)
	v_add_f64_e64 v[55:56], v[55:56], -v[61:62]
	v_add_f64_e64 v[47:48], v[53:54], -v[47:48]
	s_delay_alu instid0(VALU_DEP_2) | instskip(NEXT) | instid1(VALU_DEP_1)
	v_add_f64_e64 v[55:56], v[55:56], -v[59:60]
	v_add_f64_e32 v[41:42], v[41:42], v[55:56]
	s_delay_alu instid0(VALU_DEP_1) | instskip(NEXT) | instid1(VALU_DEP_1)
	v_add_f64_e32 v[41:42], v[47:48], v[41:42]
	v_add_f64_e32 v[47:48], v[61:62], v[41:42]
	s_delay_alu instid0(VALU_DEP_1) | instskip(SKIP_1) | instid1(VALU_DEP_2)
	v_mul_f64_e32 v[53:54], v[43:44], v[47:48]
	v_add_f64_e64 v[59:60], v[61:62], -v[47:48]
	v_mul_f64_e32 v[55:56], v[49:50], v[53:54]
	s_delay_alu instid0(VALU_DEP_2) | instskip(NEXT) | instid1(VALU_DEP_2)
	v_add_f64_e32 v[41:42], v[41:42], v[59:60]
	v_fma_f64 v[49:50], v[53:54], v[49:50], -v[55:56]
	s_delay_alu instid0(VALU_DEP_1) | instskip(NEXT) | instid1(VALU_DEP_1)
	v_fma_f64 v[45:46], v[53:54], v[45:46], v[49:50]
	v_add_f64_e32 v[49:50], v[55:56], v[45:46]
	s_delay_alu instid0(VALU_DEP_1) | instskip(SKIP_1) | instid1(VALU_DEP_2)
	v_add_f64_e64 v[57:58], v[47:48], -v[49:50]
	v_add_f64_e64 v[55:56], v[49:50], -v[55:56]
	;; [unrolled: 1-line block ×3, first 2 shown]
	s_delay_alu instid0(VALU_DEP_2) | instskip(NEXT) | instid1(VALU_DEP_2)
	v_add_f64_e64 v[45:46], v[55:56], -v[45:46]
	v_add_f64_e64 v[47:48], v[47:48], -v[49:50]
	s_delay_alu instid0(VALU_DEP_1) | instskip(SKIP_1) | instid1(VALU_DEP_2)
	v_add_f64_e32 v[41:42], v[41:42], v[47:48]
	v_add_f64_e32 v[47:48], v[51:52], v[53:54]
	v_add_f64_e32 v[41:42], v[45:46], v[41:42]
	s_delay_alu instid0(VALU_DEP_2) | instskip(NEXT) | instid1(VALU_DEP_2)
	v_add_f64_e64 v[45:46], v[47:48], -v[51:52]
	v_add_f64_e32 v[41:42], v[57:58], v[41:42]
	s_delay_alu instid0(VALU_DEP_2) | instskip(NEXT) | instid1(VALU_DEP_2)
	v_add_f64_e64 v[45:46], v[53:54], -v[45:46]
	v_mul_f64_e32 v[41:42], v[43:44], v[41:42]
	s_delay_alu instid0(VALU_DEP_1) | instskip(NEXT) | instid1(VALU_DEP_1)
	v_add_f64_e32 v[41:42], v[45:46], v[41:42]
	v_add_f64_e32 v[43:44], v[47:48], v[41:42]
	s_delay_alu instid0(VALU_DEP_1) | instskip(NEXT) | instid1(VALU_DEP_1)
	v_mul_f64_e32 v[45:46], v[43:44], v[43:44]
	v_fma_f64 v[49:50], v[45:46], s[30:31], s[28:29]
	s_mov_b32 s28, 0xd7f4df2e
	s_mov_b32 s29, 0x3fc7474d
	v_mul_f64_e32 v[51:52], v[43:44], v[45:46]
	s_wait_alu 0xfffe
	s_delay_alu instid0(VALU_DEP_2) | instskip(SKIP_3) | instid1(VALU_DEP_1)
	v_fma_f64 v[49:50], v[45:46], v[49:50], s[28:29]
	s_mov_b32 s28, 0x16291751
	s_mov_b32 s29, 0x3fcc71c0
	s_wait_alu 0xfffe
	v_fma_f64 v[49:50], v[45:46], v[49:50], s[28:29]
	s_mov_b32 s28, 0x9b27acf1
	s_mov_b32 s29, 0x3fd24924
	s_wait_alu 0xfffe
	s_delay_alu instid0(VALU_DEP_1) | instskip(SKIP_3) | instid1(VALU_DEP_1)
	v_fma_f64 v[49:50], v[45:46], v[49:50], s[28:29]
	s_mov_b32 s28, 0x998ef7b6
	s_mov_b32 s29, 0x3fd99999
	s_wait_alu 0xfffe
	v_fma_f64 v[49:50], v[45:46], v[49:50], s[28:29]
	s_delay_alu instid0(VALU_DEP_1)
	v_fma_f64 v[45:46], v[45:46], v[49:50], s[20:21]
	v_ldexp_f64 v[49:50], v[43:44], 1
	v_add_f64_e64 v[43:44], v[43:44], -v[47:48]
	v_cmp_neq_f64_e64 s20, 0x7ff00000, v[39:40]
	v_cmp_ngt_f64_e64 s21, -1.0, v[39:40]
	v_mul_f64_e32 v[45:46], v[51:52], v[45:46]
	v_cvt_f64_i32_e32 v[51:52], v69
	v_add_f64_e64 v[41:42], v[41:42], -v[43:44]
	s_and_b32 s19, s19, s20
	s_delay_alu instid0(VALU_DEP_3) | instskip(NEXT) | instid1(VALU_DEP_3)
	v_add_f64_e32 v[47:48], v[49:50], v[45:46]
	v_mul_f64_e32 v[53:54], s[22:23], v[51:52]
	s_delay_alu instid0(VALU_DEP_3) | instskip(NEXT) | instid1(VALU_DEP_3)
	v_ldexp_f64 v[41:42], v[41:42], 1
	v_add_f64_e64 v[43:44], v[47:48], -v[49:50]
	s_delay_alu instid0(VALU_DEP_3) | instskip(NEXT) | instid1(VALU_DEP_2)
	v_fma_f64 v[49:50], v[51:52], s[22:23], -v[53:54]
	v_add_f64_e64 v[43:44], v[45:46], -v[43:44]
	s_delay_alu instid0(VALU_DEP_2) | instskip(NEXT) | instid1(VALU_DEP_2)
	v_fma_f64 v[45:46], v[51:52], s[24:25], v[49:50]
	v_add_f64_e32 v[41:42], v[41:42], v[43:44]
	s_delay_alu instid0(VALU_DEP_2) | instskip(NEXT) | instid1(VALU_DEP_2)
	v_add_f64_e32 v[43:44], v[53:54], v[45:46]
	v_add_f64_e32 v[49:50], v[47:48], v[41:42]
	s_delay_alu instid0(VALU_DEP_2) | instskip(NEXT) | instid1(VALU_DEP_2)
	v_add_f64_e64 v[53:54], v[43:44], -v[53:54]
	v_add_f64_e32 v[51:52], v[43:44], v[49:50]
	v_add_f64_e64 v[47:48], v[49:50], -v[47:48]
	s_delay_alu instid0(VALU_DEP_3) | instskip(NEXT) | instid1(VALU_DEP_3)
	v_add_f64_e64 v[45:46], v[45:46], -v[53:54]
	v_add_f64_e64 v[55:56], v[51:52], -v[43:44]
	s_delay_alu instid0(VALU_DEP_3) | instskip(NEXT) | instid1(VALU_DEP_2)
	v_add_f64_e64 v[41:42], v[41:42], -v[47:48]
	v_add_f64_e64 v[57:58], v[51:52], -v[55:56]
	;; [unrolled: 1-line block ×3, first 2 shown]
	s_delay_alu instid0(VALU_DEP_3) | instskip(NEXT) | instid1(VALU_DEP_3)
	v_add_f64_e32 v[49:50], v[45:46], v[41:42]
	v_add_f64_e64 v[43:44], v[43:44], -v[57:58]
	s_delay_alu instid0(VALU_DEP_1) | instskip(NEXT) | instid1(VALU_DEP_3)
	v_add_f64_e32 v[43:44], v[47:48], v[43:44]
	v_add_f64_e64 v[47:48], v[49:50], -v[45:46]
	s_delay_alu instid0(VALU_DEP_2) | instskip(NEXT) | instid1(VALU_DEP_2)
	v_add_f64_e32 v[43:44], v[49:50], v[43:44]
	v_add_f64_e64 v[49:50], v[49:50], -v[47:48]
	v_add_f64_e64 v[41:42], v[41:42], -v[47:48]
	s_delay_alu instid0(VALU_DEP_3) | instskip(NEXT) | instid1(VALU_DEP_3)
	v_add_f64_e32 v[53:54], v[51:52], v[43:44]
	v_add_f64_e64 v[45:46], v[45:46], -v[49:50]
	s_delay_alu instid0(VALU_DEP_2) | instskip(NEXT) | instid1(VALU_DEP_2)
	v_add_f64_e64 v[47:48], v[53:54], -v[51:52]
	v_add_f64_e32 v[41:42], v[41:42], v[45:46]
	s_delay_alu instid0(VALU_DEP_2) | instskip(NEXT) | instid1(VALU_DEP_1)
	v_add_f64_e64 v[43:44], v[43:44], -v[47:48]
	v_add_f64_e32 v[41:42], v[41:42], v[43:44]
	s_delay_alu instid0(VALU_DEP_1) | instskip(SKIP_1) | instid1(VALU_DEP_1)
	v_add_f64_e32 v[41:42], v[53:54], v[41:42]
	s_wait_alu 0xfffe
	v_cndmask_b32_e64 v41, 0, v41, s19
	v_cmp_neq_f64_e64 s19, -1.0, v[39:40]
	s_delay_alu instid0(VALU_DEP_3) | instskip(NEXT) | instid1(VALU_DEP_1)
	v_cndmask_b32_e64 v42, 0x7ff00000, v42, s20
	v_cndmask_b32_e64 v42, 0x7ff80000, v42, s21
	s_wait_alu 0xf1ff
	s_delay_alu instid0(VALU_DEP_1) | instskip(NEXT) | instid1(VALU_DEP_1)
	v_cndmask_b32_e64 v42, 0xfff00000, v42, s19
	v_add_f64_e32 v[69:70], v[37:38], v[41:42]
.LBB23_36:
	s_wait_alu 0xfffe
	s_or_b32 exec_lo, exec_lo, s26
	v_max_num_f64_e32 v[37:38], v[31:32], v[31:32]
	s_delay_alu instid0(VALU_DEP_2) | instskip(SKIP_2) | instid1(VALU_DEP_3)
	v_max_num_f64_e32 v[39:40], v[69:70], v[69:70]
	v_cmp_u_f64_e64 s20, v[69:70], v[69:70]
	v_cmp_u_f64_e64 s19, v[31:32], v[31:32]
	v_min_num_f64_e32 v[41:42], v[39:40], v[37:38]
	v_max_num_f64_e32 v[39:40], v[39:40], v[37:38]
	s_wait_alu 0xf1ff
	s_delay_alu instid0(VALU_DEP_2) | instskip(NEXT) | instid1(VALU_DEP_3)
	v_cndmask_b32_e64 v41, v41, v69, s20
	v_cndmask_b32_e64 v42, v42, v70, s20
	s_delay_alu instid0(VALU_DEP_3) | instskip(NEXT) | instid1(VALU_DEP_4)
	v_cndmask_b32_e64 v40, v40, v70, s20
	v_cndmask_b32_e64 v39, v39, v69, s20
	s_delay_alu instid0(VALU_DEP_4) | instskip(NEXT) | instid1(VALU_DEP_4)
	v_cndmask_b32_e64 v41, v41, v31, s19
	v_cndmask_b32_e64 v42, v42, v32, s19
	s_delay_alu instid0(VALU_DEP_4) | instskip(NEXT) | instid1(VALU_DEP_4)
	v_cndmask_b32_e64 v40, v40, v32, s19
	v_cndmask_b32_e64 v39, v39, v31, s19
	s_delay_alu instid0(VALU_DEP_3) | instskip(NEXT) | instid1(VALU_DEP_2)
	v_cmp_class_f64_e64 s21, v[41:42], 0x1f8
	v_cmp_neq_f64_e64 s20, v[41:42], v[39:40]
	s_or_b32 s20, s20, s21
	s_wait_alu 0xfffe
	s_and_saveexec_b32 s26, s20
	s_cbranch_execz .LBB23_38
; %bb.37:
	v_add_f64_e64 v[41:42], v[41:42], -v[39:40]
	s_mov_b32 s20, 0x652b82fe
	s_mov_b32 s21, 0x3ff71547
	;; [unrolled: 1-line block ×10, first 2 shown]
	s_wait_alu 0xfffe
	s_delay_alu instid0(VALU_DEP_1) | instskip(SKIP_2) | instid1(VALU_DEP_1)
	v_mul_f64_e32 v[43:44], s[20:21], v[41:42]
	s_mov_b32 s20, 0xfca7ab0c
	s_mov_b32 s21, 0x3e928af3
	v_rndne_f64_e32 v[43:44], v[43:44]
	s_delay_alu instid0(VALU_DEP_1) | instskip(SKIP_2) | instid1(VALU_DEP_2)
	v_fma_f64 v[45:46], v[43:44], s[22:23], v[41:42]
	v_cvt_i32_f64_e32 v49, v[43:44]
	s_mov_b32 s23, 0x3fe62e42
	v_fma_f64 v[45:46], v[43:44], s[24:25], v[45:46]
	s_mov_b32 s25, 0x3c7abc9e
	s_wait_alu 0xfffe
	s_delay_alu instid0(VALU_DEP_1)
	v_fma_f64 v[47:48], v[45:46], s[28:29], s[20:21]
	s_mov_b32 s20, 0x623fde64
	s_mov_b32 s21, 0x3ec71dee
	;; [unrolled: 1-line block ×4, first 2 shown]
	s_wait_alu 0xfffe
	s_delay_alu instid0(VALU_DEP_1) | instskip(SKIP_3) | instid1(VALU_DEP_1)
	v_fma_f64 v[47:48], v[45:46], v[47:48], s[20:21]
	s_mov_b32 s20, 0x7c89e6b0
	s_mov_b32 s21, 0x3efa0199
	s_wait_alu 0xfffe
	v_fma_f64 v[47:48], v[45:46], v[47:48], s[20:21]
	s_mov_b32 s20, 0x14761f6e
	s_mov_b32 s21, 0x3f2a01a0
	s_wait_alu 0xfffe
	s_delay_alu instid0(VALU_DEP_1) | instskip(SKIP_3) | instid1(VALU_DEP_1)
	v_fma_f64 v[47:48], v[45:46], v[47:48], s[20:21]
	s_mov_b32 s20, 0x1852b7b0
	s_mov_b32 s21, 0x3f56c16c
	s_wait_alu 0xfffe
	v_fma_f64 v[47:48], v[45:46], v[47:48], s[20:21]
	s_mov_b32 s20, 0x11122322
	s_mov_b32 s21, 0x3f811111
	;; [unrolled: 9-line block ×3, first 2 shown]
	s_wait_alu 0xfffe
	s_delay_alu instid0(VALU_DEP_1) | instskip(SKIP_3) | instid1(VALU_DEP_1)
	v_fma_f64 v[47:48], v[45:46], v[47:48], s[20:21]
	s_mov_b32 s20, 11
	s_mov_b32 s21, 0x3fe00000
	s_wait_alu 0xfffe
	v_fma_f64 v[47:48], v[45:46], v[47:48], s[20:21]
	v_cmp_nlt_f64_e64 s20, 0x40900000, v[41:42]
	v_cmp_ngt_f64_e64 s21, 0xc090cc00, v[41:42]
	s_delay_alu instid0(VALU_DEP_3) | instskip(NEXT) | instid1(VALU_DEP_1)
	v_fma_f64 v[47:48], v[45:46], v[47:48], 1.0
	v_fma_f64 v[43:44], v[45:46], v[47:48], 1.0
	s_delay_alu instid0(VALU_DEP_1) | instskip(SKIP_1) | instid1(VALU_DEP_1)
	v_ldexp_f64 v[43:44], v[43:44], v49
	s_wait_alu 0xf1ff
	v_cndmask_b32_e64 v44, 0x7ff00000, v44, s20
	s_and_b32 s20, s21, s20
	s_wait_alu 0xfffe
	s_delay_alu instid0(VALU_DEP_2) | instskip(SKIP_3) | instid1(VALU_DEP_1)
	v_cndmask_b32_e64 v41, 0, v43, s20
	s_mov_b32 s20, 0x55555555
	v_cndmask_b32_e64 v42, 0, v44, s21
	s_mov_b32 s21, 0x3fe55555
	v_add_f64_e32 v[43:44], 1.0, v[41:42]
	s_delay_alu instid0(VALU_DEP_1) | instskip(SKIP_3) | instid1(VALU_DEP_3)
	v_frexp_mant_f64_e32 v[45:46], v[43:44]
	v_frexp_exp_i32_f64_e32 v49, v[43:44]
	v_add_f64_e32 v[47:48], -1.0, v[43:44]
	s_wait_alu 0xfffe
	v_cmp_gt_f64_e64 s20, s[20:21], v[45:46]
	s_delay_alu instid0(VALU_DEP_2) | instskip(SKIP_2) | instid1(VALU_DEP_3)
	v_add_f64_e64 v[45:46], v[47:48], -v[43:44]
	v_add_f64_e64 v[47:48], v[41:42], -v[47:48]
	s_wait_alu 0xf1ff
	v_subrev_co_ci_u32_e64 v71, null, 0, v49, s20
	s_delay_alu instid0(VALU_DEP_3) | instskip(SKIP_1) | instid1(VALU_DEP_2)
	v_add_f64_e32 v[45:46], 1.0, v[45:46]
	s_mov_b32 s20, 0x55555780
	v_sub_nc_u32_e32 v51, 0, v71
	s_delay_alu instid0(VALU_DEP_1) | instskip(NEXT) | instid1(VALU_DEP_3)
	v_ldexp_f64 v[43:44], v[43:44], v51
	v_add_f64_e32 v[45:46], v[47:48], v[45:46]
	s_delay_alu instid0(VALU_DEP_2) | instskip(SKIP_1) | instid1(VALU_DEP_3)
	v_add_f64_e32 v[49:50], 1.0, v[43:44]
	v_add_f64_e32 v[55:56], -1.0, v[43:44]
	v_ldexp_f64 v[45:46], v[45:46], v51
	s_delay_alu instid0(VALU_DEP_3) | instskip(NEXT) | instid1(VALU_DEP_3)
	v_add_f64_e32 v[47:48], -1.0, v[49:50]
	v_add_f64_e32 v[57:58], 1.0, v[55:56]
	s_delay_alu instid0(VALU_DEP_2) | instskip(NEXT) | instid1(VALU_DEP_2)
	v_add_f64_e64 v[47:48], v[43:44], -v[47:48]
	v_add_f64_e64 v[43:44], v[43:44], -v[57:58]
	s_delay_alu instid0(VALU_DEP_2) | instskip(NEXT) | instid1(VALU_DEP_2)
	v_add_f64_e32 v[47:48], v[45:46], v[47:48]
	v_add_f64_e32 v[43:44], v[45:46], v[43:44]
	s_delay_alu instid0(VALU_DEP_2) | instskip(NEXT) | instid1(VALU_DEP_2)
	v_add_f64_e32 v[51:52], v[49:50], v[47:48]
	v_add_f64_e32 v[57:58], v[55:56], v[43:44]
	s_delay_alu instid0(VALU_DEP_2) | instskip(SKIP_1) | instid1(VALU_DEP_2)
	v_rcp_f64_e32 v[53:54], v[51:52]
	v_add_f64_e64 v[49:50], v[51:52], -v[49:50]
	v_add_f64_e64 v[55:56], v[57:58], -v[55:56]
	s_delay_alu instid0(VALU_DEP_2) | instskip(NEXT) | instid1(TRANS32_DEP_1)
	v_add_f64_e64 v[47:48], v[47:48], -v[49:50]
	v_fma_f64 v[59:60], -v[51:52], v[53:54], 1.0
	s_delay_alu instid0(VALU_DEP_3) | instskip(NEXT) | instid1(VALU_DEP_2)
	v_add_f64_e64 v[43:44], v[43:44], -v[55:56]
	v_fma_f64 v[53:54], v[59:60], v[53:54], v[53:54]
	s_delay_alu instid0(VALU_DEP_1) | instskip(NEXT) | instid1(VALU_DEP_1)
	v_fma_f64 v[45:46], -v[51:52], v[53:54], 1.0
	v_fma_f64 v[45:46], v[45:46], v[53:54], v[53:54]
	s_delay_alu instid0(VALU_DEP_1) | instskip(NEXT) | instid1(VALU_DEP_1)
	v_mul_f64_e32 v[53:54], v[57:58], v[45:46]
	v_mul_f64_e32 v[59:60], v[51:52], v[53:54]
	s_delay_alu instid0(VALU_DEP_1) | instskip(NEXT) | instid1(VALU_DEP_1)
	v_fma_f64 v[49:50], v[53:54], v[51:52], -v[59:60]
	v_fma_f64 v[49:50], v[53:54], v[47:48], v[49:50]
	s_delay_alu instid0(VALU_DEP_1) | instskip(NEXT) | instid1(VALU_DEP_1)
	v_add_f64_e32 v[61:62], v[59:60], v[49:50]
	v_add_f64_e64 v[69:70], v[57:58], -v[61:62]
	v_add_f64_e64 v[55:56], v[61:62], -v[59:60]
	s_delay_alu instid0(VALU_DEP_2) | instskip(NEXT) | instid1(VALU_DEP_2)
	v_add_f64_e64 v[57:58], v[57:58], -v[69:70]
	v_add_f64_e64 v[49:50], v[55:56], -v[49:50]
	s_delay_alu instid0(VALU_DEP_2) | instskip(NEXT) | instid1(VALU_DEP_1)
	v_add_f64_e64 v[57:58], v[57:58], -v[61:62]
	v_add_f64_e32 v[43:44], v[43:44], v[57:58]
	s_delay_alu instid0(VALU_DEP_1) | instskip(NEXT) | instid1(VALU_DEP_1)
	v_add_f64_e32 v[43:44], v[49:50], v[43:44]
	v_add_f64_e32 v[49:50], v[69:70], v[43:44]
	s_delay_alu instid0(VALU_DEP_1) | instskip(SKIP_1) | instid1(VALU_DEP_2)
	v_mul_f64_e32 v[55:56], v[45:46], v[49:50]
	v_add_f64_e64 v[61:62], v[69:70], -v[49:50]
	v_mul_f64_e32 v[57:58], v[51:52], v[55:56]
	s_delay_alu instid0(VALU_DEP_2) | instskip(NEXT) | instid1(VALU_DEP_2)
	v_add_f64_e32 v[43:44], v[43:44], v[61:62]
	v_fma_f64 v[51:52], v[55:56], v[51:52], -v[57:58]
	s_delay_alu instid0(VALU_DEP_1) | instskip(NEXT) | instid1(VALU_DEP_1)
	v_fma_f64 v[47:48], v[55:56], v[47:48], v[51:52]
	v_add_f64_e32 v[51:52], v[57:58], v[47:48]
	s_delay_alu instid0(VALU_DEP_1) | instskip(SKIP_1) | instid1(VALU_DEP_2)
	v_add_f64_e64 v[59:60], v[49:50], -v[51:52]
	v_add_f64_e64 v[57:58], v[51:52], -v[57:58]
	;; [unrolled: 1-line block ×3, first 2 shown]
	s_delay_alu instid0(VALU_DEP_2) | instskip(NEXT) | instid1(VALU_DEP_2)
	v_add_f64_e64 v[47:48], v[57:58], -v[47:48]
	v_add_f64_e64 v[49:50], v[49:50], -v[51:52]
	s_delay_alu instid0(VALU_DEP_1) | instskip(SKIP_1) | instid1(VALU_DEP_2)
	v_add_f64_e32 v[43:44], v[43:44], v[49:50]
	v_add_f64_e32 v[49:50], v[53:54], v[55:56]
	;; [unrolled: 1-line block ×3, first 2 shown]
	s_delay_alu instid0(VALU_DEP_2) | instskip(NEXT) | instid1(VALU_DEP_2)
	v_add_f64_e64 v[47:48], v[49:50], -v[53:54]
	v_add_f64_e32 v[43:44], v[59:60], v[43:44]
	s_delay_alu instid0(VALU_DEP_2) | instskip(NEXT) | instid1(VALU_DEP_2)
	v_add_f64_e64 v[47:48], v[55:56], -v[47:48]
	v_mul_f64_e32 v[43:44], v[45:46], v[43:44]
	s_delay_alu instid0(VALU_DEP_1) | instskip(NEXT) | instid1(VALU_DEP_1)
	v_add_f64_e32 v[43:44], v[47:48], v[43:44]
	v_add_f64_e32 v[45:46], v[49:50], v[43:44]
	s_delay_alu instid0(VALU_DEP_1) | instskip(NEXT) | instid1(VALU_DEP_1)
	v_mul_f64_e32 v[47:48], v[45:46], v[45:46]
	v_fma_f64 v[51:52], v[47:48], s[30:31], s[28:29]
	s_mov_b32 s28, 0xd7f4df2e
	s_mov_b32 s29, 0x3fc7474d
	v_mul_f64_e32 v[53:54], v[45:46], v[47:48]
	s_wait_alu 0xfffe
	s_delay_alu instid0(VALU_DEP_2) | instskip(SKIP_3) | instid1(VALU_DEP_1)
	v_fma_f64 v[51:52], v[47:48], v[51:52], s[28:29]
	s_mov_b32 s28, 0x16291751
	s_mov_b32 s29, 0x3fcc71c0
	s_wait_alu 0xfffe
	v_fma_f64 v[51:52], v[47:48], v[51:52], s[28:29]
	s_mov_b32 s28, 0x9b27acf1
	s_mov_b32 s29, 0x3fd24924
	s_wait_alu 0xfffe
	s_delay_alu instid0(VALU_DEP_1) | instskip(SKIP_3) | instid1(VALU_DEP_1)
	v_fma_f64 v[51:52], v[47:48], v[51:52], s[28:29]
	s_mov_b32 s28, 0x998ef7b6
	s_mov_b32 s29, 0x3fd99999
	s_wait_alu 0xfffe
	v_fma_f64 v[51:52], v[47:48], v[51:52], s[28:29]
	s_delay_alu instid0(VALU_DEP_1)
	v_fma_f64 v[47:48], v[47:48], v[51:52], s[20:21]
	v_ldexp_f64 v[51:52], v[45:46], 1
	v_add_f64_e64 v[45:46], v[45:46], -v[49:50]
	v_cmp_nge_f64_e64 s20, -1.0, v[41:42]
	v_cmp_neq_f64_e64 s21, 0x7ff00000, v[41:42]
	v_mul_f64_e32 v[47:48], v[53:54], v[47:48]
	v_cvt_f64_i32_e32 v[53:54], v71
	v_add_f64_e64 v[43:44], v[43:44], -v[45:46]
	s_and_b32 s20, s20, s21
	s_delay_alu instid0(VALU_DEP_3) | instskip(NEXT) | instid1(VALU_DEP_3)
	v_add_f64_e32 v[49:50], v[51:52], v[47:48]
	v_mul_f64_e32 v[55:56], s[22:23], v[53:54]
	s_delay_alu instid0(VALU_DEP_3) | instskip(NEXT) | instid1(VALU_DEP_3)
	v_ldexp_f64 v[43:44], v[43:44], 1
	v_add_f64_e64 v[45:46], v[49:50], -v[51:52]
	s_delay_alu instid0(VALU_DEP_3) | instskip(SKIP_1) | instid1(VALU_DEP_3)
	v_fma_f64 v[51:52], v[53:54], s[22:23], -v[55:56]
	v_cmp_ngt_f64_e64 s22, -1.0, v[41:42]
	v_add_f64_e64 v[45:46], v[47:48], -v[45:46]
	s_delay_alu instid0(VALU_DEP_3) | instskip(NEXT) | instid1(VALU_DEP_2)
	v_fma_f64 v[47:48], v[53:54], s[24:25], v[51:52]
	v_add_f64_e32 v[43:44], v[43:44], v[45:46]
	s_delay_alu instid0(VALU_DEP_2) | instskip(NEXT) | instid1(VALU_DEP_2)
	v_add_f64_e32 v[45:46], v[55:56], v[47:48]
	v_add_f64_e32 v[51:52], v[49:50], v[43:44]
	s_delay_alu instid0(VALU_DEP_2) | instskip(NEXT) | instid1(VALU_DEP_2)
	v_add_f64_e64 v[55:56], v[45:46], -v[55:56]
	v_add_f64_e32 v[53:54], v[45:46], v[51:52]
	v_add_f64_e64 v[49:50], v[51:52], -v[49:50]
	s_delay_alu instid0(VALU_DEP_3) | instskip(NEXT) | instid1(VALU_DEP_3)
	v_add_f64_e64 v[47:48], v[47:48], -v[55:56]
	v_add_f64_e64 v[57:58], v[53:54], -v[45:46]
	s_delay_alu instid0(VALU_DEP_3) | instskip(NEXT) | instid1(VALU_DEP_2)
	v_add_f64_e64 v[43:44], v[43:44], -v[49:50]
	v_add_f64_e64 v[59:60], v[53:54], -v[57:58]
	v_add_f64_e64 v[49:50], v[51:52], -v[57:58]
	s_delay_alu instid0(VALU_DEP_3) | instskip(NEXT) | instid1(VALU_DEP_3)
	v_add_f64_e32 v[51:52], v[47:48], v[43:44]
	v_add_f64_e64 v[45:46], v[45:46], -v[59:60]
	s_delay_alu instid0(VALU_DEP_1) | instskip(NEXT) | instid1(VALU_DEP_3)
	v_add_f64_e32 v[45:46], v[49:50], v[45:46]
	v_add_f64_e64 v[49:50], v[51:52], -v[47:48]
	s_delay_alu instid0(VALU_DEP_2) | instskip(NEXT) | instid1(VALU_DEP_2)
	v_add_f64_e32 v[45:46], v[51:52], v[45:46]
	v_add_f64_e64 v[51:52], v[51:52], -v[49:50]
	v_add_f64_e64 v[43:44], v[43:44], -v[49:50]
	s_delay_alu instid0(VALU_DEP_3) | instskip(NEXT) | instid1(VALU_DEP_3)
	v_add_f64_e32 v[55:56], v[53:54], v[45:46]
	v_add_f64_e64 v[47:48], v[47:48], -v[51:52]
	s_delay_alu instid0(VALU_DEP_2) | instskip(NEXT) | instid1(VALU_DEP_2)
	v_add_f64_e64 v[49:50], v[55:56], -v[53:54]
	v_add_f64_e32 v[43:44], v[43:44], v[47:48]
	s_delay_alu instid0(VALU_DEP_2) | instskip(NEXT) | instid1(VALU_DEP_1)
	v_add_f64_e64 v[45:46], v[45:46], -v[49:50]
	v_add_f64_e32 v[43:44], v[43:44], v[45:46]
	s_delay_alu instid0(VALU_DEP_1) | instskip(SKIP_1) | instid1(VALU_DEP_1)
	v_add_f64_e32 v[43:44], v[55:56], v[43:44]
	s_wait_alu 0xfffe
	v_cndmask_b32_e64 v43, 0, v43, s20
	v_cmp_neq_f64_e64 s20, -1.0, v[41:42]
	s_delay_alu instid0(VALU_DEP_3) | instskip(SKIP_1) | instid1(VALU_DEP_1)
	v_cndmask_b32_e64 v44, 0x7ff00000, v44, s21
	s_wait_alu 0xf1ff
	v_cndmask_b32_e64 v44, 0x7ff80000, v44, s22
	s_delay_alu instid0(VALU_DEP_1) | instskip(NEXT) | instid1(VALU_DEP_1)
	v_cndmask_b32_e64 v44, 0xfff00000, v44, s20
	v_add_f64_e32 v[69:70], v[39:40], v[43:44]
.LBB23_38:
	s_wait_alu 0xfffe
	s_or_b32 exec_lo, exec_lo, s26
	v_max_num_f64_e32 v[39:40], v[25:26], v[25:26]
	s_delay_alu instid0(VALU_DEP_2) | instskip(SKIP_2) | instid1(VALU_DEP_3)
	v_max_num_f64_e32 v[41:42], v[69:70], v[69:70]
	v_cmp_u_f64_e64 s21, v[69:70], v[69:70]
	v_cmp_u_f64_e64 s20, v[25:26], v[25:26]
	v_min_num_f64_e32 v[43:44], v[41:42], v[39:40]
	v_max_num_f64_e32 v[41:42], v[41:42], v[39:40]
	s_wait_alu 0xf1ff
	s_delay_alu instid0(VALU_DEP_2) | instskip(NEXT) | instid1(VALU_DEP_3)
	v_cndmask_b32_e64 v43, v43, v69, s21
	v_cndmask_b32_e64 v44, v44, v70, s21
	s_delay_alu instid0(VALU_DEP_3) | instskip(NEXT) | instid1(VALU_DEP_4)
	v_cndmask_b32_e64 v42, v42, v70, s21
	v_cndmask_b32_e64 v41, v41, v69, s21
	s_delay_alu instid0(VALU_DEP_4) | instskip(NEXT) | instid1(VALU_DEP_4)
	v_cndmask_b32_e64 v43, v43, v25, s20
	v_cndmask_b32_e64 v44, v44, v26, s20
	s_delay_alu instid0(VALU_DEP_4) | instskip(NEXT) | instid1(VALU_DEP_4)
	v_cndmask_b32_e64 v42, v42, v26, s20
	v_cndmask_b32_e64 v41, v41, v25, s20
	s_delay_alu instid0(VALU_DEP_3) | instskip(NEXT) | instid1(VALU_DEP_2)
	v_cmp_class_f64_e64 s22, v[43:44], 0x1f8
	v_cmp_neq_f64_e64 s21, v[43:44], v[41:42]
	s_or_b32 s21, s21, s22
	s_wait_alu 0xfffe
	s_and_saveexec_b32 s28, s21
	s_cbranch_execz .LBB23_40
; %bb.39:
	v_add_f64_e64 v[43:44], v[43:44], -v[41:42]
	s_mov_b32 s22, 0x652b82fe
	s_mov_b32 s23, 0x3ff71547
	;; [unrolled: 1-line block ×10, first 2 shown]
	s_wait_alu 0xfffe
	s_delay_alu instid0(VALU_DEP_1) | instskip(SKIP_3) | instid1(VALU_DEP_2)
	v_mul_f64_e32 v[45:46], s[22:23], v[43:44]
	s_mov_b32 s22, 0xfca7ab0c
	s_mov_b32 s23, 0x3e928af3
	v_cmp_nlt_f64_e64 s21, 0x40900000, v[43:44]
	v_rndne_f64_e32 v[45:46], v[45:46]
	s_delay_alu instid0(VALU_DEP_1) | instskip(SKIP_2) | instid1(VALU_DEP_2)
	v_fma_f64 v[47:48], v[45:46], s[24:25], v[43:44]
	v_cvt_i32_f64_e32 v51, v[45:46]
	s_mov_b32 s25, 0x3fe62e42
	v_fma_f64 v[47:48], v[45:46], s[26:27], v[47:48]
	s_mov_b32 s27, 0x3c7abc9e
	s_wait_alu 0xfffe
	s_delay_alu instid0(VALU_DEP_1)
	v_fma_f64 v[49:50], v[47:48], s[30:31], s[22:23]
	s_mov_b32 s22, 0x623fde64
	s_mov_b32 s23, 0x3ec71dee
	;; [unrolled: 1-line block ×4, first 2 shown]
	s_wait_alu 0xfffe
	s_delay_alu instid0(VALU_DEP_1) | instskip(SKIP_3) | instid1(VALU_DEP_1)
	v_fma_f64 v[49:50], v[47:48], v[49:50], s[22:23]
	s_mov_b32 s22, 0x7c89e6b0
	s_mov_b32 s23, 0x3efa0199
	s_wait_alu 0xfffe
	v_fma_f64 v[49:50], v[47:48], v[49:50], s[22:23]
	s_mov_b32 s22, 0x14761f6e
	s_mov_b32 s23, 0x3f2a01a0
	s_wait_alu 0xfffe
	s_delay_alu instid0(VALU_DEP_1) | instskip(SKIP_3) | instid1(VALU_DEP_1)
	v_fma_f64 v[49:50], v[47:48], v[49:50], s[22:23]
	s_mov_b32 s22, 0x1852b7b0
	s_mov_b32 s23, 0x3f56c16c
	s_wait_alu 0xfffe
	v_fma_f64 v[49:50], v[47:48], v[49:50], s[22:23]
	s_mov_b32 s22, 0x11122322
	s_mov_b32 s23, 0x3f811111
	;; [unrolled: 9-line block ×3, first 2 shown]
	s_wait_alu 0xfffe
	s_delay_alu instid0(VALU_DEP_1) | instskip(SKIP_3) | instid1(VALU_DEP_1)
	v_fma_f64 v[49:50], v[47:48], v[49:50], s[22:23]
	s_mov_b32 s22, 11
	s_mov_b32 s23, 0x3fe00000
	s_wait_alu 0xfffe
	v_fma_f64 v[49:50], v[47:48], v[49:50], s[22:23]
	v_cmp_ngt_f64_e64 s22, 0xc090cc00, v[43:44]
	s_mov_b32 s23, 0x3fe55555
	v_fma_f64 v[49:50], v[47:48], v[49:50], 1.0
	s_delay_alu instid0(VALU_DEP_1) | instskip(NEXT) | instid1(VALU_DEP_1)
	v_fma_f64 v[45:46], v[47:48], v[49:50], 1.0
	v_ldexp_f64 v[45:46], v[45:46], v51
	s_wait_alu 0xf1ff
	s_delay_alu instid0(VALU_DEP_1) | instskip(SKIP_2) | instid1(VALU_DEP_2)
	v_cndmask_b32_e64 v46, 0x7ff00000, v46, s21
	s_and_b32 s21, s22, s21
	s_wait_alu 0xfffe
	v_cndmask_b32_e64 v43, 0, v45, s21
	s_delay_alu instid0(VALU_DEP_2) | instskip(SKIP_1) | instid1(VALU_DEP_1)
	v_cndmask_b32_e64 v44, 0, v46, s22
	s_mov_b32 s22, 0x55555555
	v_add_f64_e32 v[45:46], 1.0, v[43:44]
	s_delay_alu instid0(VALU_DEP_1) | instskip(SKIP_3) | instid1(VALU_DEP_3)
	v_frexp_mant_f64_e32 v[47:48], v[45:46]
	v_frexp_exp_i32_f64_e32 v51, v[45:46]
	v_add_f64_e32 v[49:50], -1.0, v[45:46]
	s_wait_alu 0xfffe
	v_cmp_gt_f64_e64 s21, s[22:23], v[47:48]
	s_mov_b32 s22, 0x55555780
	v_add_f64_e64 v[47:48], v[49:50], -v[45:46]
	v_add_f64_e64 v[49:50], v[43:44], -v[49:50]
	s_wait_alu 0xf1ff
	v_subrev_co_ci_u32_e64 v73, null, 0, v51, s21
	s_delay_alu instid0(VALU_DEP_3) | instskip(SKIP_1) | instid1(VALU_DEP_3)
	v_add_f64_e32 v[47:48], 1.0, v[47:48]
	v_cmp_nge_f64_e64 s21, -1.0, v[43:44]
	v_sub_nc_u32_e32 v53, 0, v73
	s_delay_alu instid0(VALU_DEP_1) | instskip(NEXT) | instid1(VALU_DEP_4)
	v_ldexp_f64 v[45:46], v[45:46], v53
	v_add_f64_e32 v[47:48], v[49:50], v[47:48]
	s_delay_alu instid0(VALU_DEP_2) | instskip(SKIP_1) | instid1(VALU_DEP_3)
	v_add_f64_e32 v[51:52], 1.0, v[45:46]
	v_add_f64_e32 v[57:58], -1.0, v[45:46]
	v_ldexp_f64 v[47:48], v[47:48], v53
	s_delay_alu instid0(VALU_DEP_3) | instskip(NEXT) | instid1(VALU_DEP_3)
	v_add_f64_e32 v[49:50], -1.0, v[51:52]
	v_add_f64_e32 v[59:60], 1.0, v[57:58]
	s_delay_alu instid0(VALU_DEP_2) | instskip(NEXT) | instid1(VALU_DEP_2)
	v_add_f64_e64 v[49:50], v[45:46], -v[49:50]
	v_add_f64_e64 v[45:46], v[45:46], -v[59:60]
	s_delay_alu instid0(VALU_DEP_2) | instskip(NEXT) | instid1(VALU_DEP_2)
	v_add_f64_e32 v[49:50], v[47:48], v[49:50]
	v_add_f64_e32 v[45:46], v[47:48], v[45:46]
	s_delay_alu instid0(VALU_DEP_2) | instskip(NEXT) | instid1(VALU_DEP_2)
	v_add_f64_e32 v[53:54], v[51:52], v[49:50]
	v_add_f64_e32 v[59:60], v[57:58], v[45:46]
	s_delay_alu instid0(VALU_DEP_2) | instskip(SKIP_1) | instid1(VALU_DEP_2)
	v_rcp_f64_e32 v[55:56], v[53:54]
	v_add_f64_e64 v[51:52], v[53:54], -v[51:52]
	v_add_f64_e64 v[57:58], v[59:60], -v[57:58]
	s_delay_alu instid0(VALU_DEP_2) | instskip(NEXT) | instid1(TRANS32_DEP_1)
	v_add_f64_e64 v[49:50], v[49:50], -v[51:52]
	v_fma_f64 v[61:62], -v[53:54], v[55:56], 1.0
	s_delay_alu instid0(VALU_DEP_3) | instskip(NEXT) | instid1(VALU_DEP_2)
	v_add_f64_e64 v[45:46], v[45:46], -v[57:58]
	v_fma_f64 v[55:56], v[61:62], v[55:56], v[55:56]
	s_delay_alu instid0(VALU_DEP_1) | instskip(NEXT) | instid1(VALU_DEP_1)
	v_fma_f64 v[47:48], -v[53:54], v[55:56], 1.0
	v_fma_f64 v[47:48], v[47:48], v[55:56], v[55:56]
	s_delay_alu instid0(VALU_DEP_1) | instskip(NEXT) | instid1(VALU_DEP_1)
	v_mul_f64_e32 v[55:56], v[59:60], v[47:48]
	v_mul_f64_e32 v[61:62], v[53:54], v[55:56]
	s_delay_alu instid0(VALU_DEP_1) | instskip(NEXT) | instid1(VALU_DEP_1)
	v_fma_f64 v[51:52], v[55:56], v[53:54], -v[61:62]
	v_fma_f64 v[51:52], v[55:56], v[49:50], v[51:52]
	s_delay_alu instid0(VALU_DEP_1) | instskip(NEXT) | instid1(VALU_DEP_1)
	v_add_f64_e32 v[69:70], v[61:62], v[51:52]
	v_add_f64_e64 v[71:72], v[59:60], -v[69:70]
	v_add_f64_e64 v[57:58], v[69:70], -v[61:62]
	s_delay_alu instid0(VALU_DEP_2) | instskip(NEXT) | instid1(VALU_DEP_2)
	v_add_f64_e64 v[59:60], v[59:60], -v[71:72]
	v_add_f64_e64 v[51:52], v[57:58], -v[51:52]
	s_delay_alu instid0(VALU_DEP_2) | instskip(NEXT) | instid1(VALU_DEP_1)
	v_add_f64_e64 v[59:60], v[59:60], -v[69:70]
	v_add_f64_e32 v[45:46], v[45:46], v[59:60]
	s_delay_alu instid0(VALU_DEP_1) | instskip(NEXT) | instid1(VALU_DEP_1)
	v_add_f64_e32 v[45:46], v[51:52], v[45:46]
	v_add_f64_e32 v[51:52], v[71:72], v[45:46]
	s_delay_alu instid0(VALU_DEP_1) | instskip(SKIP_1) | instid1(VALU_DEP_2)
	v_mul_f64_e32 v[57:58], v[47:48], v[51:52]
	v_add_f64_e64 v[69:70], v[71:72], -v[51:52]
	v_mul_f64_e32 v[59:60], v[53:54], v[57:58]
	s_delay_alu instid0(VALU_DEP_2) | instskip(NEXT) | instid1(VALU_DEP_2)
	v_add_f64_e32 v[45:46], v[45:46], v[69:70]
	v_fma_f64 v[53:54], v[57:58], v[53:54], -v[59:60]
	s_delay_alu instid0(VALU_DEP_1) | instskip(NEXT) | instid1(VALU_DEP_1)
	v_fma_f64 v[49:50], v[57:58], v[49:50], v[53:54]
	v_add_f64_e32 v[53:54], v[59:60], v[49:50]
	s_delay_alu instid0(VALU_DEP_1) | instskip(SKIP_1) | instid1(VALU_DEP_2)
	v_add_f64_e64 v[61:62], v[51:52], -v[53:54]
	v_add_f64_e64 v[59:60], v[53:54], -v[59:60]
	;; [unrolled: 1-line block ×3, first 2 shown]
	s_delay_alu instid0(VALU_DEP_2) | instskip(NEXT) | instid1(VALU_DEP_2)
	v_add_f64_e64 v[49:50], v[59:60], -v[49:50]
	v_add_f64_e64 v[51:52], v[51:52], -v[53:54]
	s_delay_alu instid0(VALU_DEP_1) | instskip(SKIP_1) | instid1(VALU_DEP_2)
	v_add_f64_e32 v[45:46], v[45:46], v[51:52]
	v_add_f64_e32 v[51:52], v[55:56], v[57:58]
	;; [unrolled: 1-line block ×3, first 2 shown]
	s_delay_alu instid0(VALU_DEP_2) | instskip(NEXT) | instid1(VALU_DEP_2)
	v_add_f64_e64 v[49:50], v[51:52], -v[55:56]
	v_add_f64_e32 v[45:46], v[61:62], v[45:46]
	s_delay_alu instid0(VALU_DEP_2) | instskip(NEXT) | instid1(VALU_DEP_2)
	v_add_f64_e64 v[49:50], v[57:58], -v[49:50]
	v_mul_f64_e32 v[45:46], v[47:48], v[45:46]
	s_delay_alu instid0(VALU_DEP_1) | instskip(NEXT) | instid1(VALU_DEP_1)
	v_add_f64_e32 v[45:46], v[49:50], v[45:46]
	v_add_f64_e32 v[47:48], v[51:52], v[45:46]
	s_delay_alu instid0(VALU_DEP_1) | instskip(NEXT) | instid1(VALU_DEP_1)
	v_mul_f64_e32 v[49:50], v[47:48], v[47:48]
	v_fma_f64 v[53:54], v[49:50], s[34:35], s[30:31]
	s_mov_b32 s30, 0xd7f4df2e
	s_mov_b32 s31, 0x3fc7474d
	v_mul_f64_e32 v[55:56], v[47:48], v[49:50]
	s_wait_alu 0xfffe
	s_delay_alu instid0(VALU_DEP_2) | instskip(SKIP_3) | instid1(VALU_DEP_1)
	v_fma_f64 v[53:54], v[49:50], v[53:54], s[30:31]
	s_mov_b32 s30, 0x16291751
	s_mov_b32 s31, 0x3fcc71c0
	s_wait_alu 0xfffe
	v_fma_f64 v[53:54], v[49:50], v[53:54], s[30:31]
	s_mov_b32 s30, 0x9b27acf1
	s_mov_b32 s31, 0x3fd24924
	s_wait_alu 0xfffe
	s_delay_alu instid0(VALU_DEP_1) | instskip(SKIP_3) | instid1(VALU_DEP_1)
	v_fma_f64 v[53:54], v[49:50], v[53:54], s[30:31]
	s_mov_b32 s30, 0x998ef7b6
	s_mov_b32 s31, 0x3fd99999
	s_wait_alu 0xfffe
	v_fma_f64 v[53:54], v[49:50], v[53:54], s[30:31]
	s_delay_alu instid0(VALU_DEP_1)
	v_fma_f64 v[49:50], v[49:50], v[53:54], s[22:23]
	v_ldexp_f64 v[53:54], v[47:48], 1
	v_add_f64_e64 v[47:48], v[47:48], -v[51:52]
	v_cmp_neq_f64_e64 s22, 0x7ff00000, v[43:44]
	v_cmp_ngt_f64_e64 s23, -1.0, v[43:44]
	v_mul_f64_e32 v[49:50], v[55:56], v[49:50]
	v_cvt_f64_i32_e32 v[55:56], v73
	v_add_f64_e64 v[45:46], v[45:46], -v[47:48]
	s_and_b32 s21, s21, s22
	s_delay_alu instid0(VALU_DEP_3) | instskip(NEXT) | instid1(VALU_DEP_3)
	v_add_f64_e32 v[51:52], v[53:54], v[49:50]
	v_mul_f64_e32 v[57:58], s[24:25], v[55:56]
	s_delay_alu instid0(VALU_DEP_3) | instskip(NEXT) | instid1(VALU_DEP_3)
	v_ldexp_f64 v[45:46], v[45:46], 1
	v_add_f64_e64 v[47:48], v[51:52], -v[53:54]
	s_delay_alu instid0(VALU_DEP_3) | instskip(NEXT) | instid1(VALU_DEP_2)
	v_fma_f64 v[53:54], v[55:56], s[24:25], -v[57:58]
	v_add_f64_e64 v[47:48], v[49:50], -v[47:48]
	s_delay_alu instid0(VALU_DEP_2) | instskip(NEXT) | instid1(VALU_DEP_2)
	v_fma_f64 v[49:50], v[55:56], s[26:27], v[53:54]
	v_add_f64_e32 v[45:46], v[45:46], v[47:48]
	s_delay_alu instid0(VALU_DEP_2) | instskip(NEXT) | instid1(VALU_DEP_2)
	v_add_f64_e32 v[47:48], v[57:58], v[49:50]
	v_add_f64_e32 v[53:54], v[51:52], v[45:46]
	s_delay_alu instid0(VALU_DEP_2) | instskip(NEXT) | instid1(VALU_DEP_2)
	v_add_f64_e64 v[57:58], v[47:48], -v[57:58]
	v_add_f64_e32 v[55:56], v[47:48], v[53:54]
	v_add_f64_e64 v[51:52], v[53:54], -v[51:52]
	s_delay_alu instid0(VALU_DEP_3) | instskip(NEXT) | instid1(VALU_DEP_3)
	v_add_f64_e64 v[49:50], v[49:50], -v[57:58]
	v_add_f64_e64 v[59:60], v[55:56], -v[47:48]
	s_delay_alu instid0(VALU_DEP_3) | instskip(NEXT) | instid1(VALU_DEP_2)
	v_add_f64_e64 v[45:46], v[45:46], -v[51:52]
	v_add_f64_e64 v[61:62], v[55:56], -v[59:60]
	;; [unrolled: 1-line block ×3, first 2 shown]
	s_delay_alu instid0(VALU_DEP_3) | instskip(NEXT) | instid1(VALU_DEP_3)
	v_add_f64_e32 v[53:54], v[49:50], v[45:46]
	v_add_f64_e64 v[47:48], v[47:48], -v[61:62]
	s_delay_alu instid0(VALU_DEP_1) | instskip(NEXT) | instid1(VALU_DEP_3)
	v_add_f64_e32 v[47:48], v[51:52], v[47:48]
	v_add_f64_e64 v[51:52], v[53:54], -v[49:50]
	s_delay_alu instid0(VALU_DEP_2) | instskip(NEXT) | instid1(VALU_DEP_2)
	v_add_f64_e32 v[47:48], v[53:54], v[47:48]
	v_add_f64_e64 v[53:54], v[53:54], -v[51:52]
	v_add_f64_e64 v[45:46], v[45:46], -v[51:52]
	s_delay_alu instid0(VALU_DEP_3) | instskip(NEXT) | instid1(VALU_DEP_3)
	v_add_f64_e32 v[57:58], v[55:56], v[47:48]
	v_add_f64_e64 v[49:50], v[49:50], -v[53:54]
	s_delay_alu instid0(VALU_DEP_2) | instskip(NEXT) | instid1(VALU_DEP_2)
	v_add_f64_e64 v[51:52], v[57:58], -v[55:56]
	v_add_f64_e32 v[45:46], v[45:46], v[49:50]
	s_delay_alu instid0(VALU_DEP_2) | instskip(NEXT) | instid1(VALU_DEP_1)
	v_add_f64_e64 v[47:48], v[47:48], -v[51:52]
	v_add_f64_e32 v[45:46], v[45:46], v[47:48]
	s_delay_alu instid0(VALU_DEP_1) | instskip(SKIP_1) | instid1(VALU_DEP_1)
	v_add_f64_e32 v[45:46], v[57:58], v[45:46]
	s_wait_alu 0xfffe
	v_cndmask_b32_e64 v45, 0, v45, s21
	v_cmp_neq_f64_e64 s21, -1.0, v[43:44]
	s_delay_alu instid0(VALU_DEP_3) | instskip(NEXT) | instid1(VALU_DEP_1)
	v_cndmask_b32_e64 v46, 0x7ff00000, v46, s22
	v_cndmask_b32_e64 v46, 0x7ff80000, v46, s23
	s_wait_alu 0xf1ff
	s_delay_alu instid0(VALU_DEP_1) | instskip(NEXT) | instid1(VALU_DEP_1)
	v_cndmask_b32_e64 v46, 0xfff00000, v46, s21
	v_add_f64_e32 v[69:70], v[41:42], v[45:46]
.LBB23_40:
	s_wait_alu 0xfffe
	s_or_b32 exec_lo, exec_lo, s28
	v_max_num_f64_e32 v[41:42], v[27:28], v[27:28]
	s_delay_alu instid0(VALU_DEP_2) | instskip(SKIP_2) | instid1(VALU_DEP_3)
	v_max_num_f64_e32 v[43:44], v[69:70], v[69:70]
	v_cmp_u_f64_e64 s22, v[69:70], v[69:70]
	v_cmp_u_f64_e64 s21, v[27:28], v[27:28]
	v_min_num_f64_e32 v[45:46], v[43:44], v[41:42]
	v_max_num_f64_e32 v[43:44], v[43:44], v[41:42]
	s_wait_alu 0xf1ff
	s_delay_alu instid0(VALU_DEP_2) | instskip(NEXT) | instid1(VALU_DEP_3)
	v_cndmask_b32_e64 v45, v45, v69, s22
	v_cndmask_b32_e64 v46, v46, v70, s22
	s_delay_alu instid0(VALU_DEP_3) | instskip(NEXT) | instid1(VALU_DEP_4)
	v_cndmask_b32_e64 v44, v44, v70, s22
	v_cndmask_b32_e64 v43, v43, v69, s22
	s_delay_alu instid0(VALU_DEP_4) | instskip(NEXT) | instid1(VALU_DEP_4)
	v_cndmask_b32_e64 v45, v45, v27, s21
	v_cndmask_b32_e64 v46, v46, v28, s21
	s_delay_alu instid0(VALU_DEP_4) | instskip(NEXT) | instid1(VALU_DEP_4)
	v_cndmask_b32_e64 v44, v44, v28, s21
	v_cndmask_b32_e64 v43, v43, v27, s21
	s_delay_alu instid0(VALU_DEP_3) | instskip(NEXT) | instid1(VALU_DEP_2)
	v_cmp_class_f64_e64 s23, v[45:46], 0x1f8
	v_cmp_neq_f64_e64 s22, v[45:46], v[43:44]
	s_or_b32 s22, s22, s23
	s_wait_alu 0xfffe
	s_and_saveexec_b32 s28, s22
	s_cbranch_execz .LBB23_42
; %bb.41:
	v_add_f64_e64 v[45:46], v[45:46], -v[43:44]
	s_mov_b32 s22, 0x652b82fe
	s_mov_b32 s23, 0x3ff71547
	s_mov_b32 s25, 0xbfe62e42
	s_mov_b32 s24, 0xfefa39ef
	s_mov_b32 s27, 0xbc7abc9e
	s_mov_b32 s26, 0x3b39803f
	s_mov_b32 s30, 0x6a5dcb37
	s_mov_b32 s31, 0x3e5ade15
	s_mov_b32 s34, 0xbf559e2b
	s_mov_b32 s35, 0x3fc3ab76
	s_wait_alu 0xfffe
	s_delay_alu instid0(VALU_DEP_1) | instskip(SKIP_2) | instid1(VALU_DEP_1)
	v_mul_f64_e32 v[47:48], s[22:23], v[45:46]
	s_mov_b32 s22, 0xfca7ab0c
	s_mov_b32 s23, 0x3e928af3
	v_rndne_f64_e32 v[47:48], v[47:48]
	s_delay_alu instid0(VALU_DEP_1) | instskip(SKIP_2) | instid1(VALU_DEP_2)
	v_fma_f64 v[49:50], v[47:48], s[24:25], v[45:46]
	v_cvt_i32_f64_e32 v53, v[47:48]
	s_mov_b32 s25, 0x3fe62e42
	v_fma_f64 v[49:50], v[47:48], s[26:27], v[49:50]
	s_mov_b32 s27, 0x3c7abc9e
	s_wait_alu 0xfffe
	s_delay_alu instid0(VALU_DEP_1)
	v_fma_f64 v[51:52], v[49:50], s[30:31], s[22:23]
	s_mov_b32 s22, 0x623fde64
	s_mov_b32 s23, 0x3ec71dee
	;; [unrolled: 1-line block ×4, first 2 shown]
	s_wait_alu 0xfffe
	s_delay_alu instid0(VALU_DEP_1) | instskip(SKIP_3) | instid1(VALU_DEP_1)
	v_fma_f64 v[51:52], v[49:50], v[51:52], s[22:23]
	s_mov_b32 s22, 0x7c89e6b0
	s_mov_b32 s23, 0x3efa0199
	s_wait_alu 0xfffe
	v_fma_f64 v[51:52], v[49:50], v[51:52], s[22:23]
	s_mov_b32 s22, 0x14761f6e
	s_mov_b32 s23, 0x3f2a01a0
	s_wait_alu 0xfffe
	s_delay_alu instid0(VALU_DEP_1) | instskip(SKIP_3) | instid1(VALU_DEP_1)
	v_fma_f64 v[51:52], v[49:50], v[51:52], s[22:23]
	s_mov_b32 s22, 0x1852b7b0
	s_mov_b32 s23, 0x3f56c16c
	s_wait_alu 0xfffe
	v_fma_f64 v[51:52], v[49:50], v[51:52], s[22:23]
	s_mov_b32 s22, 0x11122322
	s_mov_b32 s23, 0x3f811111
	;; [unrolled: 9-line block ×3, first 2 shown]
	s_wait_alu 0xfffe
	s_delay_alu instid0(VALU_DEP_1) | instskip(SKIP_3) | instid1(VALU_DEP_1)
	v_fma_f64 v[51:52], v[49:50], v[51:52], s[22:23]
	s_mov_b32 s22, 11
	s_mov_b32 s23, 0x3fe00000
	s_wait_alu 0xfffe
	v_fma_f64 v[51:52], v[49:50], v[51:52], s[22:23]
	v_cmp_nlt_f64_e64 s22, 0x40900000, v[45:46]
	v_cmp_ngt_f64_e64 s23, 0xc090cc00, v[45:46]
	s_delay_alu instid0(VALU_DEP_3) | instskip(NEXT) | instid1(VALU_DEP_1)
	v_fma_f64 v[51:52], v[49:50], v[51:52], 1.0
	v_fma_f64 v[47:48], v[49:50], v[51:52], 1.0
	s_delay_alu instid0(VALU_DEP_1) | instskip(SKIP_1) | instid1(VALU_DEP_1)
	v_ldexp_f64 v[47:48], v[47:48], v53
	s_wait_alu 0xf1ff
	v_cndmask_b32_e64 v48, 0x7ff00000, v48, s22
	s_and_b32 s22, s23, s22
	s_wait_alu 0xfffe
	s_delay_alu instid0(VALU_DEP_2) | instskip(SKIP_3) | instid1(VALU_DEP_1)
	v_cndmask_b32_e64 v45, 0, v47, s22
	s_mov_b32 s22, 0x55555555
	v_cndmask_b32_e64 v46, 0, v48, s23
	s_mov_b32 s23, 0x3fe55555
	v_add_f64_e32 v[47:48], 1.0, v[45:46]
	s_delay_alu instid0(VALU_DEP_1) | instskip(SKIP_3) | instid1(VALU_DEP_3)
	v_frexp_mant_f64_e32 v[49:50], v[47:48]
	v_frexp_exp_i32_f64_e32 v53, v[47:48]
	v_add_f64_e32 v[51:52], -1.0, v[47:48]
	s_wait_alu 0xfffe
	v_cmp_gt_f64_e64 s22, s[22:23], v[49:50]
	s_delay_alu instid0(VALU_DEP_2) | instskip(SKIP_2) | instid1(VALU_DEP_3)
	v_add_f64_e64 v[49:50], v[51:52], -v[47:48]
	v_add_f64_e64 v[51:52], v[45:46], -v[51:52]
	s_wait_alu 0xf1ff
	v_subrev_co_ci_u32_e64 v75, null, 0, v53, s22
	s_delay_alu instid0(VALU_DEP_3) | instskip(SKIP_1) | instid1(VALU_DEP_2)
	v_add_f64_e32 v[49:50], 1.0, v[49:50]
	s_mov_b32 s22, 0x55555780
	v_sub_nc_u32_e32 v55, 0, v75
	s_delay_alu instid0(VALU_DEP_1) | instskip(NEXT) | instid1(VALU_DEP_3)
	v_ldexp_f64 v[47:48], v[47:48], v55
	v_add_f64_e32 v[49:50], v[51:52], v[49:50]
	s_delay_alu instid0(VALU_DEP_2) | instskip(SKIP_1) | instid1(VALU_DEP_3)
	v_add_f64_e32 v[53:54], 1.0, v[47:48]
	v_add_f64_e32 v[59:60], -1.0, v[47:48]
	v_ldexp_f64 v[49:50], v[49:50], v55
	s_delay_alu instid0(VALU_DEP_3) | instskip(NEXT) | instid1(VALU_DEP_3)
	v_add_f64_e32 v[51:52], -1.0, v[53:54]
	v_add_f64_e32 v[61:62], 1.0, v[59:60]
	s_delay_alu instid0(VALU_DEP_2) | instskip(NEXT) | instid1(VALU_DEP_2)
	v_add_f64_e64 v[51:52], v[47:48], -v[51:52]
	v_add_f64_e64 v[47:48], v[47:48], -v[61:62]
	s_delay_alu instid0(VALU_DEP_2) | instskip(NEXT) | instid1(VALU_DEP_2)
	v_add_f64_e32 v[51:52], v[49:50], v[51:52]
	v_add_f64_e32 v[47:48], v[49:50], v[47:48]
	s_delay_alu instid0(VALU_DEP_2) | instskip(NEXT) | instid1(VALU_DEP_2)
	v_add_f64_e32 v[55:56], v[53:54], v[51:52]
	v_add_f64_e32 v[61:62], v[59:60], v[47:48]
	s_delay_alu instid0(VALU_DEP_2) | instskip(SKIP_1) | instid1(VALU_DEP_2)
	v_rcp_f64_e32 v[57:58], v[55:56]
	v_add_f64_e64 v[53:54], v[55:56], -v[53:54]
	v_add_f64_e64 v[59:60], v[61:62], -v[59:60]
	s_delay_alu instid0(VALU_DEP_2) | instskip(NEXT) | instid1(TRANS32_DEP_1)
	v_add_f64_e64 v[51:52], v[51:52], -v[53:54]
	v_fma_f64 v[69:70], -v[55:56], v[57:58], 1.0
	s_delay_alu instid0(VALU_DEP_3) | instskip(NEXT) | instid1(VALU_DEP_2)
	v_add_f64_e64 v[47:48], v[47:48], -v[59:60]
	v_fma_f64 v[57:58], v[69:70], v[57:58], v[57:58]
	s_delay_alu instid0(VALU_DEP_1) | instskip(NEXT) | instid1(VALU_DEP_1)
	v_fma_f64 v[49:50], -v[55:56], v[57:58], 1.0
	v_fma_f64 v[49:50], v[49:50], v[57:58], v[57:58]
	s_delay_alu instid0(VALU_DEP_1) | instskip(NEXT) | instid1(VALU_DEP_1)
	v_mul_f64_e32 v[57:58], v[61:62], v[49:50]
	v_mul_f64_e32 v[69:70], v[55:56], v[57:58]
	s_delay_alu instid0(VALU_DEP_1) | instskip(NEXT) | instid1(VALU_DEP_1)
	v_fma_f64 v[53:54], v[57:58], v[55:56], -v[69:70]
	v_fma_f64 v[53:54], v[57:58], v[51:52], v[53:54]
	s_delay_alu instid0(VALU_DEP_1) | instskip(NEXT) | instid1(VALU_DEP_1)
	v_add_f64_e32 v[71:72], v[69:70], v[53:54]
	v_add_f64_e64 v[73:74], v[61:62], -v[71:72]
	v_add_f64_e64 v[59:60], v[71:72], -v[69:70]
	s_delay_alu instid0(VALU_DEP_2) | instskip(NEXT) | instid1(VALU_DEP_2)
	v_add_f64_e64 v[61:62], v[61:62], -v[73:74]
	v_add_f64_e64 v[53:54], v[59:60], -v[53:54]
	s_delay_alu instid0(VALU_DEP_2) | instskip(NEXT) | instid1(VALU_DEP_1)
	v_add_f64_e64 v[61:62], v[61:62], -v[71:72]
	v_add_f64_e32 v[47:48], v[47:48], v[61:62]
	s_delay_alu instid0(VALU_DEP_1) | instskip(NEXT) | instid1(VALU_DEP_1)
	v_add_f64_e32 v[47:48], v[53:54], v[47:48]
	v_add_f64_e32 v[53:54], v[73:74], v[47:48]
	s_delay_alu instid0(VALU_DEP_1) | instskip(SKIP_1) | instid1(VALU_DEP_2)
	v_mul_f64_e32 v[59:60], v[49:50], v[53:54]
	v_add_f64_e64 v[71:72], v[73:74], -v[53:54]
	v_mul_f64_e32 v[61:62], v[55:56], v[59:60]
	s_delay_alu instid0(VALU_DEP_2) | instskip(NEXT) | instid1(VALU_DEP_2)
	v_add_f64_e32 v[47:48], v[47:48], v[71:72]
	v_fma_f64 v[55:56], v[59:60], v[55:56], -v[61:62]
	s_delay_alu instid0(VALU_DEP_1) | instskip(NEXT) | instid1(VALU_DEP_1)
	v_fma_f64 v[51:52], v[59:60], v[51:52], v[55:56]
	v_add_f64_e32 v[55:56], v[61:62], v[51:52]
	s_delay_alu instid0(VALU_DEP_1) | instskip(SKIP_1) | instid1(VALU_DEP_2)
	v_add_f64_e64 v[69:70], v[53:54], -v[55:56]
	v_add_f64_e64 v[61:62], v[55:56], -v[61:62]
	;; [unrolled: 1-line block ×3, first 2 shown]
	s_delay_alu instid0(VALU_DEP_2) | instskip(NEXT) | instid1(VALU_DEP_2)
	v_add_f64_e64 v[51:52], v[61:62], -v[51:52]
	v_add_f64_e64 v[53:54], v[53:54], -v[55:56]
	s_delay_alu instid0(VALU_DEP_1) | instskip(SKIP_1) | instid1(VALU_DEP_2)
	v_add_f64_e32 v[47:48], v[47:48], v[53:54]
	v_add_f64_e32 v[53:54], v[57:58], v[59:60]
	;; [unrolled: 1-line block ×3, first 2 shown]
	s_delay_alu instid0(VALU_DEP_2) | instskip(NEXT) | instid1(VALU_DEP_2)
	v_add_f64_e64 v[51:52], v[53:54], -v[57:58]
	v_add_f64_e32 v[47:48], v[69:70], v[47:48]
	s_delay_alu instid0(VALU_DEP_2) | instskip(NEXT) | instid1(VALU_DEP_2)
	v_add_f64_e64 v[51:52], v[59:60], -v[51:52]
	v_mul_f64_e32 v[47:48], v[49:50], v[47:48]
	s_delay_alu instid0(VALU_DEP_1) | instskip(NEXT) | instid1(VALU_DEP_1)
	v_add_f64_e32 v[47:48], v[51:52], v[47:48]
	v_add_f64_e32 v[49:50], v[53:54], v[47:48]
	s_delay_alu instid0(VALU_DEP_1) | instskip(NEXT) | instid1(VALU_DEP_1)
	v_mul_f64_e32 v[51:52], v[49:50], v[49:50]
	v_fma_f64 v[55:56], v[51:52], s[34:35], s[30:31]
	s_mov_b32 s30, 0xd7f4df2e
	s_mov_b32 s31, 0x3fc7474d
	v_mul_f64_e32 v[57:58], v[49:50], v[51:52]
	s_wait_alu 0xfffe
	s_delay_alu instid0(VALU_DEP_2) | instskip(SKIP_3) | instid1(VALU_DEP_1)
	v_fma_f64 v[55:56], v[51:52], v[55:56], s[30:31]
	s_mov_b32 s30, 0x16291751
	s_mov_b32 s31, 0x3fcc71c0
	s_wait_alu 0xfffe
	v_fma_f64 v[55:56], v[51:52], v[55:56], s[30:31]
	s_mov_b32 s30, 0x9b27acf1
	s_mov_b32 s31, 0x3fd24924
	s_wait_alu 0xfffe
	s_delay_alu instid0(VALU_DEP_1) | instskip(SKIP_3) | instid1(VALU_DEP_1)
	v_fma_f64 v[55:56], v[51:52], v[55:56], s[30:31]
	s_mov_b32 s30, 0x998ef7b6
	s_mov_b32 s31, 0x3fd99999
	s_wait_alu 0xfffe
	v_fma_f64 v[55:56], v[51:52], v[55:56], s[30:31]
	s_delay_alu instid0(VALU_DEP_1)
	v_fma_f64 v[51:52], v[51:52], v[55:56], s[22:23]
	v_ldexp_f64 v[55:56], v[49:50], 1
	v_add_f64_e64 v[49:50], v[49:50], -v[53:54]
	v_cmp_nge_f64_e64 s22, -1.0, v[45:46]
	v_cmp_neq_f64_e64 s23, 0x7ff00000, v[45:46]
	v_mul_f64_e32 v[51:52], v[57:58], v[51:52]
	v_cvt_f64_i32_e32 v[57:58], v75
	v_add_f64_e64 v[47:48], v[47:48], -v[49:50]
	s_and_b32 s22, s22, s23
	s_delay_alu instid0(VALU_DEP_3) | instskip(NEXT) | instid1(VALU_DEP_3)
	v_add_f64_e32 v[53:54], v[55:56], v[51:52]
	v_mul_f64_e32 v[59:60], s[24:25], v[57:58]
	s_delay_alu instid0(VALU_DEP_3) | instskip(NEXT) | instid1(VALU_DEP_3)
	v_ldexp_f64 v[47:48], v[47:48], 1
	v_add_f64_e64 v[49:50], v[53:54], -v[55:56]
	s_delay_alu instid0(VALU_DEP_3) | instskip(SKIP_1) | instid1(VALU_DEP_3)
	v_fma_f64 v[55:56], v[57:58], s[24:25], -v[59:60]
	v_cmp_ngt_f64_e64 s24, -1.0, v[45:46]
	v_add_f64_e64 v[49:50], v[51:52], -v[49:50]
	s_delay_alu instid0(VALU_DEP_3) | instskip(NEXT) | instid1(VALU_DEP_2)
	v_fma_f64 v[51:52], v[57:58], s[26:27], v[55:56]
	v_add_f64_e32 v[47:48], v[47:48], v[49:50]
	s_delay_alu instid0(VALU_DEP_2) | instskip(NEXT) | instid1(VALU_DEP_2)
	v_add_f64_e32 v[49:50], v[59:60], v[51:52]
	v_add_f64_e32 v[55:56], v[53:54], v[47:48]
	s_delay_alu instid0(VALU_DEP_2) | instskip(NEXT) | instid1(VALU_DEP_2)
	v_add_f64_e64 v[59:60], v[49:50], -v[59:60]
	v_add_f64_e32 v[57:58], v[49:50], v[55:56]
	v_add_f64_e64 v[53:54], v[55:56], -v[53:54]
	s_delay_alu instid0(VALU_DEP_3) | instskip(NEXT) | instid1(VALU_DEP_3)
	v_add_f64_e64 v[51:52], v[51:52], -v[59:60]
	v_add_f64_e64 v[61:62], v[57:58], -v[49:50]
	s_delay_alu instid0(VALU_DEP_3) | instskip(NEXT) | instid1(VALU_DEP_2)
	v_add_f64_e64 v[47:48], v[47:48], -v[53:54]
	v_add_f64_e64 v[69:70], v[57:58], -v[61:62]
	;; [unrolled: 1-line block ×3, first 2 shown]
	s_delay_alu instid0(VALU_DEP_3) | instskip(NEXT) | instid1(VALU_DEP_3)
	v_add_f64_e32 v[55:56], v[51:52], v[47:48]
	v_add_f64_e64 v[49:50], v[49:50], -v[69:70]
	s_delay_alu instid0(VALU_DEP_1) | instskip(NEXT) | instid1(VALU_DEP_3)
	v_add_f64_e32 v[49:50], v[53:54], v[49:50]
	v_add_f64_e64 v[53:54], v[55:56], -v[51:52]
	s_delay_alu instid0(VALU_DEP_2) | instskip(NEXT) | instid1(VALU_DEP_2)
	v_add_f64_e32 v[49:50], v[55:56], v[49:50]
	v_add_f64_e64 v[55:56], v[55:56], -v[53:54]
	v_add_f64_e64 v[47:48], v[47:48], -v[53:54]
	s_delay_alu instid0(VALU_DEP_3) | instskip(NEXT) | instid1(VALU_DEP_3)
	v_add_f64_e32 v[59:60], v[57:58], v[49:50]
	v_add_f64_e64 v[51:52], v[51:52], -v[55:56]
	s_delay_alu instid0(VALU_DEP_2) | instskip(NEXT) | instid1(VALU_DEP_2)
	v_add_f64_e64 v[53:54], v[59:60], -v[57:58]
	v_add_f64_e32 v[47:48], v[47:48], v[51:52]
	s_delay_alu instid0(VALU_DEP_2) | instskip(NEXT) | instid1(VALU_DEP_1)
	v_add_f64_e64 v[49:50], v[49:50], -v[53:54]
	v_add_f64_e32 v[47:48], v[47:48], v[49:50]
	s_delay_alu instid0(VALU_DEP_1) | instskip(SKIP_1) | instid1(VALU_DEP_1)
	v_add_f64_e32 v[47:48], v[59:60], v[47:48]
	s_wait_alu 0xfffe
	v_cndmask_b32_e64 v47, 0, v47, s22
	v_cmp_neq_f64_e64 s22, -1.0, v[45:46]
	s_delay_alu instid0(VALU_DEP_3) | instskip(SKIP_1) | instid1(VALU_DEP_1)
	v_cndmask_b32_e64 v48, 0x7ff00000, v48, s23
	s_wait_alu 0xf1ff
	v_cndmask_b32_e64 v48, 0x7ff80000, v48, s24
	s_delay_alu instid0(VALU_DEP_1) | instskip(NEXT) | instid1(VALU_DEP_1)
	v_cndmask_b32_e64 v48, 0xfff00000, v48, s22
	v_add_f64_e32 v[69:70], v[43:44], v[47:48]
.LBB23_42:
	s_wait_alu 0xfffe
	s_or_b32 exec_lo, exec_lo, s28
	v_max_num_f64_e32 v[43:44], v[21:22], v[21:22]
	s_delay_alu instid0(VALU_DEP_2) | instskip(SKIP_2) | instid1(VALU_DEP_3)
	v_max_num_f64_e32 v[45:46], v[69:70], v[69:70]
	v_cmp_u_f64_e64 s23, v[69:70], v[69:70]
	v_cmp_u_f64_e64 s22, v[21:22], v[21:22]
	v_min_num_f64_e32 v[47:48], v[45:46], v[43:44]
	v_max_num_f64_e32 v[45:46], v[45:46], v[43:44]
	s_wait_alu 0xf1ff
	s_delay_alu instid0(VALU_DEP_2) | instskip(NEXT) | instid1(VALU_DEP_3)
	v_cndmask_b32_e64 v47, v47, v69, s23
	v_cndmask_b32_e64 v48, v48, v70, s23
	s_delay_alu instid0(VALU_DEP_3) | instskip(NEXT) | instid1(VALU_DEP_4)
	v_cndmask_b32_e64 v46, v46, v70, s23
	v_cndmask_b32_e64 v45, v45, v69, s23
	s_delay_alu instid0(VALU_DEP_4) | instskip(NEXT) | instid1(VALU_DEP_4)
	v_cndmask_b32_e64 v47, v47, v21, s22
	v_cndmask_b32_e64 v48, v48, v22, s22
	s_delay_alu instid0(VALU_DEP_4) | instskip(NEXT) | instid1(VALU_DEP_4)
	v_cndmask_b32_e64 v46, v46, v22, s22
	v_cndmask_b32_e64 v45, v45, v21, s22
	s_delay_alu instid0(VALU_DEP_3) | instskip(NEXT) | instid1(VALU_DEP_2)
	v_cmp_class_f64_e64 s24, v[47:48], 0x1f8
	v_cmp_neq_f64_e64 s23, v[47:48], v[45:46]
	s_or_b32 s23, s23, s24
	s_wait_alu 0xfffe
	s_and_saveexec_b32 s30, s23
	s_cbranch_execz .LBB23_44
; %bb.43:
	v_add_f64_e64 v[47:48], v[47:48], -v[45:46]
	s_mov_b32 s24, 0x652b82fe
	s_mov_b32 s25, 0x3ff71547
	;; [unrolled: 1-line block ×10, first 2 shown]
	s_wait_alu 0xfffe
	s_delay_alu instid0(VALU_DEP_1) | instskip(SKIP_3) | instid1(VALU_DEP_2)
	v_mul_f64_e32 v[49:50], s[24:25], v[47:48]
	s_mov_b32 s24, 0xfca7ab0c
	s_mov_b32 s25, 0x3e928af3
	v_cmp_nlt_f64_e64 s23, 0x40900000, v[47:48]
	v_rndne_f64_e32 v[49:50], v[49:50]
	s_delay_alu instid0(VALU_DEP_1) | instskip(SKIP_2) | instid1(VALU_DEP_2)
	v_fma_f64 v[51:52], v[49:50], s[26:27], v[47:48]
	v_cvt_i32_f64_e32 v55, v[49:50]
	s_mov_b32 s27, 0x3fe62e42
	v_fma_f64 v[51:52], v[49:50], s[28:29], v[51:52]
	s_mov_b32 s29, 0x3c7abc9e
	s_wait_alu 0xfffe
	s_delay_alu instid0(VALU_DEP_1)
	v_fma_f64 v[53:54], v[51:52], s[34:35], s[24:25]
	s_mov_b32 s24, 0x623fde64
	s_mov_b32 s25, 0x3ec71dee
	;; [unrolled: 1-line block ×4, first 2 shown]
	s_wait_alu 0xfffe
	s_delay_alu instid0(VALU_DEP_1) | instskip(SKIP_3) | instid1(VALU_DEP_1)
	v_fma_f64 v[53:54], v[51:52], v[53:54], s[24:25]
	s_mov_b32 s24, 0x7c89e6b0
	s_mov_b32 s25, 0x3efa0199
	s_wait_alu 0xfffe
	v_fma_f64 v[53:54], v[51:52], v[53:54], s[24:25]
	s_mov_b32 s24, 0x14761f6e
	s_mov_b32 s25, 0x3f2a01a0
	s_wait_alu 0xfffe
	s_delay_alu instid0(VALU_DEP_1) | instskip(SKIP_3) | instid1(VALU_DEP_1)
	v_fma_f64 v[53:54], v[51:52], v[53:54], s[24:25]
	s_mov_b32 s24, 0x1852b7b0
	s_mov_b32 s25, 0x3f56c16c
	s_wait_alu 0xfffe
	v_fma_f64 v[53:54], v[51:52], v[53:54], s[24:25]
	s_mov_b32 s24, 0x11122322
	s_mov_b32 s25, 0x3f811111
	;; [unrolled: 9-line block ×3, first 2 shown]
	s_wait_alu 0xfffe
	s_delay_alu instid0(VALU_DEP_1) | instskip(SKIP_3) | instid1(VALU_DEP_1)
	v_fma_f64 v[53:54], v[51:52], v[53:54], s[24:25]
	s_mov_b32 s24, 11
	s_mov_b32 s25, 0x3fe00000
	s_wait_alu 0xfffe
	v_fma_f64 v[53:54], v[51:52], v[53:54], s[24:25]
	v_cmp_ngt_f64_e64 s24, 0xc090cc00, v[47:48]
	s_mov_b32 s25, 0x3fe55555
	v_fma_f64 v[53:54], v[51:52], v[53:54], 1.0
	s_delay_alu instid0(VALU_DEP_1) | instskip(NEXT) | instid1(VALU_DEP_1)
	v_fma_f64 v[49:50], v[51:52], v[53:54], 1.0
	v_ldexp_f64 v[49:50], v[49:50], v55
	s_wait_alu 0xf1ff
	s_delay_alu instid0(VALU_DEP_1) | instskip(SKIP_2) | instid1(VALU_DEP_2)
	v_cndmask_b32_e64 v50, 0x7ff00000, v50, s23
	s_and_b32 s23, s24, s23
	s_wait_alu 0xfffe
	v_cndmask_b32_e64 v47, 0, v49, s23
	s_delay_alu instid0(VALU_DEP_2) | instskip(SKIP_1) | instid1(VALU_DEP_1)
	v_cndmask_b32_e64 v48, 0, v50, s24
	s_mov_b32 s24, 0x55555555
	v_add_f64_e32 v[49:50], 1.0, v[47:48]
	s_delay_alu instid0(VALU_DEP_1) | instskip(SKIP_3) | instid1(VALU_DEP_3)
	v_frexp_mant_f64_e32 v[51:52], v[49:50]
	v_frexp_exp_i32_f64_e32 v55, v[49:50]
	v_add_f64_e32 v[53:54], -1.0, v[49:50]
	s_wait_alu 0xfffe
	v_cmp_gt_f64_e64 s23, s[24:25], v[51:52]
	s_mov_b32 s24, 0x55555780
	v_add_f64_e64 v[51:52], v[53:54], -v[49:50]
	v_add_f64_e64 v[53:54], v[47:48], -v[53:54]
	s_wait_alu 0xf1ff
	v_subrev_co_ci_u32_e64 v96, null, 0, v55, s23
	s_delay_alu instid0(VALU_DEP_3) | instskip(SKIP_1) | instid1(VALU_DEP_3)
	v_add_f64_e32 v[51:52], 1.0, v[51:52]
	v_cmp_nge_f64_e64 s23, -1.0, v[47:48]
	v_sub_nc_u32_e32 v57, 0, v96
	s_delay_alu instid0(VALU_DEP_1) | instskip(NEXT) | instid1(VALU_DEP_4)
	v_ldexp_f64 v[49:50], v[49:50], v57
	v_add_f64_e32 v[51:52], v[53:54], v[51:52]
	s_delay_alu instid0(VALU_DEP_2) | instskip(SKIP_1) | instid1(VALU_DEP_3)
	v_add_f64_e32 v[55:56], 1.0, v[49:50]
	v_add_f64_e32 v[61:62], -1.0, v[49:50]
	v_ldexp_f64 v[51:52], v[51:52], v57
	s_delay_alu instid0(VALU_DEP_3) | instskip(NEXT) | instid1(VALU_DEP_3)
	v_add_f64_e32 v[53:54], -1.0, v[55:56]
	v_add_f64_e32 v[69:70], 1.0, v[61:62]
	s_delay_alu instid0(VALU_DEP_2) | instskip(NEXT) | instid1(VALU_DEP_2)
	v_add_f64_e64 v[53:54], v[49:50], -v[53:54]
	v_add_f64_e64 v[49:50], v[49:50], -v[69:70]
	s_delay_alu instid0(VALU_DEP_2) | instskip(NEXT) | instid1(VALU_DEP_2)
	v_add_f64_e32 v[53:54], v[51:52], v[53:54]
	v_add_f64_e32 v[49:50], v[51:52], v[49:50]
	s_delay_alu instid0(VALU_DEP_2) | instskip(NEXT) | instid1(VALU_DEP_2)
	v_add_f64_e32 v[57:58], v[55:56], v[53:54]
	v_add_f64_e32 v[69:70], v[61:62], v[49:50]
	s_delay_alu instid0(VALU_DEP_2) | instskip(SKIP_1) | instid1(VALU_DEP_2)
	v_rcp_f64_e32 v[59:60], v[57:58]
	v_add_f64_e64 v[55:56], v[57:58], -v[55:56]
	v_add_f64_e64 v[61:62], v[69:70], -v[61:62]
	s_delay_alu instid0(VALU_DEP_2) | instskip(NEXT) | instid1(TRANS32_DEP_1)
	v_add_f64_e64 v[53:54], v[53:54], -v[55:56]
	v_fma_f64 v[71:72], -v[57:58], v[59:60], 1.0
	s_delay_alu instid0(VALU_DEP_3) | instskip(NEXT) | instid1(VALU_DEP_2)
	v_add_f64_e64 v[49:50], v[49:50], -v[61:62]
	v_fma_f64 v[59:60], v[71:72], v[59:60], v[59:60]
	s_delay_alu instid0(VALU_DEP_1) | instskip(NEXT) | instid1(VALU_DEP_1)
	v_fma_f64 v[51:52], -v[57:58], v[59:60], 1.0
	v_fma_f64 v[51:52], v[51:52], v[59:60], v[59:60]
	s_delay_alu instid0(VALU_DEP_1) | instskip(NEXT) | instid1(VALU_DEP_1)
	v_mul_f64_e32 v[59:60], v[69:70], v[51:52]
	v_mul_f64_e32 v[71:72], v[57:58], v[59:60]
	s_delay_alu instid0(VALU_DEP_1) | instskip(NEXT) | instid1(VALU_DEP_1)
	v_fma_f64 v[55:56], v[59:60], v[57:58], -v[71:72]
	v_fma_f64 v[55:56], v[59:60], v[53:54], v[55:56]
	s_delay_alu instid0(VALU_DEP_1) | instskip(NEXT) | instid1(VALU_DEP_1)
	v_add_f64_e32 v[73:74], v[71:72], v[55:56]
	v_add_f64_e64 v[75:76], v[69:70], -v[73:74]
	v_add_f64_e64 v[61:62], v[73:74], -v[71:72]
	s_delay_alu instid0(VALU_DEP_2) | instskip(NEXT) | instid1(VALU_DEP_2)
	v_add_f64_e64 v[69:70], v[69:70], -v[75:76]
	v_add_f64_e64 v[55:56], v[61:62], -v[55:56]
	s_delay_alu instid0(VALU_DEP_2) | instskip(NEXT) | instid1(VALU_DEP_1)
	v_add_f64_e64 v[69:70], v[69:70], -v[73:74]
	v_add_f64_e32 v[49:50], v[49:50], v[69:70]
	s_delay_alu instid0(VALU_DEP_1) | instskip(NEXT) | instid1(VALU_DEP_1)
	v_add_f64_e32 v[49:50], v[55:56], v[49:50]
	v_add_f64_e32 v[55:56], v[75:76], v[49:50]
	s_delay_alu instid0(VALU_DEP_1) | instskip(SKIP_1) | instid1(VALU_DEP_2)
	v_mul_f64_e32 v[61:62], v[51:52], v[55:56]
	v_add_f64_e64 v[73:74], v[75:76], -v[55:56]
	v_mul_f64_e32 v[69:70], v[57:58], v[61:62]
	s_delay_alu instid0(VALU_DEP_2) | instskip(NEXT) | instid1(VALU_DEP_2)
	v_add_f64_e32 v[49:50], v[49:50], v[73:74]
	v_fma_f64 v[57:58], v[61:62], v[57:58], -v[69:70]
	s_delay_alu instid0(VALU_DEP_1) | instskip(NEXT) | instid1(VALU_DEP_1)
	v_fma_f64 v[53:54], v[61:62], v[53:54], v[57:58]
	v_add_f64_e32 v[57:58], v[69:70], v[53:54]
	s_delay_alu instid0(VALU_DEP_1) | instskip(SKIP_1) | instid1(VALU_DEP_2)
	v_add_f64_e64 v[71:72], v[55:56], -v[57:58]
	v_add_f64_e64 v[69:70], v[57:58], -v[69:70]
	;; [unrolled: 1-line block ×3, first 2 shown]
	s_delay_alu instid0(VALU_DEP_2) | instskip(NEXT) | instid1(VALU_DEP_2)
	v_add_f64_e64 v[53:54], v[69:70], -v[53:54]
	v_add_f64_e64 v[55:56], v[55:56], -v[57:58]
	s_delay_alu instid0(VALU_DEP_1) | instskip(SKIP_1) | instid1(VALU_DEP_2)
	v_add_f64_e32 v[49:50], v[49:50], v[55:56]
	v_add_f64_e32 v[55:56], v[59:60], v[61:62]
	;; [unrolled: 1-line block ×3, first 2 shown]
	s_delay_alu instid0(VALU_DEP_2) | instskip(NEXT) | instid1(VALU_DEP_2)
	v_add_f64_e64 v[53:54], v[55:56], -v[59:60]
	v_add_f64_e32 v[49:50], v[71:72], v[49:50]
	s_delay_alu instid0(VALU_DEP_2) | instskip(NEXT) | instid1(VALU_DEP_2)
	v_add_f64_e64 v[53:54], v[61:62], -v[53:54]
	v_mul_f64_e32 v[49:50], v[51:52], v[49:50]
	s_delay_alu instid0(VALU_DEP_1) | instskip(NEXT) | instid1(VALU_DEP_1)
	v_add_f64_e32 v[49:50], v[53:54], v[49:50]
	v_add_f64_e32 v[51:52], v[55:56], v[49:50]
	s_delay_alu instid0(VALU_DEP_1) | instskip(NEXT) | instid1(VALU_DEP_1)
	v_mul_f64_e32 v[53:54], v[51:52], v[51:52]
	v_fma_f64 v[57:58], v[53:54], s[36:37], s[34:35]
	s_mov_b32 s34, 0xd7f4df2e
	s_mov_b32 s35, 0x3fc7474d
	v_mul_f64_e32 v[59:60], v[51:52], v[53:54]
	s_wait_alu 0xfffe
	s_delay_alu instid0(VALU_DEP_2) | instskip(SKIP_3) | instid1(VALU_DEP_1)
	v_fma_f64 v[57:58], v[53:54], v[57:58], s[34:35]
	s_mov_b32 s34, 0x16291751
	s_mov_b32 s35, 0x3fcc71c0
	s_wait_alu 0xfffe
	v_fma_f64 v[57:58], v[53:54], v[57:58], s[34:35]
	s_mov_b32 s34, 0x9b27acf1
	s_mov_b32 s35, 0x3fd24924
	s_wait_alu 0xfffe
	s_delay_alu instid0(VALU_DEP_1) | instskip(SKIP_3) | instid1(VALU_DEP_1)
	v_fma_f64 v[57:58], v[53:54], v[57:58], s[34:35]
	s_mov_b32 s34, 0x998ef7b6
	s_mov_b32 s35, 0x3fd99999
	s_wait_alu 0xfffe
	v_fma_f64 v[57:58], v[53:54], v[57:58], s[34:35]
	s_delay_alu instid0(VALU_DEP_1)
	v_fma_f64 v[53:54], v[53:54], v[57:58], s[24:25]
	v_ldexp_f64 v[57:58], v[51:52], 1
	v_add_f64_e64 v[51:52], v[51:52], -v[55:56]
	v_cmp_neq_f64_e64 s24, 0x7ff00000, v[47:48]
	v_cmp_ngt_f64_e64 s25, -1.0, v[47:48]
	v_mul_f64_e32 v[53:54], v[59:60], v[53:54]
	v_cvt_f64_i32_e32 v[59:60], v96
	v_add_f64_e64 v[49:50], v[49:50], -v[51:52]
	s_and_b32 s23, s23, s24
	s_delay_alu instid0(VALU_DEP_3) | instskip(NEXT) | instid1(VALU_DEP_3)
	v_add_f64_e32 v[55:56], v[57:58], v[53:54]
	v_mul_f64_e32 v[61:62], s[26:27], v[59:60]
	s_delay_alu instid0(VALU_DEP_3) | instskip(NEXT) | instid1(VALU_DEP_3)
	v_ldexp_f64 v[49:50], v[49:50], 1
	v_add_f64_e64 v[51:52], v[55:56], -v[57:58]
	s_delay_alu instid0(VALU_DEP_3) | instskip(NEXT) | instid1(VALU_DEP_2)
	v_fma_f64 v[57:58], v[59:60], s[26:27], -v[61:62]
	v_add_f64_e64 v[51:52], v[53:54], -v[51:52]
	s_delay_alu instid0(VALU_DEP_2) | instskip(NEXT) | instid1(VALU_DEP_2)
	v_fma_f64 v[53:54], v[59:60], s[28:29], v[57:58]
	v_add_f64_e32 v[49:50], v[49:50], v[51:52]
	s_delay_alu instid0(VALU_DEP_2) | instskip(NEXT) | instid1(VALU_DEP_2)
	v_add_f64_e32 v[51:52], v[61:62], v[53:54]
	v_add_f64_e32 v[57:58], v[55:56], v[49:50]
	s_delay_alu instid0(VALU_DEP_2) | instskip(NEXT) | instid1(VALU_DEP_2)
	v_add_f64_e64 v[61:62], v[51:52], -v[61:62]
	v_add_f64_e32 v[59:60], v[51:52], v[57:58]
	v_add_f64_e64 v[55:56], v[57:58], -v[55:56]
	s_delay_alu instid0(VALU_DEP_3) | instskip(NEXT) | instid1(VALU_DEP_3)
	v_add_f64_e64 v[53:54], v[53:54], -v[61:62]
	v_add_f64_e64 v[69:70], v[59:60], -v[51:52]
	s_delay_alu instid0(VALU_DEP_3) | instskip(NEXT) | instid1(VALU_DEP_2)
	v_add_f64_e64 v[49:50], v[49:50], -v[55:56]
	v_add_f64_e64 v[71:72], v[59:60], -v[69:70]
	v_add_f64_e64 v[55:56], v[57:58], -v[69:70]
	s_delay_alu instid0(VALU_DEP_3) | instskip(NEXT) | instid1(VALU_DEP_3)
	v_add_f64_e32 v[57:58], v[53:54], v[49:50]
	v_add_f64_e64 v[51:52], v[51:52], -v[71:72]
	s_delay_alu instid0(VALU_DEP_1) | instskip(NEXT) | instid1(VALU_DEP_3)
	v_add_f64_e32 v[51:52], v[55:56], v[51:52]
	v_add_f64_e64 v[55:56], v[57:58], -v[53:54]
	s_delay_alu instid0(VALU_DEP_2) | instskip(NEXT) | instid1(VALU_DEP_2)
	v_add_f64_e32 v[51:52], v[57:58], v[51:52]
	v_add_f64_e64 v[57:58], v[57:58], -v[55:56]
	v_add_f64_e64 v[49:50], v[49:50], -v[55:56]
	s_delay_alu instid0(VALU_DEP_3) | instskip(NEXT) | instid1(VALU_DEP_3)
	v_add_f64_e32 v[61:62], v[59:60], v[51:52]
	v_add_f64_e64 v[53:54], v[53:54], -v[57:58]
	s_delay_alu instid0(VALU_DEP_2) | instskip(NEXT) | instid1(VALU_DEP_2)
	v_add_f64_e64 v[55:56], v[61:62], -v[59:60]
	v_add_f64_e32 v[49:50], v[49:50], v[53:54]
	s_delay_alu instid0(VALU_DEP_2) | instskip(NEXT) | instid1(VALU_DEP_1)
	v_add_f64_e64 v[51:52], v[51:52], -v[55:56]
	v_add_f64_e32 v[49:50], v[49:50], v[51:52]
	s_delay_alu instid0(VALU_DEP_1) | instskip(SKIP_1) | instid1(VALU_DEP_1)
	v_add_f64_e32 v[49:50], v[61:62], v[49:50]
	s_wait_alu 0xfffe
	v_cndmask_b32_e64 v49, 0, v49, s23
	v_cmp_neq_f64_e64 s23, -1.0, v[47:48]
	s_delay_alu instid0(VALU_DEP_3) | instskip(NEXT) | instid1(VALU_DEP_1)
	v_cndmask_b32_e64 v50, 0x7ff00000, v50, s24
	v_cndmask_b32_e64 v50, 0x7ff80000, v50, s25
	s_wait_alu 0xf1ff
	s_delay_alu instid0(VALU_DEP_1) | instskip(NEXT) | instid1(VALU_DEP_1)
	v_cndmask_b32_e64 v50, 0xfff00000, v50, s23
	v_add_f64_e32 v[69:70], v[45:46], v[49:50]
.LBB23_44:
	s_wait_alu 0xfffe
	s_or_b32 exec_lo, exec_lo, s30
	v_max_num_f64_e32 v[45:46], v[23:24], v[23:24]
	s_delay_alu instid0(VALU_DEP_2) | instskip(SKIP_2) | instid1(VALU_DEP_3)
	v_max_num_f64_e32 v[47:48], v[69:70], v[69:70]
	v_cmp_u_f64_e64 s24, v[69:70], v[69:70]
	v_cmp_u_f64_e64 s23, v[23:24], v[23:24]
	v_min_num_f64_e32 v[49:50], v[47:48], v[45:46]
	v_max_num_f64_e32 v[47:48], v[47:48], v[45:46]
	s_wait_alu 0xf1ff
	s_delay_alu instid0(VALU_DEP_2) | instskip(NEXT) | instid1(VALU_DEP_3)
	v_cndmask_b32_e64 v49, v49, v69, s24
	v_cndmask_b32_e64 v50, v50, v70, s24
	s_delay_alu instid0(VALU_DEP_3) | instskip(NEXT) | instid1(VALU_DEP_4)
	v_cndmask_b32_e64 v48, v48, v70, s24
	v_cndmask_b32_e64 v47, v47, v69, s24
	s_delay_alu instid0(VALU_DEP_4) | instskip(NEXT) | instid1(VALU_DEP_4)
	v_cndmask_b32_e64 v49, v49, v23, s23
	v_cndmask_b32_e64 v50, v50, v24, s23
	s_delay_alu instid0(VALU_DEP_4) | instskip(NEXT) | instid1(VALU_DEP_4)
	v_cndmask_b32_e64 v48, v48, v24, s23
	v_cndmask_b32_e64 v47, v47, v23, s23
	s_delay_alu instid0(VALU_DEP_3) | instskip(NEXT) | instid1(VALU_DEP_2)
	v_cmp_class_f64_e64 s25, v[49:50], 0x1f8
	v_cmp_neq_f64_e64 s24, v[49:50], v[47:48]
	s_or_b32 s24, s24, s25
	s_wait_alu 0xfffe
	s_and_saveexec_b32 s30, s24
	s_cbranch_execz .LBB23_46
; %bb.45:
	v_add_f64_e64 v[49:50], v[49:50], -v[47:48]
	s_mov_b32 s24, 0x652b82fe
	s_mov_b32 s25, 0x3ff71547
	;; [unrolled: 1-line block ×10, first 2 shown]
	s_wait_alu 0xfffe
	s_delay_alu instid0(VALU_DEP_1) | instskip(SKIP_2) | instid1(VALU_DEP_1)
	v_mul_f64_e32 v[51:52], s[24:25], v[49:50]
	s_mov_b32 s24, 0xfca7ab0c
	s_mov_b32 s25, 0x3e928af3
	v_rndne_f64_e32 v[51:52], v[51:52]
	s_delay_alu instid0(VALU_DEP_1) | instskip(SKIP_2) | instid1(VALU_DEP_2)
	v_fma_f64 v[53:54], v[51:52], s[26:27], v[49:50]
	v_cvt_i32_f64_e32 v57, v[51:52]
	s_mov_b32 s27, 0x3fe62e42
	v_fma_f64 v[53:54], v[51:52], s[28:29], v[53:54]
	s_mov_b32 s29, 0x3c7abc9e
	s_wait_alu 0xfffe
	s_delay_alu instid0(VALU_DEP_1)
	v_fma_f64 v[55:56], v[53:54], s[34:35], s[24:25]
	s_mov_b32 s24, 0x623fde64
	s_mov_b32 s25, 0x3ec71dee
	;; [unrolled: 1-line block ×4, first 2 shown]
	s_wait_alu 0xfffe
	s_delay_alu instid0(VALU_DEP_1) | instskip(SKIP_3) | instid1(VALU_DEP_1)
	v_fma_f64 v[55:56], v[53:54], v[55:56], s[24:25]
	s_mov_b32 s24, 0x7c89e6b0
	s_mov_b32 s25, 0x3efa0199
	s_wait_alu 0xfffe
	v_fma_f64 v[55:56], v[53:54], v[55:56], s[24:25]
	s_mov_b32 s24, 0x14761f6e
	s_mov_b32 s25, 0x3f2a01a0
	s_wait_alu 0xfffe
	s_delay_alu instid0(VALU_DEP_1) | instskip(SKIP_3) | instid1(VALU_DEP_1)
	v_fma_f64 v[55:56], v[53:54], v[55:56], s[24:25]
	s_mov_b32 s24, 0x1852b7b0
	s_mov_b32 s25, 0x3f56c16c
	s_wait_alu 0xfffe
	v_fma_f64 v[55:56], v[53:54], v[55:56], s[24:25]
	s_mov_b32 s24, 0x11122322
	s_mov_b32 s25, 0x3f811111
	;; [unrolled: 9-line block ×3, first 2 shown]
	s_wait_alu 0xfffe
	s_delay_alu instid0(VALU_DEP_1) | instskip(SKIP_3) | instid1(VALU_DEP_1)
	v_fma_f64 v[55:56], v[53:54], v[55:56], s[24:25]
	s_mov_b32 s24, 11
	s_mov_b32 s25, 0x3fe00000
	s_wait_alu 0xfffe
	v_fma_f64 v[55:56], v[53:54], v[55:56], s[24:25]
	v_cmp_nlt_f64_e64 s24, 0x40900000, v[49:50]
	v_cmp_ngt_f64_e64 s25, 0xc090cc00, v[49:50]
	s_delay_alu instid0(VALU_DEP_3) | instskip(NEXT) | instid1(VALU_DEP_1)
	v_fma_f64 v[55:56], v[53:54], v[55:56], 1.0
	v_fma_f64 v[51:52], v[53:54], v[55:56], 1.0
	s_delay_alu instid0(VALU_DEP_1) | instskip(SKIP_1) | instid1(VALU_DEP_1)
	v_ldexp_f64 v[51:52], v[51:52], v57
	s_wait_alu 0xf1ff
	v_cndmask_b32_e64 v52, 0x7ff00000, v52, s24
	s_and_b32 s24, s25, s24
	s_wait_alu 0xfffe
	s_delay_alu instid0(VALU_DEP_2) | instskip(SKIP_3) | instid1(VALU_DEP_1)
	v_cndmask_b32_e64 v49, 0, v51, s24
	s_mov_b32 s24, 0x55555555
	v_cndmask_b32_e64 v50, 0, v52, s25
	s_mov_b32 s25, 0x3fe55555
	v_add_f64_e32 v[51:52], 1.0, v[49:50]
	s_delay_alu instid0(VALU_DEP_1) | instskip(SKIP_3) | instid1(VALU_DEP_3)
	v_frexp_mant_f64_e32 v[53:54], v[51:52]
	v_frexp_exp_i32_f64_e32 v57, v[51:52]
	v_add_f64_e32 v[55:56], -1.0, v[51:52]
	s_wait_alu 0xfffe
	v_cmp_gt_f64_e64 s24, s[24:25], v[53:54]
	s_delay_alu instid0(VALU_DEP_2) | instskip(SKIP_2) | instid1(VALU_DEP_3)
	v_add_f64_e64 v[53:54], v[55:56], -v[51:52]
	v_add_f64_e64 v[55:56], v[49:50], -v[55:56]
	s_wait_alu 0xf1ff
	v_subrev_co_ci_u32_e64 v98, null, 0, v57, s24
	s_delay_alu instid0(VALU_DEP_3) | instskip(SKIP_1) | instid1(VALU_DEP_2)
	v_add_f64_e32 v[53:54], 1.0, v[53:54]
	s_mov_b32 s24, 0x55555780
	v_sub_nc_u32_e32 v59, 0, v98
	s_delay_alu instid0(VALU_DEP_1) | instskip(NEXT) | instid1(VALU_DEP_3)
	v_ldexp_f64 v[51:52], v[51:52], v59
	v_add_f64_e32 v[53:54], v[55:56], v[53:54]
	s_delay_alu instid0(VALU_DEP_2) | instskip(SKIP_1) | instid1(VALU_DEP_3)
	v_add_f64_e32 v[57:58], 1.0, v[51:52]
	v_add_f64_e32 v[69:70], -1.0, v[51:52]
	v_ldexp_f64 v[53:54], v[53:54], v59
	s_delay_alu instid0(VALU_DEP_3) | instskip(NEXT) | instid1(VALU_DEP_3)
	v_add_f64_e32 v[55:56], -1.0, v[57:58]
	v_add_f64_e32 v[71:72], 1.0, v[69:70]
	s_delay_alu instid0(VALU_DEP_2) | instskip(NEXT) | instid1(VALU_DEP_2)
	v_add_f64_e64 v[55:56], v[51:52], -v[55:56]
	v_add_f64_e64 v[51:52], v[51:52], -v[71:72]
	s_delay_alu instid0(VALU_DEP_2) | instskip(NEXT) | instid1(VALU_DEP_2)
	v_add_f64_e32 v[55:56], v[53:54], v[55:56]
	v_add_f64_e32 v[51:52], v[53:54], v[51:52]
	s_delay_alu instid0(VALU_DEP_2) | instskip(NEXT) | instid1(VALU_DEP_2)
	v_add_f64_e32 v[59:60], v[57:58], v[55:56]
	v_add_f64_e32 v[71:72], v[69:70], v[51:52]
	s_delay_alu instid0(VALU_DEP_2) | instskip(SKIP_1) | instid1(VALU_DEP_2)
	v_rcp_f64_e32 v[61:62], v[59:60]
	v_add_f64_e64 v[57:58], v[59:60], -v[57:58]
	v_add_f64_e64 v[69:70], v[71:72], -v[69:70]
	s_delay_alu instid0(VALU_DEP_2) | instskip(NEXT) | instid1(TRANS32_DEP_1)
	v_add_f64_e64 v[55:56], v[55:56], -v[57:58]
	v_fma_f64 v[73:74], -v[59:60], v[61:62], 1.0
	s_delay_alu instid0(VALU_DEP_3) | instskip(NEXT) | instid1(VALU_DEP_2)
	v_add_f64_e64 v[51:52], v[51:52], -v[69:70]
	v_fma_f64 v[61:62], v[73:74], v[61:62], v[61:62]
	s_delay_alu instid0(VALU_DEP_1) | instskip(NEXT) | instid1(VALU_DEP_1)
	v_fma_f64 v[53:54], -v[59:60], v[61:62], 1.0
	v_fma_f64 v[53:54], v[53:54], v[61:62], v[61:62]
	s_delay_alu instid0(VALU_DEP_1) | instskip(NEXT) | instid1(VALU_DEP_1)
	v_mul_f64_e32 v[61:62], v[71:72], v[53:54]
	v_mul_f64_e32 v[73:74], v[59:60], v[61:62]
	s_delay_alu instid0(VALU_DEP_1) | instskip(NEXT) | instid1(VALU_DEP_1)
	v_fma_f64 v[57:58], v[61:62], v[59:60], -v[73:74]
	v_fma_f64 v[57:58], v[61:62], v[55:56], v[57:58]
	s_delay_alu instid0(VALU_DEP_1) | instskip(NEXT) | instid1(VALU_DEP_1)
	v_add_f64_e32 v[75:76], v[73:74], v[57:58]
	v_add_f64_e64 v[96:97], v[71:72], -v[75:76]
	v_add_f64_e64 v[69:70], v[75:76], -v[73:74]
	s_delay_alu instid0(VALU_DEP_2) | instskip(NEXT) | instid1(VALU_DEP_2)
	v_add_f64_e64 v[71:72], v[71:72], -v[96:97]
	v_add_f64_e64 v[57:58], v[69:70], -v[57:58]
	s_delay_alu instid0(VALU_DEP_2) | instskip(NEXT) | instid1(VALU_DEP_1)
	v_add_f64_e64 v[71:72], v[71:72], -v[75:76]
	v_add_f64_e32 v[51:52], v[51:52], v[71:72]
	s_delay_alu instid0(VALU_DEP_1) | instskip(NEXT) | instid1(VALU_DEP_1)
	v_add_f64_e32 v[51:52], v[57:58], v[51:52]
	v_add_f64_e32 v[57:58], v[96:97], v[51:52]
	s_delay_alu instid0(VALU_DEP_1) | instskip(SKIP_1) | instid1(VALU_DEP_2)
	v_mul_f64_e32 v[69:70], v[53:54], v[57:58]
	v_add_f64_e64 v[75:76], v[96:97], -v[57:58]
	v_mul_f64_e32 v[71:72], v[59:60], v[69:70]
	s_delay_alu instid0(VALU_DEP_2) | instskip(NEXT) | instid1(VALU_DEP_2)
	v_add_f64_e32 v[51:52], v[51:52], v[75:76]
	v_fma_f64 v[59:60], v[69:70], v[59:60], -v[71:72]
	s_delay_alu instid0(VALU_DEP_1) | instskip(NEXT) | instid1(VALU_DEP_1)
	v_fma_f64 v[55:56], v[69:70], v[55:56], v[59:60]
	v_add_f64_e32 v[59:60], v[71:72], v[55:56]
	s_delay_alu instid0(VALU_DEP_1) | instskip(SKIP_1) | instid1(VALU_DEP_2)
	v_add_f64_e64 v[73:74], v[57:58], -v[59:60]
	v_add_f64_e64 v[71:72], v[59:60], -v[71:72]
	;; [unrolled: 1-line block ×3, first 2 shown]
	s_delay_alu instid0(VALU_DEP_2) | instskip(NEXT) | instid1(VALU_DEP_2)
	v_add_f64_e64 v[55:56], v[71:72], -v[55:56]
	v_add_f64_e64 v[57:58], v[57:58], -v[59:60]
	s_delay_alu instid0(VALU_DEP_1) | instskip(SKIP_1) | instid1(VALU_DEP_2)
	v_add_f64_e32 v[51:52], v[51:52], v[57:58]
	v_add_f64_e32 v[57:58], v[61:62], v[69:70]
	;; [unrolled: 1-line block ×3, first 2 shown]
	s_delay_alu instid0(VALU_DEP_2) | instskip(NEXT) | instid1(VALU_DEP_2)
	v_add_f64_e64 v[55:56], v[57:58], -v[61:62]
	v_add_f64_e32 v[51:52], v[73:74], v[51:52]
	s_delay_alu instid0(VALU_DEP_2) | instskip(NEXT) | instid1(VALU_DEP_2)
	v_add_f64_e64 v[55:56], v[69:70], -v[55:56]
	v_mul_f64_e32 v[51:52], v[53:54], v[51:52]
	s_delay_alu instid0(VALU_DEP_1) | instskip(NEXT) | instid1(VALU_DEP_1)
	v_add_f64_e32 v[51:52], v[55:56], v[51:52]
	v_add_f64_e32 v[53:54], v[57:58], v[51:52]
	s_delay_alu instid0(VALU_DEP_1) | instskip(NEXT) | instid1(VALU_DEP_1)
	v_mul_f64_e32 v[55:56], v[53:54], v[53:54]
	v_fma_f64 v[59:60], v[55:56], s[36:37], s[34:35]
	s_mov_b32 s34, 0xd7f4df2e
	s_mov_b32 s35, 0x3fc7474d
	v_mul_f64_e32 v[61:62], v[53:54], v[55:56]
	s_wait_alu 0xfffe
	s_delay_alu instid0(VALU_DEP_2) | instskip(SKIP_3) | instid1(VALU_DEP_1)
	v_fma_f64 v[59:60], v[55:56], v[59:60], s[34:35]
	s_mov_b32 s34, 0x16291751
	s_mov_b32 s35, 0x3fcc71c0
	s_wait_alu 0xfffe
	v_fma_f64 v[59:60], v[55:56], v[59:60], s[34:35]
	s_mov_b32 s34, 0x9b27acf1
	s_mov_b32 s35, 0x3fd24924
	s_wait_alu 0xfffe
	s_delay_alu instid0(VALU_DEP_1) | instskip(SKIP_3) | instid1(VALU_DEP_1)
	v_fma_f64 v[59:60], v[55:56], v[59:60], s[34:35]
	s_mov_b32 s34, 0x998ef7b6
	s_mov_b32 s35, 0x3fd99999
	s_wait_alu 0xfffe
	v_fma_f64 v[59:60], v[55:56], v[59:60], s[34:35]
	s_delay_alu instid0(VALU_DEP_1)
	v_fma_f64 v[55:56], v[55:56], v[59:60], s[24:25]
	v_ldexp_f64 v[59:60], v[53:54], 1
	v_add_f64_e64 v[53:54], v[53:54], -v[57:58]
	v_cmp_nge_f64_e64 s24, -1.0, v[49:50]
	v_cmp_neq_f64_e64 s25, 0x7ff00000, v[49:50]
	v_mul_f64_e32 v[55:56], v[61:62], v[55:56]
	v_cvt_f64_i32_e32 v[61:62], v98
	v_add_f64_e64 v[51:52], v[51:52], -v[53:54]
	s_and_b32 s24, s24, s25
	s_delay_alu instid0(VALU_DEP_3) | instskip(NEXT) | instid1(VALU_DEP_3)
	v_add_f64_e32 v[57:58], v[59:60], v[55:56]
	v_mul_f64_e32 v[69:70], s[26:27], v[61:62]
	s_delay_alu instid0(VALU_DEP_3) | instskip(NEXT) | instid1(VALU_DEP_3)
	v_ldexp_f64 v[51:52], v[51:52], 1
	v_add_f64_e64 v[53:54], v[57:58], -v[59:60]
	s_delay_alu instid0(VALU_DEP_3) | instskip(SKIP_1) | instid1(VALU_DEP_3)
	v_fma_f64 v[59:60], v[61:62], s[26:27], -v[69:70]
	v_cmp_ngt_f64_e64 s26, -1.0, v[49:50]
	v_add_f64_e64 v[53:54], v[55:56], -v[53:54]
	s_delay_alu instid0(VALU_DEP_3) | instskip(NEXT) | instid1(VALU_DEP_2)
	v_fma_f64 v[55:56], v[61:62], s[28:29], v[59:60]
	v_add_f64_e32 v[51:52], v[51:52], v[53:54]
	s_delay_alu instid0(VALU_DEP_2) | instskip(NEXT) | instid1(VALU_DEP_2)
	v_add_f64_e32 v[53:54], v[69:70], v[55:56]
	v_add_f64_e32 v[59:60], v[57:58], v[51:52]
	s_delay_alu instid0(VALU_DEP_2) | instskip(NEXT) | instid1(VALU_DEP_2)
	v_add_f64_e64 v[69:70], v[53:54], -v[69:70]
	v_add_f64_e32 v[61:62], v[53:54], v[59:60]
	v_add_f64_e64 v[57:58], v[59:60], -v[57:58]
	s_delay_alu instid0(VALU_DEP_3) | instskip(NEXT) | instid1(VALU_DEP_3)
	v_add_f64_e64 v[55:56], v[55:56], -v[69:70]
	v_add_f64_e64 v[71:72], v[61:62], -v[53:54]
	s_delay_alu instid0(VALU_DEP_3) | instskip(NEXT) | instid1(VALU_DEP_2)
	v_add_f64_e64 v[51:52], v[51:52], -v[57:58]
	v_add_f64_e64 v[73:74], v[61:62], -v[71:72]
	v_add_f64_e64 v[57:58], v[59:60], -v[71:72]
	s_delay_alu instid0(VALU_DEP_3) | instskip(NEXT) | instid1(VALU_DEP_3)
	v_add_f64_e32 v[59:60], v[55:56], v[51:52]
	v_add_f64_e64 v[53:54], v[53:54], -v[73:74]
	s_delay_alu instid0(VALU_DEP_1) | instskip(NEXT) | instid1(VALU_DEP_3)
	v_add_f64_e32 v[53:54], v[57:58], v[53:54]
	v_add_f64_e64 v[57:58], v[59:60], -v[55:56]
	s_delay_alu instid0(VALU_DEP_2) | instskip(NEXT) | instid1(VALU_DEP_2)
	v_add_f64_e32 v[53:54], v[59:60], v[53:54]
	v_add_f64_e64 v[59:60], v[59:60], -v[57:58]
	v_add_f64_e64 v[51:52], v[51:52], -v[57:58]
	s_delay_alu instid0(VALU_DEP_3) | instskip(NEXT) | instid1(VALU_DEP_3)
	v_add_f64_e32 v[69:70], v[61:62], v[53:54]
	v_add_f64_e64 v[55:56], v[55:56], -v[59:60]
	s_delay_alu instid0(VALU_DEP_2) | instskip(NEXT) | instid1(VALU_DEP_2)
	v_add_f64_e64 v[57:58], v[69:70], -v[61:62]
	v_add_f64_e32 v[51:52], v[51:52], v[55:56]
	s_delay_alu instid0(VALU_DEP_2) | instskip(NEXT) | instid1(VALU_DEP_1)
	v_add_f64_e64 v[53:54], v[53:54], -v[57:58]
	v_add_f64_e32 v[51:52], v[51:52], v[53:54]
	s_delay_alu instid0(VALU_DEP_1) | instskip(SKIP_1) | instid1(VALU_DEP_1)
	v_add_f64_e32 v[51:52], v[69:70], v[51:52]
	s_wait_alu 0xfffe
	v_cndmask_b32_e64 v51, 0, v51, s24
	v_cmp_neq_f64_e64 s24, -1.0, v[49:50]
	s_delay_alu instid0(VALU_DEP_3) | instskip(SKIP_1) | instid1(VALU_DEP_1)
	v_cndmask_b32_e64 v52, 0x7ff00000, v52, s25
	s_wait_alu 0xf1ff
	v_cndmask_b32_e64 v52, 0x7ff80000, v52, s26
	s_delay_alu instid0(VALU_DEP_1) | instskip(NEXT) | instid1(VALU_DEP_1)
	v_cndmask_b32_e64 v52, 0xfff00000, v52, s24
	v_add_f64_e32 v[69:70], v[47:48], v[51:52]
.LBB23_46:
	s_wait_alu 0xfffe
	s_or_b32 exec_lo, exec_lo, s30
	v_max_num_f64_e32 v[47:48], v[17:18], v[17:18]
	s_delay_alu instid0(VALU_DEP_2) | instskip(SKIP_2) | instid1(VALU_DEP_3)
	v_max_num_f64_e32 v[49:50], v[69:70], v[69:70]
	v_cmp_u_f64_e64 s25, v[69:70], v[69:70]
	v_cmp_u_f64_e64 s24, v[17:18], v[17:18]
	v_min_num_f64_e32 v[51:52], v[49:50], v[47:48]
	v_max_num_f64_e32 v[49:50], v[49:50], v[47:48]
	s_wait_alu 0xf1ff
	s_delay_alu instid0(VALU_DEP_2) | instskip(NEXT) | instid1(VALU_DEP_3)
	v_cndmask_b32_e64 v51, v51, v69, s25
	v_cndmask_b32_e64 v52, v52, v70, s25
	s_delay_alu instid0(VALU_DEP_3) | instskip(NEXT) | instid1(VALU_DEP_4)
	v_cndmask_b32_e64 v50, v50, v70, s25
	v_cndmask_b32_e64 v49, v49, v69, s25
	s_delay_alu instid0(VALU_DEP_4) | instskip(NEXT) | instid1(VALU_DEP_4)
	v_cndmask_b32_e64 v51, v51, v17, s24
	v_cndmask_b32_e64 v52, v52, v18, s24
	s_delay_alu instid0(VALU_DEP_4) | instskip(NEXT) | instid1(VALU_DEP_4)
	v_cndmask_b32_e64 v50, v50, v18, s24
	v_cndmask_b32_e64 v49, v49, v17, s24
	s_delay_alu instid0(VALU_DEP_3) | instskip(NEXT) | instid1(VALU_DEP_2)
	v_cmp_class_f64_e64 s26, v[51:52], 0x1f8
	v_cmp_neq_f64_e64 s25, v[51:52], v[49:50]
	s_or_b32 s25, s25, s26
	s_wait_alu 0xfffe
	s_and_saveexec_b32 s34, s25
	s_cbranch_execz .LBB23_48
; %bb.47:
	v_add_f64_e64 v[51:52], v[51:52], -v[49:50]
	s_mov_b32 s26, 0x652b82fe
	s_mov_b32 s27, 0x3ff71547
	;; [unrolled: 1-line block ×10, first 2 shown]
	s_wait_alu 0xfffe
	s_delay_alu instid0(VALU_DEP_1) | instskip(SKIP_3) | instid1(VALU_DEP_2)
	v_mul_f64_e32 v[53:54], s[26:27], v[51:52]
	s_mov_b32 s26, 0xfca7ab0c
	s_mov_b32 s27, 0x3e928af3
	v_cmp_nlt_f64_e64 s25, 0x40900000, v[51:52]
	v_rndne_f64_e32 v[53:54], v[53:54]
	s_delay_alu instid0(VALU_DEP_1) | instskip(SKIP_2) | instid1(VALU_DEP_2)
	v_fma_f64 v[55:56], v[53:54], s[28:29], v[51:52]
	v_cvt_i32_f64_e32 v59, v[53:54]
	s_mov_b32 s29, 0x3fe62e42
	v_fma_f64 v[55:56], v[53:54], s[30:31], v[55:56]
	s_mov_b32 s31, 0x3c7abc9e
	s_wait_alu 0xfffe
	s_delay_alu instid0(VALU_DEP_1)
	v_fma_f64 v[57:58], v[55:56], s[36:37], s[26:27]
	s_mov_b32 s26, 0x623fde64
	s_mov_b32 s27, 0x3ec71dee
	;; [unrolled: 1-line block ×4, first 2 shown]
	s_wait_alu 0xfffe
	s_delay_alu instid0(VALU_DEP_1) | instskip(SKIP_3) | instid1(VALU_DEP_1)
	v_fma_f64 v[57:58], v[55:56], v[57:58], s[26:27]
	s_mov_b32 s26, 0x7c89e6b0
	s_mov_b32 s27, 0x3efa0199
	s_wait_alu 0xfffe
	v_fma_f64 v[57:58], v[55:56], v[57:58], s[26:27]
	s_mov_b32 s26, 0x14761f6e
	s_mov_b32 s27, 0x3f2a01a0
	s_wait_alu 0xfffe
	s_delay_alu instid0(VALU_DEP_1) | instskip(SKIP_3) | instid1(VALU_DEP_1)
	v_fma_f64 v[57:58], v[55:56], v[57:58], s[26:27]
	s_mov_b32 s26, 0x1852b7b0
	s_mov_b32 s27, 0x3f56c16c
	s_wait_alu 0xfffe
	v_fma_f64 v[57:58], v[55:56], v[57:58], s[26:27]
	s_mov_b32 s26, 0x11122322
	s_mov_b32 s27, 0x3f811111
	s_wait_alu 0xfffe
	s_delay_alu instid0(VALU_DEP_1) | instskip(SKIP_3) | instid1(VALU_DEP_1)
	v_fma_f64 v[57:58], v[55:56], v[57:58], s[26:27]
	s_mov_b32 s26, 0x555502a1
	s_mov_b32 s27, 0x3fa55555
	s_wait_alu 0xfffe
	v_fma_f64 v[57:58], v[55:56], v[57:58], s[26:27]
	s_mov_b32 s26, 0x55555511
	s_mov_b32 s27, 0x3fc55555
	s_wait_alu 0xfffe
	s_delay_alu instid0(VALU_DEP_1) | instskip(SKIP_3) | instid1(VALU_DEP_1)
	v_fma_f64 v[57:58], v[55:56], v[57:58], s[26:27]
	s_mov_b32 s26, 11
	s_mov_b32 s27, 0x3fe00000
	s_wait_alu 0xfffe
	v_fma_f64 v[57:58], v[55:56], v[57:58], s[26:27]
	v_cmp_ngt_f64_e64 s26, 0xc090cc00, v[51:52]
	s_mov_b32 s27, 0x3fe55555
	v_fma_f64 v[57:58], v[55:56], v[57:58], 1.0
	s_delay_alu instid0(VALU_DEP_1) | instskip(NEXT) | instid1(VALU_DEP_1)
	v_fma_f64 v[53:54], v[55:56], v[57:58], 1.0
	v_ldexp_f64 v[53:54], v[53:54], v59
	s_wait_alu 0xf1ff
	s_delay_alu instid0(VALU_DEP_1) | instskip(SKIP_2) | instid1(VALU_DEP_2)
	v_cndmask_b32_e64 v54, 0x7ff00000, v54, s25
	s_and_b32 s25, s26, s25
	s_wait_alu 0xfffe
	v_cndmask_b32_e64 v51, 0, v53, s25
	s_delay_alu instid0(VALU_DEP_2) | instskip(SKIP_1) | instid1(VALU_DEP_1)
	v_cndmask_b32_e64 v52, 0, v54, s26
	s_mov_b32 s26, 0x55555555
	v_add_f64_e32 v[53:54], 1.0, v[51:52]
	s_delay_alu instid0(VALU_DEP_1) | instskip(SKIP_3) | instid1(VALU_DEP_3)
	v_frexp_mant_f64_e32 v[55:56], v[53:54]
	v_frexp_exp_i32_f64_e32 v59, v[53:54]
	v_add_f64_e32 v[57:58], -1.0, v[53:54]
	s_wait_alu 0xfffe
	v_cmp_gt_f64_e64 s25, s[26:27], v[55:56]
	s_mov_b32 s26, 0x55555780
	v_add_f64_e64 v[55:56], v[57:58], -v[53:54]
	v_add_f64_e64 v[57:58], v[51:52], -v[57:58]
	s_wait_alu 0xf1ff
	v_subrev_co_ci_u32_e64 v100, null, 0, v59, s25
	s_delay_alu instid0(VALU_DEP_3) | instskip(SKIP_1) | instid1(VALU_DEP_3)
	v_add_f64_e32 v[55:56], 1.0, v[55:56]
	v_cmp_nge_f64_e64 s25, -1.0, v[51:52]
	v_sub_nc_u32_e32 v61, 0, v100
	s_delay_alu instid0(VALU_DEP_1) | instskip(NEXT) | instid1(VALU_DEP_4)
	v_ldexp_f64 v[53:54], v[53:54], v61
	v_add_f64_e32 v[55:56], v[57:58], v[55:56]
	s_delay_alu instid0(VALU_DEP_2) | instskip(SKIP_1) | instid1(VALU_DEP_3)
	v_add_f64_e32 v[59:60], 1.0, v[53:54]
	v_add_f64_e32 v[71:72], -1.0, v[53:54]
	v_ldexp_f64 v[55:56], v[55:56], v61
	s_delay_alu instid0(VALU_DEP_3) | instskip(NEXT) | instid1(VALU_DEP_3)
	v_add_f64_e32 v[57:58], -1.0, v[59:60]
	v_add_f64_e32 v[73:74], 1.0, v[71:72]
	s_delay_alu instid0(VALU_DEP_2) | instskip(NEXT) | instid1(VALU_DEP_2)
	v_add_f64_e64 v[57:58], v[53:54], -v[57:58]
	v_add_f64_e64 v[53:54], v[53:54], -v[73:74]
	s_delay_alu instid0(VALU_DEP_2) | instskip(NEXT) | instid1(VALU_DEP_2)
	v_add_f64_e32 v[57:58], v[55:56], v[57:58]
	v_add_f64_e32 v[53:54], v[55:56], v[53:54]
	s_delay_alu instid0(VALU_DEP_2) | instskip(NEXT) | instid1(VALU_DEP_2)
	v_add_f64_e32 v[61:62], v[59:60], v[57:58]
	v_add_f64_e32 v[73:74], v[71:72], v[53:54]
	s_delay_alu instid0(VALU_DEP_2) | instskip(SKIP_1) | instid1(VALU_DEP_2)
	v_rcp_f64_e32 v[69:70], v[61:62]
	v_add_f64_e64 v[59:60], v[61:62], -v[59:60]
	v_add_f64_e64 v[71:72], v[73:74], -v[71:72]
	s_delay_alu instid0(VALU_DEP_2) | instskip(NEXT) | instid1(TRANS32_DEP_1)
	v_add_f64_e64 v[57:58], v[57:58], -v[59:60]
	v_fma_f64 v[75:76], -v[61:62], v[69:70], 1.0
	s_delay_alu instid0(VALU_DEP_3) | instskip(NEXT) | instid1(VALU_DEP_2)
	v_add_f64_e64 v[53:54], v[53:54], -v[71:72]
	v_fma_f64 v[69:70], v[75:76], v[69:70], v[69:70]
	s_delay_alu instid0(VALU_DEP_1) | instskip(NEXT) | instid1(VALU_DEP_1)
	v_fma_f64 v[55:56], -v[61:62], v[69:70], 1.0
	v_fma_f64 v[55:56], v[55:56], v[69:70], v[69:70]
	s_delay_alu instid0(VALU_DEP_1) | instskip(NEXT) | instid1(VALU_DEP_1)
	v_mul_f64_e32 v[69:70], v[73:74], v[55:56]
	v_mul_f64_e32 v[75:76], v[61:62], v[69:70]
	s_delay_alu instid0(VALU_DEP_1) | instskip(NEXT) | instid1(VALU_DEP_1)
	v_fma_f64 v[59:60], v[69:70], v[61:62], -v[75:76]
	v_fma_f64 v[59:60], v[69:70], v[57:58], v[59:60]
	s_delay_alu instid0(VALU_DEP_1) | instskip(NEXT) | instid1(VALU_DEP_1)
	v_add_f64_e32 v[96:97], v[75:76], v[59:60]
	v_add_f64_e64 v[98:99], v[73:74], -v[96:97]
	v_add_f64_e64 v[71:72], v[96:97], -v[75:76]
	s_delay_alu instid0(VALU_DEP_2) | instskip(NEXT) | instid1(VALU_DEP_2)
	v_add_f64_e64 v[73:74], v[73:74], -v[98:99]
	v_add_f64_e64 v[59:60], v[71:72], -v[59:60]
	s_delay_alu instid0(VALU_DEP_2) | instskip(NEXT) | instid1(VALU_DEP_1)
	v_add_f64_e64 v[73:74], v[73:74], -v[96:97]
	v_add_f64_e32 v[53:54], v[53:54], v[73:74]
	s_delay_alu instid0(VALU_DEP_1) | instskip(NEXT) | instid1(VALU_DEP_1)
	v_add_f64_e32 v[53:54], v[59:60], v[53:54]
	v_add_f64_e32 v[59:60], v[98:99], v[53:54]
	s_delay_alu instid0(VALU_DEP_1) | instskip(SKIP_1) | instid1(VALU_DEP_2)
	v_mul_f64_e32 v[71:72], v[55:56], v[59:60]
	v_add_f64_e64 v[96:97], v[98:99], -v[59:60]
	v_mul_f64_e32 v[73:74], v[61:62], v[71:72]
	s_delay_alu instid0(VALU_DEP_2) | instskip(NEXT) | instid1(VALU_DEP_2)
	v_add_f64_e32 v[53:54], v[53:54], v[96:97]
	v_fma_f64 v[61:62], v[71:72], v[61:62], -v[73:74]
	s_delay_alu instid0(VALU_DEP_1) | instskip(NEXT) | instid1(VALU_DEP_1)
	v_fma_f64 v[57:58], v[71:72], v[57:58], v[61:62]
	v_add_f64_e32 v[61:62], v[73:74], v[57:58]
	s_delay_alu instid0(VALU_DEP_1) | instskip(SKIP_1) | instid1(VALU_DEP_2)
	v_add_f64_e64 v[75:76], v[59:60], -v[61:62]
	v_add_f64_e64 v[73:74], v[61:62], -v[73:74]
	;; [unrolled: 1-line block ×3, first 2 shown]
	s_delay_alu instid0(VALU_DEP_2) | instskip(NEXT) | instid1(VALU_DEP_2)
	v_add_f64_e64 v[57:58], v[73:74], -v[57:58]
	v_add_f64_e64 v[59:60], v[59:60], -v[61:62]
	s_delay_alu instid0(VALU_DEP_1) | instskip(SKIP_1) | instid1(VALU_DEP_2)
	v_add_f64_e32 v[53:54], v[53:54], v[59:60]
	v_add_f64_e32 v[59:60], v[69:70], v[71:72]
	;; [unrolled: 1-line block ×3, first 2 shown]
	s_delay_alu instid0(VALU_DEP_2) | instskip(NEXT) | instid1(VALU_DEP_2)
	v_add_f64_e64 v[57:58], v[59:60], -v[69:70]
	v_add_f64_e32 v[53:54], v[75:76], v[53:54]
	s_delay_alu instid0(VALU_DEP_2) | instskip(NEXT) | instid1(VALU_DEP_2)
	v_add_f64_e64 v[57:58], v[71:72], -v[57:58]
	v_mul_f64_e32 v[53:54], v[55:56], v[53:54]
	s_delay_alu instid0(VALU_DEP_1) | instskip(NEXT) | instid1(VALU_DEP_1)
	v_add_f64_e32 v[53:54], v[57:58], v[53:54]
	v_add_f64_e32 v[55:56], v[59:60], v[53:54]
	s_delay_alu instid0(VALU_DEP_1) | instskip(NEXT) | instid1(VALU_DEP_1)
	v_mul_f64_e32 v[57:58], v[55:56], v[55:56]
	v_fma_f64 v[61:62], v[57:58], s[38:39], s[36:37]
	s_mov_b32 s36, 0xd7f4df2e
	s_mov_b32 s37, 0x3fc7474d
	v_mul_f64_e32 v[69:70], v[55:56], v[57:58]
	s_wait_alu 0xfffe
	s_delay_alu instid0(VALU_DEP_2) | instskip(SKIP_3) | instid1(VALU_DEP_1)
	v_fma_f64 v[61:62], v[57:58], v[61:62], s[36:37]
	s_mov_b32 s36, 0x16291751
	s_mov_b32 s37, 0x3fcc71c0
	s_wait_alu 0xfffe
	v_fma_f64 v[61:62], v[57:58], v[61:62], s[36:37]
	s_mov_b32 s36, 0x9b27acf1
	s_mov_b32 s37, 0x3fd24924
	s_wait_alu 0xfffe
	s_delay_alu instid0(VALU_DEP_1) | instskip(SKIP_3) | instid1(VALU_DEP_1)
	v_fma_f64 v[61:62], v[57:58], v[61:62], s[36:37]
	s_mov_b32 s36, 0x998ef7b6
	s_mov_b32 s37, 0x3fd99999
	s_wait_alu 0xfffe
	v_fma_f64 v[61:62], v[57:58], v[61:62], s[36:37]
	s_delay_alu instid0(VALU_DEP_1)
	v_fma_f64 v[57:58], v[57:58], v[61:62], s[26:27]
	v_ldexp_f64 v[61:62], v[55:56], 1
	v_add_f64_e64 v[55:56], v[55:56], -v[59:60]
	v_cmp_neq_f64_e64 s26, 0x7ff00000, v[51:52]
	v_cmp_ngt_f64_e64 s27, -1.0, v[51:52]
	v_mul_f64_e32 v[57:58], v[69:70], v[57:58]
	v_cvt_f64_i32_e32 v[69:70], v100
	v_add_f64_e64 v[53:54], v[53:54], -v[55:56]
	s_and_b32 s25, s25, s26
	s_delay_alu instid0(VALU_DEP_3) | instskip(NEXT) | instid1(VALU_DEP_3)
	v_add_f64_e32 v[59:60], v[61:62], v[57:58]
	v_mul_f64_e32 v[71:72], s[28:29], v[69:70]
	s_delay_alu instid0(VALU_DEP_3) | instskip(NEXT) | instid1(VALU_DEP_3)
	v_ldexp_f64 v[53:54], v[53:54], 1
	v_add_f64_e64 v[55:56], v[59:60], -v[61:62]
	s_delay_alu instid0(VALU_DEP_3) | instskip(NEXT) | instid1(VALU_DEP_2)
	v_fma_f64 v[61:62], v[69:70], s[28:29], -v[71:72]
	v_add_f64_e64 v[55:56], v[57:58], -v[55:56]
	s_delay_alu instid0(VALU_DEP_2) | instskip(NEXT) | instid1(VALU_DEP_2)
	v_fma_f64 v[57:58], v[69:70], s[30:31], v[61:62]
	v_add_f64_e32 v[53:54], v[53:54], v[55:56]
	s_delay_alu instid0(VALU_DEP_2) | instskip(NEXT) | instid1(VALU_DEP_2)
	v_add_f64_e32 v[55:56], v[71:72], v[57:58]
	v_add_f64_e32 v[61:62], v[59:60], v[53:54]
	s_delay_alu instid0(VALU_DEP_2) | instskip(NEXT) | instid1(VALU_DEP_2)
	v_add_f64_e64 v[71:72], v[55:56], -v[71:72]
	v_add_f64_e32 v[69:70], v[55:56], v[61:62]
	v_add_f64_e64 v[59:60], v[61:62], -v[59:60]
	s_delay_alu instid0(VALU_DEP_3) | instskip(NEXT) | instid1(VALU_DEP_3)
	v_add_f64_e64 v[57:58], v[57:58], -v[71:72]
	v_add_f64_e64 v[73:74], v[69:70], -v[55:56]
	s_delay_alu instid0(VALU_DEP_3) | instskip(NEXT) | instid1(VALU_DEP_2)
	v_add_f64_e64 v[53:54], v[53:54], -v[59:60]
	v_add_f64_e64 v[75:76], v[69:70], -v[73:74]
	;; [unrolled: 1-line block ×3, first 2 shown]
	s_delay_alu instid0(VALU_DEP_3) | instskip(NEXT) | instid1(VALU_DEP_3)
	v_add_f64_e32 v[61:62], v[57:58], v[53:54]
	v_add_f64_e64 v[55:56], v[55:56], -v[75:76]
	s_delay_alu instid0(VALU_DEP_1) | instskip(NEXT) | instid1(VALU_DEP_3)
	v_add_f64_e32 v[55:56], v[59:60], v[55:56]
	v_add_f64_e64 v[59:60], v[61:62], -v[57:58]
	s_delay_alu instid0(VALU_DEP_2) | instskip(NEXT) | instid1(VALU_DEP_2)
	v_add_f64_e32 v[55:56], v[61:62], v[55:56]
	v_add_f64_e64 v[61:62], v[61:62], -v[59:60]
	v_add_f64_e64 v[53:54], v[53:54], -v[59:60]
	s_delay_alu instid0(VALU_DEP_3) | instskip(NEXT) | instid1(VALU_DEP_3)
	v_add_f64_e32 v[71:72], v[69:70], v[55:56]
	v_add_f64_e64 v[57:58], v[57:58], -v[61:62]
	s_delay_alu instid0(VALU_DEP_2) | instskip(NEXT) | instid1(VALU_DEP_2)
	v_add_f64_e64 v[59:60], v[71:72], -v[69:70]
	v_add_f64_e32 v[53:54], v[53:54], v[57:58]
	s_delay_alu instid0(VALU_DEP_2) | instskip(NEXT) | instid1(VALU_DEP_1)
	v_add_f64_e64 v[55:56], v[55:56], -v[59:60]
	v_add_f64_e32 v[53:54], v[53:54], v[55:56]
	s_delay_alu instid0(VALU_DEP_1) | instskip(SKIP_1) | instid1(VALU_DEP_1)
	v_add_f64_e32 v[53:54], v[71:72], v[53:54]
	s_wait_alu 0xfffe
	v_cndmask_b32_e64 v53, 0, v53, s25
	v_cmp_neq_f64_e64 s25, -1.0, v[51:52]
	s_delay_alu instid0(VALU_DEP_3) | instskip(NEXT) | instid1(VALU_DEP_1)
	v_cndmask_b32_e64 v54, 0x7ff00000, v54, s26
	v_cndmask_b32_e64 v54, 0x7ff80000, v54, s27
	s_wait_alu 0xf1ff
	s_delay_alu instid0(VALU_DEP_1) | instskip(NEXT) | instid1(VALU_DEP_1)
	v_cndmask_b32_e64 v54, 0xfff00000, v54, s25
	v_add_f64_e32 v[69:70], v[49:50], v[53:54]
.LBB23_48:
	s_wait_alu 0xfffe
	s_or_b32 exec_lo, exec_lo, s34
	v_max_num_f64_e32 v[49:50], v[19:20], v[19:20]
	s_delay_alu instid0(VALU_DEP_2) | instskip(SKIP_2) | instid1(VALU_DEP_3)
	v_max_num_f64_e32 v[51:52], v[69:70], v[69:70]
	v_cmp_u_f64_e64 s26, v[69:70], v[69:70]
	v_cmp_u_f64_e64 s25, v[19:20], v[19:20]
	v_min_num_f64_e32 v[53:54], v[51:52], v[49:50]
	v_max_num_f64_e32 v[51:52], v[51:52], v[49:50]
	s_wait_alu 0xf1ff
	s_delay_alu instid0(VALU_DEP_2) | instskip(NEXT) | instid1(VALU_DEP_3)
	v_cndmask_b32_e64 v53, v53, v69, s26
	v_cndmask_b32_e64 v54, v54, v70, s26
	s_delay_alu instid0(VALU_DEP_3) | instskip(NEXT) | instid1(VALU_DEP_4)
	v_cndmask_b32_e64 v52, v52, v70, s26
	v_cndmask_b32_e64 v51, v51, v69, s26
	s_delay_alu instid0(VALU_DEP_4) | instskip(NEXT) | instid1(VALU_DEP_4)
	v_cndmask_b32_e64 v53, v53, v19, s25
	v_cndmask_b32_e64 v54, v54, v20, s25
	s_delay_alu instid0(VALU_DEP_4) | instskip(NEXT) | instid1(VALU_DEP_4)
	v_cndmask_b32_e64 v52, v52, v20, s25
	v_cndmask_b32_e64 v51, v51, v19, s25
	s_delay_alu instid0(VALU_DEP_3) | instskip(NEXT) | instid1(VALU_DEP_2)
	v_cmp_class_f64_e64 s27, v[53:54], 0x1f8
	v_cmp_neq_f64_e64 s26, v[53:54], v[51:52]
	s_or_b32 s26, s26, s27
	s_wait_alu 0xfffe
	s_and_saveexec_b32 s34, s26
	s_cbranch_execz .LBB23_50
; %bb.49:
	v_add_f64_e64 v[53:54], v[53:54], -v[51:52]
	s_mov_b32 s26, 0x652b82fe
	s_mov_b32 s27, 0x3ff71547
	;; [unrolled: 1-line block ×10, first 2 shown]
	s_wait_alu 0xfffe
	s_delay_alu instid0(VALU_DEP_1) | instskip(SKIP_2) | instid1(VALU_DEP_1)
	v_mul_f64_e32 v[55:56], s[26:27], v[53:54]
	s_mov_b32 s26, 0xfca7ab0c
	s_mov_b32 s27, 0x3e928af3
	v_rndne_f64_e32 v[55:56], v[55:56]
	s_delay_alu instid0(VALU_DEP_1) | instskip(SKIP_2) | instid1(VALU_DEP_2)
	v_fma_f64 v[57:58], v[55:56], s[28:29], v[53:54]
	v_cvt_i32_f64_e32 v61, v[55:56]
	s_mov_b32 s29, 0x3fe62e42
	v_fma_f64 v[57:58], v[55:56], s[30:31], v[57:58]
	s_mov_b32 s31, 0x3c7abc9e
	s_wait_alu 0xfffe
	s_delay_alu instid0(VALU_DEP_1)
	v_fma_f64 v[59:60], v[57:58], s[36:37], s[26:27]
	s_mov_b32 s26, 0x623fde64
	s_mov_b32 s27, 0x3ec71dee
	;; [unrolled: 1-line block ×4, first 2 shown]
	s_wait_alu 0xfffe
	s_delay_alu instid0(VALU_DEP_1) | instskip(SKIP_3) | instid1(VALU_DEP_1)
	v_fma_f64 v[59:60], v[57:58], v[59:60], s[26:27]
	s_mov_b32 s26, 0x7c89e6b0
	s_mov_b32 s27, 0x3efa0199
	s_wait_alu 0xfffe
	v_fma_f64 v[59:60], v[57:58], v[59:60], s[26:27]
	s_mov_b32 s26, 0x14761f6e
	s_mov_b32 s27, 0x3f2a01a0
	s_wait_alu 0xfffe
	s_delay_alu instid0(VALU_DEP_1) | instskip(SKIP_3) | instid1(VALU_DEP_1)
	v_fma_f64 v[59:60], v[57:58], v[59:60], s[26:27]
	s_mov_b32 s26, 0x1852b7b0
	s_mov_b32 s27, 0x3f56c16c
	s_wait_alu 0xfffe
	v_fma_f64 v[59:60], v[57:58], v[59:60], s[26:27]
	s_mov_b32 s26, 0x11122322
	s_mov_b32 s27, 0x3f811111
	;; [unrolled: 9-line block ×3, first 2 shown]
	s_wait_alu 0xfffe
	s_delay_alu instid0(VALU_DEP_1) | instskip(SKIP_3) | instid1(VALU_DEP_1)
	v_fma_f64 v[59:60], v[57:58], v[59:60], s[26:27]
	s_mov_b32 s26, 11
	s_mov_b32 s27, 0x3fe00000
	s_wait_alu 0xfffe
	v_fma_f64 v[59:60], v[57:58], v[59:60], s[26:27]
	v_cmp_nlt_f64_e64 s26, 0x40900000, v[53:54]
	v_cmp_ngt_f64_e64 s27, 0xc090cc00, v[53:54]
	s_delay_alu instid0(VALU_DEP_3) | instskip(NEXT) | instid1(VALU_DEP_1)
	v_fma_f64 v[59:60], v[57:58], v[59:60], 1.0
	v_fma_f64 v[55:56], v[57:58], v[59:60], 1.0
	s_delay_alu instid0(VALU_DEP_1) | instskip(SKIP_1) | instid1(VALU_DEP_1)
	v_ldexp_f64 v[55:56], v[55:56], v61
	s_wait_alu 0xf1ff
	v_cndmask_b32_e64 v56, 0x7ff00000, v56, s26
	s_and_b32 s26, s27, s26
	s_wait_alu 0xfffe
	s_delay_alu instid0(VALU_DEP_2) | instskip(SKIP_3) | instid1(VALU_DEP_1)
	v_cndmask_b32_e64 v53, 0, v55, s26
	s_mov_b32 s26, 0x55555555
	v_cndmask_b32_e64 v54, 0, v56, s27
	s_mov_b32 s27, 0x3fe55555
	v_add_f64_e32 v[55:56], 1.0, v[53:54]
	s_delay_alu instid0(VALU_DEP_1) | instskip(SKIP_3) | instid1(VALU_DEP_3)
	v_frexp_mant_f64_e32 v[57:58], v[55:56]
	v_frexp_exp_i32_f64_e32 v61, v[55:56]
	v_add_f64_e32 v[59:60], -1.0, v[55:56]
	s_wait_alu 0xfffe
	v_cmp_gt_f64_e64 s26, s[26:27], v[57:58]
	s_delay_alu instid0(VALU_DEP_2) | instskip(SKIP_2) | instid1(VALU_DEP_3)
	v_add_f64_e64 v[57:58], v[59:60], -v[55:56]
	v_add_f64_e64 v[59:60], v[53:54], -v[59:60]
	s_wait_alu 0xf1ff
	v_subrev_co_ci_u32_e64 v102, null, 0, v61, s26
	s_delay_alu instid0(VALU_DEP_3) | instskip(SKIP_1) | instid1(VALU_DEP_2)
	v_add_f64_e32 v[57:58], 1.0, v[57:58]
	s_mov_b32 s26, 0x55555780
	v_sub_nc_u32_e32 v69, 0, v102
	s_delay_alu instid0(VALU_DEP_1) | instskip(NEXT) | instid1(VALU_DEP_3)
	v_ldexp_f64 v[55:56], v[55:56], v69
	v_add_f64_e32 v[57:58], v[59:60], v[57:58]
	s_delay_alu instid0(VALU_DEP_2) | instskip(SKIP_1) | instid1(VALU_DEP_3)
	v_add_f64_e32 v[61:62], 1.0, v[55:56]
	v_add_f64_e32 v[73:74], -1.0, v[55:56]
	v_ldexp_f64 v[57:58], v[57:58], v69
	s_delay_alu instid0(VALU_DEP_3) | instskip(NEXT) | instid1(VALU_DEP_3)
	v_add_f64_e32 v[59:60], -1.0, v[61:62]
	v_add_f64_e32 v[75:76], 1.0, v[73:74]
	s_delay_alu instid0(VALU_DEP_2) | instskip(NEXT) | instid1(VALU_DEP_2)
	v_add_f64_e64 v[59:60], v[55:56], -v[59:60]
	v_add_f64_e64 v[55:56], v[55:56], -v[75:76]
	s_delay_alu instid0(VALU_DEP_2) | instskip(NEXT) | instid1(VALU_DEP_2)
	v_add_f64_e32 v[59:60], v[57:58], v[59:60]
	v_add_f64_e32 v[55:56], v[57:58], v[55:56]
	s_delay_alu instid0(VALU_DEP_2) | instskip(NEXT) | instid1(VALU_DEP_2)
	v_add_f64_e32 v[69:70], v[61:62], v[59:60]
	v_add_f64_e32 v[75:76], v[73:74], v[55:56]
	s_delay_alu instid0(VALU_DEP_2) | instskip(SKIP_1) | instid1(VALU_DEP_2)
	v_rcp_f64_e32 v[71:72], v[69:70]
	v_add_f64_e64 v[61:62], v[69:70], -v[61:62]
	v_add_f64_e64 v[73:74], v[75:76], -v[73:74]
	s_delay_alu instid0(VALU_DEP_2) | instskip(NEXT) | instid1(TRANS32_DEP_1)
	v_add_f64_e64 v[59:60], v[59:60], -v[61:62]
	v_fma_f64 v[96:97], -v[69:70], v[71:72], 1.0
	s_delay_alu instid0(VALU_DEP_3) | instskip(NEXT) | instid1(VALU_DEP_2)
	v_add_f64_e64 v[55:56], v[55:56], -v[73:74]
	v_fma_f64 v[71:72], v[96:97], v[71:72], v[71:72]
	s_delay_alu instid0(VALU_DEP_1) | instskip(NEXT) | instid1(VALU_DEP_1)
	v_fma_f64 v[57:58], -v[69:70], v[71:72], 1.0
	v_fma_f64 v[57:58], v[57:58], v[71:72], v[71:72]
	s_delay_alu instid0(VALU_DEP_1) | instskip(NEXT) | instid1(VALU_DEP_1)
	v_mul_f64_e32 v[71:72], v[75:76], v[57:58]
	v_mul_f64_e32 v[96:97], v[69:70], v[71:72]
	s_delay_alu instid0(VALU_DEP_1) | instskip(NEXT) | instid1(VALU_DEP_1)
	v_fma_f64 v[61:62], v[71:72], v[69:70], -v[96:97]
	v_fma_f64 v[61:62], v[71:72], v[59:60], v[61:62]
	s_delay_alu instid0(VALU_DEP_1) | instskip(NEXT) | instid1(VALU_DEP_1)
	v_add_f64_e32 v[98:99], v[96:97], v[61:62]
	v_add_f64_e64 v[100:101], v[75:76], -v[98:99]
	v_add_f64_e64 v[73:74], v[98:99], -v[96:97]
	s_delay_alu instid0(VALU_DEP_2) | instskip(NEXT) | instid1(VALU_DEP_2)
	v_add_f64_e64 v[75:76], v[75:76], -v[100:101]
	v_add_f64_e64 v[61:62], v[73:74], -v[61:62]
	s_delay_alu instid0(VALU_DEP_2) | instskip(NEXT) | instid1(VALU_DEP_1)
	v_add_f64_e64 v[75:76], v[75:76], -v[98:99]
	v_add_f64_e32 v[55:56], v[55:56], v[75:76]
	s_delay_alu instid0(VALU_DEP_1) | instskip(NEXT) | instid1(VALU_DEP_1)
	v_add_f64_e32 v[55:56], v[61:62], v[55:56]
	v_add_f64_e32 v[61:62], v[100:101], v[55:56]
	s_delay_alu instid0(VALU_DEP_1) | instskip(SKIP_1) | instid1(VALU_DEP_2)
	v_mul_f64_e32 v[73:74], v[57:58], v[61:62]
	v_add_f64_e64 v[98:99], v[100:101], -v[61:62]
	v_mul_f64_e32 v[75:76], v[69:70], v[73:74]
	s_delay_alu instid0(VALU_DEP_2) | instskip(NEXT) | instid1(VALU_DEP_2)
	v_add_f64_e32 v[55:56], v[55:56], v[98:99]
	v_fma_f64 v[69:70], v[73:74], v[69:70], -v[75:76]
	s_delay_alu instid0(VALU_DEP_1) | instskip(NEXT) | instid1(VALU_DEP_1)
	v_fma_f64 v[59:60], v[73:74], v[59:60], v[69:70]
	v_add_f64_e32 v[69:70], v[75:76], v[59:60]
	s_delay_alu instid0(VALU_DEP_1) | instskip(SKIP_1) | instid1(VALU_DEP_2)
	v_add_f64_e64 v[96:97], v[61:62], -v[69:70]
	v_add_f64_e64 v[75:76], v[69:70], -v[75:76]
	;; [unrolled: 1-line block ×3, first 2 shown]
	s_delay_alu instid0(VALU_DEP_2) | instskip(NEXT) | instid1(VALU_DEP_2)
	v_add_f64_e64 v[59:60], v[75:76], -v[59:60]
	v_add_f64_e64 v[61:62], v[61:62], -v[69:70]
	s_delay_alu instid0(VALU_DEP_1) | instskip(SKIP_1) | instid1(VALU_DEP_2)
	v_add_f64_e32 v[55:56], v[55:56], v[61:62]
	v_add_f64_e32 v[61:62], v[71:72], v[73:74]
	;; [unrolled: 1-line block ×3, first 2 shown]
	s_delay_alu instid0(VALU_DEP_2) | instskip(NEXT) | instid1(VALU_DEP_2)
	v_add_f64_e64 v[59:60], v[61:62], -v[71:72]
	v_add_f64_e32 v[55:56], v[96:97], v[55:56]
	s_delay_alu instid0(VALU_DEP_2) | instskip(NEXT) | instid1(VALU_DEP_2)
	v_add_f64_e64 v[59:60], v[73:74], -v[59:60]
	v_mul_f64_e32 v[55:56], v[57:58], v[55:56]
	s_delay_alu instid0(VALU_DEP_1) | instskip(NEXT) | instid1(VALU_DEP_1)
	v_add_f64_e32 v[55:56], v[59:60], v[55:56]
	v_add_f64_e32 v[57:58], v[61:62], v[55:56]
	s_delay_alu instid0(VALU_DEP_1) | instskip(NEXT) | instid1(VALU_DEP_1)
	v_mul_f64_e32 v[59:60], v[57:58], v[57:58]
	v_fma_f64 v[69:70], v[59:60], s[38:39], s[36:37]
	s_mov_b32 s36, 0xd7f4df2e
	s_mov_b32 s37, 0x3fc7474d
	v_mul_f64_e32 v[71:72], v[57:58], v[59:60]
	s_wait_alu 0xfffe
	s_delay_alu instid0(VALU_DEP_2) | instskip(SKIP_3) | instid1(VALU_DEP_1)
	v_fma_f64 v[69:70], v[59:60], v[69:70], s[36:37]
	s_mov_b32 s36, 0x16291751
	s_mov_b32 s37, 0x3fcc71c0
	s_wait_alu 0xfffe
	v_fma_f64 v[69:70], v[59:60], v[69:70], s[36:37]
	s_mov_b32 s36, 0x9b27acf1
	s_mov_b32 s37, 0x3fd24924
	s_wait_alu 0xfffe
	s_delay_alu instid0(VALU_DEP_1) | instskip(SKIP_3) | instid1(VALU_DEP_1)
	v_fma_f64 v[69:70], v[59:60], v[69:70], s[36:37]
	s_mov_b32 s36, 0x998ef7b6
	s_mov_b32 s37, 0x3fd99999
	s_wait_alu 0xfffe
	v_fma_f64 v[69:70], v[59:60], v[69:70], s[36:37]
	s_delay_alu instid0(VALU_DEP_1)
	v_fma_f64 v[59:60], v[59:60], v[69:70], s[26:27]
	v_ldexp_f64 v[69:70], v[57:58], 1
	v_add_f64_e64 v[57:58], v[57:58], -v[61:62]
	v_cmp_nge_f64_e64 s26, -1.0, v[53:54]
	v_cmp_neq_f64_e64 s27, 0x7ff00000, v[53:54]
	v_mul_f64_e32 v[59:60], v[71:72], v[59:60]
	v_cvt_f64_i32_e32 v[71:72], v102
	v_add_f64_e64 v[55:56], v[55:56], -v[57:58]
	s_and_b32 s26, s26, s27
	s_delay_alu instid0(VALU_DEP_3) | instskip(NEXT) | instid1(VALU_DEP_3)
	v_add_f64_e32 v[61:62], v[69:70], v[59:60]
	v_mul_f64_e32 v[73:74], s[28:29], v[71:72]
	s_delay_alu instid0(VALU_DEP_3) | instskip(NEXT) | instid1(VALU_DEP_3)
	v_ldexp_f64 v[55:56], v[55:56], 1
	v_add_f64_e64 v[57:58], v[61:62], -v[69:70]
	s_delay_alu instid0(VALU_DEP_3) | instskip(SKIP_1) | instid1(VALU_DEP_3)
	v_fma_f64 v[69:70], v[71:72], s[28:29], -v[73:74]
	v_cmp_ngt_f64_e64 s28, -1.0, v[53:54]
	v_add_f64_e64 v[57:58], v[59:60], -v[57:58]
	s_delay_alu instid0(VALU_DEP_3) | instskip(NEXT) | instid1(VALU_DEP_2)
	v_fma_f64 v[59:60], v[71:72], s[30:31], v[69:70]
	v_add_f64_e32 v[55:56], v[55:56], v[57:58]
	s_delay_alu instid0(VALU_DEP_2) | instskip(NEXT) | instid1(VALU_DEP_2)
	v_add_f64_e32 v[57:58], v[73:74], v[59:60]
	v_add_f64_e32 v[69:70], v[61:62], v[55:56]
	s_delay_alu instid0(VALU_DEP_2) | instskip(NEXT) | instid1(VALU_DEP_2)
	v_add_f64_e64 v[73:74], v[57:58], -v[73:74]
	v_add_f64_e32 v[71:72], v[57:58], v[69:70]
	v_add_f64_e64 v[61:62], v[69:70], -v[61:62]
	s_delay_alu instid0(VALU_DEP_3) | instskip(NEXT) | instid1(VALU_DEP_3)
	v_add_f64_e64 v[59:60], v[59:60], -v[73:74]
	v_add_f64_e64 v[75:76], v[71:72], -v[57:58]
	s_delay_alu instid0(VALU_DEP_3) | instskip(NEXT) | instid1(VALU_DEP_2)
	v_add_f64_e64 v[55:56], v[55:56], -v[61:62]
	v_add_f64_e64 v[96:97], v[71:72], -v[75:76]
	;; [unrolled: 1-line block ×3, first 2 shown]
	s_delay_alu instid0(VALU_DEP_3) | instskip(NEXT) | instid1(VALU_DEP_3)
	v_add_f64_e32 v[69:70], v[59:60], v[55:56]
	v_add_f64_e64 v[57:58], v[57:58], -v[96:97]
	s_delay_alu instid0(VALU_DEP_1) | instskip(NEXT) | instid1(VALU_DEP_3)
	v_add_f64_e32 v[57:58], v[61:62], v[57:58]
	v_add_f64_e64 v[61:62], v[69:70], -v[59:60]
	s_delay_alu instid0(VALU_DEP_2) | instskip(NEXT) | instid1(VALU_DEP_2)
	v_add_f64_e32 v[57:58], v[69:70], v[57:58]
	v_add_f64_e64 v[69:70], v[69:70], -v[61:62]
	v_add_f64_e64 v[55:56], v[55:56], -v[61:62]
	s_delay_alu instid0(VALU_DEP_3) | instskip(NEXT) | instid1(VALU_DEP_3)
	v_add_f64_e32 v[73:74], v[71:72], v[57:58]
	v_add_f64_e64 v[59:60], v[59:60], -v[69:70]
	s_delay_alu instid0(VALU_DEP_2) | instskip(NEXT) | instid1(VALU_DEP_2)
	v_add_f64_e64 v[61:62], v[73:74], -v[71:72]
	v_add_f64_e32 v[55:56], v[55:56], v[59:60]
	s_delay_alu instid0(VALU_DEP_2) | instskip(NEXT) | instid1(VALU_DEP_1)
	v_add_f64_e64 v[57:58], v[57:58], -v[61:62]
	v_add_f64_e32 v[55:56], v[55:56], v[57:58]
	s_delay_alu instid0(VALU_DEP_1) | instskip(SKIP_1) | instid1(VALU_DEP_1)
	v_add_f64_e32 v[55:56], v[73:74], v[55:56]
	s_wait_alu 0xfffe
	v_cndmask_b32_e64 v55, 0, v55, s26
	v_cmp_neq_f64_e64 s26, -1.0, v[53:54]
	s_delay_alu instid0(VALU_DEP_3) | instskip(SKIP_1) | instid1(VALU_DEP_1)
	v_cndmask_b32_e64 v56, 0x7ff00000, v56, s27
	s_wait_alu 0xf1ff
	v_cndmask_b32_e64 v56, 0x7ff80000, v56, s28
	s_delay_alu instid0(VALU_DEP_1) | instskip(NEXT) | instid1(VALU_DEP_1)
	v_cndmask_b32_e64 v56, 0xfff00000, v56, s26
	v_add_f64_e32 v[69:70], v[51:52], v[55:56]
.LBB23_50:
	s_wait_alu 0xfffe
	s_or_b32 exec_lo, exec_lo, s34
	v_max_num_f64_e32 v[51:52], v[13:14], v[13:14]
	s_delay_alu instid0(VALU_DEP_2) | instskip(SKIP_2) | instid1(VALU_DEP_3)
	v_max_num_f64_e32 v[53:54], v[69:70], v[69:70]
	v_cmp_u_f64_e64 s27, v[69:70], v[69:70]
	v_cmp_u_f64_e64 s26, v[13:14], v[13:14]
	v_min_num_f64_e32 v[55:56], v[53:54], v[51:52]
	v_max_num_f64_e32 v[53:54], v[53:54], v[51:52]
	s_wait_alu 0xf1ff
	s_delay_alu instid0(VALU_DEP_2) | instskip(NEXT) | instid1(VALU_DEP_3)
	v_cndmask_b32_e64 v55, v55, v69, s27
	v_cndmask_b32_e64 v56, v56, v70, s27
	s_delay_alu instid0(VALU_DEP_3) | instskip(NEXT) | instid1(VALU_DEP_4)
	v_cndmask_b32_e64 v54, v54, v70, s27
	v_cndmask_b32_e64 v53, v53, v69, s27
	s_delay_alu instid0(VALU_DEP_4) | instskip(NEXT) | instid1(VALU_DEP_4)
	v_cndmask_b32_e64 v55, v55, v13, s26
	v_cndmask_b32_e64 v56, v56, v14, s26
	s_delay_alu instid0(VALU_DEP_4) | instskip(NEXT) | instid1(VALU_DEP_4)
	v_cndmask_b32_e64 v54, v54, v14, s26
	v_cndmask_b32_e64 v53, v53, v13, s26
	s_delay_alu instid0(VALU_DEP_3) | instskip(NEXT) | instid1(VALU_DEP_2)
	v_cmp_class_f64_e64 s28, v[55:56], 0x1f8
	v_cmp_neq_f64_e64 s27, v[55:56], v[53:54]
	s_or_b32 s27, s27, s28
	s_wait_alu 0xfffe
	s_and_saveexec_b32 s36, s27
	s_cbranch_execz .LBB23_52
; %bb.51:
	v_add_f64_e64 v[55:56], v[55:56], -v[53:54]
	s_mov_b32 s28, 0x652b82fe
	s_mov_b32 s29, 0x3ff71547
	s_mov_b32 s31, 0xbfe62e42
	s_mov_b32 s30, 0xfefa39ef
	s_mov_b32 s35, 0xbc7abc9e
	s_mov_b32 s34, 0x3b39803f
	s_mov_b32 s38, 0x6a5dcb37
	s_mov_b32 s39, 0x3e5ade15
	s_mov_b32 s40, 0xbf559e2b
	s_mov_b32 s41, 0x3fc3ab76
	s_wait_alu 0xfffe
	s_delay_alu instid0(VALU_DEP_1) | instskip(SKIP_3) | instid1(VALU_DEP_2)
	v_mul_f64_e32 v[57:58], s[28:29], v[55:56]
	s_mov_b32 s28, 0xfca7ab0c
	s_mov_b32 s29, 0x3e928af3
	v_cmp_nlt_f64_e64 s27, 0x40900000, v[55:56]
	v_rndne_f64_e32 v[57:58], v[57:58]
	s_delay_alu instid0(VALU_DEP_1) | instskip(SKIP_2) | instid1(VALU_DEP_2)
	v_fma_f64 v[59:60], v[57:58], s[30:31], v[55:56]
	v_cvt_i32_f64_e32 v69, v[57:58]
	s_mov_b32 s31, 0x3fe62e42
	v_fma_f64 v[59:60], v[57:58], s[34:35], v[59:60]
	s_mov_b32 s35, 0x3c7abc9e
	s_wait_alu 0xfffe
	s_delay_alu instid0(VALU_DEP_1)
	v_fma_f64 v[61:62], v[59:60], s[38:39], s[28:29]
	s_mov_b32 s28, 0x623fde64
	s_mov_b32 s29, 0x3ec71dee
	;; [unrolled: 1-line block ×4, first 2 shown]
	s_wait_alu 0xfffe
	s_delay_alu instid0(VALU_DEP_1) | instskip(SKIP_3) | instid1(VALU_DEP_1)
	v_fma_f64 v[61:62], v[59:60], v[61:62], s[28:29]
	s_mov_b32 s28, 0x7c89e6b0
	s_mov_b32 s29, 0x3efa0199
	s_wait_alu 0xfffe
	v_fma_f64 v[61:62], v[59:60], v[61:62], s[28:29]
	s_mov_b32 s28, 0x14761f6e
	s_mov_b32 s29, 0x3f2a01a0
	s_wait_alu 0xfffe
	s_delay_alu instid0(VALU_DEP_1) | instskip(SKIP_3) | instid1(VALU_DEP_1)
	v_fma_f64 v[61:62], v[59:60], v[61:62], s[28:29]
	s_mov_b32 s28, 0x1852b7b0
	s_mov_b32 s29, 0x3f56c16c
	s_wait_alu 0xfffe
	v_fma_f64 v[61:62], v[59:60], v[61:62], s[28:29]
	s_mov_b32 s28, 0x11122322
	s_mov_b32 s29, 0x3f811111
	;; [unrolled: 9-line block ×3, first 2 shown]
	s_wait_alu 0xfffe
	s_delay_alu instid0(VALU_DEP_1) | instskip(SKIP_3) | instid1(VALU_DEP_1)
	v_fma_f64 v[61:62], v[59:60], v[61:62], s[28:29]
	s_mov_b32 s28, 11
	s_mov_b32 s29, 0x3fe00000
	s_wait_alu 0xfffe
	v_fma_f64 v[61:62], v[59:60], v[61:62], s[28:29]
	v_cmp_ngt_f64_e64 s28, 0xc090cc00, v[55:56]
	s_mov_b32 s29, 0x3fe55555
	v_fma_f64 v[61:62], v[59:60], v[61:62], 1.0
	s_delay_alu instid0(VALU_DEP_1) | instskip(NEXT) | instid1(VALU_DEP_1)
	v_fma_f64 v[57:58], v[59:60], v[61:62], 1.0
	v_ldexp_f64 v[57:58], v[57:58], v69
	s_wait_alu 0xf1ff
	s_delay_alu instid0(VALU_DEP_1) | instskip(SKIP_2) | instid1(VALU_DEP_2)
	v_cndmask_b32_e64 v58, 0x7ff00000, v58, s27
	s_and_b32 s27, s28, s27
	s_wait_alu 0xfffe
	v_cndmask_b32_e64 v55, 0, v57, s27
	s_delay_alu instid0(VALU_DEP_2) | instskip(SKIP_1) | instid1(VALU_DEP_1)
	v_cndmask_b32_e64 v56, 0, v58, s28
	s_mov_b32 s28, 0x55555555
	v_add_f64_e32 v[57:58], 1.0, v[55:56]
	s_delay_alu instid0(VALU_DEP_1) | instskip(SKIP_3) | instid1(VALU_DEP_3)
	v_frexp_mant_f64_e32 v[59:60], v[57:58]
	v_frexp_exp_i32_f64_e32 v69, v[57:58]
	v_add_f64_e32 v[61:62], -1.0, v[57:58]
	s_wait_alu 0xfffe
	v_cmp_gt_f64_e64 s27, s[28:29], v[59:60]
	s_mov_b32 s28, 0x55555780
	v_add_f64_e64 v[59:60], v[61:62], -v[57:58]
	v_add_f64_e64 v[61:62], v[55:56], -v[61:62]
	s_wait_alu 0xf1ff
	v_subrev_co_ci_u32_e64 v104, null, 0, v69, s27
	s_delay_alu instid0(VALU_DEP_3) | instskip(SKIP_1) | instid1(VALU_DEP_3)
	v_add_f64_e32 v[59:60], 1.0, v[59:60]
	v_cmp_nge_f64_e64 s27, -1.0, v[55:56]
	v_sub_nc_u32_e32 v71, 0, v104
	s_delay_alu instid0(VALU_DEP_1) | instskip(NEXT) | instid1(VALU_DEP_4)
	v_ldexp_f64 v[57:58], v[57:58], v71
	v_add_f64_e32 v[59:60], v[61:62], v[59:60]
	s_delay_alu instid0(VALU_DEP_2) | instskip(SKIP_1) | instid1(VALU_DEP_3)
	v_add_f64_e32 v[69:70], 1.0, v[57:58]
	v_add_f64_e32 v[75:76], -1.0, v[57:58]
	v_ldexp_f64 v[59:60], v[59:60], v71
	s_delay_alu instid0(VALU_DEP_3) | instskip(NEXT) | instid1(VALU_DEP_3)
	v_add_f64_e32 v[61:62], -1.0, v[69:70]
	v_add_f64_e32 v[96:97], 1.0, v[75:76]
	s_delay_alu instid0(VALU_DEP_2) | instskip(NEXT) | instid1(VALU_DEP_2)
	v_add_f64_e64 v[61:62], v[57:58], -v[61:62]
	v_add_f64_e64 v[57:58], v[57:58], -v[96:97]
	s_delay_alu instid0(VALU_DEP_2) | instskip(NEXT) | instid1(VALU_DEP_2)
	v_add_f64_e32 v[61:62], v[59:60], v[61:62]
	v_add_f64_e32 v[57:58], v[59:60], v[57:58]
	s_delay_alu instid0(VALU_DEP_2) | instskip(NEXT) | instid1(VALU_DEP_2)
	v_add_f64_e32 v[71:72], v[69:70], v[61:62]
	v_add_f64_e32 v[96:97], v[75:76], v[57:58]
	s_delay_alu instid0(VALU_DEP_2) | instskip(SKIP_1) | instid1(VALU_DEP_2)
	v_rcp_f64_e32 v[73:74], v[71:72]
	v_add_f64_e64 v[69:70], v[71:72], -v[69:70]
	v_add_f64_e64 v[75:76], v[96:97], -v[75:76]
	s_delay_alu instid0(VALU_DEP_2) | instskip(NEXT) | instid1(TRANS32_DEP_1)
	v_add_f64_e64 v[61:62], v[61:62], -v[69:70]
	v_fma_f64 v[98:99], -v[71:72], v[73:74], 1.0
	s_delay_alu instid0(VALU_DEP_3) | instskip(NEXT) | instid1(VALU_DEP_2)
	v_add_f64_e64 v[57:58], v[57:58], -v[75:76]
	v_fma_f64 v[73:74], v[98:99], v[73:74], v[73:74]
	s_delay_alu instid0(VALU_DEP_1) | instskip(NEXT) | instid1(VALU_DEP_1)
	v_fma_f64 v[59:60], -v[71:72], v[73:74], 1.0
	v_fma_f64 v[59:60], v[59:60], v[73:74], v[73:74]
	s_delay_alu instid0(VALU_DEP_1) | instskip(NEXT) | instid1(VALU_DEP_1)
	v_mul_f64_e32 v[73:74], v[96:97], v[59:60]
	v_mul_f64_e32 v[98:99], v[71:72], v[73:74]
	s_delay_alu instid0(VALU_DEP_1) | instskip(NEXT) | instid1(VALU_DEP_1)
	v_fma_f64 v[69:70], v[73:74], v[71:72], -v[98:99]
	v_fma_f64 v[69:70], v[73:74], v[61:62], v[69:70]
	s_delay_alu instid0(VALU_DEP_1) | instskip(NEXT) | instid1(VALU_DEP_1)
	v_add_f64_e32 v[100:101], v[98:99], v[69:70]
	v_add_f64_e64 v[102:103], v[96:97], -v[100:101]
	v_add_f64_e64 v[75:76], v[100:101], -v[98:99]
	s_delay_alu instid0(VALU_DEP_2) | instskip(NEXT) | instid1(VALU_DEP_2)
	v_add_f64_e64 v[96:97], v[96:97], -v[102:103]
	v_add_f64_e64 v[69:70], v[75:76], -v[69:70]
	s_delay_alu instid0(VALU_DEP_2) | instskip(NEXT) | instid1(VALU_DEP_1)
	v_add_f64_e64 v[96:97], v[96:97], -v[100:101]
	v_add_f64_e32 v[57:58], v[57:58], v[96:97]
	s_delay_alu instid0(VALU_DEP_1) | instskip(NEXT) | instid1(VALU_DEP_1)
	v_add_f64_e32 v[57:58], v[69:70], v[57:58]
	v_add_f64_e32 v[69:70], v[102:103], v[57:58]
	s_delay_alu instid0(VALU_DEP_1) | instskip(SKIP_1) | instid1(VALU_DEP_2)
	v_mul_f64_e32 v[75:76], v[59:60], v[69:70]
	v_add_f64_e64 v[100:101], v[102:103], -v[69:70]
	v_mul_f64_e32 v[96:97], v[71:72], v[75:76]
	s_delay_alu instid0(VALU_DEP_2) | instskip(NEXT) | instid1(VALU_DEP_2)
	v_add_f64_e32 v[57:58], v[57:58], v[100:101]
	v_fma_f64 v[71:72], v[75:76], v[71:72], -v[96:97]
	s_delay_alu instid0(VALU_DEP_1) | instskip(NEXT) | instid1(VALU_DEP_1)
	v_fma_f64 v[61:62], v[75:76], v[61:62], v[71:72]
	v_add_f64_e32 v[71:72], v[96:97], v[61:62]
	s_delay_alu instid0(VALU_DEP_1) | instskip(SKIP_1) | instid1(VALU_DEP_2)
	v_add_f64_e64 v[98:99], v[69:70], -v[71:72]
	v_add_f64_e64 v[96:97], v[71:72], -v[96:97]
	;; [unrolled: 1-line block ×3, first 2 shown]
	s_delay_alu instid0(VALU_DEP_2) | instskip(NEXT) | instid1(VALU_DEP_2)
	v_add_f64_e64 v[61:62], v[96:97], -v[61:62]
	v_add_f64_e64 v[69:70], v[69:70], -v[71:72]
	s_delay_alu instid0(VALU_DEP_1) | instskip(SKIP_1) | instid1(VALU_DEP_2)
	v_add_f64_e32 v[57:58], v[57:58], v[69:70]
	v_add_f64_e32 v[69:70], v[73:74], v[75:76]
	v_add_f64_e32 v[57:58], v[61:62], v[57:58]
	s_delay_alu instid0(VALU_DEP_2) | instskip(NEXT) | instid1(VALU_DEP_2)
	v_add_f64_e64 v[61:62], v[69:70], -v[73:74]
	v_add_f64_e32 v[57:58], v[98:99], v[57:58]
	s_delay_alu instid0(VALU_DEP_2) | instskip(NEXT) | instid1(VALU_DEP_2)
	v_add_f64_e64 v[61:62], v[75:76], -v[61:62]
	v_mul_f64_e32 v[57:58], v[59:60], v[57:58]
	s_delay_alu instid0(VALU_DEP_1) | instskip(NEXT) | instid1(VALU_DEP_1)
	v_add_f64_e32 v[57:58], v[61:62], v[57:58]
	v_add_f64_e32 v[59:60], v[69:70], v[57:58]
	s_delay_alu instid0(VALU_DEP_1) | instskip(NEXT) | instid1(VALU_DEP_1)
	v_mul_f64_e32 v[61:62], v[59:60], v[59:60]
	v_fma_f64 v[71:72], v[61:62], s[40:41], s[38:39]
	s_mov_b32 s38, 0xd7f4df2e
	s_mov_b32 s39, 0x3fc7474d
	v_mul_f64_e32 v[73:74], v[59:60], v[61:62]
	s_wait_alu 0xfffe
	s_delay_alu instid0(VALU_DEP_2) | instskip(SKIP_3) | instid1(VALU_DEP_1)
	v_fma_f64 v[71:72], v[61:62], v[71:72], s[38:39]
	s_mov_b32 s38, 0x16291751
	s_mov_b32 s39, 0x3fcc71c0
	s_wait_alu 0xfffe
	v_fma_f64 v[71:72], v[61:62], v[71:72], s[38:39]
	s_mov_b32 s38, 0x9b27acf1
	s_mov_b32 s39, 0x3fd24924
	s_wait_alu 0xfffe
	s_delay_alu instid0(VALU_DEP_1) | instskip(SKIP_3) | instid1(VALU_DEP_1)
	v_fma_f64 v[71:72], v[61:62], v[71:72], s[38:39]
	s_mov_b32 s38, 0x998ef7b6
	s_mov_b32 s39, 0x3fd99999
	s_wait_alu 0xfffe
	v_fma_f64 v[71:72], v[61:62], v[71:72], s[38:39]
	s_delay_alu instid0(VALU_DEP_1)
	v_fma_f64 v[61:62], v[61:62], v[71:72], s[28:29]
	v_ldexp_f64 v[71:72], v[59:60], 1
	v_add_f64_e64 v[59:60], v[59:60], -v[69:70]
	v_cmp_neq_f64_e64 s28, 0x7ff00000, v[55:56]
	v_cmp_ngt_f64_e64 s29, -1.0, v[55:56]
	v_mul_f64_e32 v[61:62], v[73:74], v[61:62]
	v_cvt_f64_i32_e32 v[73:74], v104
	v_add_f64_e64 v[57:58], v[57:58], -v[59:60]
	s_and_b32 s27, s27, s28
	s_delay_alu instid0(VALU_DEP_3) | instskip(NEXT) | instid1(VALU_DEP_3)
	v_add_f64_e32 v[69:70], v[71:72], v[61:62]
	v_mul_f64_e32 v[75:76], s[30:31], v[73:74]
	s_delay_alu instid0(VALU_DEP_3) | instskip(NEXT) | instid1(VALU_DEP_3)
	v_ldexp_f64 v[57:58], v[57:58], 1
	v_add_f64_e64 v[59:60], v[69:70], -v[71:72]
	s_delay_alu instid0(VALU_DEP_3) | instskip(NEXT) | instid1(VALU_DEP_2)
	v_fma_f64 v[71:72], v[73:74], s[30:31], -v[75:76]
	v_add_f64_e64 v[59:60], v[61:62], -v[59:60]
	s_delay_alu instid0(VALU_DEP_2) | instskip(NEXT) | instid1(VALU_DEP_2)
	v_fma_f64 v[61:62], v[73:74], s[34:35], v[71:72]
	v_add_f64_e32 v[57:58], v[57:58], v[59:60]
	s_delay_alu instid0(VALU_DEP_2) | instskip(NEXT) | instid1(VALU_DEP_2)
	v_add_f64_e32 v[59:60], v[75:76], v[61:62]
	v_add_f64_e32 v[71:72], v[69:70], v[57:58]
	s_delay_alu instid0(VALU_DEP_2) | instskip(NEXT) | instid1(VALU_DEP_2)
	v_add_f64_e64 v[75:76], v[59:60], -v[75:76]
	v_add_f64_e32 v[73:74], v[59:60], v[71:72]
	v_add_f64_e64 v[69:70], v[71:72], -v[69:70]
	s_delay_alu instid0(VALU_DEP_3) | instskip(NEXT) | instid1(VALU_DEP_3)
	v_add_f64_e64 v[61:62], v[61:62], -v[75:76]
	v_add_f64_e64 v[96:97], v[73:74], -v[59:60]
	s_delay_alu instid0(VALU_DEP_3) | instskip(NEXT) | instid1(VALU_DEP_2)
	v_add_f64_e64 v[57:58], v[57:58], -v[69:70]
	v_add_f64_e64 v[98:99], v[73:74], -v[96:97]
	;; [unrolled: 1-line block ×3, first 2 shown]
	s_delay_alu instid0(VALU_DEP_3) | instskip(NEXT) | instid1(VALU_DEP_3)
	v_add_f64_e32 v[71:72], v[61:62], v[57:58]
	v_add_f64_e64 v[59:60], v[59:60], -v[98:99]
	s_delay_alu instid0(VALU_DEP_1) | instskip(NEXT) | instid1(VALU_DEP_3)
	v_add_f64_e32 v[59:60], v[69:70], v[59:60]
	v_add_f64_e64 v[69:70], v[71:72], -v[61:62]
	s_delay_alu instid0(VALU_DEP_2) | instskip(NEXT) | instid1(VALU_DEP_2)
	v_add_f64_e32 v[59:60], v[71:72], v[59:60]
	v_add_f64_e64 v[71:72], v[71:72], -v[69:70]
	v_add_f64_e64 v[57:58], v[57:58], -v[69:70]
	s_delay_alu instid0(VALU_DEP_3) | instskip(NEXT) | instid1(VALU_DEP_3)
	v_add_f64_e32 v[75:76], v[73:74], v[59:60]
	v_add_f64_e64 v[61:62], v[61:62], -v[71:72]
	s_delay_alu instid0(VALU_DEP_2) | instskip(NEXT) | instid1(VALU_DEP_2)
	v_add_f64_e64 v[69:70], v[75:76], -v[73:74]
	v_add_f64_e32 v[57:58], v[57:58], v[61:62]
	s_delay_alu instid0(VALU_DEP_2) | instskip(NEXT) | instid1(VALU_DEP_1)
	v_add_f64_e64 v[59:60], v[59:60], -v[69:70]
	v_add_f64_e32 v[57:58], v[57:58], v[59:60]
	s_delay_alu instid0(VALU_DEP_1) | instskip(SKIP_1) | instid1(VALU_DEP_1)
	v_add_f64_e32 v[57:58], v[75:76], v[57:58]
	s_wait_alu 0xfffe
	v_cndmask_b32_e64 v57, 0, v57, s27
	v_cmp_neq_f64_e64 s27, -1.0, v[55:56]
	s_delay_alu instid0(VALU_DEP_3) | instskip(NEXT) | instid1(VALU_DEP_1)
	v_cndmask_b32_e64 v58, 0x7ff00000, v58, s28
	v_cndmask_b32_e64 v58, 0x7ff80000, v58, s29
	s_wait_alu 0xf1ff
	s_delay_alu instid0(VALU_DEP_1) | instskip(NEXT) | instid1(VALU_DEP_1)
	v_cndmask_b32_e64 v58, 0xfff00000, v58, s27
	v_add_f64_e32 v[69:70], v[53:54], v[57:58]
.LBB23_52:
	s_wait_alu 0xfffe
	s_or_b32 exec_lo, exec_lo, s36
	v_max_num_f64_e32 v[53:54], v[15:16], v[15:16]
	s_delay_alu instid0(VALU_DEP_2) | instskip(SKIP_2) | instid1(VALU_DEP_3)
	v_max_num_f64_e32 v[55:56], v[69:70], v[69:70]
	v_cmp_u_f64_e64 s28, v[69:70], v[69:70]
	v_cmp_u_f64_e64 s27, v[15:16], v[15:16]
	v_min_num_f64_e32 v[57:58], v[55:56], v[53:54]
	v_max_num_f64_e32 v[55:56], v[55:56], v[53:54]
	s_wait_alu 0xf1ff
	s_delay_alu instid0(VALU_DEP_2) | instskip(NEXT) | instid1(VALU_DEP_3)
	v_cndmask_b32_e64 v57, v57, v69, s28
	v_cndmask_b32_e64 v58, v58, v70, s28
	s_delay_alu instid0(VALU_DEP_3) | instskip(NEXT) | instid1(VALU_DEP_4)
	v_cndmask_b32_e64 v56, v56, v70, s28
	v_cndmask_b32_e64 v55, v55, v69, s28
	s_delay_alu instid0(VALU_DEP_4) | instskip(NEXT) | instid1(VALU_DEP_4)
	v_cndmask_b32_e64 v57, v57, v15, s27
	v_cndmask_b32_e64 v58, v58, v16, s27
	s_delay_alu instid0(VALU_DEP_4) | instskip(NEXT) | instid1(VALU_DEP_4)
	v_cndmask_b32_e64 v56, v56, v16, s27
	v_cndmask_b32_e64 v55, v55, v15, s27
	s_delay_alu instid0(VALU_DEP_3) | instskip(NEXT) | instid1(VALU_DEP_2)
	v_cmp_class_f64_e64 s29, v[57:58], 0x1f8
	v_cmp_neq_f64_e64 s28, v[57:58], v[55:56]
	s_or_b32 s28, s28, s29
	s_wait_alu 0xfffe
	s_and_saveexec_b32 s36, s28
	s_cbranch_execz .LBB23_54
; %bb.53:
	v_add_f64_e64 v[57:58], v[57:58], -v[55:56]
	s_mov_b32 s28, 0x652b82fe
	s_mov_b32 s29, 0x3ff71547
	;; [unrolled: 1-line block ×10, first 2 shown]
	s_wait_alu 0xfffe
	s_delay_alu instid0(VALU_DEP_1) | instskip(SKIP_2) | instid1(VALU_DEP_1)
	v_mul_f64_e32 v[59:60], s[28:29], v[57:58]
	s_mov_b32 s28, 0xfca7ab0c
	s_mov_b32 s29, 0x3e928af3
	v_rndne_f64_e32 v[59:60], v[59:60]
	s_delay_alu instid0(VALU_DEP_1) | instskip(SKIP_2) | instid1(VALU_DEP_2)
	v_fma_f64 v[61:62], v[59:60], s[30:31], v[57:58]
	v_cvt_i32_f64_e32 v71, v[59:60]
	s_mov_b32 s31, 0x3fe62e42
	v_fma_f64 v[61:62], v[59:60], s[34:35], v[61:62]
	s_mov_b32 s35, 0x3c7abc9e
	s_wait_alu 0xfffe
	s_delay_alu instid0(VALU_DEP_1)
	v_fma_f64 v[69:70], v[61:62], s[38:39], s[28:29]
	s_mov_b32 s28, 0x623fde64
	s_mov_b32 s29, 0x3ec71dee
	;; [unrolled: 1-line block ×4, first 2 shown]
	s_wait_alu 0xfffe
	s_delay_alu instid0(VALU_DEP_1) | instskip(SKIP_3) | instid1(VALU_DEP_1)
	v_fma_f64 v[69:70], v[61:62], v[69:70], s[28:29]
	s_mov_b32 s28, 0x7c89e6b0
	s_mov_b32 s29, 0x3efa0199
	s_wait_alu 0xfffe
	v_fma_f64 v[69:70], v[61:62], v[69:70], s[28:29]
	s_mov_b32 s28, 0x14761f6e
	s_mov_b32 s29, 0x3f2a01a0
	s_wait_alu 0xfffe
	s_delay_alu instid0(VALU_DEP_1) | instskip(SKIP_3) | instid1(VALU_DEP_1)
	v_fma_f64 v[69:70], v[61:62], v[69:70], s[28:29]
	s_mov_b32 s28, 0x1852b7b0
	s_mov_b32 s29, 0x3f56c16c
	s_wait_alu 0xfffe
	v_fma_f64 v[69:70], v[61:62], v[69:70], s[28:29]
	s_mov_b32 s28, 0x11122322
	s_mov_b32 s29, 0x3f811111
	;; [unrolled: 9-line block ×3, first 2 shown]
	s_wait_alu 0xfffe
	s_delay_alu instid0(VALU_DEP_1) | instskip(SKIP_3) | instid1(VALU_DEP_1)
	v_fma_f64 v[69:70], v[61:62], v[69:70], s[28:29]
	s_mov_b32 s28, 11
	s_mov_b32 s29, 0x3fe00000
	s_wait_alu 0xfffe
	v_fma_f64 v[69:70], v[61:62], v[69:70], s[28:29]
	v_cmp_nlt_f64_e64 s28, 0x40900000, v[57:58]
	v_cmp_ngt_f64_e64 s29, 0xc090cc00, v[57:58]
	s_delay_alu instid0(VALU_DEP_3) | instskip(NEXT) | instid1(VALU_DEP_1)
	v_fma_f64 v[69:70], v[61:62], v[69:70], 1.0
	v_fma_f64 v[59:60], v[61:62], v[69:70], 1.0
	s_delay_alu instid0(VALU_DEP_1) | instskip(SKIP_1) | instid1(VALU_DEP_1)
	v_ldexp_f64 v[59:60], v[59:60], v71
	s_wait_alu 0xf1ff
	v_cndmask_b32_e64 v60, 0x7ff00000, v60, s28
	s_and_b32 s28, s29, s28
	s_wait_alu 0xfffe
	s_delay_alu instid0(VALU_DEP_2) | instskip(SKIP_3) | instid1(VALU_DEP_1)
	v_cndmask_b32_e64 v57, 0, v59, s28
	s_mov_b32 s28, 0x55555555
	v_cndmask_b32_e64 v58, 0, v60, s29
	s_mov_b32 s29, 0x3fe55555
	v_add_f64_e32 v[59:60], 1.0, v[57:58]
	s_delay_alu instid0(VALU_DEP_1) | instskip(SKIP_3) | instid1(VALU_DEP_3)
	v_frexp_mant_f64_e32 v[61:62], v[59:60]
	v_frexp_exp_i32_f64_e32 v71, v[59:60]
	v_add_f64_e32 v[69:70], -1.0, v[59:60]
	s_wait_alu 0xfffe
	v_cmp_gt_f64_e64 s28, s[28:29], v[61:62]
	s_delay_alu instid0(VALU_DEP_2) | instskip(SKIP_2) | instid1(VALU_DEP_3)
	v_add_f64_e64 v[61:62], v[69:70], -v[59:60]
	v_add_f64_e64 v[69:70], v[57:58], -v[69:70]
	s_wait_alu 0xf1ff
	v_subrev_co_ci_u32_e64 v106, null, 0, v71, s28
	s_delay_alu instid0(VALU_DEP_3) | instskip(SKIP_1) | instid1(VALU_DEP_2)
	v_add_f64_e32 v[61:62], 1.0, v[61:62]
	s_mov_b32 s28, 0x55555780
	v_sub_nc_u32_e32 v73, 0, v106
	s_delay_alu instid0(VALU_DEP_1) | instskip(NEXT) | instid1(VALU_DEP_3)
	v_ldexp_f64 v[59:60], v[59:60], v73
	v_add_f64_e32 v[61:62], v[69:70], v[61:62]
	s_delay_alu instid0(VALU_DEP_2) | instskip(SKIP_1) | instid1(VALU_DEP_3)
	v_add_f64_e32 v[71:72], 1.0, v[59:60]
	v_add_f64_e32 v[96:97], -1.0, v[59:60]
	v_ldexp_f64 v[61:62], v[61:62], v73
	s_delay_alu instid0(VALU_DEP_3) | instskip(NEXT) | instid1(VALU_DEP_3)
	v_add_f64_e32 v[69:70], -1.0, v[71:72]
	v_add_f64_e32 v[98:99], 1.0, v[96:97]
	s_delay_alu instid0(VALU_DEP_2) | instskip(NEXT) | instid1(VALU_DEP_2)
	v_add_f64_e64 v[69:70], v[59:60], -v[69:70]
	v_add_f64_e64 v[59:60], v[59:60], -v[98:99]
	s_delay_alu instid0(VALU_DEP_2) | instskip(NEXT) | instid1(VALU_DEP_2)
	v_add_f64_e32 v[69:70], v[61:62], v[69:70]
	v_add_f64_e32 v[59:60], v[61:62], v[59:60]
	s_delay_alu instid0(VALU_DEP_2) | instskip(NEXT) | instid1(VALU_DEP_2)
	v_add_f64_e32 v[73:74], v[71:72], v[69:70]
	v_add_f64_e32 v[98:99], v[96:97], v[59:60]
	s_delay_alu instid0(VALU_DEP_2) | instskip(SKIP_1) | instid1(VALU_DEP_2)
	v_rcp_f64_e32 v[75:76], v[73:74]
	v_add_f64_e64 v[71:72], v[73:74], -v[71:72]
	v_add_f64_e64 v[96:97], v[98:99], -v[96:97]
	s_delay_alu instid0(VALU_DEP_2) | instskip(NEXT) | instid1(TRANS32_DEP_1)
	v_add_f64_e64 v[69:70], v[69:70], -v[71:72]
	v_fma_f64 v[100:101], -v[73:74], v[75:76], 1.0
	s_delay_alu instid0(VALU_DEP_3) | instskip(NEXT) | instid1(VALU_DEP_2)
	v_add_f64_e64 v[59:60], v[59:60], -v[96:97]
	v_fma_f64 v[75:76], v[100:101], v[75:76], v[75:76]
	s_delay_alu instid0(VALU_DEP_1) | instskip(NEXT) | instid1(VALU_DEP_1)
	v_fma_f64 v[61:62], -v[73:74], v[75:76], 1.0
	v_fma_f64 v[61:62], v[61:62], v[75:76], v[75:76]
	s_delay_alu instid0(VALU_DEP_1) | instskip(NEXT) | instid1(VALU_DEP_1)
	v_mul_f64_e32 v[75:76], v[98:99], v[61:62]
	v_mul_f64_e32 v[100:101], v[73:74], v[75:76]
	s_delay_alu instid0(VALU_DEP_1) | instskip(NEXT) | instid1(VALU_DEP_1)
	v_fma_f64 v[71:72], v[75:76], v[73:74], -v[100:101]
	v_fma_f64 v[71:72], v[75:76], v[69:70], v[71:72]
	s_delay_alu instid0(VALU_DEP_1) | instskip(NEXT) | instid1(VALU_DEP_1)
	v_add_f64_e32 v[102:103], v[100:101], v[71:72]
	v_add_f64_e64 v[104:105], v[98:99], -v[102:103]
	v_add_f64_e64 v[96:97], v[102:103], -v[100:101]
	s_delay_alu instid0(VALU_DEP_2) | instskip(NEXT) | instid1(VALU_DEP_2)
	v_add_f64_e64 v[98:99], v[98:99], -v[104:105]
	v_add_f64_e64 v[71:72], v[96:97], -v[71:72]
	s_delay_alu instid0(VALU_DEP_2) | instskip(NEXT) | instid1(VALU_DEP_1)
	v_add_f64_e64 v[98:99], v[98:99], -v[102:103]
	v_add_f64_e32 v[59:60], v[59:60], v[98:99]
	s_delay_alu instid0(VALU_DEP_1) | instskip(NEXT) | instid1(VALU_DEP_1)
	v_add_f64_e32 v[59:60], v[71:72], v[59:60]
	v_add_f64_e32 v[71:72], v[104:105], v[59:60]
	s_delay_alu instid0(VALU_DEP_1) | instskip(SKIP_1) | instid1(VALU_DEP_2)
	v_mul_f64_e32 v[96:97], v[61:62], v[71:72]
	v_add_f64_e64 v[102:103], v[104:105], -v[71:72]
	v_mul_f64_e32 v[98:99], v[73:74], v[96:97]
	s_delay_alu instid0(VALU_DEP_2) | instskip(NEXT) | instid1(VALU_DEP_2)
	v_add_f64_e32 v[59:60], v[59:60], v[102:103]
	v_fma_f64 v[73:74], v[96:97], v[73:74], -v[98:99]
	s_delay_alu instid0(VALU_DEP_1) | instskip(NEXT) | instid1(VALU_DEP_1)
	v_fma_f64 v[69:70], v[96:97], v[69:70], v[73:74]
	v_add_f64_e32 v[73:74], v[98:99], v[69:70]
	s_delay_alu instid0(VALU_DEP_1) | instskip(SKIP_1) | instid1(VALU_DEP_2)
	v_add_f64_e64 v[100:101], v[71:72], -v[73:74]
	v_add_f64_e64 v[98:99], v[73:74], -v[98:99]
	;; [unrolled: 1-line block ×3, first 2 shown]
	s_delay_alu instid0(VALU_DEP_2) | instskip(NEXT) | instid1(VALU_DEP_2)
	v_add_f64_e64 v[69:70], v[98:99], -v[69:70]
	v_add_f64_e64 v[71:72], v[71:72], -v[73:74]
	s_delay_alu instid0(VALU_DEP_1) | instskip(SKIP_1) | instid1(VALU_DEP_2)
	v_add_f64_e32 v[59:60], v[59:60], v[71:72]
	v_add_f64_e32 v[71:72], v[75:76], v[96:97]
	;; [unrolled: 1-line block ×3, first 2 shown]
	s_delay_alu instid0(VALU_DEP_2) | instskip(NEXT) | instid1(VALU_DEP_2)
	v_add_f64_e64 v[69:70], v[71:72], -v[75:76]
	v_add_f64_e32 v[59:60], v[100:101], v[59:60]
	s_delay_alu instid0(VALU_DEP_2) | instskip(NEXT) | instid1(VALU_DEP_2)
	v_add_f64_e64 v[69:70], v[96:97], -v[69:70]
	v_mul_f64_e32 v[59:60], v[61:62], v[59:60]
	s_delay_alu instid0(VALU_DEP_1) | instskip(NEXT) | instid1(VALU_DEP_1)
	v_add_f64_e32 v[59:60], v[69:70], v[59:60]
	v_add_f64_e32 v[61:62], v[71:72], v[59:60]
	s_delay_alu instid0(VALU_DEP_1) | instskip(NEXT) | instid1(VALU_DEP_1)
	v_mul_f64_e32 v[69:70], v[61:62], v[61:62]
	v_fma_f64 v[73:74], v[69:70], s[40:41], s[38:39]
	s_mov_b32 s38, 0xd7f4df2e
	s_mov_b32 s39, 0x3fc7474d
	v_mul_f64_e32 v[75:76], v[61:62], v[69:70]
	s_wait_alu 0xfffe
	s_delay_alu instid0(VALU_DEP_2) | instskip(SKIP_3) | instid1(VALU_DEP_1)
	v_fma_f64 v[73:74], v[69:70], v[73:74], s[38:39]
	s_mov_b32 s38, 0x16291751
	s_mov_b32 s39, 0x3fcc71c0
	s_wait_alu 0xfffe
	v_fma_f64 v[73:74], v[69:70], v[73:74], s[38:39]
	s_mov_b32 s38, 0x9b27acf1
	s_mov_b32 s39, 0x3fd24924
	s_wait_alu 0xfffe
	s_delay_alu instid0(VALU_DEP_1) | instskip(SKIP_3) | instid1(VALU_DEP_1)
	v_fma_f64 v[73:74], v[69:70], v[73:74], s[38:39]
	s_mov_b32 s38, 0x998ef7b6
	s_mov_b32 s39, 0x3fd99999
	s_wait_alu 0xfffe
	v_fma_f64 v[73:74], v[69:70], v[73:74], s[38:39]
	s_delay_alu instid0(VALU_DEP_1)
	v_fma_f64 v[69:70], v[69:70], v[73:74], s[28:29]
	v_ldexp_f64 v[73:74], v[61:62], 1
	v_add_f64_e64 v[61:62], v[61:62], -v[71:72]
	v_cmp_nge_f64_e64 s28, -1.0, v[57:58]
	v_cmp_neq_f64_e64 s29, 0x7ff00000, v[57:58]
	v_mul_f64_e32 v[69:70], v[75:76], v[69:70]
	v_cvt_f64_i32_e32 v[75:76], v106
	v_add_f64_e64 v[59:60], v[59:60], -v[61:62]
	s_and_b32 s28, s28, s29
	s_delay_alu instid0(VALU_DEP_3) | instskip(NEXT) | instid1(VALU_DEP_3)
	v_add_f64_e32 v[71:72], v[73:74], v[69:70]
	v_mul_f64_e32 v[96:97], s[30:31], v[75:76]
	s_delay_alu instid0(VALU_DEP_3) | instskip(NEXT) | instid1(VALU_DEP_3)
	v_ldexp_f64 v[59:60], v[59:60], 1
	v_add_f64_e64 v[61:62], v[71:72], -v[73:74]
	s_delay_alu instid0(VALU_DEP_3) | instskip(SKIP_1) | instid1(VALU_DEP_3)
	v_fma_f64 v[73:74], v[75:76], s[30:31], -v[96:97]
	v_cmp_ngt_f64_e64 s30, -1.0, v[57:58]
	v_add_f64_e64 v[61:62], v[69:70], -v[61:62]
	s_delay_alu instid0(VALU_DEP_3) | instskip(NEXT) | instid1(VALU_DEP_2)
	v_fma_f64 v[69:70], v[75:76], s[34:35], v[73:74]
	v_add_f64_e32 v[59:60], v[59:60], v[61:62]
	s_delay_alu instid0(VALU_DEP_2) | instskip(NEXT) | instid1(VALU_DEP_2)
	v_add_f64_e32 v[61:62], v[96:97], v[69:70]
	v_add_f64_e32 v[73:74], v[71:72], v[59:60]
	s_delay_alu instid0(VALU_DEP_2) | instskip(NEXT) | instid1(VALU_DEP_2)
	v_add_f64_e64 v[96:97], v[61:62], -v[96:97]
	v_add_f64_e32 v[75:76], v[61:62], v[73:74]
	v_add_f64_e64 v[71:72], v[73:74], -v[71:72]
	s_delay_alu instid0(VALU_DEP_3) | instskip(NEXT) | instid1(VALU_DEP_3)
	v_add_f64_e64 v[69:70], v[69:70], -v[96:97]
	v_add_f64_e64 v[98:99], v[75:76], -v[61:62]
	s_delay_alu instid0(VALU_DEP_3) | instskip(NEXT) | instid1(VALU_DEP_2)
	v_add_f64_e64 v[59:60], v[59:60], -v[71:72]
	v_add_f64_e64 v[100:101], v[75:76], -v[98:99]
	;; [unrolled: 1-line block ×3, first 2 shown]
	s_delay_alu instid0(VALU_DEP_3) | instskip(NEXT) | instid1(VALU_DEP_3)
	v_add_f64_e32 v[73:74], v[69:70], v[59:60]
	v_add_f64_e64 v[61:62], v[61:62], -v[100:101]
	s_delay_alu instid0(VALU_DEP_1) | instskip(NEXT) | instid1(VALU_DEP_3)
	v_add_f64_e32 v[61:62], v[71:72], v[61:62]
	v_add_f64_e64 v[71:72], v[73:74], -v[69:70]
	s_delay_alu instid0(VALU_DEP_2) | instskip(NEXT) | instid1(VALU_DEP_2)
	v_add_f64_e32 v[61:62], v[73:74], v[61:62]
	v_add_f64_e64 v[73:74], v[73:74], -v[71:72]
	v_add_f64_e64 v[59:60], v[59:60], -v[71:72]
	s_delay_alu instid0(VALU_DEP_3) | instskip(NEXT) | instid1(VALU_DEP_3)
	v_add_f64_e32 v[96:97], v[75:76], v[61:62]
	v_add_f64_e64 v[69:70], v[69:70], -v[73:74]
	s_delay_alu instid0(VALU_DEP_2) | instskip(NEXT) | instid1(VALU_DEP_2)
	v_add_f64_e64 v[71:72], v[96:97], -v[75:76]
	v_add_f64_e32 v[59:60], v[59:60], v[69:70]
	s_delay_alu instid0(VALU_DEP_2) | instskip(NEXT) | instid1(VALU_DEP_1)
	v_add_f64_e64 v[61:62], v[61:62], -v[71:72]
	v_add_f64_e32 v[59:60], v[59:60], v[61:62]
	s_delay_alu instid0(VALU_DEP_1) | instskip(SKIP_1) | instid1(VALU_DEP_1)
	v_add_f64_e32 v[59:60], v[96:97], v[59:60]
	s_wait_alu 0xfffe
	v_cndmask_b32_e64 v59, 0, v59, s28
	v_cmp_neq_f64_e64 s28, -1.0, v[57:58]
	s_delay_alu instid0(VALU_DEP_3) | instskip(SKIP_1) | instid1(VALU_DEP_1)
	v_cndmask_b32_e64 v60, 0x7ff00000, v60, s29
	s_wait_alu 0xf1ff
	v_cndmask_b32_e64 v60, 0x7ff80000, v60, s30
	s_delay_alu instid0(VALU_DEP_1) | instskip(NEXT) | instid1(VALU_DEP_1)
	v_cndmask_b32_e64 v60, 0xfff00000, v60, s28
	v_add_f64_e32 v[69:70], v[55:56], v[59:60]
.LBB23_54:
	s_wait_alu 0xfffe
	s_or_b32 exec_lo, exec_lo, s36
	v_max_num_f64_e32 v[55:56], v[9:10], v[9:10]
	s_delay_alu instid0(VALU_DEP_2) | instskip(SKIP_2) | instid1(VALU_DEP_3)
	v_max_num_f64_e32 v[57:58], v[69:70], v[69:70]
	v_cmp_u_f64_e64 s29, v[69:70], v[69:70]
	v_cmp_u_f64_e64 s28, v[9:10], v[9:10]
	v_min_num_f64_e32 v[59:60], v[57:58], v[55:56]
	v_max_num_f64_e32 v[57:58], v[57:58], v[55:56]
	s_wait_alu 0xf1ff
	s_delay_alu instid0(VALU_DEP_2) | instskip(NEXT) | instid1(VALU_DEP_3)
	v_cndmask_b32_e64 v59, v59, v69, s29
	v_cndmask_b32_e64 v60, v60, v70, s29
	s_delay_alu instid0(VALU_DEP_3) | instskip(NEXT) | instid1(VALU_DEP_4)
	v_cndmask_b32_e64 v58, v58, v70, s29
	v_cndmask_b32_e64 v57, v57, v69, s29
	s_delay_alu instid0(VALU_DEP_4) | instskip(NEXT) | instid1(VALU_DEP_4)
	v_cndmask_b32_e64 v59, v59, v9, s28
	v_cndmask_b32_e64 v60, v60, v10, s28
	s_delay_alu instid0(VALU_DEP_4) | instskip(NEXT) | instid1(VALU_DEP_4)
	v_cndmask_b32_e64 v58, v58, v10, s28
	v_cndmask_b32_e64 v57, v57, v9, s28
	s_delay_alu instid0(VALU_DEP_3) | instskip(NEXT) | instid1(VALU_DEP_2)
	v_cmp_class_f64_e64 s30, v[59:60], 0x1f8
	v_cmp_neq_f64_e64 s29, v[59:60], v[57:58]
	s_or_b32 s29, s29, s30
	s_wait_alu 0xfffe
	s_and_saveexec_b32 s38, s29
	s_cbranch_execz .LBB23_56
; %bb.55:
	v_add_f64_e64 v[59:60], v[59:60], -v[57:58]
	s_mov_b32 s30, 0x652b82fe
	s_mov_b32 s31, 0x3ff71547
	;; [unrolled: 1-line block ×10, first 2 shown]
	s_wait_alu 0xfffe
	s_delay_alu instid0(VALU_DEP_1) | instskip(SKIP_3) | instid1(VALU_DEP_2)
	v_mul_f64_e32 v[61:62], s[30:31], v[59:60]
	s_mov_b32 s30, 0xfca7ab0c
	s_mov_b32 s31, 0x3e928af3
	v_cmp_nlt_f64_e64 s29, 0x40900000, v[59:60]
	v_rndne_f64_e32 v[61:62], v[61:62]
	s_delay_alu instid0(VALU_DEP_1) | instskip(SKIP_2) | instid1(VALU_DEP_2)
	v_fma_f64 v[69:70], v[61:62], s[34:35], v[59:60]
	v_cvt_i32_f64_e32 v73, v[61:62]
	s_mov_b32 s35, 0x3fe62e42
	v_fma_f64 v[69:70], v[61:62], s[36:37], v[69:70]
	s_mov_b32 s37, 0x3c7abc9e
	s_wait_alu 0xfffe
	s_delay_alu instid0(VALU_DEP_1)
	v_fma_f64 v[71:72], v[69:70], s[40:41], s[30:31]
	s_mov_b32 s30, 0x623fde64
	s_mov_b32 s31, 0x3ec71dee
	;; [unrolled: 1-line block ×4, first 2 shown]
	s_wait_alu 0xfffe
	s_delay_alu instid0(VALU_DEP_1) | instskip(SKIP_3) | instid1(VALU_DEP_1)
	v_fma_f64 v[71:72], v[69:70], v[71:72], s[30:31]
	s_mov_b32 s30, 0x7c89e6b0
	s_mov_b32 s31, 0x3efa0199
	s_wait_alu 0xfffe
	v_fma_f64 v[71:72], v[69:70], v[71:72], s[30:31]
	s_mov_b32 s30, 0x14761f6e
	s_mov_b32 s31, 0x3f2a01a0
	s_wait_alu 0xfffe
	s_delay_alu instid0(VALU_DEP_1) | instskip(SKIP_3) | instid1(VALU_DEP_1)
	v_fma_f64 v[71:72], v[69:70], v[71:72], s[30:31]
	s_mov_b32 s30, 0x1852b7b0
	s_mov_b32 s31, 0x3f56c16c
	s_wait_alu 0xfffe
	v_fma_f64 v[71:72], v[69:70], v[71:72], s[30:31]
	s_mov_b32 s30, 0x11122322
	s_mov_b32 s31, 0x3f811111
	;; [unrolled: 9-line block ×3, first 2 shown]
	s_wait_alu 0xfffe
	s_delay_alu instid0(VALU_DEP_1) | instskip(SKIP_3) | instid1(VALU_DEP_1)
	v_fma_f64 v[71:72], v[69:70], v[71:72], s[30:31]
	s_mov_b32 s30, 11
	s_mov_b32 s31, 0x3fe00000
	s_wait_alu 0xfffe
	v_fma_f64 v[71:72], v[69:70], v[71:72], s[30:31]
	v_cmp_ngt_f64_e64 s30, 0xc090cc00, v[59:60]
	s_mov_b32 s31, 0x3fe55555
	v_fma_f64 v[71:72], v[69:70], v[71:72], 1.0
	s_delay_alu instid0(VALU_DEP_1) | instskip(NEXT) | instid1(VALU_DEP_1)
	v_fma_f64 v[61:62], v[69:70], v[71:72], 1.0
	v_ldexp_f64 v[61:62], v[61:62], v73
	s_wait_alu 0xf1ff
	s_delay_alu instid0(VALU_DEP_1) | instskip(SKIP_2) | instid1(VALU_DEP_2)
	v_cndmask_b32_e64 v62, 0x7ff00000, v62, s29
	s_and_b32 s29, s30, s29
	s_wait_alu 0xfffe
	v_cndmask_b32_e64 v59, 0, v61, s29
	s_delay_alu instid0(VALU_DEP_2) | instskip(SKIP_1) | instid1(VALU_DEP_1)
	v_cndmask_b32_e64 v60, 0, v62, s30
	s_mov_b32 s30, 0x55555555
	v_add_f64_e32 v[61:62], 1.0, v[59:60]
	s_delay_alu instid0(VALU_DEP_1) | instskip(SKIP_3) | instid1(VALU_DEP_3)
	v_frexp_mant_f64_e32 v[69:70], v[61:62]
	v_frexp_exp_i32_f64_e32 v73, v[61:62]
	v_add_f64_e32 v[71:72], -1.0, v[61:62]
	s_wait_alu 0xfffe
	v_cmp_gt_f64_e64 s29, s[30:31], v[69:70]
	s_mov_b32 s30, 0x55555780
	v_add_f64_e64 v[69:70], v[71:72], -v[61:62]
	v_add_f64_e64 v[71:72], v[59:60], -v[71:72]
	s_wait_alu 0xf1ff
	v_subrev_co_ci_u32_e64 v108, null, 0, v73, s29
	s_delay_alu instid0(VALU_DEP_3) | instskip(SKIP_1) | instid1(VALU_DEP_3)
	v_add_f64_e32 v[69:70], 1.0, v[69:70]
	v_cmp_nge_f64_e64 s29, -1.0, v[59:60]
	v_sub_nc_u32_e32 v75, 0, v108
	s_delay_alu instid0(VALU_DEP_1) | instskip(NEXT) | instid1(VALU_DEP_4)
	v_ldexp_f64 v[61:62], v[61:62], v75
	v_add_f64_e32 v[69:70], v[71:72], v[69:70]
	s_delay_alu instid0(VALU_DEP_2) | instskip(SKIP_1) | instid1(VALU_DEP_3)
	v_add_f64_e32 v[73:74], 1.0, v[61:62]
	v_add_f64_e32 v[98:99], -1.0, v[61:62]
	v_ldexp_f64 v[69:70], v[69:70], v75
	s_delay_alu instid0(VALU_DEP_3) | instskip(NEXT) | instid1(VALU_DEP_3)
	v_add_f64_e32 v[71:72], -1.0, v[73:74]
	v_add_f64_e32 v[100:101], 1.0, v[98:99]
	s_delay_alu instid0(VALU_DEP_2) | instskip(NEXT) | instid1(VALU_DEP_2)
	v_add_f64_e64 v[71:72], v[61:62], -v[71:72]
	v_add_f64_e64 v[61:62], v[61:62], -v[100:101]
	s_delay_alu instid0(VALU_DEP_2) | instskip(NEXT) | instid1(VALU_DEP_2)
	v_add_f64_e32 v[71:72], v[69:70], v[71:72]
	v_add_f64_e32 v[61:62], v[69:70], v[61:62]
	s_delay_alu instid0(VALU_DEP_2) | instskip(NEXT) | instid1(VALU_DEP_2)
	v_add_f64_e32 v[75:76], v[73:74], v[71:72]
	v_add_f64_e32 v[100:101], v[98:99], v[61:62]
	s_delay_alu instid0(VALU_DEP_2) | instskip(SKIP_1) | instid1(VALU_DEP_2)
	v_rcp_f64_e32 v[96:97], v[75:76]
	v_add_f64_e64 v[73:74], v[75:76], -v[73:74]
	v_add_f64_e64 v[98:99], v[100:101], -v[98:99]
	s_delay_alu instid0(VALU_DEP_2) | instskip(NEXT) | instid1(TRANS32_DEP_1)
	v_add_f64_e64 v[71:72], v[71:72], -v[73:74]
	v_fma_f64 v[102:103], -v[75:76], v[96:97], 1.0
	s_delay_alu instid0(VALU_DEP_3) | instskip(NEXT) | instid1(VALU_DEP_2)
	v_add_f64_e64 v[61:62], v[61:62], -v[98:99]
	v_fma_f64 v[96:97], v[102:103], v[96:97], v[96:97]
	s_delay_alu instid0(VALU_DEP_1) | instskip(NEXT) | instid1(VALU_DEP_1)
	v_fma_f64 v[69:70], -v[75:76], v[96:97], 1.0
	v_fma_f64 v[69:70], v[69:70], v[96:97], v[96:97]
	s_delay_alu instid0(VALU_DEP_1) | instskip(NEXT) | instid1(VALU_DEP_1)
	v_mul_f64_e32 v[96:97], v[100:101], v[69:70]
	v_mul_f64_e32 v[102:103], v[75:76], v[96:97]
	s_delay_alu instid0(VALU_DEP_1) | instskip(NEXT) | instid1(VALU_DEP_1)
	v_fma_f64 v[73:74], v[96:97], v[75:76], -v[102:103]
	v_fma_f64 v[73:74], v[96:97], v[71:72], v[73:74]
	s_delay_alu instid0(VALU_DEP_1) | instskip(NEXT) | instid1(VALU_DEP_1)
	v_add_f64_e32 v[104:105], v[102:103], v[73:74]
	v_add_f64_e64 v[106:107], v[100:101], -v[104:105]
	v_add_f64_e64 v[98:99], v[104:105], -v[102:103]
	s_delay_alu instid0(VALU_DEP_2) | instskip(NEXT) | instid1(VALU_DEP_2)
	v_add_f64_e64 v[100:101], v[100:101], -v[106:107]
	v_add_f64_e64 v[73:74], v[98:99], -v[73:74]
	s_delay_alu instid0(VALU_DEP_2) | instskip(NEXT) | instid1(VALU_DEP_1)
	v_add_f64_e64 v[100:101], v[100:101], -v[104:105]
	v_add_f64_e32 v[61:62], v[61:62], v[100:101]
	s_delay_alu instid0(VALU_DEP_1) | instskip(NEXT) | instid1(VALU_DEP_1)
	v_add_f64_e32 v[61:62], v[73:74], v[61:62]
	v_add_f64_e32 v[73:74], v[106:107], v[61:62]
	s_delay_alu instid0(VALU_DEP_1) | instskip(SKIP_1) | instid1(VALU_DEP_2)
	v_mul_f64_e32 v[98:99], v[69:70], v[73:74]
	v_add_f64_e64 v[104:105], v[106:107], -v[73:74]
	v_mul_f64_e32 v[100:101], v[75:76], v[98:99]
	s_delay_alu instid0(VALU_DEP_2) | instskip(NEXT) | instid1(VALU_DEP_2)
	v_add_f64_e32 v[61:62], v[61:62], v[104:105]
	v_fma_f64 v[75:76], v[98:99], v[75:76], -v[100:101]
	s_delay_alu instid0(VALU_DEP_1) | instskip(NEXT) | instid1(VALU_DEP_1)
	v_fma_f64 v[71:72], v[98:99], v[71:72], v[75:76]
	v_add_f64_e32 v[75:76], v[100:101], v[71:72]
	s_delay_alu instid0(VALU_DEP_1) | instskip(SKIP_1) | instid1(VALU_DEP_2)
	v_add_f64_e64 v[102:103], v[73:74], -v[75:76]
	v_add_f64_e64 v[100:101], v[75:76], -v[100:101]
	;; [unrolled: 1-line block ×3, first 2 shown]
	s_delay_alu instid0(VALU_DEP_2) | instskip(NEXT) | instid1(VALU_DEP_2)
	v_add_f64_e64 v[71:72], v[100:101], -v[71:72]
	v_add_f64_e64 v[73:74], v[73:74], -v[75:76]
	s_delay_alu instid0(VALU_DEP_1) | instskip(SKIP_1) | instid1(VALU_DEP_2)
	v_add_f64_e32 v[61:62], v[61:62], v[73:74]
	v_add_f64_e32 v[73:74], v[96:97], v[98:99]
	;; [unrolled: 1-line block ×3, first 2 shown]
	s_delay_alu instid0(VALU_DEP_2) | instskip(NEXT) | instid1(VALU_DEP_2)
	v_add_f64_e64 v[71:72], v[73:74], -v[96:97]
	v_add_f64_e32 v[61:62], v[102:103], v[61:62]
	s_delay_alu instid0(VALU_DEP_2) | instskip(NEXT) | instid1(VALU_DEP_2)
	v_add_f64_e64 v[71:72], v[98:99], -v[71:72]
	v_mul_f64_e32 v[61:62], v[69:70], v[61:62]
	s_delay_alu instid0(VALU_DEP_1) | instskip(NEXT) | instid1(VALU_DEP_1)
	v_add_f64_e32 v[61:62], v[71:72], v[61:62]
	v_add_f64_e32 v[69:70], v[73:74], v[61:62]
	s_delay_alu instid0(VALU_DEP_1) | instskip(NEXT) | instid1(VALU_DEP_1)
	v_mul_f64_e32 v[71:72], v[69:70], v[69:70]
	v_fma_f64 v[75:76], v[71:72], s[42:43], s[40:41]
	s_mov_b32 s40, 0xd7f4df2e
	s_mov_b32 s41, 0x3fc7474d
	v_mul_f64_e32 v[96:97], v[69:70], v[71:72]
	s_wait_alu 0xfffe
	s_delay_alu instid0(VALU_DEP_2) | instskip(SKIP_3) | instid1(VALU_DEP_1)
	v_fma_f64 v[75:76], v[71:72], v[75:76], s[40:41]
	s_mov_b32 s40, 0x16291751
	s_mov_b32 s41, 0x3fcc71c0
	s_wait_alu 0xfffe
	v_fma_f64 v[75:76], v[71:72], v[75:76], s[40:41]
	s_mov_b32 s40, 0x9b27acf1
	s_mov_b32 s41, 0x3fd24924
	s_wait_alu 0xfffe
	s_delay_alu instid0(VALU_DEP_1) | instskip(SKIP_3) | instid1(VALU_DEP_1)
	v_fma_f64 v[75:76], v[71:72], v[75:76], s[40:41]
	s_mov_b32 s40, 0x998ef7b6
	s_mov_b32 s41, 0x3fd99999
	s_wait_alu 0xfffe
	v_fma_f64 v[75:76], v[71:72], v[75:76], s[40:41]
	s_delay_alu instid0(VALU_DEP_1)
	v_fma_f64 v[71:72], v[71:72], v[75:76], s[30:31]
	v_ldexp_f64 v[75:76], v[69:70], 1
	v_add_f64_e64 v[69:70], v[69:70], -v[73:74]
	v_cmp_neq_f64_e64 s30, 0x7ff00000, v[59:60]
	v_cmp_ngt_f64_e64 s31, -1.0, v[59:60]
	v_mul_f64_e32 v[71:72], v[96:97], v[71:72]
	v_cvt_f64_i32_e32 v[96:97], v108
	v_add_f64_e64 v[61:62], v[61:62], -v[69:70]
	s_and_b32 s29, s29, s30
	s_delay_alu instid0(VALU_DEP_3) | instskip(NEXT) | instid1(VALU_DEP_3)
	v_add_f64_e32 v[73:74], v[75:76], v[71:72]
	v_mul_f64_e32 v[98:99], s[34:35], v[96:97]
	s_delay_alu instid0(VALU_DEP_3) | instskip(NEXT) | instid1(VALU_DEP_3)
	v_ldexp_f64 v[61:62], v[61:62], 1
	v_add_f64_e64 v[69:70], v[73:74], -v[75:76]
	s_delay_alu instid0(VALU_DEP_3) | instskip(NEXT) | instid1(VALU_DEP_2)
	v_fma_f64 v[75:76], v[96:97], s[34:35], -v[98:99]
	v_add_f64_e64 v[69:70], v[71:72], -v[69:70]
	s_delay_alu instid0(VALU_DEP_2) | instskip(NEXT) | instid1(VALU_DEP_2)
	v_fma_f64 v[71:72], v[96:97], s[36:37], v[75:76]
	v_add_f64_e32 v[61:62], v[61:62], v[69:70]
	s_delay_alu instid0(VALU_DEP_2) | instskip(NEXT) | instid1(VALU_DEP_2)
	v_add_f64_e32 v[69:70], v[98:99], v[71:72]
	v_add_f64_e32 v[75:76], v[73:74], v[61:62]
	s_delay_alu instid0(VALU_DEP_2) | instskip(NEXT) | instid1(VALU_DEP_2)
	v_add_f64_e64 v[98:99], v[69:70], -v[98:99]
	v_add_f64_e32 v[96:97], v[69:70], v[75:76]
	v_add_f64_e64 v[73:74], v[75:76], -v[73:74]
	s_delay_alu instid0(VALU_DEP_3) | instskip(NEXT) | instid1(VALU_DEP_3)
	v_add_f64_e64 v[71:72], v[71:72], -v[98:99]
	v_add_f64_e64 v[100:101], v[96:97], -v[69:70]
	s_delay_alu instid0(VALU_DEP_3) | instskip(NEXT) | instid1(VALU_DEP_2)
	v_add_f64_e64 v[61:62], v[61:62], -v[73:74]
	v_add_f64_e64 v[102:103], v[96:97], -v[100:101]
	;; [unrolled: 1-line block ×3, first 2 shown]
	s_delay_alu instid0(VALU_DEP_3) | instskip(NEXT) | instid1(VALU_DEP_3)
	v_add_f64_e32 v[75:76], v[71:72], v[61:62]
	v_add_f64_e64 v[69:70], v[69:70], -v[102:103]
	s_delay_alu instid0(VALU_DEP_1) | instskip(NEXT) | instid1(VALU_DEP_3)
	v_add_f64_e32 v[69:70], v[73:74], v[69:70]
	v_add_f64_e64 v[73:74], v[75:76], -v[71:72]
	s_delay_alu instid0(VALU_DEP_2) | instskip(NEXT) | instid1(VALU_DEP_2)
	v_add_f64_e32 v[69:70], v[75:76], v[69:70]
	v_add_f64_e64 v[75:76], v[75:76], -v[73:74]
	v_add_f64_e64 v[61:62], v[61:62], -v[73:74]
	s_delay_alu instid0(VALU_DEP_3) | instskip(NEXT) | instid1(VALU_DEP_3)
	v_add_f64_e32 v[98:99], v[96:97], v[69:70]
	v_add_f64_e64 v[71:72], v[71:72], -v[75:76]
	s_delay_alu instid0(VALU_DEP_2) | instskip(NEXT) | instid1(VALU_DEP_2)
	v_add_f64_e64 v[73:74], v[98:99], -v[96:97]
	v_add_f64_e32 v[61:62], v[61:62], v[71:72]
	s_delay_alu instid0(VALU_DEP_2) | instskip(NEXT) | instid1(VALU_DEP_1)
	v_add_f64_e64 v[69:70], v[69:70], -v[73:74]
	v_add_f64_e32 v[61:62], v[61:62], v[69:70]
	s_delay_alu instid0(VALU_DEP_1) | instskip(SKIP_1) | instid1(VALU_DEP_1)
	v_add_f64_e32 v[61:62], v[98:99], v[61:62]
	s_wait_alu 0xfffe
	v_cndmask_b32_e64 v61, 0, v61, s29
	v_cmp_neq_f64_e64 s29, -1.0, v[59:60]
	s_delay_alu instid0(VALU_DEP_3) | instskip(NEXT) | instid1(VALU_DEP_1)
	v_cndmask_b32_e64 v62, 0x7ff00000, v62, s30
	v_cndmask_b32_e64 v62, 0x7ff80000, v62, s31
	s_wait_alu 0xf1ff
	s_delay_alu instid0(VALU_DEP_1) | instskip(NEXT) | instid1(VALU_DEP_1)
	v_cndmask_b32_e64 v62, 0xfff00000, v62, s29
	v_add_f64_e32 v[69:70], v[57:58], v[61:62]
.LBB23_56:
	s_wait_alu 0xfffe
	s_or_b32 exec_lo, exec_lo, s38
	v_max_num_f64_e32 v[57:58], v[11:12], v[11:12]
	s_delay_alu instid0(VALU_DEP_2) | instskip(SKIP_2) | instid1(VALU_DEP_3)
	v_max_num_f64_e32 v[59:60], v[69:70], v[69:70]
	v_cmp_u_f64_e64 s30, v[69:70], v[69:70]
	v_cmp_u_f64_e64 s29, v[11:12], v[11:12]
	v_min_num_f64_e32 v[61:62], v[59:60], v[57:58]
	v_max_num_f64_e32 v[59:60], v[59:60], v[57:58]
	s_wait_alu 0xf1ff
	s_delay_alu instid0(VALU_DEP_2) | instskip(NEXT) | instid1(VALU_DEP_3)
	v_cndmask_b32_e64 v61, v61, v69, s30
	v_cndmask_b32_e64 v62, v62, v70, s30
	s_delay_alu instid0(VALU_DEP_3) | instskip(NEXT) | instid1(VALU_DEP_4)
	v_cndmask_b32_e64 v60, v60, v70, s30
	v_cndmask_b32_e64 v59, v59, v69, s30
	s_delay_alu instid0(VALU_DEP_4) | instskip(NEXT) | instid1(VALU_DEP_4)
	v_cndmask_b32_e64 v61, v61, v11, s29
	v_cndmask_b32_e64 v62, v62, v12, s29
	s_delay_alu instid0(VALU_DEP_4) | instskip(NEXT) | instid1(VALU_DEP_4)
	v_cndmask_b32_e64 v60, v60, v12, s29
	v_cndmask_b32_e64 v59, v59, v11, s29
	s_delay_alu instid0(VALU_DEP_3) | instskip(NEXT) | instid1(VALU_DEP_2)
	v_cmp_class_f64_e64 s31, v[61:62], 0x1f8
	v_cmp_neq_f64_e64 s30, v[61:62], v[59:60]
	s_or_b32 s30, s30, s31
	s_wait_alu 0xfffe
	s_and_saveexec_b32 s38, s30
	s_cbranch_execz .LBB23_58
; %bb.57:
	v_add_f64_e64 v[61:62], v[61:62], -v[59:60]
	s_mov_b32 s30, 0x652b82fe
	s_mov_b32 s31, 0x3ff71547
	;; [unrolled: 1-line block ×10, first 2 shown]
	s_wait_alu 0xfffe
	s_delay_alu instid0(VALU_DEP_1) | instskip(SKIP_2) | instid1(VALU_DEP_1)
	v_mul_f64_e32 v[69:70], s[30:31], v[61:62]
	s_mov_b32 s30, 0xfca7ab0c
	s_mov_b32 s31, 0x3e928af3
	v_rndne_f64_e32 v[69:70], v[69:70]
	s_delay_alu instid0(VALU_DEP_1) | instskip(SKIP_2) | instid1(VALU_DEP_2)
	v_fma_f64 v[71:72], v[69:70], s[34:35], v[61:62]
	v_cvt_i32_f64_e32 v75, v[69:70]
	s_mov_b32 s35, 0x3fe62e42
	v_fma_f64 v[71:72], v[69:70], s[36:37], v[71:72]
	s_mov_b32 s37, 0x3c7abc9e
	s_wait_alu 0xfffe
	s_delay_alu instid0(VALU_DEP_1)
	v_fma_f64 v[73:74], v[71:72], s[40:41], s[30:31]
	s_mov_b32 s30, 0x623fde64
	s_mov_b32 s31, 0x3ec71dee
	;; [unrolled: 1-line block ×4, first 2 shown]
	s_wait_alu 0xfffe
	s_delay_alu instid0(VALU_DEP_1) | instskip(SKIP_3) | instid1(VALU_DEP_1)
	v_fma_f64 v[73:74], v[71:72], v[73:74], s[30:31]
	s_mov_b32 s30, 0x7c89e6b0
	s_mov_b32 s31, 0x3efa0199
	s_wait_alu 0xfffe
	v_fma_f64 v[73:74], v[71:72], v[73:74], s[30:31]
	s_mov_b32 s30, 0x14761f6e
	s_mov_b32 s31, 0x3f2a01a0
	s_wait_alu 0xfffe
	s_delay_alu instid0(VALU_DEP_1) | instskip(SKIP_3) | instid1(VALU_DEP_1)
	v_fma_f64 v[73:74], v[71:72], v[73:74], s[30:31]
	s_mov_b32 s30, 0x1852b7b0
	s_mov_b32 s31, 0x3f56c16c
	s_wait_alu 0xfffe
	v_fma_f64 v[73:74], v[71:72], v[73:74], s[30:31]
	s_mov_b32 s30, 0x11122322
	s_mov_b32 s31, 0x3f811111
	;; [unrolled: 9-line block ×3, first 2 shown]
	s_wait_alu 0xfffe
	s_delay_alu instid0(VALU_DEP_1) | instskip(SKIP_3) | instid1(VALU_DEP_1)
	v_fma_f64 v[73:74], v[71:72], v[73:74], s[30:31]
	s_mov_b32 s30, 11
	s_mov_b32 s31, 0x3fe00000
	s_wait_alu 0xfffe
	v_fma_f64 v[73:74], v[71:72], v[73:74], s[30:31]
	v_cmp_nlt_f64_e64 s30, 0x40900000, v[61:62]
	v_cmp_ngt_f64_e64 s31, 0xc090cc00, v[61:62]
	s_delay_alu instid0(VALU_DEP_3) | instskip(NEXT) | instid1(VALU_DEP_1)
	v_fma_f64 v[73:74], v[71:72], v[73:74], 1.0
	v_fma_f64 v[69:70], v[71:72], v[73:74], 1.0
	s_delay_alu instid0(VALU_DEP_1) | instskip(SKIP_1) | instid1(VALU_DEP_1)
	v_ldexp_f64 v[69:70], v[69:70], v75
	s_wait_alu 0xf1ff
	v_cndmask_b32_e64 v70, 0x7ff00000, v70, s30
	s_and_b32 s30, s31, s30
	s_wait_alu 0xfffe
	s_delay_alu instid0(VALU_DEP_2) | instskip(SKIP_3) | instid1(VALU_DEP_1)
	v_cndmask_b32_e64 v61, 0, v69, s30
	s_mov_b32 s30, 0x55555555
	v_cndmask_b32_e64 v62, 0, v70, s31
	s_mov_b32 s31, 0x3fe55555
	v_add_f64_e32 v[69:70], 1.0, v[61:62]
	s_delay_alu instid0(VALU_DEP_1) | instskip(SKIP_3) | instid1(VALU_DEP_3)
	v_frexp_mant_f64_e32 v[71:72], v[69:70]
	v_frexp_exp_i32_f64_e32 v75, v[69:70]
	v_add_f64_e32 v[73:74], -1.0, v[69:70]
	s_wait_alu 0xfffe
	v_cmp_gt_f64_e64 s30, s[30:31], v[71:72]
	s_delay_alu instid0(VALU_DEP_2) | instskip(SKIP_2) | instid1(VALU_DEP_3)
	v_add_f64_e64 v[71:72], v[73:74], -v[69:70]
	v_add_f64_e64 v[73:74], v[61:62], -v[73:74]
	s_wait_alu 0xf1ff
	v_subrev_co_ci_u32_e64 v110, null, 0, v75, s30
	s_delay_alu instid0(VALU_DEP_3) | instskip(SKIP_1) | instid1(VALU_DEP_2)
	v_add_f64_e32 v[71:72], 1.0, v[71:72]
	s_mov_b32 s30, 0x55555780
	v_sub_nc_u32_e32 v96, 0, v110
	s_delay_alu instid0(VALU_DEP_1) | instskip(NEXT) | instid1(VALU_DEP_3)
	v_ldexp_f64 v[69:70], v[69:70], v96
	v_add_f64_e32 v[71:72], v[73:74], v[71:72]
	s_delay_alu instid0(VALU_DEP_2) | instskip(SKIP_1) | instid1(VALU_DEP_3)
	v_add_f64_e32 v[75:76], 1.0, v[69:70]
	v_add_f64_e32 v[100:101], -1.0, v[69:70]
	v_ldexp_f64 v[71:72], v[71:72], v96
	s_delay_alu instid0(VALU_DEP_3) | instskip(NEXT) | instid1(VALU_DEP_3)
	v_add_f64_e32 v[73:74], -1.0, v[75:76]
	v_add_f64_e32 v[102:103], 1.0, v[100:101]
	s_delay_alu instid0(VALU_DEP_2) | instskip(NEXT) | instid1(VALU_DEP_2)
	v_add_f64_e64 v[73:74], v[69:70], -v[73:74]
	v_add_f64_e64 v[69:70], v[69:70], -v[102:103]
	s_delay_alu instid0(VALU_DEP_2) | instskip(NEXT) | instid1(VALU_DEP_2)
	v_add_f64_e32 v[73:74], v[71:72], v[73:74]
	v_add_f64_e32 v[69:70], v[71:72], v[69:70]
	s_delay_alu instid0(VALU_DEP_2) | instskip(NEXT) | instid1(VALU_DEP_2)
	v_add_f64_e32 v[96:97], v[75:76], v[73:74]
	v_add_f64_e32 v[102:103], v[100:101], v[69:70]
	s_delay_alu instid0(VALU_DEP_2) | instskip(SKIP_1) | instid1(VALU_DEP_2)
	v_rcp_f64_e32 v[98:99], v[96:97]
	v_add_f64_e64 v[75:76], v[96:97], -v[75:76]
	v_add_f64_e64 v[100:101], v[102:103], -v[100:101]
	s_delay_alu instid0(VALU_DEP_2) | instskip(NEXT) | instid1(TRANS32_DEP_1)
	v_add_f64_e64 v[73:74], v[73:74], -v[75:76]
	v_fma_f64 v[104:105], -v[96:97], v[98:99], 1.0
	s_delay_alu instid0(VALU_DEP_3) | instskip(NEXT) | instid1(VALU_DEP_2)
	v_add_f64_e64 v[69:70], v[69:70], -v[100:101]
	v_fma_f64 v[98:99], v[104:105], v[98:99], v[98:99]
	s_delay_alu instid0(VALU_DEP_1) | instskip(NEXT) | instid1(VALU_DEP_1)
	v_fma_f64 v[71:72], -v[96:97], v[98:99], 1.0
	v_fma_f64 v[71:72], v[71:72], v[98:99], v[98:99]
	s_delay_alu instid0(VALU_DEP_1) | instskip(NEXT) | instid1(VALU_DEP_1)
	v_mul_f64_e32 v[98:99], v[102:103], v[71:72]
	v_mul_f64_e32 v[104:105], v[96:97], v[98:99]
	s_delay_alu instid0(VALU_DEP_1) | instskip(NEXT) | instid1(VALU_DEP_1)
	v_fma_f64 v[75:76], v[98:99], v[96:97], -v[104:105]
	v_fma_f64 v[75:76], v[98:99], v[73:74], v[75:76]
	s_delay_alu instid0(VALU_DEP_1) | instskip(NEXT) | instid1(VALU_DEP_1)
	v_add_f64_e32 v[106:107], v[104:105], v[75:76]
	v_add_f64_e64 v[108:109], v[102:103], -v[106:107]
	v_add_f64_e64 v[100:101], v[106:107], -v[104:105]
	s_delay_alu instid0(VALU_DEP_2) | instskip(NEXT) | instid1(VALU_DEP_2)
	v_add_f64_e64 v[102:103], v[102:103], -v[108:109]
	v_add_f64_e64 v[75:76], v[100:101], -v[75:76]
	s_delay_alu instid0(VALU_DEP_2) | instskip(NEXT) | instid1(VALU_DEP_1)
	v_add_f64_e64 v[102:103], v[102:103], -v[106:107]
	v_add_f64_e32 v[69:70], v[69:70], v[102:103]
	s_delay_alu instid0(VALU_DEP_1) | instskip(NEXT) | instid1(VALU_DEP_1)
	v_add_f64_e32 v[69:70], v[75:76], v[69:70]
	v_add_f64_e32 v[75:76], v[108:109], v[69:70]
	s_delay_alu instid0(VALU_DEP_1) | instskip(SKIP_1) | instid1(VALU_DEP_2)
	v_mul_f64_e32 v[100:101], v[71:72], v[75:76]
	v_add_f64_e64 v[106:107], v[108:109], -v[75:76]
	v_mul_f64_e32 v[102:103], v[96:97], v[100:101]
	s_delay_alu instid0(VALU_DEP_2) | instskip(NEXT) | instid1(VALU_DEP_2)
	v_add_f64_e32 v[69:70], v[69:70], v[106:107]
	v_fma_f64 v[96:97], v[100:101], v[96:97], -v[102:103]
	s_delay_alu instid0(VALU_DEP_1) | instskip(NEXT) | instid1(VALU_DEP_1)
	v_fma_f64 v[73:74], v[100:101], v[73:74], v[96:97]
	v_add_f64_e32 v[96:97], v[102:103], v[73:74]
	s_delay_alu instid0(VALU_DEP_1) | instskip(SKIP_1) | instid1(VALU_DEP_2)
	v_add_f64_e64 v[104:105], v[75:76], -v[96:97]
	v_add_f64_e64 v[102:103], v[96:97], -v[102:103]
	;; [unrolled: 1-line block ×3, first 2 shown]
	s_delay_alu instid0(VALU_DEP_2) | instskip(NEXT) | instid1(VALU_DEP_2)
	v_add_f64_e64 v[73:74], v[102:103], -v[73:74]
	v_add_f64_e64 v[75:76], v[75:76], -v[96:97]
	s_delay_alu instid0(VALU_DEP_1) | instskip(SKIP_1) | instid1(VALU_DEP_2)
	v_add_f64_e32 v[69:70], v[69:70], v[75:76]
	v_add_f64_e32 v[75:76], v[98:99], v[100:101]
	;; [unrolled: 1-line block ×3, first 2 shown]
	s_delay_alu instid0(VALU_DEP_2) | instskip(NEXT) | instid1(VALU_DEP_2)
	v_add_f64_e64 v[73:74], v[75:76], -v[98:99]
	v_add_f64_e32 v[69:70], v[104:105], v[69:70]
	s_delay_alu instid0(VALU_DEP_2) | instskip(NEXT) | instid1(VALU_DEP_2)
	v_add_f64_e64 v[73:74], v[100:101], -v[73:74]
	v_mul_f64_e32 v[69:70], v[71:72], v[69:70]
	s_delay_alu instid0(VALU_DEP_1) | instskip(NEXT) | instid1(VALU_DEP_1)
	v_add_f64_e32 v[69:70], v[73:74], v[69:70]
	v_add_f64_e32 v[71:72], v[75:76], v[69:70]
	s_delay_alu instid0(VALU_DEP_1) | instskip(NEXT) | instid1(VALU_DEP_1)
	v_mul_f64_e32 v[73:74], v[71:72], v[71:72]
	v_fma_f64 v[96:97], v[73:74], s[42:43], s[40:41]
	s_mov_b32 s40, 0xd7f4df2e
	s_mov_b32 s41, 0x3fc7474d
	v_mul_f64_e32 v[98:99], v[71:72], v[73:74]
	s_wait_alu 0xfffe
	s_delay_alu instid0(VALU_DEP_2) | instskip(SKIP_3) | instid1(VALU_DEP_1)
	v_fma_f64 v[96:97], v[73:74], v[96:97], s[40:41]
	s_mov_b32 s40, 0x16291751
	s_mov_b32 s41, 0x3fcc71c0
	s_wait_alu 0xfffe
	v_fma_f64 v[96:97], v[73:74], v[96:97], s[40:41]
	s_mov_b32 s40, 0x9b27acf1
	s_mov_b32 s41, 0x3fd24924
	s_wait_alu 0xfffe
	s_delay_alu instid0(VALU_DEP_1) | instskip(SKIP_3) | instid1(VALU_DEP_1)
	v_fma_f64 v[96:97], v[73:74], v[96:97], s[40:41]
	s_mov_b32 s40, 0x998ef7b6
	s_mov_b32 s41, 0x3fd99999
	s_wait_alu 0xfffe
	v_fma_f64 v[96:97], v[73:74], v[96:97], s[40:41]
	s_delay_alu instid0(VALU_DEP_1)
	v_fma_f64 v[73:74], v[73:74], v[96:97], s[30:31]
	v_ldexp_f64 v[96:97], v[71:72], 1
	v_add_f64_e64 v[71:72], v[71:72], -v[75:76]
	v_cmp_nge_f64_e64 s30, -1.0, v[61:62]
	v_cmp_neq_f64_e64 s31, 0x7ff00000, v[61:62]
	v_mul_f64_e32 v[73:74], v[98:99], v[73:74]
	v_cvt_f64_i32_e32 v[98:99], v110
	v_add_f64_e64 v[69:70], v[69:70], -v[71:72]
	s_and_b32 s30, s30, s31
	s_delay_alu instid0(VALU_DEP_3) | instskip(NEXT) | instid1(VALU_DEP_3)
	v_add_f64_e32 v[75:76], v[96:97], v[73:74]
	v_mul_f64_e32 v[100:101], s[34:35], v[98:99]
	s_delay_alu instid0(VALU_DEP_3) | instskip(NEXT) | instid1(VALU_DEP_3)
	v_ldexp_f64 v[69:70], v[69:70], 1
	v_add_f64_e64 v[71:72], v[75:76], -v[96:97]
	s_delay_alu instid0(VALU_DEP_3) | instskip(SKIP_1) | instid1(VALU_DEP_3)
	v_fma_f64 v[96:97], v[98:99], s[34:35], -v[100:101]
	v_cmp_ngt_f64_e64 s34, -1.0, v[61:62]
	v_add_f64_e64 v[71:72], v[73:74], -v[71:72]
	s_delay_alu instid0(VALU_DEP_3) | instskip(NEXT) | instid1(VALU_DEP_2)
	v_fma_f64 v[73:74], v[98:99], s[36:37], v[96:97]
	v_add_f64_e32 v[69:70], v[69:70], v[71:72]
	s_delay_alu instid0(VALU_DEP_2) | instskip(NEXT) | instid1(VALU_DEP_2)
	v_add_f64_e32 v[71:72], v[100:101], v[73:74]
	v_add_f64_e32 v[96:97], v[75:76], v[69:70]
	s_delay_alu instid0(VALU_DEP_2) | instskip(NEXT) | instid1(VALU_DEP_2)
	v_add_f64_e64 v[100:101], v[71:72], -v[100:101]
	v_add_f64_e32 v[98:99], v[71:72], v[96:97]
	v_add_f64_e64 v[75:76], v[96:97], -v[75:76]
	s_delay_alu instid0(VALU_DEP_3) | instskip(NEXT) | instid1(VALU_DEP_3)
	v_add_f64_e64 v[73:74], v[73:74], -v[100:101]
	v_add_f64_e64 v[102:103], v[98:99], -v[71:72]
	s_delay_alu instid0(VALU_DEP_3) | instskip(NEXT) | instid1(VALU_DEP_2)
	v_add_f64_e64 v[69:70], v[69:70], -v[75:76]
	v_add_f64_e64 v[104:105], v[98:99], -v[102:103]
	;; [unrolled: 1-line block ×3, first 2 shown]
	s_delay_alu instid0(VALU_DEP_3) | instskip(NEXT) | instid1(VALU_DEP_3)
	v_add_f64_e32 v[96:97], v[73:74], v[69:70]
	v_add_f64_e64 v[71:72], v[71:72], -v[104:105]
	s_delay_alu instid0(VALU_DEP_1) | instskip(NEXT) | instid1(VALU_DEP_3)
	v_add_f64_e32 v[71:72], v[75:76], v[71:72]
	v_add_f64_e64 v[75:76], v[96:97], -v[73:74]
	s_delay_alu instid0(VALU_DEP_2) | instskip(NEXT) | instid1(VALU_DEP_2)
	v_add_f64_e32 v[71:72], v[96:97], v[71:72]
	v_add_f64_e64 v[96:97], v[96:97], -v[75:76]
	v_add_f64_e64 v[69:70], v[69:70], -v[75:76]
	s_delay_alu instid0(VALU_DEP_3) | instskip(NEXT) | instid1(VALU_DEP_3)
	v_add_f64_e32 v[100:101], v[98:99], v[71:72]
	v_add_f64_e64 v[73:74], v[73:74], -v[96:97]
	s_delay_alu instid0(VALU_DEP_2) | instskip(NEXT) | instid1(VALU_DEP_2)
	v_add_f64_e64 v[75:76], v[100:101], -v[98:99]
	v_add_f64_e32 v[69:70], v[69:70], v[73:74]
	s_delay_alu instid0(VALU_DEP_2) | instskip(NEXT) | instid1(VALU_DEP_1)
	v_add_f64_e64 v[71:72], v[71:72], -v[75:76]
	v_add_f64_e32 v[69:70], v[69:70], v[71:72]
	s_delay_alu instid0(VALU_DEP_1) | instskip(SKIP_1) | instid1(VALU_DEP_1)
	v_add_f64_e32 v[69:70], v[100:101], v[69:70]
	s_wait_alu 0xfffe
	v_cndmask_b32_e64 v69, 0, v69, s30
	v_cmp_neq_f64_e64 s30, -1.0, v[61:62]
	s_delay_alu instid0(VALU_DEP_3) | instskip(SKIP_1) | instid1(VALU_DEP_1)
	v_cndmask_b32_e64 v70, 0x7ff00000, v70, s31
	s_wait_alu 0xf1ff
	v_cndmask_b32_e64 v70, 0x7ff80000, v70, s34
	s_delay_alu instid0(VALU_DEP_1) | instskip(NEXT) | instid1(VALU_DEP_1)
	v_cndmask_b32_e64 v70, 0xfff00000, v70, s30
	v_add_f64_e32 v[69:70], v[59:60], v[69:70]
.LBB23_58:
	s_wait_alu 0xfffe
	s_or_b32 exec_lo, exec_lo, s38
	v_max_num_f64_e32 v[59:60], v[5:6], v[5:6]
	s_delay_alu instid0(VALU_DEP_2) | instskip(SKIP_2) | instid1(VALU_DEP_3)
	v_max_num_f64_e32 v[61:62], v[69:70], v[69:70]
	v_cmp_u_f64_e64 s31, v[69:70], v[69:70]
	v_cmp_u_f64_e64 s30, v[5:6], v[5:6]
	v_min_num_f64_e32 v[71:72], v[61:62], v[59:60]
	v_max_num_f64_e32 v[61:62], v[61:62], v[59:60]
	s_wait_alu 0xf1ff
	s_delay_alu instid0(VALU_DEP_2) | instskip(NEXT) | instid1(VALU_DEP_3)
	v_cndmask_b32_e64 v71, v71, v69, s31
	v_cndmask_b32_e64 v72, v72, v70, s31
	s_delay_alu instid0(VALU_DEP_3) | instskip(NEXT) | instid1(VALU_DEP_4)
	v_cndmask_b32_e64 v62, v62, v70, s31
	v_cndmask_b32_e64 v61, v61, v69, s31
	s_delay_alu instid0(VALU_DEP_4) | instskip(NEXT) | instid1(VALU_DEP_4)
	v_cndmask_b32_e64 v71, v71, v5, s30
	v_cndmask_b32_e64 v72, v72, v6, s30
	s_delay_alu instid0(VALU_DEP_4) | instskip(NEXT) | instid1(VALU_DEP_4)
	v_cndmask_b32_e64 v62, v62, v6, s30
	v_cndmask_b32_e64 v61, v61, v5, s30
	s_delay_alu instid0(VALU_DEP_3) | instskip(NEXT) | instid1(VALU_DEP_2)
	v_cmp_class_f64_e64 s34, v[71:72], 0x1f8
	v_cmp_neq_f64_e64 s31, v[71:72], v[61:62]
	s_or_b32 s31, s31, s34
	s_wait_alu 0xfffe
	s_and_saveexec_b32 s40, s31
	s_cbranch_execz .LBB23_60
; %bb.59:
	v_add_f64_e64 v[69:70], v[71:72], -v[61:62]
	s_mov_b32 s34, 0x652b82fe
	s_mov_b32 s35, 0x3ff71547
	;; [unrolled: 1-line block ×10, first 2 shown]
	s_wait_alu 0xfffe
	s_delay_alu instid0(VALU_DEP_1) | instskip(SKIP_3) | instid1(VALU_DEP_2)
	v_mul_f64_e32 v[71:72], s[34:35], v[69:70]
	s_mov_b32 s34, 0xfca7ab0c
	s_mov_b32 s35, 0x3e928af3
	v_cmp_nlt_f64_e64 s31, 0x40900000, v[69:70]
	v_rndne_f64_e32 v[71:72], v[71:72]
	s_delay_alu instid0(VALU_DEP_1) | instskip(SKIP_2) | instid1(VALU_DEP_2)
	v_fma_f64 v[73:74], v[71:72], s[36:37], v[69:70]
	v_cvt_i32_f64_e32 v96, v[71:72]
	s_mov_b32 s37, 0x3fe62e42
	v_fma_f64 v[73:74], v[71:72], s[38:39], v[73:74]
	s_mov_b32 s39, 0x3c7abc9e
	s_wait_alu 0xfffe
	s_delay_alu instid0(VALU_DEP_1)
	v_fma_f64 v[75:76], v[73:74], s[42:43], s[34:35]
	s_mov_b32 s34, 0x623fde64
	s_mov_b32 s35, 0x3ec71dee
	;; [unrolled: 1-line block ×4, first 2 shown]
	s_wait_alu 0xfffe
	s_delay_alu instid0(VALU_DEP_1) | instskip(SKIP_3) | instid1(VALU_DEP_1)
	v_fma_f64 v[75:76], v[73:74], v[75:76], s[34:35]
	s_mov_b32 s34, 0x7c89e6b0
	s_mov_b32 s35, 0x3efa0199
	s_wait_alu 0xfffe
	v_fma_f64 v[75:76], v[73:74], v[75:76], s[34:35]
	s_mov_b32 s34, 0x14761f6e
	s_mov_b32 s35, 0x3f2a01a0
	s_wait_alu 0xfffe
	s_delay_alu instid0(VALU_DEP_1) | instskip(SKIP_3) | instid1(VALU_DEP_1)
	v_fma_f64 v[75:76], v[73:74], v[75:76], s[34:35]
	s_mov_b32 s34, 0x1852b7b0
	s_mov_b32 s35, 0x3f56c16c
	s_wait_alu 0xfffe
	v_fma_f64 v[75:76], v[73:74], v[75:76], s[34:35]
	s_mov_b32 s34, 0x11122322
	s_mov_b32 s35, 0x3f811111
	;; [unrolled: 9-line block ×3, first 2 shown]
	s_wait_alu 0xfffe
	s_delay_alu instid0(VALU_DEP_1) | instskip(SKIP_3) | instid1(VALU_DEP_1)
	v_fma_f64 v[75:76], v[73:74], v[75:76], s[34:35]
	s_mov_b32 s34, 11
	s_mov_b32 s35, 0x3fe00000
	s_wait_alu 0xfffe
	v_fma_f64 v[75:76], v[73:74], v[75:76], s[34:35]
	v_cmp_ngt_f64_e64 s34, 0xc090cc00, v[69:70]
	s_mov_b32 s35, 0x3fe55555
	v_fma_f64 v[75:76], v[73:74], v[75:76], 1.0
	s_delay_alu instid0(VALU_DEP_1) | instskip(NEXT) | instid1(VALU_DEP_1)
	v_fma_f64 v[71:72], v[73:74], v[75:76], 1.0
	v_ldexp_f64 v[71:72], v[71:72], v96
	s_wait_alu 0xf1ff
	s_delay_alu instid0(VALU_DEP_1) | instskip(SKIP_2) | instid1(VALU_DEP_2)
	v_cndmask_b32_e64 v72, 0x7ff00000, v72, s31
	s_and_b32 s31, s34, s31
	s_wait_alu 0xfffe
	v_cndmask_b32_e64 v69, 0, v71, s31
	s_delay_alu instid0(VALU_DEP_2) | instskip(SKIP_1) | instid1(VALU_DEP_1)
	v_cndmask_b32_e64 v70, 0, v72, s34
	s_mov_b32 s34, 0x55555555
	v_add_f64_e32 v[71:72], 1.0, v[69:70]
	s_delay_alu instid0(VALU_DEP_1) | instskip(SKIP_3) | instid1(VALU_DEP_3)
	v_frexp_mant_f64_e32 v[73:74], v[71:72]
	v_frexp_exp_i32_f64_e32 v96, v[71:72]
	v_add_f64_e32 v[75:76], -1.0, v[71:72]
	s_wait_alu 0xfffe
	v_cmp_gt_f64_e64 s31, s[34:35], v[73:74]
	s_mov_b32 s34, 0x55555780
	v_add_f64_e64 v[73:74], v[75:76], -v[71:72]
	v_add_f64_e64 v[75:76], v[69:70], -v[75:76]
	s_wait_alu 0xf1ff
	v_subrev_co_ci_u32_e64 v112, null, 0, v96, s31
	s_delay_alu instid0(VALU_DEP_3) | instskip(SKIP_1) | instid1(VALU_DEP_3)
	v_add_f64_e32 v[73:74], 1.0, v[73:74]
	v_cmp_nge_f64_e64 s31, -1.0, v[69:70]
	v_sub_nc_u32_e32 v98, 0, v112
	s_delay_alu instid0(VALU_DEP_1) | instskip(NEXT) | instid1(VALU_DEP_4)
	v_ldexp_f64 v[71:72], v[71:72], v98
	v_add_f64_e32 v[73:74], v[75:76], v[73:74]
	s_delay_alu instid0(VALU_DEP_2) | instskip(SKIP_1) | instid1(VALU_DEP_3)
	v_add_f64_e32 v[96:97], 1.0, v[71:72]
	v_add_f64_e32 v[102:103], -1.0, v[71:72]
	v_ldexp_f64 v[73:74], v[73:74], v98
	s_delay_alu instid0(VALU_DEP_3) | instskip(NEXT) | instid1(VALU_DEP_3)
	v_add_f64_e32 v[75:76], -1.0, v[96:97]
	v_add_f64_e32 v[104:105], 1.0, v[102:103]
	s_delay_alu instid0(VALU_DEP_2) | instskip(NEXT) | instid1(VALU_DEP_2)
	v_add_f64_e64 v[75:76], v[71:72], -v[75:76]
	v_add_f64_e64 v[71:72], v[71:72], -v[104:105]
	s_delay_alu instid0(VALU_DEP_2) | instskip(NEXT) | instid1(VALU_DEP_2)
	v_add_f64_e32 v[75:76], v[73:74], v[75:76]
	v_add_f64_e32 v[71:72], v[73:74], v[71:72]
	s_delay_alu instid0(VALU_DEP_2) | instskip(NEXT) | instid1(VALU_DEP_2)
	v_add_f64_e32 v[98:99], v[96:97], v[75:76]
	v_add_f64_e32 v[104:105], v[102:103], v[71:72]
	s_delay_alu instid0(VALU_DEP_2) | instskip(SKIP_1) | instid1(VALU_DEP_2)
	v_rcp_f64_e32 v[100:101], v[98:99]
	v_add_f64_e64 v[96:97], v[98:99], -v[96:97]
	v_add_f64_e64 v[102:103], v[104:105], -v[102:103]
	s_delay_alu instid0(VALU_DEP_2) | instskip(NEXT) | instid1(TRANS32_DEP_1)
	v_add_f64_e64 v[75:76], v[75:76], -v[96:97]
	v_fma_f64 v[106:107], -v[98:99], v[100:101], 1.0
	s_delay_alu instid0(VALU_DEP_3) | instskip(NEXT) | instid1(VALU_DEP_2)
	v_add_f64_e64 v[71:72], v[71:72], -v[102:103]
	v_fma_f64 v[100:101], v[106:107], v[100:101], v[100:101]
	s_delay_alu instid0(VALU_DEP_1) | instskip(NEXT) | instid1(VALU_DEP_1)
	v_fma_f64 v[73:74], -v[98:99], v[100:101], 1.0
	v_fma_f64 v[73:74], v[73:74], v[100:101], v[100:101]
	s_delay_alu instid0(VALU_DEP_1) | instskip(NEXT) | instid1(VALU_DEP_1)
	v_mul_f64_e32 v[100:101], v[104:105], v[73:74]
	v_mul_f64_e32 v[106:107], v[98:99], v[100:101]
	s_delay_alu instid0(VALU_DEP_1) | instskip(NEXT) | instid1(VALU_DEP_1)
	v_fma_f64 v[96:97], v[100:101], v[98:99], -v[106:107]
	v_fma_f64 v[96:97], v[100:101], v[75:76], v[96:97]
	s_delay_alu instid0(VALU_DEP_1) | instskip(NEXT) | instid1(VALU_DEP_1)
	v_add_f64_e32 v[108:109], v[106:107], v[96:97]
	v_add_f64_e64 v[110:111], v[104:105], -v[108:109]
	v_add_f64_e64 v[102:103], v[108:109], -v[106:107]
	s_delay_alu instid0(VALU_DEP_2) | instskip(NEXT) | instid1(VALU_DEP_2)
	v_add_f64_e64 v[104:105], v[104:105], -v[110:111]
	v_add_f64_e64 v[96:97], v[102:103], -v[96:97]
	s_delay_alu instid0(VALU_DEP_2) | instskip(NEXT) | instid1(VALU_DEP_1)
	v_add_f64_e64 v[104:105], v[104:105], -v[108:109]
	v_add_f64_e32 v[71:72], v[71:72], v[104:105]
	s_delay_alu instid0(VALU_DEP_1) | instskip(NEXT) | instid1(VALU_DEP_1)
	v_add_f64_e32 v[71:72], v[96:97], v[71:72]
	v_add_f64_e32 v[96:97], v[110:111], v[71:72]
	s_delay_alu instid0(VALU_DEP_1) | instskip(SKIP_1) | instid1(VALU_DEP_2)
	v_mul_f64_e32 v[102:103], v[73:74], v[96:97]
	v_add_f64_e64 v[108:109], v[110:111], -v[96:97]
	v_mul_f64_e32 v[104:105], v[98:99], v[102:103]
	s_delay_alu instid0(VALU_DEP_2) | instskip(NEXT) | instid1(VALU_DEP_2)
	v_add_f64_e32 v[71:72], v[71:72], v[108:109]
	v_fma_f64 v[98:99], v[102:103], v[98:99], -v[104:105]
	s_delay_alu instid0(VALU_DEP_1) | instskip(NEXT) | instid1(VALU_DEP_1)
	v_fma_f64 v[75:76], v[102:103], v[75:76], v[98:99]
	v_add_f64_e32 v[98:99], v[104:105], v[75:76]
	s_delay_alu instid0(VALU_DEP_1) | instskip(SKIP_1) | instid1(VALU_DEP_2)
	v_add_f64_e64 v[106:107], v[96:97], -v[98:99]
	v_add_f64_e64 v[104:105], v[98:99], -v[104:105]
	;; [unrolled: 1-line block ×3, first 2 shown]
	s_delay_alu instid0(VALU_DEP_2) | instskip(NEXT) | instid1(VALU_DEP_2)
	v_add_f64_e64 v[75:76], v[104:105], -v[75:76]
	v_add_f64_e64 v[96:97], v[96:97], -v[98:99]
	s_delay_alu instid0(VALU_DEP_1) | instskip(SKIP_1) | instid1(VALU_DEP_2)
	v_add_f64_e32 v[71:72], v[71:72], v[96:97]
	v_add_f64_e32 v[96:97], v[100:101], v[102:103]
	;; [unrolled: 1-line block ×3, first 2 shown]
	s_delay_alu instid0(VALU_DEP_2) | instskip(NEXT) | instid1(VALU_DEP_2)
	v_add_f64_e64 v[75:76], v[96:97], -v[100:101]
	v_add_f64_e32 v[71:72], v[106:107], v[71:72]
	s_delay_alu instid0(VALU_DEP_2) | instskip(NEXT) | instid1(VALU_DEP_2)
	v_add_f64_e64 v[75:76], v[102:103], -v[75:76]
	v_mul_f64_e32 v[71:72], v[73:74], v[71:72]
	s_delay_alu instid0(VALU_DEP_1) | instskip(NEXT) | instid1(VALU_DEP_1)
	v_add_f64_e32 v[71:72], v[75:76], v[71:72]
	v_add_f64_e32 v[73:74], v[96:97], v[71:72]
	s_delay_alu instid0(VALU_DEP_1) | instskip(NEXT) | instid1(VALU_DEP_1)
	v_mul_f64_e32 v[75:76], v[73:74], v[73:74]
	v_fma_f64 v[98:99], v[75:76], s[44:45], s[42:43]
	s_mov_b32 s42, 0xd7f4df2e
	s_mov_b32 s43, 0x3fc7474d
	v_mul_f64_e32 v[100:101], v[73:74], v[75:76]
	s_wait_alu 0xfffe
	s_delay_alu instid0(VALU_DEP_2) | instskip(SKIP_3) | instid1(VALU_DEP_1)
	v_fma_f64 v[98:99], v[75:76], v[98:99], s[42:43]
	s_mov_b32 s42, 0x16291751
	s_mov_b32 s43, 0x3fcc71c0
	s_wait_alu 0xfffe
	v_fma_f64 v[98:99], v[75:76], v[98:99], s[42:43]
	s_mov_b32 s42, 0x9b27acf1
	s_mov_b32 s43, 0x3fd24924
	s_wait_alu 0xfffe
	s_delay_alu instid0(VALU_DEP_1) | instskip(SKIP_3) | instid1(VALU_DEP_1)
	v_fma_f64 v[98:99], v[75:76], v[98:99], s[42:43]
	s_mov_b32 s42, 0x998ef7b6
	s_mov_b32 s43, 0x3fd99999
	s_wait_alu 0xfffe
	v_fma_f64 v[98:99], v[75:76], v[98:99], s[42:43]
	s_delay_alu instid0(VALU_DEP_1)
	v_fma_f64 v[75:76], v[75:76], v[98:99], s[34:35]
	v_ldexp_f64 v[98:99], v[73:74], 1
	v_add_f64_e64 v[73:74], v[73:74], -v[96:97]
	v_cmp_neq_f64_e64 s34, 0x7ff00000, v[69:70]
	v_cmp_ngt_f64_e64 s35, -1.0, v[69:70]
	v_mul_f64_e32 v[75:76], v[100:101], v[75:76]
	v_cvt_f64_i32_e32 v[100:101], v112
	v_add_f64_e64 v[71:72], v[71:72], -v[73:74]
	s_and_b32 s31, s31, s34
	s_delay_alu instid0(VALU_DEP_3) | instskip(NEXT) | instid1(VALU_DEP_3)
	v_add_f64_e32 v[96:97], v[98:99], v[75:76]
	v_mul_f64_e32 v[102:103], s[36:37], v[100:101]
	s_delay_alu instid0(VALU_DEP_3) | instskip(NEXT) | instid1(VALU_DEP_3)
	v_ldexp_f64 v[71:72], v[71:72], 1
	v_add_f64_e64 v[73:74], v[96:97], -v[98:99]
	s_delay_alu instid0(VALU_DEP_3) | instskip(NEXT) | instid1(VALU_DEP_2)
	v_fma_f64 v[98:99], v[100:101], s[36:37], -v[102:103]
	v_add_f64_e64 v[73:74], v[75:76], -v[73:74]
	s_delay_alu instid0(VALU_DEP_2) | instskip(NEXT) | instid1(VALU_DEP_2)
	v_fma_f64 v[75:76], v[100:101], s[38:39], v[98:99]
	v_add_f64_e32 v[71:72], v[71:72], v[73:74]
	s_delay_alu instid0(VALU_DEP_2) | instskip(NEXT) | instid1(VALU_DEP_2)
	v_add_f64_e32 v[73:74], v[102:103], v[75:76]
	v_add_f64_e32 v[98:99], v[96:97], v[71:72]
	s_delay_alu instid0(VALU_DEP_2) | instskip(NEXT) | instid1(VALU_DEP_2)
	v_add_f64_e64 v[102:103], v[73:74], -v[102:103]
	v_add_f64_e32 v[100:101], v[73:74], v[98:99]
	v_add_f64_e64 v[96:97], v[98:99], -v[96:97]
	s_delay_alu instid0(VALU_DEP_3) | instskip(NEXT) | instid1(VALU_DEP_3)
	v_add_f64_e64 v[75:76], v[75:76], -v[102:103]
	v_add_f64_e64 v[104:105], v[100:101], -v[73:74]
	s_delay_alu instid0(VALU_DEP_3) | instskip(NEXT) | instid1(VALU_DEP_2)
	v_add_f64_e64 v[71:72], v[71:72], -v[96:97]
	v_add_f64_e64 v[106:107], v[100:101], -v[104:105]
	;; [unrolled: 1-line block ×3, first 2 shown]
	s_delay_alu instid0(VALU_DEP_3) | instskip(NEXT) | instid1(VALU_DEP_3)
	v_add_f64_e32 v[98:99], v[75:76], v[71:72]
	v_add_f64_e64 v[73:74], v[73:74], -v[106:107]
	s_delay_alu instid0(VALU_DEP_1) | instskip(NEXT) | instid1(VALU_DEP_3)
	v_add_f64_e32 v[73:74], v[96:97], v[73:74]
	v_add_f64_e64 v[96:97], v[98:99], -v[75:76]
	s_delay_alu instid0(VALU_DEP_2) | instskip(NEXT) | instid1(VALU_DEP_2)
	v_add_f64_e32 v[73:74], v[98:99], v[73:74]
	v_add_f64_e64 v[98:99], v[98:99], -v[96:97]
	v_add_f64_e64 v[71:72], v[71:72], -v[96:97]
	s_delay_alu instid0(VALU_DEP_3) | instskip(NEXT) | instid1(VALU_DEP_3)
	v_add_f64_e32 v[102:103], v[100:101], v[73:74]
	v_add_f64_e64 v[75:76], v[75:76], -v[98:99]
	s_delay_alu instid0(VALU_DEP_2) | instskip(NEXT) | instid1(VALU_DEP_2)
	v_add_f64_e64 v[96:97], v[102:103], -v[100:101]
	v_add_f64_e32 v[71:72], v[71:72], v[75:76]
	s_delay_alu instid0(VALU_DEP_2) | instskip(NEXT) | instid1(VALU_DEP_1)
	v_add_f64_e64 v[73:74], v[73:74], -v[96:97]
	v_add_f64_e32 v[71:72], v[71:72], v[73:74]
	s_delay_alu instid0(VALU_DEP_1) | instskip(SKIP_1) | instid1(VALU_DEP_1)
	v_add_f64_e32 v[71:72], v[102:103], v[71:72]
	s_wait_alu 0xfffe
	v_cndmask_b32_e64 v71, 0, v71, s31
	v_cmp_neq_f64_e64 s31, -1.0, v[69:70]
	s_delay_alu instid0(VALU_DEP_3) | instskip(NEXT) | instid1(VALU_DEP_1)
	v_cndmask_b32_e64 v72, 0x7ff00000, v72, s34
	v_cndmask_b32_e64 v72, 0x7ff80000, v72, s35
	s_wait_alu 0xf1ff
	s_delay_alu instid0(VALU_DEP_1) | instskip(NEXT) | instid1(VALU_DEP_1)
	v_cndmask_b32_e64 v72, 0xfff00000, v72, s31
	v_add_f64_e32 v[69:70], v[61:62], v[71:72]
.LBB23_60:
	s_wait_alu 0xfffe
	s_or_b32 exec_lo, exec_lo, s40
	v_max_num_f64_e32 v[61:62], v[7:8], v[7:8]
	s_delay_alu instid0(VALU_DEP_2) | instskip(SKIP_2) | instid1(VALU_DEP_3)
	v_max_num_f64_e32 v[71:72], v[69:70], v[69:70]
	v_cmp_u_f64_e64 s34, v[69:70], v[69:70]
	v_cmp_u_f64_e64 s31, v[7:8], v[7:8]
	v_min_num_f64_e32 v[73:74], v[71:72], v[61:62]
	v_max_num_f64_e32 v[71:72], v[71:72], v[61:62]
	s_wait_alu 0xf1ff
	s_delay_alu instid0(VALU_DEP_2) | instskip(NEXT) | instid1(VALU_DEP_3)
	v_cndmask_b32_e64 v73, v73, v69, s34
	v_cndmask_b32_e64 v74, v74, v70, s34
	s_delay_alu instid0(VALU_DEP_3) | instskip(NEXT) | instid1(VALU_DEP_4)
	v_cndmask_b32_e64 v72, v72, v70, s34
	v_cndmask_b32_e64 v71, v71, v69, s34
	s_delay_alu instid0(VALU_DEP_4) | instskip(NEXT) | instid1(VALU_DEP_4)
	v_cndmask_b32_e64 v73, v73, v7, s31
	v_cndmask_b32_e64 v74, v74, v8, s31
	s_delay_alu instid0(VALU_DEP_4) | instskip(NEXT) | instid1(VALU_DEP_4)
	v_cndmask_b32_e64 v72, v72, v8, s31
	v_cndmask_b32_e64 v71, v71, v7, s31
	s_delay_alu instid0(VALU_DEP_3) | instskip(NEXT) | instid1(VALU_DEP_2)
	v_cmp_class_f64_e64 s35, v[73:74], 0x1f8
	v_cmp_neq_f64_e64 s34, v[73:74], v[71:72]
	s_or_b32 s34, s34, s35
	s_wait_alu 0xfffe
	s_and_saveexec_b32 s40, s34
	s_cbranch_execz .LBB23_62
; %bb.61:
	v_add_f64_e64 v[69:70], v[73:74], -v[71:72]
	s_mov_b32 s34, 0x652b82fe
	s_mov_b32 s35, 0x3ff71547
	;; [unrolled: 1-line block ×10, first 2 shown]
	s_wait_alu 0xfffe
	s_delay_alu instid0(VALU_DEP_1) | instskip(SKIP_2) | instid1(VALU_DEP_1)
	v_mul_f64_e32 v[73:74], s[34:35], v[69:70]
	s_mov_b32 s34, 0xfca7ab0c
	s_mov_b32 s35, 0x3e928af3
	v_rndne_f64_e32 v[73:74], v[73:74]
	s_delay_alu instid0(VALU_DEP_1) | instskip(SKIP_2) | instid1(VALU_DEP_2)
	v_fma_f64 v[75:76], v[73:74], s[36:37], v[69:70]
	v_cvt_i32_f64_e32 v98, v[73:74]
	s_mov_b32 s37, 0x3fe62e42
	v_fma_f64 v[75:76], v[73:74], s[38:39], v[75:76]
	s_mov_b32 s39, 0x3c7abc9e
	s_wait_alu 0xfffe
	s_delay_alu instid0(VALU_DEP_1)
	v_fma_f64 v[96:97], v[75:76], s[42:43], s[34:35]
	s_mov_b32 s34, 0x623fde64
	s_mov_b32 s35, 0x3ec71dee
	;; [unrolled: 1-line block ×4, first 2 shown]
	s_wait_alu 0xfffe
	s_delay_alu instid0(VALU_DEP_1) | instskip(SKIP_3) | instid1(VALU_DEP_1)
	v_fma_f64 v[96:97], v[75:76], v[96:97], s[34:35]
	s_mov_b32 s34, 0x7c89e6b0
	s_mov_b32 s35, 0x3efa0199
	s_wait_alu 0xfffe
	v_fma_f64 v[96:97], v[75:76], v[96:97], s[34:35]
	s_mov_b32 s34, 0x14761f6e
	s_mov_b32 s35, 0x3f2a01a0
	s_wait_alu 0xfffe
	s_delay_alu instid0(VALU_DEP_1) | instskip(SKIP_3) | instid1(VALU_DEP_1)
	v_fma_f64 v[96:97], v[75:76], v[96:97], s[34:35]
	s_mov_b32 s34, 0x1852b7b0
	s_mov_b32 s35, 0x3f56c16c
	s_wait_alu 0xfffe
	v_fma_f64 v[96:97], v[75:76], v[96:97], s[34:35]
	s_mov_b32 s34, 0x11122322
	s_mov_b32 s35, 0x3f811111
	;; [unrolled: 9-line block ×3, first 2 shown]
	s_wait_alu 0xfffe
	s_delay_alu instid0(VALU_DEP_1) | instskip(SKIP_3) | instid1(VALU_DEP_1)
	v_fma_f64 v[96:97], v[75:76], v[96:97], s[34:35]
	s_mov_b32 s34, 11
	s_mov_b32 s35, 0x3fe00000
	s_wait_alu 0xfffe
	v_fma_f64 v[96:97], v[75:76], v[96:97], s[34:35]
	v_cmp_nlt_f64_e64 s34, 0x40900000, v[69:70]
	v_cmp_ngt_f64_e64 s35, 0xc090cc00, v[69:70]
	s_delay_alu instid0(VALU_DEP_3) | instskip(NEXT) | instid1(VALU_DEP_1)
	v_fma_f64 v[96:97], v[75:76], v[96:97], 1.0
	v_fma_f64 v[73:74], v[75:76], v[96:97], 1.0
	s_delay_alu instid0(VALU_DEP_1) | instskip(SKIP_1) | instid1(VALU_DEP_1)
	v_ldexp_f64 v[73:74], v[73:74], v98
	s_wait_alu 0xf1ff
	v_cndmask_b32_e64 v74, 0x7ff00000, v74, s34
	s_and_b32 s34, s35, s34
	s_wait_alu 0xfffe
	s_delay_alu instid0(VALU_DEP_2) | instskip(SKIP_3) | instid1(VALU_DEP_1)
	v_cndmask_b32_e64 v69, 0, v73, s34
	s_mov_b32 s34, 0x55555555
	v_cndmask_b32_e64 v70, 0, v74, s35
	s_mov_b32 s35, 0x3fe55555
	v_add_f64_e32 v[73:74], 1.0, v[69:70]
	s_delay_alu instid0(VALU_DEP_1) | instskip(SKIP_3) | instid1(VALU_DEP_3)
	v_frexp_mant_f64_e32 v[75:76], v[73:74]
	v_frexp_exp_i32_f64_e32 v98, v[73:74]
	v_add_f64_e32 v[96:97], -1.0, v[73:74]
	s_wait_alu 0xfffe
	v_cmp_gt_f64_e64 s34, s[34:35], v[75:76]
	s_delay_alu instid0(VALU_DEP_2) | instskip(SKIP_2) | instid1(VALU_DEP_3)
	v_add_f64_e64 v[75:76], v[96:97], -v[73:74]
	v_add_f64_e64 v[96:97], v[69:70], -v[96:97]
	s_wait_alu 0xf1ff
	v_subrev_co_ci_u32_e64 v114, null, 0, v98, s34
	s_delay_alu instid0(VALU_DEP_3) | instskip(SKIP_1) | instid1(VALU_DEP_2)
	v_add_f64_e32 v[75:76], 1.0, v[75:76]
	s_mov_b32 s34, 0x55555780
	v_sub_nc_u32_e32 v100, 0, v114
	s_delay_alu instid0(VALU_DEP_1) | instskip(NEXT) | instid1(VALU_DEP_3)
	v_ldexp_f64 v[73:74], v[73:74], v100
	v_add_f64_e32 v[75:76], v[96:97], v[75:76]
	s_delay_alu instid0(VALU_DEP_2) | instskip(SKIP_1) | instid1(VALU_DEP_3)
	v_add_f64_e32 v[98:99], 1.0, v[73:74]
	v_add_f64_e32 v[104:105], -1.0, v[73:74]
	v_ldexp_f64 v[75:76], v[75:76], v100
	s_delay_alu instid0(VALU_DEP_3) | instskip(NEXT) | instid1(VALU_DEP_3)
	v_add_f64_e32 v[96:97], -1.0, v[98:99]
	v_add_f64_e32 v[106:107], 1.0, v[104:105]
	s_delay_alu instid0(VALU_DEP_2) | instskip(NEXT) | instid1(VALU_DEP_2)
	v_add_f64_e64 v[96:97], v[73:74], -v[96:97]
	v_add_f64_e64 v[73:74], v[73:74], -v[106:107]
	s_delay_alu instid0(VALU_DEP_2) | instskip(NEXT) | instid1(VALU_DEP_2)
	v_add_f64_e32 v[96:97], v[75:76], v[96:97]
	v_add_f64_e32 v[73:74], v[75:76], v[73:74]
	s_delay_alu instid0(VALU_DEP_2) | instskip(NEXT) | instid1(VALU_DEP_2)
	v_add_f64_e32 v[100:101], v[98:99], v[96:97]
	v_add_f64_e32 v[106:107], v[104:105], v[73:74]
	s_delay_alu instid0(VALU_DEP_2) | instskip(SKIP_1) | instid1(VALU_DEP_2)
	v_rcp_f64_e32 v[102:103], v[100:101]
	v_add_f64_e64 v[98:99], v[100:101], -v[98:99]
	v_add_f64_e64 v[104:105], v[106:107], -v[104:105]
	s_delay_alu instid0(VALU_DEP_2) | instskip(NEXT) | instid1(TRANS32_DEP_1)
	v_add_f64_e64 v[96:97], v[96:97], -v[98:99]
	v_fma_f64 v[108:109], -v[100:101], v[102:103], 1.0
	s_delay_alu instid0(VALU_DEP_3) | instskip(NEXT) | instid1(VALU_DEP_2)
	v_add_f64_e64 v[73:74], v[73:74], -v[104:105]
	v_fma_f64 v[102:103], v[108:109], v[102:103], v[102:103]
	s_delay_alu instid0(VALU_DEP_1) | instskip(NEXT) | instid1(VALU_DEP_1)
	v_fma_f64 v[75:76], -v[100:101], v[102:103], 1.0
	v_fma_f64 v[75:76], v[75:76], v[102:103], v[102:103]
	s_delay_alu instid0(VALU_DEP_1) | instskip(NEXT) | instid1(VALU_DEP_1)
	v_mul_f64_e32 v[102:103], v[106:107], v[75:76]
	v_mul_f64_e32 v[108:109], v[100:101], v[102:103]
	s_delay_alu instid0(VALU_DEP_1) | instskip(NEXT) | instid1(VALU_DEP_1)
	v_fma_f64 v[98:99], v[102:103], v[100:101], -v[108:109]
	v_fma_f64 v[98:99], v[102:103], v[96:97], v[98:99]
	s_delay_alu instid0(VALU_DEP_1) | instskip(NEXT) | instid1(VALU_DEP_1)
	v_add_f64_e32 v[110:111], v[108:109], v[98:99]
	v_add_f64_e64 v[112:113], v[106:107], -v[110:111]
	v_add_f64_e64 v[104:105], v[110:111], -v[108:109]
	s_delay_alu instid0(VALU_DEP_2) | instskip(NEXT) | instid1(VALU_DEP_2)
	v_add_f64_e64 v[106:107], v[106:107], -v[112:113]
	v_add_f64_e64 v[98:99], v[104:105], -v[98:99]
	s_delay_alu instid0(VALU_DEP_2) | instskip(NEXT) | instid1(VALU_DEP_1)
	v_add_f64_e64 v[106:107], v[106:107], -v[110:111]
	v_add_f64_e32 v[73:74], v[73:74], v[106:107]
	s_delay_alu instid0(VALU_DEP_1) | instskip(NEXT) | instid1(VALU_DEP_1)
	v_add_f64_e32 v[73:74], v[98:99], v[73:74]
	v_add_f64_e32 v[98:99], v[112:113], v[73:74]
	s_delay_alu instid0(VALU_DEP_1) | instskip(SKIP_1) | instid1(VALU_DEP_2)
	v_mul_f64_e32 v[104:105], v[75:76], v[98:99]
	v_add_f64_e64 v[110:111], v[112:113], -v[98:99]
	v_mul_f64_e32 v[106:107], v[100:101], v[104:105]
	s_delay_alu instid0(VALU_DEP_2) | instskip(NEXT) | instid1(VALU_DEP_2)
	v_add_f64_e32 v[73:74], v[73:74], v[110:111]
	v_fma_f64 v[100:101], v[104:105], v[100:101], -v[106:107]
	s_delay_alu instid0(VALU_DEP_1) | instskip(NEXT) | instid1(VALU_DEP_1)
	v_fma_f64 v[96:97], v[104:105], v[96:97], v[100:101]
	v_add_f64_e32 v[100:101], v[106:107], v[96:97]
	s_delay_alu instid0(VALU_DEP_1) | instskip(SKIP_1) | instid1(VALU_DEP_2)
	v_add_f64_e64 v[108:109], v[98:99], -v[100:101]
	v_add_f64_e64 v[106:107], v[100:101], -v[106:107]
	;; [unrolled: 1-line block ×3, first 2 shown]
	s_delay_alu instid0(VALU_DEP_2) | instskip(NEXT) | instid1(VALU_DEP_2)
	v_add_f64_e64 v[96:97], v[106:107], -v[96:97]
	v_add_f64_e64 v[98:99], v[98:99], -v[100:101]
	s_delay_alu instid0(VALU_DEP_1) | instskip(SKIP_1) | instid1(VALU_DEP_2)
	v_add_f64_e32 v[73:74], v[73:74], v[98:99]
	v_add_f64_e32 v[98:99], v[102:103], v[104:105]
	;; [unrolled: 1-line block ×3, first 2 shown]
	s_delay_alu instid0(VALU_DEP_2) | instskip(NEXT) | instid1(VALU_DEP_2)
	v_add_f64_e64 v[96:97], v[98:99], -v[102:103]
	v_add_f64_e32 v[73:74], v[108:109], v[73:74]
	s_delay_alu instid0(VALU_DEP_2) | instskip(NEXT) | instid1(VALU_DEP_2)
	v_add_f64_e64 v[96:97], v[104:105], -v[96:97]
	v_mul_f64_e32 v[73:74], v[75:76], v[73:74]
	s_delay_alu instid0(VALU_DEP_1) | instskip(NEXT) | instid1(VALU_DEP_1)
	v_add_f64_e32 v[73:74], v[96:97], v[73:74]
	v_add_f64_e32 v[75:76], v[98:99], v[73:74]
	s_delay_alu instid0(VALU_DEP_1) | instskip(NEXT) | instid1(VALU_DEP_1)
	v_mul_f64_e32 v[96:97], v[75:76], v[75:76]
	v_fma_f64 v[100:101], v[96:97], s[44:45], s[42:43]
	s_mov_b32 s42, 0xd7f4df2e
	s_mov_b32 s43, 0x3fc7474d
	v_mul_f64_e32 v[102:103], v[75:76], v[96:97]
	s_wait_alu 0xfffe
	s_delay_alu instid0(VALU_DEP_2) | instskip(SKIP_3) | instid1(VALU_DEP_1)
	v_fma_f64 v[100:101], v[96:97], v[100:101], s[42:43]
	s_mov_b32 s42, 0x16291751
	s_mov_b32 s43, 0x3fcc71c0
	s_wait_alu 0xfffe
	v_fma_f64 v[100:101], v[96:97], v[100:101], s[42:43]
	s_mov_b32 s42, 0x9b27acf1
	s_mov_b32 s43, 0x3fd24924
	s_wait_alu 0xfffe
	s_delay_alu instid0(VALU_DEP_1) | instskip(SKIP_3) | instid1(VALU_DEP_1)
	v_fma_f64 v[100:101], v[96:97], v[100:101], s[42:43]
	s_mov_b32 s42, 0x998ef7b6
	s_mov_b32 s43, 0x3fd99999
	s_wait_alu 0xfffe
	v_fma_f64 v[100:101], v[96:97], v[100:101], s[42:43]
	s_delay_alu instid0(VALU_DEP_1)
	v_fma_f64 v[96:97], v[96:97], v[100:101], s[34:35]
	v_ldexp_f64 v[100:101], v[75:76], 1
	v_add_f64_e64 v[75:76], v[75:76], -v[98:99]
	v_cmp_nge_f64_e64 s34, -1.0, v[69:70]
	v_cmp_neq_f64_e64 s35, 0x7ff00000, v[69:70]
	v_mul_f64_e32 v[96:97], v[102:103], v[96:97]
	v_cvt_f64_i32_e32 v[102:103], v114
	v_add_f64_e64 v[73:74], v[73:74], -v[75:76]
	s_and_b32 s34, s34, s35
	s_delay_alu instid0(VALU_DEP_3) | instskip(NEXT) | instid1(VALU_DEP_3)
	v_add_f64_e32 v[98:99], v[100:101], v[96:97]
	v_mul_f64_e32 v[104:105], s[36:37], v[102:103]
	s_delay_alu instid0(VALU_DEP_3) | instskip(NEXT) | instid1(VALU_DEP_3)
	v_ldexp_f64 v[73:74], v[73:74], 1
	v_add_f64_e64 v[75:76], v[98:99], -v[100:101]
	s_delay_alu instid0(VALU_DEP_3) | instskip(SKIP_1) | instid1(VALU_DEP_3)
	v_fma_f64 v[100:101], v[102:103], s[36:37], -v[104:105]
	v_cmp_ngt_f64_e64 s36, -1.0, v[69:70]
	v_add_f64_e64 v[75:76], v[96:97], -v[75:76]
	s_delay_alu instid0(VALU_DEP_3) | instskip(NEXT) | instid1(VALU_DEP_2)
	v_fma_f64 v[96:97], v[102:103], s[38:39], v[100:101]
	v_add_f64_e32 v[73:74], v[73:74], v[75:76]
	s_delay_alu instid0(VALU_DEP_2) | instskip(NEXT) | instid1(VALU_DEP_2)
	v_add_f64_e32 v[75:76], v[104:105], v[96:97]
	v_add_f64_e32 v[100:101], v[98:99], v[73:74]
	s_delay_alu instid0(VALU_DEP_2) | instskip(NEXT) | instid1(VALU_DEP_2)
	v_add_f64_e64 v[104:105], v[75:76], -v[104:105]
	v_add_f64_e32 v[102:103], v[75:76], v[100:101]
	v_add_f64_e64 v[98:99], v[100:101], -v[98:99]
	s_delay_alu instid0(VALU_DEP_3) | instskip(NEXT) | instid1(VALU_DEP_3)
	v_add_f64_e64 v[96:97], v[96:97], -v[104:105]
	v_add_f64_e64 v[106:107], v[102:103], -v[75:76]
	s_delay_alu instid0(VALU_DEP_3) | instskip(NEXT) | instid1(VALU_DEP_2)
	v_add_f64_e64 v[73:74], v[73:74], -v[98:99]
	v_add_f64_e64 v[108:109], v[102:103], -v[106:107]
	;; [unrolled: 1-line block ×3, first 2 shown]
	s_delay_alu instid0(VALU_DEP_3) | instskip(NEXT) | instid1(VALU_DEP_3)
	v_add_f64_e32 v[100:101], v[96:97], v[73:74]
	v_add_f64_e64 v[75:76], v[75:76], -v[108:109]
	s_delay_alu instid0(VALU_DEP_1) | instskip(NEXT) | instid1(VALU_DEP_3)
	v_add_f64_e32 v[75:76], v[98:99], v[75:76]
	v_add_f64_e64 v[98:99], v[100:101], -v[96:97]
	s_delay_alu instid0(VALU_DEP_2) | instskip(NEXT) | instid1(VALU_DEP_2)
	v_add_f64_e32 v[75:76], v[100:101], v[75:76]
	v_add_f64_e64 v[100:101], v[100:101], -v[98:99]
	v_add_f64_e64 v[73:74], v[73:74], -v[98:99]
	s_delay_alu instid0(VALU_DEP_3) | instskip(NEXT) | instid1(VALU_DEP_3)
	v_add_f64_e32 v[104:105], v[102:103], v[75:76]
	v_add_f64_e64 v[96:97], v[96:97], -v[100:101]
	s_delay_alu instid0(VALU_DEP_2) | instskip(NEXT) | instid1(VALU_DEP_2)
	v_add_f64_e64 v[98:99], v[104:105], -v[102:103]
	v_add_f64_e32 v[73:74], v[73:74], v[96:97]
	s_delay_alu instid0(VALU_DEP_2) | instskip(NEXT) | instid1(VALU_DEP_1)
	v_add_f64_e64 v[75:76], v[75:76], -v[98:99]
	v_add_f64_e32 v[73:74], v[73:74], v[75:76]
	s_delay_alu instid0(VALU_DEP_1) | instskip(SKIP_1) | instid1(VALU_DEP_1)
	v_add_f64_e32 v[73:74], v[104:105], v[73:74]
	s_wait_alu 0xfffe
	v_cndmask_b32_e64 v73, 0, v73, s34
	v_cmp_neq_f64_e64 s34, -1.0, v[69:70]
	s_delay_alu instid0(VALU_DEP_3) | instskip(SKIP_1) | instid1(VALU_DEP_1)
	v_cndmask_b32_e64 v74, 0x7ff00000, v74, s35
	s_wait_alu 0xf1ff
	v_cndmask_b32_e64 v74, 0x7ff80000, v74, s36
	s_delay_alu instid0(VALU_DEP_1) | instskip(NEXT) | instid1(VALU_DEP_1)
	v_cndmask_b32_e64 v74, 0xfff00000, v74, s34
	v_add_f64_e32 v[69:70], v[71:72], v[73:74]
.LBB23_62:
	s_wait_alu 0xfffe
	s_or_b32 exec_lo, exec_lo, s40
	s_load_b64 s[36:37], s[0:1], 0x20
	v_mbcnt_lo_u32_b32 v96, -1, 0
	s_delay_alu instid0(VALU_DEP_2) | instskip(NEXT) | instid1(VALU_DEP_3)
	v_mov_b32_dpp v71, v69 row_shr:1 row_mask:0xf bank_mask:0xf
	v_mov_b32_dpp v72, v70 row_shr:1 row_mask:0xf bank_mask:0xf
	v_dual_mov_b32 v73, v69 :: v_dual_mov_b32 v74, v70
	s_delay_alu instid0(VALU_DEP_4) | instskip(SKIP_1) | instid1(VALU_DEP_1)
	v_and_b32_e32 v75, 15, v96
	s_mov_b32 s40, exec_lo
	v_cmpx_ne_u32_e32 0, v75
	s_cbranch_execz .LBB23_66
; %bb.63:
	v_max_num_f64_e32 v[73:74], v[71:72], v[71:72]
	v_max_num_f64_e32 v[97:98], v[69:70], v[69:70]
	v_cmp_u_f64_e64 s0, v[71:72], v[71:72]
	v_cmp_u_f64_e64 s1, v[69:70], v[69:70]
	s_delay_alu instid0(VALU_DEP_3) | instskip(SKIP_1) | instid1(VALU_DEP_2)
	v_min_num_f64_e32 v[99:100], v[73:74], v[97:98]
	v_max_num_f64_e32 v[73:74], v[73:74], v[97:98]
	v_cndmask_b32_e64 v76, v100, v72, s0
	s_delay_alu instid0(VALU_DEP_3) | instskip(NEXT) | instid1(VALU_DEP_3)
	v_cndmask_b32_e64 v97, v99, v71, s0
	v_cndmask_b32_e64 v98, v74, v72, s0
	s_delay_alu instid0(VALU_DEP_4) | instskip(NEXT) | instid1(VALU_DEP_4)
	v_cndmask_b32_e64 v99, v73, v71, s0
	v_cndmask_b32_e64 v74, v76, v70, s1
	s_delay_alu instid0(VALU_DEP_4) | instskip(NEXT) | instid1(VALU_DEP_4)
	v_cndmask_b32_e64 v73, v97, v69, s1
	v_cndmask_b32_e64 v70, v98, v70, s1
	s_delay_alu instid0(VALU_DEP_4) | instskip(NEXT) | instid1(VALU_DEP_3)
	v_cndmask_b32_e64 v69, v99, v69, s1
	v_cmp_class_f64_e64 s1, v[73:74], 0x1f8
	s_delay_alu instid0(VALU_DEP_2)
	v_cmp_neq_f64_e64 s0, v[73:74], v[69:70]
	s_or_b32 s0, s0, s1
	s_wait_alu 0xfffe
	s_and_saveexec_b32 s41, s0
	s_cbranch_execz .LBB23_65
; %bb.64:
	v_add_f64_e64 v[71:72], v[73:74], -v[69:70]
	s_mov_b32 s0, 0x652b82fe
	s_mov_b32 s1, 0x3ff71547
	;; [unrolled: 1-line block ×10, first 2 shown]
	s_wait_alu 0xfffe
	s_delay_alu instid0(VALU_DEP_1) | instskip(SKIP_2) | instid1(VALU_DEP_1)
	v_mul_f64_e32 v[73:74], s[0:1], v[71:72]
	s_mov_b32 s0, 0xfca7ab0c
	s_mov_b32 s1, 0x3e928af3
	v_rndne_f64_e32 v[73:74], v[73:74]
	s_delay_alu instid0(VALU_DEP_1) | instskip(SKIP_2) | instid1(VALU_DEP_2)
	v_fma_f64 v[97:98], v[73:74], s[34:35], v[71:72]
	v_cvt_i32_f64_e32 v76, v[73:74]
	s_mov_b32 s35, 0x3fe62e42
	v_fma_f64 v[97:98], v[73:74], s[38:39], v[97:98]
	s_mov_b32 s39, 0x3c7abc9e
	s_wait_alu 0xfffe
	s_delay_alu instid0(VALU_DEP_1)
	v_fma_f64 v[99:100], v[97:98], s[42:43], s[0:1]
	s_mov_b32 s0, 0x623fde64
	s_mov_b32 s1, 0x3ec71dee
	;; [unrolled: 1-line block ×4, first 2 shown]
	s_wait_alu 0xfffe
	s_delay_alu instid0(VALU_DEP_1) | instskip(SKIP_3) | instid1(VALU_DEP_1)
	v_fma_f64 v[99:100], v[97:98], v[99:100], s[0:1]
	s_mov_b32 s0, 0x7c89e6b0
	s_mov_b32 s1, 0x3efa0199
	s_wait_alu 0xfffe
	v_fma_f64 v[99:100], v[97:98], v[99:100], s[0:1]
	s_mov_b32 s0, 0x14761f6e
	s_mov_b32 s1, 0x3f2a01a0
	s_wait_alu 0xfffe
	s_delay_alu instid0(VALU_DEP_1) | instskip(SKIP_3) | instid1(VALU_DEP_1)
	v_fma_f64 v[99:100], v[97:98], v[99:100], s[0:1]
	s_mov_b32 s0, 0x1852b7b0
	s_mov_b32 s1, 0x3f56c16c
	s_wait_alu 0xfffe
	v_fma_f64 v[99:100], v[97:98], v[99:100], s[0:1]
	s_mov_b32 s0, 0x11122322
	s_mov_b32 s1, 0x3f811111
	;; [unrolled: 9-line block ×3, first 2 shown]
	s_wait_alu 0xfffe
	s_delay_alu instid0(VALU_DEP_1) | instskip(SKIP_3) | instid1(VALU_DEP_1)
	v_fma_f64 v[99:100], v[97:98], v[99:100], s[0:1]
	s_mov_b32 s0, 11
	s_mov_b32 s1, 0x3fe00000
	s_wait_alu 0xfffe
	v_fma_f64 v[99:100], v[97:98], v[99:100], s[0:1]
	v_cmp_nlt_f64_e64 s0, 0x40900000, v[71:72]
	v_cmp_ngt_f64_e64 s1, 0xc090cc00, v[71:72]
	s_delay_alu instid0(VALU_DEP_3) | instskip(NEXT) | instid1(VALU_DEP_1)
	v_fma_f64 v[99:100], v[97:98], v[99:100], 1.0
	v_fma_f64 v[73:74], v[97:98], v[99:100], 1.0
	s_delay_alu instid0(VALU_DEP_1) | instskip(SKIP_1) | instid1(VALU_DEP_1)
	v_ldexp_f64 v[73:74], v[73:74], v76
	s_wait_alu 0xf1ff
	v_cndmask_b32_e64 v74, 0x7ff00000, v74, s0
	s_and_b32 s0, s1, s0
	s_wait_alu 0xfffe
	s_delay_alu instid0(VALU_DEP_2) | instskip(SKIP_3) | instid1(VALU_DEP_1)
	v_cndmask_b32_e64 v71, 0, v73, s0
	s_mov_b32 s0, 0x55555555
	v_cndmask_b32_e64 v72, 0, v74, s1
	s_mov_b32 s1, 0x3fe55555
	v_add_f64_e32 v[73:74], 1.0, v[71:72]
	s_delay_alu instid0(VALU_DEP_1) | instskip(SKIP_3) | instid1(VALU_DEP_3)
	v_frexp_mant_f64_e32 v[97:98], v[73:74]
	v_frexp_exp_i32_f64_e32 v76, v[73:74]
	v_add_f64_e32 v[99:100], -1.0, v[73:74]
	s_wait_alu 0xfffe
	v_cmp_gt_f64_e64 s0, s[0:1], v[97:98]
	s_delay_alu instid0(VALU_DEP_2) | instskip(SKIP_2) | instid1(VALU_DEP_3)
	v_add_f64_e64 v[97:98], v[99:100], -v[73:74]
	v_add_f64_e64 v[99:100], v[71:72], -v[99:100]
	s_wait_alu 0xf1ff
	v_subrev_co_ci_u32_e64 v76, null, 0, v76, s0
	s_delay_alu instid0(VALU_DEP_3) | instskip(SKIP_1) | instid1(VALU_DEP_2)
	v_add_f64_e32 v[97:98], 1.0, v[97:98]
	s_mov_b32 s0, 0x55555780
	v_sub_nc_u32_e32 v103, 0, v76
	s_delay_alu instid0(VALU_DEP_1) | instskip(NEXT) | instid1(VALU_DEP_3)
	v_ldexp_f64 v[73:74], v[73:74], v103
	v_add_f64_e32 v[97:98], v[99:100], v[97:98]
	s_delay_alu instid0(VALU_DEP_2) | instskip(SKIP_1) | instid1(VALU_DEP_3)
	v_add_f64_e32 v[101:102], 1.0, v[73:74]
	v_add_f64_e32 v[107:108], -1.0, v[73:74]
	v_ldexp_f64 v[97:98], v[97:98], v103
	s_delay_alu instid0(VALU_DEP_3) | instskip(NEXT) | instid1(VALU_DEP_3)
	v_add_f64_e32 v[99:100], -1.0, v[101:102]
	v_add_f64_e32 v[109:110], 1.0, v[107:108]
	s_delay_alu instid0(VALU_DEP_2) | instskip(NEXT) | instid1(VALU_DEP_2)
	v_add_f64_e64 v[99:100], v[73:74], -v[99:100]
	v_add_f64_e64 v[73:74], v[73:74], -v[109:110]
	s_delay_alu instid0(VALU_DEP_2) | instskip(NEXT) | instid1(VALU_DEP_2)
	v_add_f64_e32 v[99:100], v[97:98], v[99:100]
	v_add_f64_e32 v[73:74], v[97:98], v[73:74]
	s_delay_alu instid0(VALU_DEP_2) | instskip(NEXT) | instid1(VALU_DEP_2)
	v_add_f64_e32 v[103:104], v[101:102], v[99:100]
	v_add_f64_e32 v[109:110], v[107:108], v[73:74]
	s_delay_alu instid0(VALU_DEP_2) | instskip(SKIP_1) | instid1(VALU_DEP_2)
	v_rcp_f64_e32 v[105:106], v[103:104]
	v_add_f64_e64 v[101:102], v[103:104], -v[101:102]
	v_add_f64_e64 v[107:108], v[109:110], -v[107:108]
	s_delay_alu instid0(VALU_DEP_2) | instskip(NEXT) | instid1(TRANS32_DEP_1)
	v_add_f64_e64 v[99:100], v[99:100], -v[101:102]
	v_fma_f64 v[111:112], -v[103:104], v[105:106], 1.0
	s_delay_alu instid0(VALU_DEP_3) | instskip(NEXT) | instid1(VALU_DEP_2)
	v_add_f64_e64 v[73:74], v[73:74], -v[107:108]
	v_fma_f64 v[105:106], v[111:112], v[105:106], v[105:106]
	s_delay_alu instid0(VALU_DEP_1) | instskip(NEXT) | instid1(VALU_DEP_1)
	v_fma_f64 v[97:98], -v[103:104], v[105:106], 1.0
	v_fma_f64 v[97:98], v[97:98], v[105:106], v[105:106]
	s_delay_alu instid0(VALU_DEP_1) | instskip(NEXT) | instid1(VALU_DEP_1)
	v_mul_f64_e32 v[105:106], v[109:110], v[97:98]
	v_mul_f64_e32 v[111:112], v[103:104], v[105:106]
	s_delay_alu instid0(VALU_DEP_1) | instskip(NEXT) | instid1(VALU_DEP_1)
	v_fma_f64 v[101:102], v[105:106], v[103:104], -v[111:112]
	v_fma_f64 v[101:102], v[105:106], v[99:100], v[101:102]
	s_delay_alu instid0(VALU_DEP_1) | instskip(NEXT) | instid1(VALU_DEP_1)
	v_add_f64_e32 v[113:114], v[111:112], v[101:102]
	v_add_f64_e64 v[115:116], v[109:110], -v[113:114]
	v_add_f64_e64 v[107:108], v[113:114], -v[111:112]
	s_delay_alu instid0(VALU_DEP_2) | instskip(NEXT) | instid1(VALU_DEP_2)
	v_add_f64_e64 v[109:110], v[109:110], -v[115:116]
	v_add_f64_e64 v[101:102], v[107:108], -v[101:102]
	s_delay_alu instid0(VALU_DEP_2) | instskip(NEXT) | instid1(VALU_DEP_1)
	v_add_f64_e64 v[109:110], v[109:110], -v[113:114]
	v_add_f64_e32 v[73:74], v[73:74], v[109:110]
	s_delay_alu instid0(VALU_DEP_1) | instskip(NEXT) | instid1(VALU_DEP_1)
	v_add_f64_e32 v[73:74], v[101:102], v[73:74]
	v_add_f64_e32 v[101:102], v[115:116], v[73:74]
	s_delay_alu instid0(VALU_DEP_1) | instskip(SKIP_1) | instid1(VALU_DEP_2)
	v_mul_f64_e32 v[107:108], v[97:98], v[101:102]
	v_add_f64_e64 v[113:114], v[115:116], -v[101:102]
	v_mul_f64_e32 v[109:110], v[103:104], v[107:108]
	s_delay_alu instid0(VALU_DEP_2) | instskip(NEXT) | instid1(VALU_DEP_2)
	v_add_f64_e32 v[73:74], v[73:74], v[113:114]
	v_fma_f64 v[103:104], v[107:108], v[103:104], -v[109:110]
	s_delay_alu instid0(VALU_DEP_1) | instskip(NEXT) | instid1(VALU_DEP_1)
	v_fma_f64 v[99:100], v[107:108], v[99:100], v[103:104]
	v_add_f64_e32 v[103:104], v[109:110], v[99:100]
	s_delay_alu instid0(VALU_DEP_1) | instskip(SKIP_1) | instid1(VALU_DEP_2)
	v_add_f64_e64 v[111:112], v[101:102], -v[103:104]
	v_add_f64_e64 v[109:110], v[103:104], -v[109:110]
	;; [unrolled: 1-line block ×3, first 2 shown]
	s_delay_alu instid0(VALU_DEP_2) | instskip(NEXT) | instid1(VALU_DEP_2)
	v_add_f64_e64 v[99:100], v[109:110], -v[99:100]
	v_add_f64_e64 v[101:102], v[101:102], -v[103:104]
	s_delay_alu instid0(VALU_DEP_1) | instskip(SKIP_1) | instid1(VALU_DEP_2)
	v_add_f64_e32 v[73:74], v[73:74], v[101:102]
	v_add_f64_e32 v[101:102], v[105:106], v[107:108]
	v_add_f64_e32 v[73:74], v[99:100], v[73:74]
	s_delay_alu instid0(VALU_DEP_2) | instskip(NEXT) | instid1(VALU_DEP_2)
	v_add_f64_e64 v[99:100], v[101:102], -v[105:106]
	v_add_f64_e32 v[73:74], v[111:112], v[73:74]
	s_delay_alu instid0(VALU_DEP_2) | instskip(NEXT) | instid1(VALU_DEP_2)
	v_add_f64_e64 v[99:100], v[107:108], -v[99:100]
	v_mul_f64_e32 v[73:74], v[97:98], v[73:74]
	s_delay_alu instid0(VALU_DEP_1) | instskip(NEXT) | instid1(VALU_DEP_1)
	v_add_f64_e32 v[73:74], v[99:100], v[73:74]
	v_add_f64_e32 v[97:98], v[101:102], v[73:74]
	s_delay_alu instid0(VALU_DEP_1) | instskip(NEXT) | instid1(VALU_DEP_1)
	v_mul_f64_e32 v[99:100], v[97:98], v[97:98]
	v_fma_f64 v[103:104], v[99:100], s[44:45], s[42:43]
	s_mov_b32 s42, 0xd7f4df2e
	s_mov_b32 s43, 0x3fc7474d
	v_mul_f64_e32 v[105:106], v[97:98], v[99:100]
	s_wait_alu 0xfffe
	s_delay_alu instid0(VALU_DEP_2) | instskip(SKIP_3) | instid1(VALU_DEP_1)
	v_fma_f64 v[103:104], v[99:100], v[103:104], s[42:43]
	s_mov_b32 s42, 0x16291751
	s_mov_b32 s43, 0x3fcc71c0
	s_wait_alu 0xfffe
	v_fma_f64 v[103:104], v[99:100], v[103:104], s[42:43]
	s_mov_b32 s42, 0x9b27acf1
	s_mov_b32 s43, 0x3fd24924
	s_wait_alu 0xfffe
	s_delay_alu instid0(VALU_DEP_1) | instskip(SKIP_3) | instid1(VALU_DEP_1)
	v_fma_f64 v[103:104], v[99:100], v[103:104], s[42:43]
	s_mov_b32 s42, 0x998ef7b6
	s_mov_b32 s43, 0x3fd99999
	s_wait_alu 0xfffe
	v_fma_f64 v[103:104], v[99:100], v[103:104], s[42:43]
	s_delay_alu instid0(VALU_DEP_1)
	v_fma_f64 v[99:100], v[99:100], v[103:104], s[0:1]
	v_ldexp_f64 v[103:104], v[97:98], 1
	v_add_f64_e64 v[97:98], v[97:98], -v[101:102]
	v_cmp_nge_f64_e64 s0, -1.0, v[71:72]
	v_cmp_neq_f64_e64 s1, 0x7ff00000, v[71:72]
	v_mul_f64_e32 v[99:100], v[105:106], v[99:100]
	v_cvt_f64_i32_e32 v[105:106], v76
	v_add_f64_e64 v[73:74], v[73:74], -v[97:98]
	s_and_b32 s0, s0, s1
	s_delay_alu instid0(VALU_DEP_3) | instskip(NEXT) | instid1(VALU_DEP_3)
	v_add_f64_e32 v[101:102], v[103:104], v[99:100]
	v_mul_f64_e32 v[107:108], s[34:35], v[105:106]
	s_delay_alu instid0(VALU_DEP_3) | instskip(NEXT) | instid1(VALU_DEP_3)
	v_ldexp_f64 v[73:74], v[73:74], 1
	v_add_f64_e64 v[97:98], v[101:102], -v[103:104]
	s_delay_alu instid0(VALU_DEP_3) | instskip(SKIP_1) | instid1(VALU_DEP_3)
	v_fma_f64 v[103:104], v[105:106], s[34:35], -v[107:108]
	v_cmp_ngt_f64_e64 s34, -1.0, v[71:72]
	v_add_f64_e64 v[97:98], v[99:100], -v[97:98]
	s_delay_alu instid0(VALU_DEP_3) | instskip(NEXT) | instid1(VALU_DEP_2)
	v_fma_f64 v[99:100], v[105:106], s[38:39], v[103:104]
	v_add_f64_e32 v[73:74], v[73:74], v[97:98]
	s_delay_alu instid0(VALU_DEP_2) | instskip(NEXT) | instid1(VALU_DEP_2)
	v_add_f64_e32 v[97:98], v[107:108], v[99:100]
	v_add_f64_e32 v[103:104], v[101:102], v[73:74]
	s_delay_alu instid0(VALU_DEP_2) | instskip(NEXT) | instid1(VALU_DEP_2)
	v_add_f64_e64 v[107:108], v[97:98], -v[107:108]
	v_add_f64_e32 v[105:106], v[97:98], v[103:104]
	v_add_f64_e64 v[101:102], v[103:104], -v[101:102]
	s_delay_alu instid0(VALU_DEP_3) | instskip(NEXT) | instid1(VALU_DEP_3)
	v_add_f64_e64 v[99:100], v[99:100], -v[107:108]
	v_add_f64_e64 v[109:110], v[105:106], -v[97:98]
	s_delay_alu instid0(VALU_DEP_3) | instskip(NEXT) | instid1(VALU_DEP_2)
	v_add_f64_e64 v[73:74], v[73:74], -v[101:102]
	v_add_f64_e64 v[111:112], v[105:106], -v[109:110]
	;; [unrolled: 1-line block ×3, first 2 shown]
	s_delay_alu instid0(VALU_DEP_3) | instskip(NEXT) | instid1(VALU_DEP_3)
	v_add_f64_e32 v[103:104], v[99:100], v[73:74]
	v_add_f64_e64 v[97:98], v[97:98], -v[111:112]
	s_delay_alu instid0(VALU_DEP_1) | instskip(NEXT) | instid1(VALU_DEP_3)
	v_add_f64_e32 v[97:98], v[101:102], v[97:98]
	v_add_f64_e64 v[101:102], v[103:104], -v[99:100]
	s_delay_alu instid0(VALU_DEP_2) | instskip(NEXT) | instid1(VALU_DEP_2)
	v_add_f64_e32 v[97:98], v[103:104], v[97:98]
	v_add_f64_e64 v[103:104], v[103:104], -v[101:102]
	v_add_f64_e64 v[73:74], v[73:74], -v[101:102]
	s_delay_alu instid0(VALU_DEP_3) | instskip(NEXT) | instid1(VALU_DEP_3)
	v_add_f64_e32 v[107:108], v[105:106], v[97:98]
	v_add_f64_e64 v[99:100], v[99:100], -v[103:104]
	s_delay_alu instid0(VALU_DEP_2) | instskip(NEXT) | instid1(VALU_DEP_2)
	v_add_f64_e64 v[101:102], v[107:108], -v[105:106]
	v_add_f64_e32 v[73:74], v[73:74], v[99:100]
	s_delay_alu instid0(VALU_DEP_2) | instskip(NEXT) | instid1(VALU_DEP_1)
	v_add_f64_e64 v[97:98], v[97:98], -v[101:102]
	v_add_f64_e32 v[73:74], v[73:74], v[97:98]
	s_delay_alu instid0(VALU_DEP_1) | instskip(SKIP_1) | instid1(VALU_DEP_1)
	v_add_f64_e32 v[73:74], v[107:108], v[73:74]
	s_wait_alu 0xfffe
	v_cndmask_b32_e64 v73, 0, v73, s0
	v_cmp_neq_f64_e64 s0, -1.0, v[71:72]
	s_delay_alu instid0(VALU_DEP_3) | instskip(SKIP_1) | instid1(VALU_DEP_1)
	v_cndmask_b32_e64 v74, 0x7ff00000, v74, s1
	s_wait_alu 0xf1ff
	v_cndmask_b32_e64 v74, 0x7ff80000, v74, s34
	s_delay_alu instid0(VALU_DEP_1) | instskip(NEXT) | instid1(VALU_DEP_1)
	v_cndmask_b32_e64 v74, 0xfff00000, v74, s0
	v_add_f64_e32 v[71:72], v[69:70], v[73:74]
.LBB23_65:
	s_wait_alu 0xfffe
	s_or_b32 exec_lo, exec_lo, s41
	s_delay_alu instid0(VALU_DEP_1)
	v_dual_mov_b32 v73, v71 :: v_dual_mov_b32 v74, v72
	v_dual_mov_b32 v69, v71 :: v_dual_mov_b32 v70, v72
.LBB23_66:
	s_wait_alu 0xfffe
	s_or_b32 exec_lo, exec_lo, s40
	s_delay_alu instid0(VALU_DEP_2)
	v_mov_b32_dpp v71, v73 row_shr:2 row_mask:0xf bank_mask:0xf
	v_mov_b32_dpp v72, v74 row_shr:2 row_mask:0xf bank_mask:0xf
	s_mov_b32 s40, exec_lo
	v_cmpx_lt_u32_e32 1, v75
	s_cbranch_execz .LBB23_70
; %bb.67:
	s_delay_alu instid0(VALU_DEP_2) | instskip(SKIP_3) | instid1(VALU_DEP_3)
	v_max_num_f64_e32 v[73:74], v[71:72], v[71:72]
	v_max_num_f64_e32 v[97:98], v[69:70], v[69:70]
	v_cmp_u_f64_e64 s0, v[71:72], v[71:72]
	v_cmp_u_f64_e64 s1, v[69:70], v[69:70]
	v_min_num_f64_e32 v[99:100], v[73:74], v[97:98]
	v_max_num_f64_e32 v[73:74], v[73:74], v[97:98]
	s_wait_alu 0xf1ff
	s_delay_alu instid0(VALU_DEP_2) | instskip(NEXT) | instid1(VALU_DEP_3)
	v_cndmask_b32_e64 v76, v100, v72, s0
	v_cndmask_b32_e64 v97, v99, v71, s0
	s_delay_alu instid0(VALU_DEP_3) | instskip(NEXT) | instid1(VALU_DEP_4)
	v_cndmask_b32_e64 v98, v74, v72, s0
	v_cndmask_b32_e64 v99, v73, v71, s0
	s_delay_alu instid0(VALU_DEP_4) | instskip(NEXT) | instid1(VALU_DEP_4)
	v_cndmask_b32_e64 v74, v76, v70, s1
	v_cndmask_b32_e64 v73, v97, v69, s1
	s_delay_alu instid0(VALU_DEP_4) | instskip(NEXT) | instid1(VALU_DEP_4)
	v_cndmask_b32_e64 v70, v98, v70, s1
	v_cndmask_b32_e64 v69, v99, v69, s1
	s_delay_alu instid0(VALU_DEP_3) | instskip(NEXT) | instid1(VALU_DEP_2)
	v_cmp_class_f64_e64 s1, v[73:74], 0x1f8
	v_cmp_neq_f64_e64 s0, v[73:74], v[69:70]
	s_or_b32 s0, s0, s1
	s_wait_alu 0xfffe
	s_and_saveexec_b32 s41, s0
	s_cbranch_execz .LBB23_69
; %bb.68:
	v_add_f64_e64 v[71:72], v[73:74], -v[69:70]
	s_mov_b32 s0, 0x652b82fe
	s_mov_b32 s1, 0x3ff71547
	s_mov_b32 s35, 0xbfe62e42
	s_mov_b32 s34, 0xfefa39ef
	s_mov_b32 s39, 0xbc7abc9e
	s_mov_b32 s38, 0x3b39803f
	s_mov_b32 s42, 0x6a5dcb37
	s_mov_b32 s43, 0x3e5ade15
	s_mov_b32 s44, 0xbf559e2b
	s_mov_b32 s45, 0x3fc3ab76
	s_wait_alu 0xfffe
	s_delay_alu instid0(VALU_DEP_1) | instskip(SKIP_2) | instid1(VALU_DEP_1)
	v_mul_f64_e32 v[73:74], s[0:1], v[71:72]
	s_mov_b32 s0, 0xfca7ab0c
	s_mov_b32 s1, 0x3e928af3
	v_rndne_f64_e32 v[73:74], v[73:74]
	s_delay_alu instid0(VALU_DEP_1) | instskip(SKIP_2) | instid1(VALU_DEP_2)
	v_fma_f64 v[97:98], v[73:74], s[34:35], v[71:72]
	v_cvt_i32_f64_e32 v76, v[73:74]
	s_mov_b32 s35, 0x3fe62e42
	v_fma_f64 v[97:98], v[73:74], s[38:39], v[97:98]
	s_mov_b32 s39, 0x3c7abc9e
	s_wait_alu 0xfffe
	s_delay_alu instid0(VALU_DEP_1)
	v_fma_f64 v[99:100], v[97:98], s[42:43], s[0:1]
	s_mov_b32 s0, 0x623fde64
	s_mov_b32 s1, 0x3ec71dee
	;; [unrolled: 1-line block ×4, first 2 shown]
	s_wait_alu 0xfffe
	s_delay_alu instid0(VALU_DEP_1) | instskip(SKIP_3) | instid1(VALU_DEP_1)
	v_fma_f64 v[99:100], v[97:98], v[99:100], s[0:1]
	s_mov_b32 s0, 0x7c89e6b0
	s_mov_b32 s1, 0x3efa0199
	s_wait_alu 0xfffe
	v_fma_f64 v[99:100], v[97:98], v[99:100], s[0:1]
	s_mov_b32 s0, 0x14761f6e
	s_mov_b32 s1, 0x3f2a01a0
	s_wait_alu 0xfffe
	s_delay_alu instid0(VALU_DEP_1) | instskip(SKIP_3) | instid1(VALU_DEP_1)
	v_fma_f64 v[99:100], v[97:98], v[99:100], s[0:1]
	s_mov_b32 s0, 0x1852b7b0
	s_mov_b32 s1, 0x3f56c16c
	s_wait_alu 0xfffe
	v_fma_f64 v[99:100], v[97:98], v[99:100], s[0:1]
	s_mov_b32 s0, 0x11122322
	s_mov_b32 s1, 0x3f811111
	;; [unrolled: 9-line block ×3, first 2 shown]
	s_wait_alu 0xfffe
	s_delay_alu instid0(VALU_DEP_1) | instskip(SKIP_3) | instid1(VALU_DEP_1)
	v_fma_f64 v[99:100], v[97:98], v[99:100], s[0:1]
	s_mov_b32 s0, 11
	s_mov_b32 s1, 0x3fe00000
	s_wait_alu 0xfffe
	v_fma_f64 v[99:100], v[97:98], v[99:100], s[0:1]
	v_cmp_nlt_f64_e64 s0, 0x40900000, v[71:72]
	v_cmp_ngt_f64_e64 s1, 0xc090cc00, v[71:72]
	s_delay_alu instid0(VALU_DEP_3) | instskip(NEXT) | instid1(VALU_DEP_1)
	v_fma_f64 v[99:100], v[97:98], v[99:100], 1.0
	v_fma_f64 v[73:74], v[97:98], v[99:100], 1.0
	s_delay_alu instid0(VALU_DEP_1) | instskip(SKIP_1) | instid1(VALU_DEP_1)
	v_ldexp_f64 v[73:74], v[73:74], v76
	s_wait_alu 0xf1ff
	v_cndmask_b32_e64 v74, 0x7ff00000, v74, s0
	s_and_b32 s0, s1, s0
	s_wait_alu 0xfffe
	s_delay_alu instid0(VALU_DEP_2) | instskip(SKIP_3) | instid1(VALU_DEP_1)
	v_cndmask_b32_e64 v71, 0, v73, s0
	s_mov_b32 s0, 0x55555555
	v_cndmask_b32_e64 v72, 0, v74, s1
	s_mov_b32 s1, 0x3fe55555
	v_add_f64_e32 v[73:74], 1.0, v[71:72]
	s_delay_alu instid0(VALU_DEP_1) | instskip(SKIP_3) | instid1(VALU_DEP_3)
	v_frexp_mant_f64_e32 v[97:98], v[73:74]
	v_frexp_exp_i32_f64_e32 v76, v[73:74]
	v_add_f64_e32 v[99:100], -1.0, v[73:74]
	s_wait_alu 0xfffe
	v_cmp_gt_f64_e64 s0, s[0:1], v[97:98]
	s_delay_alu instid0(VALU_DEP_2) | instskip(SKIP_2) | instid1(VALU_DEP_3)
	v_add_f64_e64 v[97:98], v[99:100], -v[73:74]
	v_add_f64_e64 v[99:100], v[71:72], -v[99:100]
	s_wait_alu 0xf1ff
	v_subrev_co_ci_u32_e64 v76, null, 0, v76, s0
	s_delay_alu instid0(VALU_DEP_3) | instskip(SKIP_1) | instid1(VALU_DEP_2)
	v_add_f64_e32 v[97:98], 1.0, v[97:98]
	s_mov_b32 s0, 0x55555780
	v_sub_nc_u32_e32 v103, 0, v76
	s_delay_alu instid0(VALU_DEP_1) | instskip(NEXT) | instid1(VALU_DEP_3)
	v_ldexp_f64 v[73:74], v[73:74], v103
	v_add_f64_e32 v[97:98], v[99:100], v[97:98]
	s_delay_alu instid0(VALU_DEP_2) | instskip(SKIP_1) | instid1(VALU_DEP_3)
	v_add_f64_e32 v[101:102], 1.0, v[73:74]
	v_add_f64_e32 v[107:108], -1.0, v[73:74]
	v_ldexp_f64 v[97:98], v[97:98], v103
	s_delay_alu instid0(VALU_DEP_3) | instskip(NEXT) | instid1(VALU_DEP_3)
	v_add_f64_e32 v[99:100], -1.0, v[101:102]
	v_add_f64_e32 v[109:110], 1.0, v[107:108]
	s_delay_alu instid0(VALU_DEP_2) | instskip(NEXT) | instid1(VALU_DEP_2)
	v_add_f64_e64 v[99:100], v[73:74], -v[99:100]
	v_add_f64_e64 v[73:74], v[73:74], -v[109:110]
	s_delay_alu instid0(VALU_DEP_2) | instskip(NEXT) | instid1(VALU_DEP_2)
	v_add_f64_e32 v[99:100], v[97:98], v[99:100]
	v_add_f64_e32 v[73:74], v[97:98], v[73:74]
	s_delay_alu instid0(VALU_DEP_2) | instskip(NEXT) | instid1(VALU_DEP_2)
	v_add_f64_e32 v[103:104], v[101:102], v[99:100]
	v_add_f64_e32 v[109:110], v[107:108], v[73:74]
	s_delay_alu instid0(VALU_DEP_2) | instskip(SKIP_1) | instid1(VALU_DEP_2)
	v_rcp_f64_e32 v[105:106], v[103:104]
	v_add_f64_e64 v[101:102], v[103:104], -v[101:102]
	v_add_f64_e64 v[107:108], v[109:110], -v[107:108]
	s_delay_alu instid0(VALU_DEP_2) | instskip(NEXT) | instid1(TRANS32_DEP_1)
	v_add_f64_e64 v[99:100], v[99:100], -v[101:102]
	v_fma_f64 v[111:112], -v[103:104], v[105:106], 1.0
	s_delay_alu instid0(VALU_DEP_3) | instskip(NEXT) | instid1(VALU_DEP_2)
	v_add_f64_e64 v[73:74], v[73:74], -v[107:108]
	v_fma_f64 v[105:106], v[111:112], v[105:106], v[105:106]
	s_delay_alu instid0(VALU_DEP_1) | instskip(NEXT) | instid1(VALU_DEP_1)
	v_fma_f64 v[97:98], -v[103:104], v[105:106], 1.0
	v_fma_f64 v[97:98], v[97:98], v[105:106], v[105:106]
	s_delay_alu instid0(VALU_DEP_1) | instskip(NEXT) | instid1(VALU_DEP_1)
	v_mul_f64_e32 v[105:106], v[109:110], v[97:98]
	v_mul_f64_e32 v[111:112], v[103:104], v[105:106]
	s_delay_alu instid0(VALU_DEP_1) | instskip(NEXT) | instid1(VALU_DEP_1)
	v_fma_f64 v[101:102], v[105:106], v[103:104], -v[111:112]
	v_fma_f64 v[101:102], v[105:106], v[99:100], v[101:102]
	s_delay_alu instid0(VALU_DEP_1) | instskip(NEXT) | instid1(VALU_DEP_1)
	v_add_f64_e32 v[113:114], v[111:112], v[101:102]
	v_add_f64_e64 v[115:116], v[109:110], -v[113:114]
	v_add_f64_e64 v[107:108], v[113:114], -v[111:112]
	s_delay_alu instid0(VALU_DEP_2) | instskip(NEXT) | instid1(VALU_DEP_2)
	v_add_f64_e64 v[109:110], v[109:110], -v[115:116]
	v_add_f64_e64 v[101:102], v[107:108], -v[101:102]
	s_delay_alu instid0(VALU_DEP_2) | instskip(NEXT) | instid1(VALU_DEP_1)
	v_add_f64_e64 v[109:110], v[109:110], -v[113:114]
	v_add_f64_e32 v[73:74], v[73:74], v[109:110]
	s_delay_alu instid0(VALU_DEP_1) | instskip(NEXT) | instid1(VALU_DEP_1)
	v_add_f64_e32 v[73:74], v[101:102], v[73:74]
	v_add_f64_e32 v[101:102], v[115:116], v[73:74]
	s_delay_alu instid0(VALU_DEP_1) | instskip(SKIP_1) | instid1(VALU_DEP_2)
	v_mul_f64_e32 v[107:108], v[97:98], v[101:102]
	v_add_f64_e64 v[113:114], v[115:116], -v[101:102]
	v_mul_f64_e32 v[109:110], v[103:104], v[107:108]
	s_delay_alu instid0(VALU_DEP_2) | instskip(NEXT) | instid1(VALU_DEP_2)
	v_add_f64_e32 v[73:74], v[73:74], v[113:114]
	v_fma_f64 v[103:104], v[107:108], v[103:104], -v[109:110]
	s_delay_alu instid0(VALU_DEP_1) | instskip(NEXT) | instid1(VALU_DEP_1)
	v_fma_f64 v[99:100], v[107:108], v[99:100], v[103:104]
	v_add_f64_e32 v[103:104], v[109:110], v[99:100]
	s_delay_alu instid0(VALU_DEP_1) | instskip(SKIP_1) | instid1(VALU_DEP_2)
	v_add_f64_e64 v[111:112], v[101:102], -v[103:104]
	v_add_f64_e64 v[109:110], v[103:104], -v[109:110]
	;; [unrolled: 1-line block ×3, first 2 shown]
	s_delay_alu instid0(VALU_DEP_2) | instskip(NEXT) | instid1(VALU_DEP_2)
	v_add_f64_e64 v[99:100], v[109:110], -v[99:100]
	v_add_f64_e64 v[101:102], v[101:102], -v[103:104]
	s_delay_alu instid0(VALU_DEP_1) | instskip(SKIP_1) | instid1(VALU_DEP_2)
	v_add_f64_e32 v[73:74], v[73:74], v[101:102]
	v_add_f64_e32 v[101:102], v[105:106], v[107:108]
	;; [unrolled: 1-line block ×3, first 2 shown]
	s_delay_alu instid0(VALU_DEP_2) | instskip(NEXT) | instid1(VALU_DEP_2)
	v_add_f64_e64 v[99:100], v[101:102], -v[105:106]
	v_add_f64_e32 v[73:74], v[111:112], v[73:74]
	s_delay_alu instid0(VALU_DEP_2) | instskip(NEXT) | instid1(VALU_DEP_2)
	v_add_f64_e64 v[99:100], v[107:108], -v[99:100]
	v_mul_f64_e32 v[73:74], v[97:98], v[73:74]
	s_delay_alu instid0(VALU_DEP_1) | instskip(NEXT) | instid1(VALU_DEP_1)
	v_add_f64_e32 v[73:74], v[99:100], v[73:74]
	v_add_f64_e32 v[97:98], v[101:102], v[73:74]
	s_delay_alu instid0(VALU_DEP_1) | instskip(NEXT) | instid1(VALU_DEP_1)
	v_mul_f64_e32 v[99:100], v[97:98], v[97:98]
	v_fma_f64 v[103:104], v[99:100], s[44:45], s[42:43]
	s_mov_b32 s42, 0xd7f4df2e
	s_mov_b32 s43, 0x3fc7474d
	v_mul_f64_e32 v[105:106], v[97:98], v[99:100]
	s_wait_alu 0xfffe
	s_delay_alu instid0(VALU_DEP_2) | instskip(SKIP_3) | instid1(VALU_DEP_1)
	v_fma_f64 v[103:104], v[99:100], v[103:104], s[42:43]
	s_mov_b32 s42, 0x16291751
	s_mov_b32 s43, 0x3fcc71c0
	s_wait_alu 0xfffe
	v_fma_f64 v[103:104], v[99:100], v[103:104], s[42:43]
	s_mov_b32 s42, 0x9b27acf1
	s_mov_b32 s43, 0x3fd24924
	s_wait_alu 0xfffe
	s_delay_alu instid0(VALU_DEP_1) | instskip(SKIP_3) | instid1(VALU_DEP_1)
	v_fma_f64 v[103:104], v[99:100], v[103:104], s[42:43]
	s_mov_b32 s42, 0x998ef7b6
	s_mov_b32 s43, 0x3fd99999
	s_wait_alu 0xfffe
	v_fma_f64 v[103:104], v[99:100], v[103:104], s[42:43]
	s_delay_alu instid0(VALU_DEP_1)
	v_fma_f64 v[99:100], v[99:100], v[103:104], s[0:1]
	v_ldexp_f64 v[103:104], v[97:98], 1
	v_add_f64_e64 v[97:98], v[97:98], -v[101:102]
	v_cmp_nge_f64_e64 s0, -1.0, v[71:72]
	v_cmp_neq_f64_e64 s1, 0x7ff00000, v[71:72]
	v_mul_f64_e32 v[99:100], v[105:106], v[99:100]
	v_cvt_f64_i32_e32 v[105:106], v76
	v_add_f64_e64 v[73:74], v[73:74], -v[97:98]
	s_and_b32 s0, s0, s1
	s_delay_alu instid0(VALU_DEP_3) | instskip(NEXT) | instid1(VALU_DEP_3)
	v_add_f64_e32 v[101:102], v[103:104], v[99:100]
	v_mul_f64_e32 v[107:108], s[34:35], v[105:106]
	s_delay_alu instid0(VALU_DEP_3) | instskip(NEXT) | instid1(VALU_DEP_3)
	v_ldexp_f64 v[73:74], v[73:74], 1
	v_add_f64_e64 v[97:98], v[101:102], -v[103:104]
	s_delay_alu instid0(VALU_DEP_3) | instskip(SKIP_1) | instid1(VALU_DEP_3)
	v_fma_f64 v[103:104], v[105:106], s[34:35], -v[107:108]
	v_cmp_ngt_f64_e64 s34, -1.0, v[71:72]
	v_add_f64_e64 v[97:98], v[99:100], -v[97:98]
	s_delay_alu instid0(VALU_DEP_3) | instskip(NEXT) | instid1(VALU_DEP_2)
	v_fma_f64 v[99:100], v[105:106], s[38:39], v[103:104]
	v_add_f64_e32 v[73:74], v[73:74], v[97:98]
	s_delay_alu instid0(VALU_DEP_2) | instskip(NEXT) | instid1(VALU_DEP_2)
	v_add_f64_e32 v[97:98], v[107:108], v[99:100]
	v_add_f64_e32 v[103:104], v[101:102], v[73:74]
	s_delay_alu instid0(VALU_DEP_2) | instskip(NEXT) | instid1(VALU_DEP_2)
	v_add_f64_e64 v[107:108], v[97:98], -v[107:108]
	v_add_f64_e32 v[105:106], v[97:98], v[103:104]
	v_add_f64_e64 v[101:102], v[103:104], -v[101:102]
	s_delay_alu instid0(VALU_DEP_3) | instskip(NEXT) | instid1(VALU_DEP_3)
	v_add_f64_e64 v[99:100], v[99:100], -v[107:108]
	v_add_f64_e64 v[109:110], v[105:106], -v[97:98]
	s_delay_alu instid0(VALU_DEP_3) | instskip(NEXT) | instid1(VALU_DEP_2)
	v_add_f64_e64 v[73:74], v[73:74], -v[101:102]
	v_add_f64_e64 v[111:112], v[105:106], -v[109:110]
	;; [unrolled: 1-line block ×3, first 2 shown]
	s_delay_alu instid0(VALU_DEP_3) | instskip(NEXT) | instid1(VALU_DEP_3)
	v_add_f64_e32 v[103:104], v[99:100], v[73:74]
	v_add_f64_e64 v[97:98], v[97:98], -v[111:112]
	s_delay_alu instid0(VALU_DEP_1) | instskip(NEXT) | instid1(VALU_DEP_3)
	v_add_f64_e32 v[97:98], v[101:102], v[97:98]
	v_add_f64_e64 v[101:102], v[103:104], -v[99:100]
	s_delay_alu instid0(VALU_DEP_2) | instskip(NEXT) | instid1(VALU_DEP_2)
	v_add_f64_e32 v[97:98], v[103:104], v[97:98]
	v_add_f64_e64 v[103:104], v[103:104], -v[101:102]
	v_add_f64_e64 v[73:74], v[73:74], -v[101:102]
	s_delay_alu instid0(VALU_DEP_3) | instskip(NEXT) | instid1(VALU_DEP_3)
	v_add_f64_e32 v[107:108], v[105:106], v[97:98]
	v_add_f64_e64 v[99:100], v[99:100], -v[103:104]
	s_delay_alu instid0(VALU_DEP_2) | instskip(NEXT) | instid1(VALU_DEP_2)
	v_add_f64_e64 v[101:102], v[107:108], -v[105:106]
	v_add_f64_e32 v[73:74], v[73:74], v[99:100]
	s_delay_alu instid0(VALU_DEP_2) | instskip(NEXT) | instid1(VALU_DEP_1)
	v_add_f64_e64 v[97:98], v[97:98], -v[101:102]
	v_add_f64_e32 v[73:74], v[73:74], v[97:98]
	s_delay_alu instid0(VALU_DEP_1) | instskip(SKIP_1) | instid1(VALU_DEP_1)
	v_add_f64_e32 v[73:74], v[107:108], v[73:74]
	s_wait_alu 0xfffe
	v_cndmask_b32_e64 v73, 0, v73, s0
	v_cmp_neq_f64_e64 s0, -1.0, v[71:72]
	s_delay_alu instid0(VALU_DEP_3) | instskip(SKIP_1) | instid1(VALU_DEP_1)
	v_cndmask_b32_e64 v74, 0x7ff00000, v74, s1
	s_wait_alu 0xf1ff
	v_cndmask_b32_e64 v74, 0x7ff80000, v74, s34
	s_delay_alu instid0(VALU_DEP_1) | instskip(NEXT) | instid1(VALU_DEP_1)
	v_cndmask_b32_e64 v74, 0xfff00000, v74, s0
	v_add_f64_e32 v[71:72], v[69:70], v[73:74]
.LBB23_69:
	s_wait_alu 0xfffe
	s_or_b32 exec_lo, exec_lo, s41
	s_delay_alu instid0(VALU_DEP_1)
	v_dual_mov_b32 v69, v71 :: v_dual_mov_b32 v70, v72
	v_dual_mov_b32 v73, v71 :: v_dual_mov_b32 v74, v72
.LBB23_70:
	s_wait_alu 0xfffe
	s_or_b32 exec_lo, exec_lo, s40
	s_delay_alu instid0(VALU_DEP_1) | instskip(NEXT) | instid1(VALU_DEP_2)
	v_mov_b32_dpp v71, v73 row_shr:4 row_mask:0xf bank_mask:0xf
	v_mov_b32_dpp v72, v74 row_shr:4 row_mask:0xf bank_mask:0xf
	s_mov_b32 s40, exec_lo
	v_cmpx_lt_u32_e32 3, v75
	s_cbranch_execz .LBB23_74
; %bb.71:
	s_delay_alu instid0(VALU_DEP_2) | instskip(SKIP_3) | instid1(VALU_DEP_3)
	v_max_num_f64_e32 v[73:74], v[71:72], v[71:72]
	v_max_num_f64_e32 v[97:98], v[69:70], v[69:70]
	v_cmp_u_f64_e64 s0, v[71:72], v[71:72]
	v_cmp_u_f64_e64 s1, v[69:70], v[69:70]
	v_min_num_f64_e32 v[99:100], v[73:74], v[97:98]
	v_max_num_f64_e32 v[73:74], v[73:74], v[97:98]
	s_wait_alu 0xf1ff
	s_delay_alu instid0(VALU_DEP_2) | instskip(NEXT) | instid1(VALU_DEP_3)
	v_cndmask_b32_e64 v76, v100, v72, s0
	v_cndmask_b32_e64 v97, v99, v71, s0
	s_delay_alu instid0(VALU_DEP_3) | instskip(NEXT) | instid1(VALU_DEP_4)
	v_cndmask_b32_e64 v98, v74, v72, s0
	v_cndmask_b32_e64 v99, v73, v71, s0
	s_delay_alu instid0(VALU_DEP_4) | instskip(NEXT) | instid1(VALU_DEP_4)
	v_cndmask_b32_e64 v74, v76, v70, s1
	v_cndmask_b32_e64 v73, v97, v69, s1
	s_delay_alu instid0(VALU_DEP_4) | instskip(NEXT) | instid1(VALU_DEP_4)
	v_cndmask_b32_e64 v70, v98, v70, s1
	v_cndmask_b32_e64 v69, v99, v69, s1
	s_delay_alu instid0(VALU_DEP_3) | instskip(NEXT) | instid1(VALU_DEP_2)
	v_cmp_class_f64_e64 s1, v[73:74], 0x1f8
	v_cmp_neq_f64_e64 s0, v[73:74], v[69:70]
	s_or_b32 s0, s0, s1
	s_wait_alu 0xfffe
	s_and_saveexec_b32 s41, s0
	s_cbranch_execz .LBB23_73
; %bb.72:
	v_add_f64_e64 v[71:72], v[73:74], -v[69:70]
	s_mov_b32 s0, 0x652b82fe
	s_mov_b32 s1, 0x3ff71547
	;; [unrolled: 1-line block ×10, first 2 shown]
	s_wait_alu 0xfffe
	s_delay_alu instid0(VALU_DEP_1) | instskip(SKIP_2) | instid1(VALU_DEP_1)
	v_mul_f64_e32 v[73:74], s[0:1], v[71:72]
	s_mov_b32 s0, 0xfca7ab0c
	s_mov_b32 s1, 0x3e928af3
	v_rndne_f64_e32 v[73:74], v[73:74]
	s_delay_alu instid0(VALU_DEP_1) | instskip(SKIP_2) | instid1(VALU_DEP_2)
	v_fma_f64 v[97:98], v[73:74], s[34:35], v[71:72]
	v_cvt_i32_f64_e32 v76, v[73:74]
	s_mov_b32 s35, 0x3fe62e42
	v_fma_f64 v[97:98], v[73:74], s[38:39], v[97:98]
	s_mov_b32 s39, 0x3c7abc9e
	s_wait_alu 0xfffe
	s_delay_alu instid0(VALU_DEP_1)
	v_fma_f64 v[99:100], v[97:98], s[42:43], s[0:1]
	s_mov_b32 s0, 0x623fde64
	s_mov_b32 s1, 0x3ec71dee
	;; [unrolled: 1-line block ×4, first 2 shown]
	s_wait_alu 0xfffe
	s_delay_alu instid0(VALU_DEP_1) | instskip(SKIP_3) | instid1(VALU_DEP_1)
	v_fma_f64 v[99:100], v[97:98], v[99:100], s[0:1]
	s_mov_b32 s0, 0x7c89e6b0
	s_mov_b32 s1, 0x3efa0199
	s_wait_alu 0xfffe
	v_fma_f64 v[99:100], v[97:98], v[99:100], s[0:1]
	s_mov_b32 s0, 0x14761f6e
	s_mov_b32 s1, 0x3f2a01a0
	s_wait_alu 0xfffe
	s_delay_alu instid0(VALU_DEP_1) | instskip(SKIP_3) | instid1(VALU_DEP_1)
	v_fma_f64 v[99:100], v[97:98], v[99:100], s[0:1]
	s_mov_b32 s0, 0x1852b7b0
	s_mov_b32 s1, 0x3f56c16c
	s_wait_alu 0xfffe
	v_fma_f64 v[99:100], v[97:98], v[99:100], s[0:1]
	s_mov_b32 s0, 0x11122322
	s_mov_b32 s1, 0x3f811111
	;; [unrolled: 9-line block ×3, first 2 shown]
	s_wait_alu 0xfffe
	s_delay_alu instid0(VALU_DEP_1) | instskip(SKIP_3) | instid1(VALU_DEP_1)
	v_fma_f64 v[99:100], v[97:98], v[99:100], s[0:1]
	s_mov_b32 s0, 11
	s_mov_b32 s1, 0x3fe00000
	s_wait_alu 0xfffe
	v_fma_f64 v[99:100], v[97:98], v[99:100], s[0:1]
	v_cmp_nlt_f64_e64 s0, 0x40900000, v[71:72]
	v_cmp_ngt_f64_e64 s1, 0xc090cc00, v[71:72]
	s_delay_alu instid0(VALU_DEP_3) | instskip(NEXT) | instid1(VALU_DEP_1)
	v_fma_f64 v[99:100], v[97:98], v[99:100], 1.0
	v_fma_f64 v[73:74], v[97:98], v[99:100], 1.0
	s_delay_alu instid0(VALU_DEP_1) | instskip(SKIP_1) | instid1(VALU_DEP_1)
	v_ldexp_f64 v[73:74], v[73:74], v76
	s_wait_alu 0xf1ff
	v_cndmask_b32_e64 v74, 0x7ff00000, v74, s0
	s_and_b32 s0, s1, s0
	s_wait_alu 0xfffe
	s_delay_alu instid0(VALU_DEP_2) | instskip(SKIP_3) | instid1(VALU_DEP_1)
	v_cndmask_b32_e64 v71, 0, v73, s0
	s_mov_b32 s0, 0x55555555
	v_cndmask_b32_e64 v72, 0, v74, s1
	s_mov_b32 s1, 0x3fe55555
	v_add_f64_e32 v[73:74], 1.0, v[71:72]
	s_delay_alu instid0(VALU_DEP_1) | instskip(SKIP_3) | instid1(VALU_DEP_3)
	v_frexp_mant_f64_e32 v[97:98], v[73:74]
	v_frexp_exp_i32_f64_e32 v76, v[73:74]
	v_add_f64_e32 v[99:100], -1.0, v[73:74]
	s_wait_alu 0xfffe
	v_cmp_gt_f64_e64 s0, s[0:1], v[97:98]
	s_delay_alu instid0(VALU_DEP_2) | instskip(SKIP_2) | instid1(VALU_DEP_3)
	v_add_f64_e64 v[97:98], v[99:100], -v[73:74]
	v_add_f64_e64 v[99:100], v[71:72], -v[99:100]
	s_wait_alu 0xf1ff
	v_subrev_co_ci_u32_e64 v76, null, 0, v76, s0
	s_delay_alu instid0(VALU_DEP_3) | instskip(SKIP_1) | instid1(VALU_DEP_2)
	v_add_f64_e32 v[97:98], 1.0, v[97:98]
	s_mov_b32 s0, 0x55555780
	v_sub_nc_u32_e32 v103, 0, v76
	s_delay_alu instid0(VALU_DEP_1) | instskip(NEXT) | instid1(VALU_DEP_3)
	v_ldexp_f64 v[73:74], v[73:74], v103
	v_add_f64_e32 v[97:98], v[99:100], v[97:98]
	s_delay_alu instid0(VALU_DEP_2) | instskip(SKIP_1) | instid1(VALU_DEP_3)
	v_add_f64_e32 v[101:102], 1.0, v[73:74]
	v_add_f64_e32 v[107:108], -1.0, v[73:74]
	v_ldexp_f64 v[97:98], v[97:98], v103
	s_delay_alu instid0(VALU_DEP_3) | instskip(NEXT) | instid1(VALU_DEP_3)
	v_add_f64_e32 v[99:100], -1.0, v[101:102]
	v_add_f64_e32 v[109:110], 1.0, v[107:108]
	s_delay_alu instid0(VALU_DEP_2) | instskip(NEXT) | instid1(VALU_DEP_2)
	v_add_f64_e64 v[99:100], v[73:74], -v[99:100]
	v_add_f64_e64 v[73:74], v[73:74], -v[109:110]
	s_delay_alu instid0(VALU_DEP_2) | instskip(NEXT) | instid1(VALU_DEP_2)
	v_add_f64_e32 v[99:100], v[97:98], v[99:100]
	v_add_f64_e32 v[73:74], v[97:98], v[73:74]
	s_delay_alu instid0(VALU_DEP_2) | instskip(NEXT) | instid1(VALU_DEP_2)
	v_add_f64_e32 v[103:104], v[101:102], v[99:100]
	v_add_f64_e32 v[109:110], v[107:108], v[73:74]
	s_delay_alu instid0(VALU_DEP_2) | instskip(SKIP_1) | instid1(VALU_DEP_2)
	v_rcp_f64_e32 v[105:106], v[103:104]
	v_add_f64_e64 v[101:102], v[103:104], -v[101:102]
	v_add_f64_e64 v[107:108], v[109:110], -v[107:108]
	s_delay_alu instid0(VALU_DEP_2) | instskip(NEXT) | instid1(TRANS32_DEP_1)
	v_add_f64_e64 v[99:100], v[99:100], -v[101:102]
	v_fma_f64 v[111:112], -v[103:104], v[105:106], 1.0
	s_delay_alu instid0(VALU_DEP_3) | instskip(NEXT) | instid1(VALU_DEP_2)
	v_add_f64_e64 v[73:74], v[73:74], -v[107:108]
	v_fma_f64 v[105:106], v[111:112], v[105:106], v[105:106]
	s_delay_alu instid0(VALU_DEP_1) | instskip(NEXT) | instid1(VALU_DEP_1)
	v_fma_f64 v[97:98], -v[103:104], v[105:106], 1.0
	v_fma_f64 v[97:98], v[97:98], v[105:106], v[105:106]
	s_delay_alu instid0(VALU_DEP_1) | instskip(NEXT) | instid1(VALU_DEP_1)
	v_mul_f64_e32 v[105:106], v[109:110], v[97:98]
	v_mul_f64_e32 v[111:112], v[103:104], v[105:106]
	s_delay_alu instid0(VALU_DEP_1) | instskip(NEXT) | instid1(VALU_DEP_1)
	v_fma_f64 v[101:102], v[105:106], v[103:104], -v[111:112]
	v_fma_f64 v[101:102], v[105:106], v[99:100], v[101:102]
	s_delay_alu instid0(VALU_DEP_1) | instskip(NEXT) | instid1(VALU_DEP_1)
	v_add_f64_e32 v[113:114], v[111:112], v[101:102]
	v_add_f64_e64 v[115:116], v[109:110], -v[113:114]
	v_add_f64_e64 v[107:108], v[113:114], -v[111:112]
	s_delay_alu instid0(VALU_DEP_2) | instskip(NEXT) | instid1(VALU_DEP_2)
	v_add_f64_e64 v[109:110], v[109:110], -v[115:116]
	v_add_f64_e64 v[101:102], v[107:108], -v[101:102]
	s_delay_alu instid0(VALU_DEP_2) | instskip(NEXT) | instid1(VALU_DEP_1)
	v_add_f64_e64 v[109:110], v[109:110], -v[113:114]
	v_add_f64_e32 v[73:74], v[73:74], v[109:110]
	s_delay_alu instid0(VALU_DEP_1) | instskip(NEXT) | instid1(VALU_DEP_1)
	v_add_f64_e32 v[73:74], v[101:102], v[73:74]
	v_add_f64_e32 v[101:102], v[115:116], v[73:74]
	s_delay_alu instid0(VALU_DEP_1) | instskip(SKIP_1) | instid1(VALU_DEP_2)
	v_mul_f64_e32 v[107:108], v[97:98], v[101:102]
	v_add_f64_e64 v[113:114], v[115:116], -v[101:102]
	v_mul_f64_e32 v[109:110], v[103:104], v[107:108]
	s_delay_alu instid0(VALU_DEP_2) | instskip(NEXT) | instid1(VALU_DEP_2)
	v_add_f64_e32 v[73:74], v[73:74], v[113:114]
	v_fma_f64 v[103:104], v[107:108], v[103:104], -v[109:110]
	s_delay_alu instid0(VALU_DEP_1) | instskip(NEXT) | instid1(VALU_DEP_1)
	v_fma_f64 v[99:100], v[107:108], v[99:100], v[103:104]
	v_add_f64_e32 v[103:104], v[109:110], v[99:100]
	s_delay_alu instid0(VALU_DEP_1) | instskip(SKIP_1) | instid1(VALU_DEP_2)
	v_add_f64_e64 v[111:112], v[101:102], -v[103:104]
	v_add_f64_e64 v[109:110], v[103:104], -v[109:110]
	;; [unrolled: 1-line block ×3, first 2 shown]
	s_delay_alu instid0(VALU_DEP_2) | instskip(NEXT) | instid1(VALU_DEP_2)
	v_add_f64_e64 v[99:100], v[109:110], -v[99:100]
	v_add_f64_e64 v[101:102], v[101:102], -v[103:104]
	s_delay_alu instid0(VALU_DEP_1) | instskip(SKIP_1) | instid1(VALU_DEP_2)
	v_add_f64_e32 v[73:74], v[73:74], v[101:102]
	v_add_f64_e32 v[101:102], v[105:106], v[107:108]
	;; [unrolled: 1-line block ×3, first 2 shown]
	s_delay_alu instid0(VALU_DEP_2) | instskip(NEXT) | instid1(VALU_DEP_2)
	v_add_f64_e64 v[99:100], v[101:102], -v[105:106]
	v_add_f64_e32 v[73:74], v[111:112], v[73:74]
	s_delay_alu instid0(VALU_DEP_2) | instskip(NEXT) | instid1(VALU_DEP_2)
	v_add_f64_e64 v[99:100], v[107:108], -v[99:100]
	v_mul_f64_e32 v[73:74], v[97:98], v[73:74]
	s_delay_alu instid0(VALU_DEP_1) | instskip(NEXT) | instid1(VALU_DEP_1)
	v_add_f64_e32 v[73:74], v[99:100], v[73:74]
	v_add_f64_e32 v[97:98], v[101:102], v[73:74]
	s_delay_alu instid0(VALU_DEP_1) | instskip(NEXT) | instid1(VALU_DEP_1)
	v_mul_f64_e32 v[99:100], v[97:98], v[97:98]
	v_fma_f64 v[103:104], v[99:100], s[44:45], s[42:43]
	s_mov_b32 s42, 0xd7f4df2e
	s_mov_b32 s43, 0x3fc7474d
	v_mul_f64_e32 v[105:106], v[97:98], v[99:100]
	s_wait_alu 0xfffe
	s_delay_alu instid0(VALU_DEP_2) | instskip(SKIP_3) | instid1(VALU_DEP_1)
	v_fma_f64 v[103:104], v[99:100], v[103:104], s[42:43]
	s_mov_b32 s42, 0x16291751
	s_mov_b32 s43, 0x3fcc71c0
	s_wait_alu 0xfffe
	v_fma_f64 v[103:104], v[99:100], v[103:104], s[42:43]
	s_mov_b32 s42, 0x9b27acf1
	s_mov_b32 s43, 0x3fd24924
	s_wait_alu 0xfffe
	s_delay_alu instid0(VALU_DEP_1) | instskip(SKIP_3) | instid1(VALU_DEP_1)
	v_fma_f64 v[103:104], v[99:100], v[103:104], s[42:43]
	s_mov_b32 s42, 0x998ef7b6
	s_mov_b32 s43, 0x3fd99999
	s_wait_alu 0xfffe
	v_fma_f64 v[103:104], v[99:100], v[103:104], s[42:43]
	s_delay_alu instid0(VALU_DEP_1)
	v_fma_f64 v[99:100], v[99:100], v[103:104], s[0:1]
	v_ldexp_f64 v[103:104], v[97:98], 1
	v_add_f64_e64 v[97:98], v[97:98], -v[101:102]
	v_cmp_nge_f64_e64 s0, -1.0, v[71:72]
	v_cmp_neq_f64_e64 s1, 0x7ff00000, v[71:72]
	v_mul_f64_e32 v[99:100], v[105:106], v[99:100]
	v_cvt_f64_i32_e32 v[105:106], v76
	v_add_f64_e64 v[73:74], v[73:74], -v[97:98]
	s_and_b32 s0, s0, s1
	s_delay_alu instid0(VALU_DEP_3) | instskip(NEXT) | instid1(VALU_DEP_3)
	v_add_f64_e32 v[101:102], v[103:104], v[99:100]
	v_mul_f64_e32 v[107:108], s[34:35], v[105:106]
	s_delay_alu instid0(VALU_DEP_3) | instskip(NEXT) | instid1(VALU_DEP_3)
	v_ldexp_f64 v[73:74], v[73:74], 1
	v_add_f64_e64 v[97:98], v[101:102], -v[103:104]
	s_delay_alu instid0(VALU_DEP_3) | instskip(SKIP_1) | instid1(VALU_DEP_3)
	v_fma_f64 v[103:104], v[105:106], s[34:35], -v[107:108]
	v_cmp_ngt_f64_e64 s34, -1.0, v[71:72]
	v_add_f64_e64 v[97:98], v[99:100], -v[97:98]
	s_delay_alu instid0(VALU_DEP_3) | instskip(NEXT) | instid1(VALU_DEP_2)
	v_fma_f64 v[99:100], v[105:106], s[38:39], v[103:104]
	v_add_f64_e32 v[73:74], v[73:74], v[97:98]
	s_delay_alu instid0(VALU_DEP_2) | instskip(NEXT) | instid1(VALU_DEP_2)
	v_add_f64_e32 v[97:98], v[107:108], v[99:100]
	v_add_f64_e32 v[103:104], v[101:102], v[73:74]
	s_delay_alu instid0(VALU_DEP_2) | instskip(NEXT) | instid1(VALU_DEP_2)
	v_add_f64_e64 v[107:108], v[97:98], -v[107:108]
	v_add_f64_e32 v[105:106], v[97:98], v[103:104]
	v_add_f64_e64 v[101:102], v[103:104], -v[101:102]
	s_delay_alu instid0(VALU_DEP_3) | instskip(NEXT) | instid1(VALU_DEP_3)
	v_add_f64_e64 v[99:100], v[99:100], -v[107:108]
	v_add_f64_e64 v[109:110], v[105:106], -v[97:98]
	s_delay_alu instid0(VALU_DEP_3) | instskip(NEXT) | instid1(VALU_DEP_2)
	v_add_f64_e64 v[73:74], v[73:74], -v[101:102]
	v_add_f64_e64 v[111:112], v[105:106], -v[109:110]
	;; [unrolled: 1-line block ×3, first 2 shown]
	s_delay_alu instid0(VALU_DEP_3) | instskip(NEXT) | instid1(VALU_DEP_3)
	v_add_f64_e32 v[103:104], v[99:100], v[73:74]
	v_add_f64_e64 v[97:98], v[97:98], -v[111:112]
	s_delay_alu instid0(VALU_DEP_1) | instskip(NEXT) | instid1(VALU_DEP_3)
	v_add_f64_e32 v[97:98], v[101:102], v[97:98]
	v_add_f64_e64 v[101:102], v[103:104], -v[99:100]
	s_delay_alu instid0(VALU_DEP_2) | instskip(NEXT) | instid1(VALU_DEP_2)
	v_add_f64_e32 v[97:98], v[103:104], v[97:98]
	v_add_f64_e64 v[103:104], v[103:104], -v[101:102]
	v_add_f64_e64 v[73:74], v[73:74], -v[101:102]
	s_delay_alu instid0(VALU_DEP_3) | instskip(NEXT) | instid1(VALU_DEP_3)
	v_add_f64_e32 v[107:108], v[105:106], v[97:98]
	v_add_f64_e64 v[99:100], v[99:100], -v[103:104]
	s_delay_alu instid0(VALU_DEP_2) | instskip(NEXT) | instid1(VALU_DEP_2)
	v_add_f64_e64 v[101:102], v[107:108], -v[105:106]
	v_add_f64_e32 v[73:74], v[73:74], v[99:100]
	s_delay_alu instid0(VALU_DEP_2) | instskip(NEXT) | instid1(VALU_DEP_1)
	v_add_f64_e64 v[97:98], v[97:98], -v[101:102]
	v_add_f64_e32 v[73:74], v[73:74], v[97:98]
	s_delay_alu instid0(VALU_DEP_1) | instskip(SKIP_1) | instid1(VALU_DEP_1)
	v_add_f64_e32 v[73:74], v[107:108], v[73:74]
	s_wait_alu 0xfffe
	v_cndmask_b32_e64 v73, 0, v73, s0
	v_cmp_neq_f64_e64 s0, -1.0, v[71:72]
	s_delay_alu instid0(VALU_DEP_3) | instskip(SKIP_1) | instid1(VALU_DEP_1)
	v_cndmask_b32_e64 v74, 0x7ff00000, v74, s1
	s_wait_alu 0xf1ff
	v_cndmask_b32_e64 v74, 0x7ff80000, v74, s34
	s_delay_alu instid0(VALU_DEP_1) | instskip(NEXT) | instid1(VALU_DEP_1)
	v_cndmask_b32_e64 v74, 0xfff00000, v74, s0
	v_add_f64_e32 v[71:72], v[69:70], v[73:74]
.LBB23_73:
	s_wait_alu 0xfffe
	s_or_b32 exec_lo, exec_lo, s41
	s_delay_alu instid0(VALU_DEP_1)
	v_dual_mov_b32 v69, v71 :: v_dual_mov_b32 v70, v72
	v_dual_mov_b32 v73, v71 :: v_dual_mov_b32 v74, v72
.LBB23_74:
	s_wait_alu 0xfffe
	s_or_b32 exec_lo, exec_lo, s40
	s_delay_alu instid0(VALU_DEP_1) | instskip(NEXT) | instid1(VALU_DEP_2)
	v_mov_b32_dpp v71, v73 row_shr:8 row_mask:0xf bank_mask:0xf
	v_mov_b32_dpp v72, v74 row_shr:8 row_mask:0xf bank_mask:0xf
	s_mov_b32 s40, exec_lo
	v_cmpx_lt_u32_e32 7, v75
	s_cbranch_execz .LBB23_78
; %bb.75:
	s_delay_alu instid0(VALU_DEP_2) | instskip(SKIP_3) | instid1(VALU_DEP_3)
	v_max_num_f64_e32 v[73:74], v[71:72], v[71:72]
	v_max_num_f64_e32 v[75:76], v[69:70], v[69:70]
	v_cmp_u_f64_e64 s0, v[71:72], v[71:72]
	v_cmp_u_f64_e64 s1, v[69:70], v[69:70]
	v_min_num_f64_e32 v[97:98], v[73:74], v[75:76]
	v_max_num_f64_e32 v[73:74], v[73:74], v[75:76]
	s_wait_alu 0xf1ff
	s_delay_alu instid0(VALU_DEP_2) | instskip(NEXT) | instid1(VALU_DEP_3)
	v_cndmask_b32_e64 v75, v98, v72, s0
	v_cndmask_b32_e64 v76, v97, v71, s0
	s_delay_alu instid0(VALU_DEP_3) | instskip(NEXT) | instid1(VALU_DEP_4)
	v_cndmask_b32_e64 v97, v74, v72, s0
	v_cndmask_b32_e64 v98, v73, v71, s0
	s_delay_alu instid0(VALU_DEP_4) | instskip(NEXT) | instid1(VALU_DEP_4)
	v_cndmask_b32_e64 v74, v75, v70, s1
	v_cndmask_b32_e64 v73, v76, v69, s1
	s_delay_alu instid0(VALU_DEP_4) | instskip(NEXT) | instid1(VALU_DEP_4)
	v_cndmask_b32_e64 v70, v97, v70, s1
	v_cndmask_b32_e64 v69, v98, v69, s1
	s_delay_alu instid0(VALU_DEP_3) | instskip(NEXT) | instid1(VALU_DEP_2)
	v_cmp_class_f64_e64 s1, v[73:74], 0x1f8
	v_cmp_neq_f64_e64 s0, v[73:74], v[69:70]
	s_or_b32 s0, s0, s1
	s_wait_alu 0xfffe
	s_and_saveexec_b32 s41, s0
	s_cbranch_execz .LBB23_77
; %bb.76:
	v_add_f64_e64 v[71:72], v[73:74], -v[69:70]
	s_mov_b32 s0, 0x652b82fe
	s_mov_b32 s1, 0x3ff71547
	s_mov_b32 s35, 0xbfe62e42
	s_mov_b32 s34, 0xfefa39ef
	s_mov_b32 s39, 0xbc7abc9e
	s_mov_b32 s38, 0x3b39803f
	s_mov_b32 s42, 0x6a5dcb37
	s_mov_b32 s43, 0x3e5ade15
	s_mov_b32 s44, 0xbf559e2b
	s_mov_b32 s45, 0x3fc3ab76
	s_wait_alu 0xfffe
	s_delay_alu instid0(VALU_DEP_1) | instskip(SKIP_2) | instid1(VALU_DEP_1)
	v_mul_f64_e32 v[73:74], s[0:1], v[71:72]
	s_mov_b32 s0, 0xfca7ab0c
	s_mov_b32 s1, 0x3e928af3
	v_rndne_f64_e32 v[73:74], v[73:74]
	s_delay_alu instid0(VALU_DEP_1) | instskip(SKIP_2) | instid1(VALU_DEP_2)
	v_fma_f64 v[75:76], v[73:74], s[34:35], v[71:72]
	v_cvt_i32_f64_e32 v99, v[73:74]
	s_mov_b32 s35, 0x3fe62e42
	v_fma_f64 v[75:76], v[73:74], s[38:39], v[75:76]
	s_mov_b32 s39, 0x3c7abc9e
	s_wait_alu 0xfffe
	s_delay_alu instid0(VALU_DEP_1)
	v_fma_f64 v[97:98], v[75:76], s[42:43], s[0:1]
	s_mov_b32 s0, 0x623fde64
	s_mov_b32 s1, 0x3ec71dee
	;; [unrolled: 1-line block ×4, first 2 shown]
	s_wait_alu 0xfffe
	s_delay_alu instid0(VALU_DEP_1) | instskip(SKIP_3) | instid1(VALU_DEP_1)
	v_fma_f64 v[97:98], v[75:76], v[97:98], s[0:1]
	s_mov_b32 s0, 0x7c89e6b0
	s_mov_b32 s1, 0x3efa0199
	s_wait_alu 0xfffe
	v_fma_f64 v[97:98], v[75:76], v[97:98], s[0:1]
	s_mov_b32 s0, 0x14761f6e
	s_mov_b32 s1, 0x3f2a01a0
	s_wait_alu 0xfffe
	s_delay_alu instid0(VALU_DEP_1) | instskip(SKIP_3) | instid1(VALU_DEP_1)
	v_fma_f64 v[97:98], v[75:76], v[97:98], s[0:1]
	s_mov_b32 s0, 0x1852b7b0
	s_mov_b32 s1, 0x3f56c16c
	s_wait_alu 0xfffe
	v_fma_f64 v[97:98], v[75:76], v[97:98], s[0:1]
	s_mov_b32 s0, 0x11122322
	s_mov_b32 s1, 0x3f811111
	;; [unrolled: 9-line block ×3, first 2 shown]
	s_wait_alu 0xfffe
	s_delay_alu instid0(VALU_DEP_1) | instskip(SKIP_3) | instid1(VALU_DEP_1)
	v_fma_f64 v[97:98], v[75:76], v[97:98], s[0:1]
	s_mov_b32 s0, 11
	s_mov_b32 s1, 0x3fe00000
	s_wait_alu 0xfffe
	v_fma_f64 v[97:98], v[75:76], v[97:98], s[0:1]
	v_cmp_nlt_f64_e64 s0, 0x40900000, v[71:72]
	v_cmp_ngt_f64_e64 s1, 0xc090cc00, v[71:72]
	s_delay_alu instid0(VALU_DEP_3) | instskip(NEXT) | instid1(VALU_DEP_1)
	v_fma_f64 v[97:98], v[75:76], v[97:98], 1.0
	v_fma_f64 v[73:74], v[75:76], v[97:98], 1.0
	s_delay_alu instid0(VALU_DEP_1) | instskip(SKIP_1) | instid1(VALU_DEP_1)
	v_ldexp_f64 v[73:74], v[73:74], v99
	s_wait_alu 0xf1ff
	v_cndmask_b32_e64 v74, 0x7ff00000, v74, s0
	s_and_b32 s0, s1, s0
	s_wait_alu 0xfffe
	s_delay_alu instid0(VALU_DEP_2) | instskip(SKIP_3) | instid1(VALU_DEP_1)
	v_cndmask_b32_e64 v71, 0, v73, s0
	s_mov_b32 s0, 0x55555555
	v_cndmask_b32_e64 v72, 0, v74, s1
	s_mov_b32 s1, 0x3fe55555
	v_add_f64_e32 v[73:74], 1.0, v[71:72]
	s_delay_alu instid0(VALU_DEP_1) | instskip(SKIP_3) | instid1(VALU_DEP_3)
	v_frexp_mant_f64_e32 v[75:76], v[73:74]
	v_frexp_exp_i32_f64_e32 v99, v[73:74]
	v_add_f64_e32 v[97:98], -1.0, v[73:74]
	s_wait_alu 0xfffe
	v_cmp_gt_f64_e64 s0, s[0:1], v[75:76]
	s_delay_alu instid0(VALU_DEP_2) | instskip(SKIP_2) | instid1(VALU_DEP_3)
	v_add_f64_e64 v[75:76], v[97:98], -v[73:74]
	v_add_f64_e64 v[97:98], v[71:72], -v[97:98]
	s_wait_alu 0xf1ff
	v_subrev_co_ci_u32_e64 v115, null, 0, v99, s0
	s_delay_alu instid0(VALU_DEP_3) | instskip(SKIP_1) | instid1(VALU_DEP_2)
	v_add_f64_e32 v[75:76], 1.0, v[75:76]
	s_mov_b32 s0, 0x55555780
	v_sub_nc_u32_e32 v101, 0, v115
	s_delay_alu instid0(VALU_DEP_1) | instskip(NEXT) | instid1(VALU_DEP_3)
	v_ldexp_f64 v[73:74], v[73:74], v101
	v_add_f64_e32 v[75:76], v[97:98], v[75:76]
	s_delay_alu instid0(VALU_DEP_2) | instskip(SKIP_1) | instid1(VALU_DEP_3)
	v_add_f64_e32 v[99:100], 1.0, v[73:74]
	v_add_f64_e32 v[105:106], -1.0, v[73:74]
	v_ldexp_f64 v[75:76], v[75:76], v101
	s_delay_alu instid0(VALU_DEP_3) | instskip(NEXT) | instid1(VALU_DEP_3)
	v_add_f64_e32 v[97:98], -1.0, v[99:100]
	v_add_f64_e32 v[107:108], 1.0, v[105:106]
	s_delay_alu instid0(VALU_DEP_2) | instskip(NEXT) | instid1(VALU_DEP_2)
	v_add_f64_e64 v[97:98], v[73:74], -v[97:98]
	v_add_f64_e64 v[73:74], v[73:74], -v[107:108]
	s_delay_alu instid0(VALU_DEP_2) | instskip(NEXT) | instid1(VALU_DEP_2)
	v_add_f64_e32 v[97:98], v[75:76], v[97:98]
	v_add_f64_e32 v[73:74], v[75:76], v[73:74]
	s_delay_alu instid0(VALU_DEP_2) | instskip(NEXT) | instid1(VALU_DEP_2)
	v_add_f64_e32 v[101:102], v[99:100], v[97:98]
	v_add_f64_e32 v[107:108], v[105:106], v[73:74]
	s_delay_alu instid0(VALU_DEP_2) | instskip(SKIP_1) | instid1(VALU_DEP_2)
	v_rcp_f64_e32 v[103:104], v[101:102]
	v_add_f64_e64 v[99:100], v[101:102], -v[99:100]
	v_add_f64_e64 v[105:106], v[107:108], -v[105:106]
	s_delay_alu instid0(VALU_DEP_2) | instskip(NEXT) | instid1(TRANS32_DEP_1)
	v_add_f64_e64 v[97:98], v[97:98], -v[99:100]
	v_fma_f64 v[109:110], -v[101:102], v[103:104], 1.0
	s_delay_alu instid0(VALU_DEP_3) | instskip(NEXT) | instid1(VALU_DEP_2)
	v_add_f64_e64 v[73:74], v[73:74], -v[105:106]
	v_fma_f64 v[103:104], v[109:110], v[103:104], v[103:104]
	s_delay_alu instid0(VALU_DEP_1) | instskip(NEXT) | instid1(VALU_DEP_1)
	v_fma_f64 v[75:76], -v[101:102], v[103:104], 1.0
	v_fma_f64 v[75:76], v[75:76], v[103:104], v[103:104]
	s_delay_alu instid0(VALU_DEP_1) | instskip(NEXT) | instid1(VALU_DEP_1)
	v_mul_f64_e32 v[103:104], v[107:108], v[75:76]
	v_mul_f64_e32 v[109:110], v[101:102], v[103:104]
	s_delay_alu instid0(VALU_DEP_1) | instskip(NEXT) | instid1(VALU_DEP_1)
	v_fma_f64 v[99:100], v[103:104], v[101:102], -v[109:110]
	v_fma_f64 v[99:100], v[103:104], v[97:98], v[99:100]
	s_delay_alu instid0(VALU_DEP_1) | instskip(NEXT) | instid1(VALU_DEP_1)
	v_add_f64_e32 v[111:112], v[109:110], v[99:100]
	v_add_f64_e64 v[113:114], v[107:108], -v[111:112]
	v_add_f64_e64 v[105:106], v[111:112], -v[109:110]
	s_delay_alu instid0(VALU_DEP_2) | instskip(NEXT) | instid1(VALU_DEP_2)
	v_add_f64_e64 v[107:108], v[107:108], -v[113:114]
	v_add_f64_e64 v[99:100], v[105:106], -v[99:100]
	s_delay_alu instid0(VALU_DEP_2) | instskip(NEXT) | instid1(VALU_DEP_1)
	v_add_f64_e64 v[107:108], v[107:108], -v[111:112]
	v_add_f64_e32 v[73:74], v[73:74], v[107:108]
	s_delay_alu instid0(VALU_DEP_1) | instskip(NEXT) | instid1(VALU_DEP_1)
	v_add_f64_e32 v[73:74], v[99:100], v[73:74]
	v_add_f64_e32 v[99:100], v[113:114], v[73:74]
	s_delay_alu instid0(VALU_DEP_1) | instskip(SKIP_1) | instid1(VALU_DEP_2)
	v_mul_f64_e32 v[105:106], v[75:76], v[99:100]
	v_add_f64_e64 v[111:112], v[113:114], -v[99:100]
	v_mul_f64_e32 v[107:108], v[101:102], v[105:106]
	s_delay_alu instid0(VALU_DEP_2) | instskip(NEXT) | instid1(VALU_DEP_2)
	v_add_f64_e32 v[73:74], v[73:74], v[111:112]
	v_fma_f64 v[101:102], v[105:106], v[101:102], -v[107:108]
	s_delay_alu instid0(VALU_DEP_1) | instskip(NEXT) | instid1(VALU_DEP_1)
	v_fma_f64 v[97:98], v[105:106], v[97:98], v[101:102]
	v_add_f64_e32 v[101:102], v[107:108], v[97:98]
	s_delay_alu instid0(VALU_DEP_1) | instskip(SKIP_1) | instid1(VALU_DEP_2)
	v_add_f64_e64 v[109:110], v[99:100], -v[101:102]
	v_add_f64_e64 v[107:108], v[101:102], -v[107:108]
	;; [unrolled: 1-line block ×3, first 2 shown]
	s_delay_alu instid0(VALU_DEP_2) | instskip(NEXT) | instid1(VALU_DEP_2)
	v_add_f64_e64 v[97:98], v[107:108], -v[97:98]
	v_add_f64_e64 v[99:100], v[99:100], -v[101:102]
	s_delay_alu instid0(VALU_DEP_1) | instskip(SKIP_1) | instid1(VALU_DEP_2)
	v_add_f64_e32 v[73:74], v[73:74], v[99:100]
	v_add_f64_e32 v[99:100], v[103:104], v[105:106]
	;; [unrolled: 1-line block ×3, first 2 shown]
	s_delay_alu instid0(VALU_DEP_2) | instskip(NEXT) | instid1(VALU_DEP_2)
	v_add_f64_e64 v[97:98], v[99:100], -v[103:104]
	v_add_f64_e32 v[73:74], v[109:110], v[73:74]
	s_delay_alu instid0(VALU_DEP_2) | instskip(NEXT) | instid1(VALU_DEP_2)
	v_add_f64_e64 v[97:98], v[105:106], -v[97:98]
	v_mul_f64_e32 v[73:74], v[75:76], v[73:74]
	s_delay_alu instid0(VALU_DEP_1) | instskip(NEXT) | instid1(VALU_DEP_1)
	v_add_f64_e32 v[73:74], v[97:98], v[73:74]
	v_add_f64_e32 v[75:76], v[99:100], v[73:74]
	s_delay_alu instid0(VALU_DEP_1) | instskip(NEXT) | instid1(VALU_DEP_1)
	v_mul_f64_e32 v[97:98], v[75:76], v[75:76]
	v_fma_f64 v[101:102], v[97:98], s[44:45], s[42:43]
	s_mov_b32 s42, 0xd7f4df2e
	s_mov_b32 s43, 0x3fc7474d
	v_mul_f64_e32 v[103:104], v[75:76], v[97:98]
	s_wait_alu 0xfffe
	s_delay_alu instid0(VALU_DEP_2) | instskip(SKIP_3) | instid1(VALU_DEP_1)
	v_fma_f64 v[101:102], v[97:98], v[101:102], s[42:43]
	s_mov_b32 s42, 0x16291751
	s_mov_b32 s43, 0x3fcc71c0
	s_wait_alu 0xfffe
	v_fma_f64 v[101:102], v[97:98], v[101:102], s[42:43]
	s_mov_b32 s42, 0x9b27acf1
	s_mov_b32 s43, 0x3fd24924
	s_wait_alu 0xfffe
	s_delay_alu instid0(VALU_DEP_1) | instskip(SKIP_3) | instid1(VALU_DEP_1)
	v_fma_f64 v[101:102], v[97:98], v[101:102], s[42:43]
	s_mov_b32 s42, 0x998ef7b6
	s_mov_b32 s43, 0x3fd99999
	s_wait_alu 0xfffe
	v_fma_f64 v[101:102], v[97:98], v[101:102], s[42:43]
	s_delay_alu instid0(VALU_DEP_1)
	v_fma_f64 v[97:98], v[97:98], v[101:102], s[0:1]
	v_ldexp_f64 v[101:102], v[75:76], 1
	v_add_f64_e64 v[75:76], v[75:76], -v[99:100]
	v_cmp_nge_f64_e64 s0, -1.0, v[71:72]
	v_cmp_neq_f64_e64 s1, 0x7ff00000, v[71:72]
	v_mul_f64_e32 v[97:98], v[103:104], v[97:98]
	v_cvt_f64_i32_e32 v[103:104], v115
	v_add_f64_e64 v[73:74], v[73:74], -v[75:76]
	s_and_b32 s0, s0, s1
	s_delay_alu instid0(VALU_DEP_3) | instskip(NEXT) | instid1(VALU_DEP_3)
	v_add_f64_e32 v[99:100], v[101:102], v[97:98]
	v_mul_f64_e32 v[105:106], s[34:35], v[103:104]
	s_delay_alu instid0(VALU_DEP_3) | instskip(NEXT) | instid1(VALU_DEP_3)
	v_ldexp_f64 v[73:74], v[73:74], 1
	v_add_f64_e64 v[75:76], v[99:100], -v[101:102]
	s_delay_alu instid0(VALU_DEP_3) | instskip(SKIP_1) | instid1(VALU_DEP_3)
	v_fma_f64 v[101:102], v[103:104], s[34:35], -v[105:106]
	v_cmp_ngt_f64_e64 s34, -1.0, v[71:72]
	v_add_f64_e64 v[75:76], v[97:98], -v[75:76]
	s_delay_alu instid0(VALU_DEP_3) | instskip(NEXT) | instid1(VALU_DEP_2)
	v_fma_f64 v[97:98], v[103:104], s[38:39], v[101:102]
	v_add_f64_e32 v[73:74], v[73:74], v[75:76]
	s_delay_alu instid0(VALU_DEP_2) | instskip(NEXT) | instid1(VALU_DEP_2)
	v_add_f64_e32 v[75:76], v[105:106], v[97:98]
	v_add_f64_e32 v[101:102], v[99:100], v[73:74]
	s_delay_alu instid0(VALU_DEP_2) | instskip(NEXT) | instid1(VALU_DEP_2)
	v_add_f64_e64 v[105:106], v[75:76], -v[105:106]
	v_add_f64_e32 v[103:104], v[75:76], v[101:102]
	v_add_f64_e64 v[99:100], v[101:102], -v[99:100]
	s_delay_alu instid0(VALU_DEP_3) | instskip(NEXT) | instid1(VALU_DEP_3)
	v_add_f64_e64 v[97:98], v[97:98], -v[105:106]
	v_add_f64_e64 v[107:108], v[103:104], -v[75:76]
	s_delay_alu instid0(VALU_DEP_3) | instskip(NEXT) | instid1(VALU_DEP_2)
	v_add_f64_e64 v[73:74], v[73:74], -v[99:100]
	v_add_f64_e64 v[109:110], v[103:104], -v[107:108]
	;; [unrolled: 1-line block ×3, first 2 shown]
	s_delay_alu instid0(VALU_DEP_3) | instskip(NEXT) | instid1(VALU_DEP_3)
	v_add_f64_e32 v[101:102], v[97:98], v[73:74]
	v_add_f64_e64 v[75:76], v[75:76], -v[109:110]
	s_delay_alu instid0(VALU_DEP_1) | instskip(NEXT) | instid1(VALU_DEP_3)
	v_add_f64_e32 v[75:76], v[99:100], v[75:76]
	v_add_f64_e64 v[99:100], v[101:102], -v[97:98]
	s_delay_alu instid0(VALU_DEP_2) | instskip(NEXT) | instid1(VALU_DEP_2)
	v_add_f64_e32 v[75:76], v[101:102], v[75:76]
	v_add_f64_e64 v[101:102], v[101:102], -v[99:100]
	v_add_f64_e64 v[73:74], v[73:74], -v[99:100]
	s_delay_alu instid0(VALU_DEP_3) | instskip(NEXT) | instid1(VALU_DEP_3)
	v_add_f64_e32 v[105:106], v[103:104], v[75:76]
	v_add_f64_e64 v[97:98], v[97:98], -v[101:102]
	s_delay_alu instid0(VALU_DEP_2) | instskip(NEXT) | instid1(VALU_DEP_2)
	v_add_f64_e64 v[99:100], v[105:106], -v[103:104]
	v_add_f64_e32 v[73:74], v[73:74], v[97:98]
	s_delay_alu instid0(VALU_DEP_2) | instskip(NEXT) | instid1(VALU_DEP_1)
	v_add_f64_e64 v[75:76], v[75:76], -v[99:100]
	v_add_f64_e32 v[73:74], v[73:74], v[75:76]
	s_delay_alu instid0(VALU_DEP_1) | instskip(SKIP_1) | instid1(VALU_DEP_1)
	v_add_f64_e32 v[73:74], v[105:106], v[73:74]
	s_wait_alu 0xfffe
	v_cndmask_b32_e64 v73, 0, v73, s0
	v_cmp_neq_f64_e64 s0, -1.0, v[71:72]
	s_delay_alu instid0(VALU_DEP_3) | instskip(SKIP_1) | instid1(VALU_DEP_1)
	v_cndmask_b32_e64 v74, 0x7ff00000, v74, s1
	s_wait_alu 0xf1ff
	v_cndmask_b32_e64 v74, 0x7ff80000, v74, s34
	s_delay_alu instid0(VALU_DEP_1) | instskip(NEXT) | instid1(VALU_DEP_1)
	v_cndmask_b32_e64 v74, 0xfff00000, v74, s0
	v_add_f64_e32 v[71:72], v[69:70], v[73:74]
.LBB23_77:
	s_wait_alu 0xfffe
	s_or_b32 exec_lo, exec_lo, s41
	s_delay_alu instid0(VALU_DEP_1)
	v_dual_mov_b32 v73, v71 :: v_dual_mov_b32 v74, v72
	v_dual_mov_b32 v69, v71 :: v_dual_mov_b32 v70, v72
.LBB23_78:
	s_wait_alu 0xfffe
	s_or_b32 exec_lo, exec_lo, s40
	ds_swizzle_b32 v71, v73 offset:swizzle(BROADCAST,32,15)
	ds_swizzle_b32 v72, v74 offset:swizzle(BROADCAST,32,15)
	v_and_b32_e32 v73, 16, v96
	s_mov_b32 s40, exec_lo
	s_delay_alu instid0(VALU_DEP_1)
	v_cmpx_ne_u32_e32 0, v73
	s_cbranch_execz .LBB23_82
; %bb.79:
	s_wait_dscnt 0x0
	v_max_num_f64_e32 v[73:74], v[71:72], v[71:72]
	v_max_num_f64_e32 v[75:76], v[69:70], v[69:70]
	v_cmp_u_f64_e64 s0, v[71:72], v[71:72]
	v_cmp_u_f64_e64 s1, v[69:70], v[69:70]
	s_delay_alu instid0(VALU_DEP_3) | instskip(SKIP_2) | instid1(VALU_DEP_2)
	v_min_num_f64_e32 v[97:98], v[73:74], v[75:76]
	v_max_num_f64_e32 v[73:74], v[73:74], v[75:76]
	s_wait_alu 0xf1ff
	v_cndmask_b32_e64 v75, v98, v72, s0
	s_delay_alu instid0(VALU_DEP_3) | instskip(NEXT) | instid1(VALU_DEP_3)
	v_cndmask_b32_e64 v76, v97, v71, s0
	v_cndmask_b32_e64 v97, v74, v72, s0
	s_delay_alu instid0(VALU_DEP_4) | instskip(NEXT) | instid1(VALU_DEP_4)
	v_cndmask_b32_e64 v98, v73, v71, s0
	v_cndmask_b32_e64 v74, v75, v70, s1
	s_delay_alu instid0(VALU_DEP_4) | instskip(NEXT) | instid1(VALU_DEP_4)
	v_cndmask_b32_e64 v73, v76, v69, s1
	v_cndmask_b32_e64 v70, v97, v70, s1
	s_delay_alu instid0(VALU_DEP_4) | instskip(NEXT) | instid1(VALU_DEP_3)
	v_cndmask_b32_e64 v69, v98, v69, s1
	v_cmp_class_f64_e64 s1, v[73:74], 0x1f8
	s_delay_alu instid0(VALU_DEP_2)
	v_cmp_neq_f64_e64 s0, v[73:74], v[69:70]
	s_or_b32 s0, s0, s1
	s_wait_alu 0xfffe
	s_and_saveexec_b32 s41, s0
	s_cbranch_execz .LBB23_81
; %bb.80:
	v_add_f64_e64 v[71:72], v[73:74], -v[69:70]
	s_mov_b32 s0, 0x652b82fe
	s_mov_b32 s1, 0x3ff71547
	;; [unrolled: 1-line block ×10, first 2 shown]
	s_wait_alu 0xfffe
	s_delay_alu instid0(VALU_DEP_1) | instskip(SKIP_2) | instid1(VALU_DEP_1)
	v_mul_f64_e32 v[73:74], s[0:1], v[71:72]
	s_mov_b32 s0, 0xfca7ab0c
	s_mov_b32 s1, 0x3e928af3
	v_rndne_f64_e32 v[73:74], v[73:74]
	s_delay_alu instid0(VALU_DEP_1) | instskip(SKIP_2) | instid1(VALU_DEP_2)
	v_fma_f64 v[75:76], v[73:74], s[34:35], v[71:72]
	v_cvt_i32_f64_e32 v99, v[73:74]
	s_mov_b32 s35, 0x3fe62e42
	v_fma_f64 v[75:76], v[73:74], s[38:39], v[75:76]
	s_mov_b32 s39, 0x3c7abc9e
	s_wait_alu 0xfffe
	s_delay_alu instid0(VALU_DEP_1)
	v_fma_f64 v[97:98], v[75:76], s[42:43], s[0:1]
	s_mov_b32 s0, 0x623fde64
	s_mov_b32 s1, 0x3ec71dee
	;; [unrolled: 1-line block ×4, first 2 shown]
	s_wait_alu 0xfffe
	s_delay_alu instid0(VALU_DEP_1) | instskip(SKIP_3) | instid1(VALU_DEP_1)
	v_fma_f64 v[97:98], v[75:76], v[97:98], s[0:1]
	s_mov_b32 s0, 0x7c89e6b0
	s_mov_b32 s1, 0x3efa0199
	s_wait_alu 0xfffe
	v_fma_f64 v[97:98], v[75:76], v[97:98], s[0:1]
	s_mov_b32 s0, 0x14761f6e
	s_mov_b32 s1, 0x3f2a01a0
	s_wait_alu 0xfffe
	s_delay_alu instid0(VALU_DEP_1) | instskip(SKIP_3) | instid1(VALU_DEP_1)
	v_fma_f64 v[97:98], v[75:76], v[97:98], s[0:1]
	s_mov_b32 s0, 0x1852b7b0
	s_mov_b32 s1, 0x3f56c16c
	s_wait_alu 0xfffe
	v_fma_f64 v[97:98], v[75:76], v[97:98], s[0:1]
	s_mov_b32 s0, 0x11122322
	s_mov_b32 s1, 0x3f811111
	;; [unrolled: 9-line block ×3, first 2 shown]
	s_wait_alu 0xfffe
	s_delay_alu instid0(VALU_DEP_1) | instskip(SKIP_3) | instid1(VALU_DEP_1)
	v_fma_f64 v[97:98], v[75:76], v[97:98], s[0:1]
	s_mov_b32 s0, 11
	s_mov_b32 s1, 0x3fe00000
	s_wait_alu 0xfffe
	v_fma_f64 v[97:98], v[75:76], v[97:98], s[0:1]
	v_cmp_nlt_f64_e64 s0, 0x40900000, v[71:72]
	v_cmp_ngt_f64_e64 s1, 0xc090cc00, v[71:72]
	s_delay_alu instid0(VALU_DEP_3) | instskip(NEXT) | instid1(VALU_DEP_1)
	v_fma_f64 v[97:98], v[75:76], v[97:98], 1.0
	v_fma_f64 v[73:74], v[75:76], v[97:98], 1.0
	s_delay_alu instid0(VALU_DEP_1) | instskip(SKIP_1) | instid1(VALU_DEP_1)
	v_ldexp_f64 v[73:74], v[73:74], v99
	s_wait_alu 0xf1ff
	v_cndmask_b32_e64 v74, 0x7ff00000, v74, s0
	s_and_b32 s0, s1, s0
	s_wait_alu 0xfffe
	s_delay_alu instid0(VALU_DEP_2) | instskip(SKIP_3) | instid1(VALU_DEP_1)
	v_cndmask_b32_e64 v71, 0, v73, s0
	s_mov_b32 s0, 0x55555555
	v_cndmask_b32_e64 v72, 0, v74, s1
	s_mov_b32 s1, 0x3fe55555
	v_add_f64_e32 v[73:74], 1.0, v[71:72]
	s_delay_alu instid0(VALU_DEP_1) | instskip(SKIP_3) | instid1(VALU_DEP_3)
	v_frexp_mant_f64_e32 v[75:76], v[73:74]
	v_frexp_exp_i32_f64_e32 v99, v[73:74]
	v_add_f64_e32 v[97:98], -1.0, v[73:74]
	s_wait_alu 0xfffe
	v_cmp_gt_f64_e64 s0, s[0:1], v[75:76]
	s_delay_alu instid0(VALU_DEP_2) | instskip(SKIP_2) | instid1(VALU_DEP_3)
	v_add_f64_e64 v[75:76], v[97:98], -v[73:74]
	v_add_f64_e64 v[97:98], v[71:72], -v[97:98]
	s_wait_alu 0xf1ff
	v_subrev_co_ci_u32_e64 v115, null, 0, v99, s0
	s_delay_alu instid0(VALU_DEP_3) | instskip(SKIP_1) | instid1(VALU_DEP_2)
	v_add_f64_e32 v[75:76], 1.0, v[75:76]
	s_mov_b32 s0, 0x55555780
	v_sub_nc_u32_e32 v101, 0, v115
	s_delay_alu instid0(VALU_DEP_1) | instskip(NEXT) | instid1(VALU_DEP_3)
	v_ldexp_f64 v[73:74], v[73:74], v101
	v_add_f64_e32 v[75:76], v[97:98], v[75:76]
	s_delay_alu instid0(VALU_DEP_2) | instskip(SKIP_1) | instid1(VALU_DEP_3)
	v_add_f64_e32 v[99:100], 1.0, v[73:74]
	v_add_f64_e32 v[105:106], -1.0, v[73:74]
	v_ldexp_f64 v[75:76], v[75:76], v101
	s_delay_alu instid0(VALU_DEP_3) | instskip(NEXT) | instid1(VALU_DEP_3)
	v_add_f64_e32 v[97:98], -1.0, v[99:100]
	v_add_f64_e32 v[107:108], 1.0, v[105:106]
	s_delay_alu instid0(VALU_DEP_2) | instskip(NEXT) | instid1(VALU_DEP_2)
	v_add_f64_e64 v[97:98], v[73:74], -v[97:98]
	v_add_f64_e64 v[73:74], v[73:74], -v[107:108]
	s_delay_alu instid0(VALU_DEP_2) | instskip(NEXT) | instid1(VALU_DEP_2)
	v_add_f64_e32 v[97:98], v[75:76], v[97:98]
	v_add_f64_e32 v[73:74], v[75:76], v[73:74]
	s_delay_alu instid0(VALU_DEP_2) | instskip(NEXT) | instid1(VALU_DEP_2)
	v_add_f64_e32 v[101:102], v[99:100], v[97:98]
	v_add_f64_e32 v[107:108], v[105:106], v[73:74]
	s_delay_alu instid0(VALU_DEP_2) | instskip(SKIP_1) | instid1(VALU_DEP_2)
	v_rcp_f64_e32 v[103:104], v[101:102]
	v_add_f64_e64 v[99:100], v[101:102], -v[99:100]
	v_add_f64_e64 v[105:106], v[107:108], -v[105:106]
	s_delay_alu instid0(VALU_DEP_2) | instskip(NEXT) | instid1(TRANS32_DEP_1)
	v_add_f64_e64 v[97:98], v[97:98], -v[99:100]
	v_fma_f64 v[109:110], -v[101:102], v[103:104], 1.0
	s_delay_alu instid0(VALU_DEP_3) | instskip(NEXT) | instid1(VALU_DEP_2)
	v_add_f64_e64 v[73:74], v[73:74], -v[105:106]
	v_fma_f64 v[103:104], v[109:110], v[103:104], v[103:104]
	s_delay_alu instid0(VALU_DEP_1) | instskip(NEXT) | instid1(VALU_DEP_1)
	v_fma_f64 v[75:76], -v[101:102], v[103:104], 1.0
	v_fma_f64 v[75:76], v[75:76], v[103:104], v[103:104]
	s_delay_alu instid0(VALU_DEP_1) | instskip(NEXT) | instid1(VALU_DEP_1)
	v_mul_f64_e32 v[103:104], v[107:108], v[75:76]
	v_mul_f64_e32 v[109:110], v[101:102], v[103:104]
	s_delay_alu instid0(VALU_DEP_1) | instskip(NEXT) | instid1(VALU_DEP_1)
	v_fma_f64 v[99:100], v[103:104], v[101:102], -v[109:110]
	v_fma_f64 v[99:100], v[103:104], v[97:98], v[99:100]
	s_delay_alu instid0(VALU_DEP_1) | instskip(NEXT) | instid1(VALU_DEP_1)
	v_add_f64_e32 v[111:112], v[109:110], v[99:100]
	v_add_f64_e64 v[113:114], v[107:108], -v[111:112]
	v_add_f64_e64 v[105:106], v[111:112], -v[109:110]
	s_delay_alu instid0(VALU_DEP_2) | instskip(NEXT) | instid1(VALU_DEP_2)
	v_add_f64_e64 v[107:108], v[107:108], -v[113:114]
	v_add_f64_e64 v[99:100], v[105:106], -v[99:100]
	s_delay_alu instid0(VALU_DEP_2) | instskip(NEXT) | instid1(VALU_DEP_1)
	v_add_f64_e64 v[107:108], v[107:108], -v[111:112]
	v_add_f64_e32 v[73:74], v[73:74], v[107:108]
	s_delay_alu instid0(VALU_DEP_1) | instskip(NEXT) | instid1(VALU_DEP_1)
	v_add_f64_e32 v[73:74], v[99:100], v[73:74]
	v_add_f64_e32 v[99:100], v[113:114], v[73:74]
	s_delay_alu instid0(VALU_DEP_1) | instskip(SKIP_1) | instid1(VALU_DEP_2)
	v_mul_f64_e32 v[105:106], v[75:76], v[99:100]
	v_add_f64_e64 v[111:112], v[113:114], -v[99:100]
	v_mul_f64_e32 v[107:108], v[101:102], v[105:106]
	s_delay_alu instid0(VALU_DEP_2) | instskip(NEXT) | instid1(VALU_DEP_2)
	v_add_f64_e32 v[73:74], v[73:74], v[111:112]
	v_fma_f64 v[101:102], v[105:106], v[101:102], -v[107:108]
	s_delay_alu instid0(VALU_DEP_1) | instskip(NEXT) | instid1(VALU_DEP_1)
	v_fma_f64 v[97:98], v[105:106], v[97:98], v[101:102]
	v_add_f64_e32 v[101:102], v[107:108], v[97:98]
	s_delay_alu instid0(VALU_DEP_1) | instskip(SKIP_1) | instid1(VALU_DEP_2)
	v_add_f64_e64 v[109:110], v[99:100], -v[101:102]
	v_add_f64_e64 v[107:108], v[101:102], -v[107:108]
	;; [unrolled: 1-line block ×3, first 2 shown]
	s_delay_alu instid0(VALU_DEP_2) | instskip(NEXT) | instid1(VALU_DEP_2)
	v_add_f64_e64 v[97:98], v[107:108], -v[97:98]
	v_add_f64_e64 v[99:100], v[99:100], -v[101:102]
	s_delay_alu instid0(VALU_DEP_1) | instskip(SKIP_1) | instid1(VALU_DEP_2)
	v_add_f64_e32 v[73:74], v[73:74], v[99:100]
	v_add_f64_e32 v[99:100], v[103:104], v[105:106]
	;; [unrolled: 1-line block ×3, first 2 shown]
	s_delay_alu instid0(VALU_DEP_2) | instskip(NEXT) | instid1(VALU_DEP_2)
	v_add_f64_e64 v[97:98], v[99:100], -v[103:104]
	v_add_f64_e32 v[73:74], v[109:110], v[73:74]
	s_delay_alu instid0(VALU_DEP_2) | instskip(NEXT) | instid1(VALU_DEP_2)
	v_add_f64_e64 v[97:98], v[105:106], -v[97:98]
	v_mul_f64_e32 v[73:74], v[75:76], v[73:74]
	s_delay_alu instid0(VALU_DEP_1) | instskip(NEXT) | instid1(VALU_DEP_1)
	v_add_f64_e32 v[73:74], v[97:98], v[73:74]
	v_add_f64_e32 v[75:76], v[99:100], v[73:74]
	s_delay_alu instid0(VALU_DEP_1) | instskip(NEXT) | instid1(VALU_DEP_1)
	v_mul_f64_e32 v[97:98], v[75:76], v[75:76]
	v_fma_f64 v[101:102], v[97:98], s[44:45], s[42:43]
	s_mov_b32 s42, 0xd7f4df2e
	s_mov_b32 s43, 0x3fc7474d
	v_mul_f64_e32 v[103:104], v[75:76], v[97:98]
	s_wait_alu 0xfffe
	s_delay_alu instid0(VALU_DEP_2) | instskip(SKIP_3) | instid1(VALU_DEP_1)
	v_fma_f64 v[101:102], v[97:98], v[101:102], s[42:43]
	s_mov_b32 s42, 0x16291751
	s_mov_b32 s43, 0x3fcc71c0
	s_wait_alu 0xfffe
	v_fma_f64 v[101:102], v[97:98], v[101:102], s[42:43]
	s_mov_b32 s42, 0x9b27acf1
	s_mov_b32 s43, 0x3fd24924
	s_wait_alu 0xfffe
	s_delay_alu instid0(VALU_DEP_1) | instskip(SKIP_3) | instid1(VALU_DEP_1)
	v_fma_f64 v[101:102], v[97:98], v[101:102], s[42:43]
	s_mov_b32 s42, 0x998ef7b6
	s_mov_b32 s43, 0x3fd99999
	s_wait_alu 0xfffe
	v_fma_f64 v[101:102], v[97:98], v[101:102], s[42:43]
	s_delay_alu instid0(VALU_DEP_1)
	v_fma_f64 v[97:98], v[97:98], v[101:102], s[0:1]
	v_ldexp_f64 v[101:102], v[75:76], 1
	v_add_f64_e64 v[75:76], v[75:76], -v[99:100]
	v_cmp_nge_f64_e64 s0, -1.0, v[71:72]
	v_cmp_neq_f64_e64 s1, 0x7ff00000, v[71:72]
	v_mul_f64_e32 v[97:98], v[103:104], v[97:98]
	v_cvt_f64_i32_e32 v[103:104], v115
	v_add_f64_e64 v[73:74], v[73:74], -v[75:76]
	s_and_b32 s0, s0, s1
	s_delay_alu instid0(VALU_DEP_3) | instskip(NEXT) | instid1(VALU_DEP_3)
	v_add_f64_e32 v[99:100], v[101:102], v[97:98]
	v_mul_f64_e32 v[105:106], s[34:35], v[103:104]
	s_delay_alu instid0(VALU_DEP_3) | instskip(NEXT) | instid1(VALU_DEP_3)
	v_ldexp_f64 v[73:74], v[73:74], 1
	v_add_f64_e64 v[75:76], v[99:100], -v[101:102]
	s_delay_alu instid0(VALU_DEP_3) | instskip(SKIP_1) | instid1(VALU_DEP_3)
	v_fma_f64 v[101:102], v[103:104], s[34:35], -v[105:106]
	v_cmp_ngt_f64_e64 s34, -1.0, v[71:72]
	v_add_f64_e64 v[75:76], v[97:98], -v[75:76]
	s_delay_alu instid0(VALU_DEP_3) | instskip(NEXT) | instid1(VALU_DEP_2)
	v_fma_f64 v[97:98], v[103:104], s[38:39], v[101:102]
	v_add_f64_e32 v[73:74], v[73:74], v[75:76]
	s_delay_alu instid0(VALU_DEP_2) | instskip(NEXT) | instid1(VALU_DEP_2)
	v_add_f64_e32 v[75:76], v[105:106], v[97:98]
	v_add_f64_e32 v[101:102], v[99:100], v[73:74]
	s_delay_alu instid0(VALU_DEP_2) | instskip(NEXT) | instid1(VALU_DEP_2)
	v_add_f64_e64 v[105:106], v[75:76], -v[105:106]
	v_add_f64_e32 v[103:104], v[75:76], v[101:102]
	v_add_f64_e64 v[99:100], v[101:102], -v[99:100]
	s_delay_alu instid0(VALU_DEP_3) | instskip(NEXT) | instid1(VALU_DEP_3)
	v_add_f64_e64 v[97:98], v[97:98], -v[105:106]
	v_add_f64_e64 v[107:108], v[103:104], -v[75:76]
	s_delay_alu instid0(VALU_DEP_3) | instskip(NEXT) | instid1(VALU_DEP_2)
	v_add_f64_e64 v[73:74], v[73:74], -v[99:100]
	v_add_f64_e64 v[109:110], v[103:104], -v[107:108]
	;; [unrolled: 1-line block ×3, first 2 shown]
	s_delay_alu instid0(VALU_DEP_3) | instskip(NEXT) | instid1(VALU_DEP_3)
	v_add_f64_e32 v[101:102], v[97:98], v[73:74]
	v_add_f64_e64 v[75:76], v[75:76], -v[109:110]
	s_delay_alu instid0(VALU_DEP_1) | instskip(NEXT) | instid1(VALU_DEP_3)
	v_add_f64_e32 v[75:76], v[99:100], v[75:76]
	v_add_f64_e64 v[99:100], v[101:102], -v[97:98]
	s_delay_alu instid0(VALU_DEP_2) | instskip(NEXT) | instid1(VALU_DEP_2)
	v_add_f64_e32 v[75:76], v[101:102], v[75:76]
	v_add_f64_e64 v[101:102], v[101:102], -v[99:100]
	v_add_f64_e64 v[73:74], v[73:74], -v[99:100]
	s_delay_alu instid0(VALU_DEP_3) | instskip(NEXT) | instid1(VALU_DEP_3)
	v_add_f64_e32 v[105:106], v[103:104], v[75:76]
	v_add_f64_e64 v[97:98], v[97:98], -v[101:102]
	s_delay_alu instid0(VALU_DEP_2) | instskip(NEXT) | instid1(VALU_DEP_2)
	v_add_f64_e64 v[99:100], v[105:106], -v[103:104]
	v_add_f64_e32 v[73:74], v[73:74], v[97:98]
	s_delay_alu instid0(VALU_DEP_2) | instskip(NEXT) | instid1(VALU_DEP_1)
	v_add_f64_e64 v[75:76], v[75:76], -v[99:100]
	v_add_f64_e32 v[73:74], v[73:74], v[75:76]
	s_delay_alu instid0(VALU_DEP_1) | instskip(SKIP_1) | instid1(VALU_DEP_1)
	v_add_f64_e32 v[73:74], v[105:106], v[73:74]
	s_wait_alu 0xfffe
	v_cndmask_b32_e64 v73, 0, v73, s0
	v_cmp_neq_f64_e64 s0, -1.0, v[71:72]
	s_delay_alu instid0(VALU_DEP_3) | instskip(SKIP_1) | instid1(VALU_DEP_1)
	v_cndmask_b32_e64 v74, 0x7ff00000, v74, s1
	s_wait_alu 0xf1ff
	v_cndmask_b32_e64 v74, 0x7ff80000, v74, s34
	s_delay_alu instid0(VALU_DEP_1) | instskip(NEXT) | instid1(VALU_DEP_1)
	v_cndmask_b32_e64 v74, 0xfff00000, v74, s0
	v_add_f64_e32 v[71:72], v[69:70], v[73:74]
.LBB23_81:
	s_wait_alu 0xfffe
	s_or_b32 exec_lo, exec_lo, s41
	s_delay_alu instid0(VALU_DEP_1)
	v_dual_mov_b32 v69, v71 :: v_dual_mov_b32 v70, v72
.LBB23_82:
	s_wait_alu 0xfffe
	s_or_b32 exec_lo, exec_lo, s40
	s_wait_dscnt 0x1
	v_or_b32_e32 v71, 31, v0
	s_mov_b32 s1, exec_lo
	s_delay_alu instid0(VALU_DEP_1)
	v_cmpx_eq_u32_e64 v0, v71
; %bb.83:
	ds_store_b64 v95, v[69:70]
; %bb.84:
	s_wait_alu 0xfffe
	s_or_b32 exec_lo, exec_lo, s1
	s_delay_alu instid0(SALU_CYCLE_1)
	s_mov_b32 s40, exec_lo
	s_wait_loadcnt_dscnt 0x0
	s_barrier_signal -1
	s_barrier_wait -1
	global_inv scope:SCOPE_SE
	v_cmpx_gt_u32_e32 8, v0
	s_cbranch_execz .LBB23_98
; %bb.85:
	ds_load_b64 v[71:72], v77
	v_and_b32_e32 v97, 7, v96
	s_mov_b32 s41, exec_lo
	s_wait_dscnt 0x0
	v_mov_b32_dpp v73, v71 row_shr:1 row_mask:0xf bank_mask:0xf
	v_mov_b32_dpp v74, v72 row_shr:1 row_mask:0xf bank_mask:0xf
	v_dual_mov_b32 v75, v71 :: v_dual_mov_b32 v76, v72
	v_cmpx_ne_u32_e32 0, v97
	s_cbranch_execz .LBB23_89
; %bb.86:
	s_delay_alu instid0(VALU_DEP_3) | instskip(SKIP_3) | instid1(VALU_DEP_3)
	v_max_num_f64_e32 v[75:76], v[73:74], v[73:74]
	v_max_num_f64_e32 v[98:99], v[71:72], v[71:72]
	v_cmp_u_f64_e64 s0, v[73:74], v[73:74]
	v_cmp_u_f64_e64 s1, v[71:72], v[71:72]
	v_min_num_f64_e32 v[100:101], v[75:76], v[98:99]
	v_max_num_f64_e32 v[75:76], v[75:76], v[98:99]
	s_wait_alu 0xf1ff
	s_delay_alu instid0(VALU_DEP_2) | instskip(NEXT) | instid1(VALU_DEP_3)
	v_cndmask_b32_e64 v98, v101, v74, s0
	v_cndmask_b32_e64 v99, v100, v73, s0
	s_delay_alu instid0(VALU_DEP_3) | instskip(NEXT) | instid1(VALU_DEP_4)
	v_cndmask_b32_e64 v100, v76, v74, s0
	v_cndmask_b32_e64 v101, v75, v73, s0
	s_delay_alu instid0(VALU_DEP_4) | instskip(NEXT) | instid1(VALU_DEP_4)
	v_cndmask_b32_e64 v76, v98, v72, s1
	v_cndmask_b32_e64 v75, v99, v71, s1
	s_delay_alu instid0(VALU_DEP_4) | instskip(NEXT) | instid1(VALU_DEP_4)
	v_cndmask_b32_e64 v72, v100, v72, s1
	v_cndmask_b32_e64 v71, v101, v71, s1
	s_delay_alu instid0(VALU_DEP_3) | instskip(NEXT) | instid1(VALU_DEP_2)
	v_cmp_class_f64_e64 s1, v[75:76], 0x1f8
	v_cmp_neq_f64_e64 s0, v[75:76], v[71:72]
	s_or_b32 s0, s0, s1
	s_wait_alu 0xfffe
	s_and_saveexec_b32 s42, s0
	s_cbranch_execz .LBB23_88
; %bb.87:
	v_add_f64_e64 v[73:74], v[75:76], -v[71:72]
	s_mov_b32 s0, 0x652b82fe
	s_mov_b32 s1, 0x3ff71547
	s_mov_b32 s35, 0xbfe62e42
	s_mov_b32 s34, 0xfefa39ef
	s_mov_b32 s39, 0xbc7abc9e
	s_mov_b32 s38, 0x3b39803f
	s_mov_b32 s44, 0x6a5dcb37
	s_mov_b32 s45, 0x3e5ade15
	s_mov_b32 s46, 0xbf559e2b
	s_mov_b32 s47, 0x3fc3ab76
	s_wait_alu 0xfffe
	s_delay_alu instid0(VALU_DEP_1) | instskip(SKIP_2) | instid1(VALU_DEP_1)
	v_mul_f64_e32 v[75:76], s[0:1], v[73:74]
	s_mov_b32 s0, 0xfca7ab0c
	s_mov_b32 s1, 0x3e928af3
	v_rndne_f64_e32 v[75:76], v[75:76]
	s_delay_alu instid0(VALU_DEP_1) | instskip(SKIP_2) | instid1(VALU_DEP_2)
	v_fma_f64 v[98:99], v[75:76], s[34:35], v[73:74]
	v_cvt_i32_f64_e32 v102, v[75:76]
	s_mov_b32 s35, 0x3fe62e42
	v_fma_f64 v[98:99], v[75:76], s[38:39], v[98:99]
	s_mov_b32 s39, 0x3c7abc9e
	s_wait_alu 0xfffe
	s_delay_alu instid0(VALU_DEP_1)
	v_fma_f64 v[100:101], v[98:99], s[44:45], s[0:1]
	s_mov_b32 s0, 0x623fde64
	s_mov_b32 s1, 0x3ec71dee
	;; [unrolled: 1-line block ×4, first 2 shown]
	s_wait_alu 0xfffe
	s_delay_alu instid0(VALU_DEP_1) | instskip(SKIP_3) | instid1(VALU_DEP_1)
	v_fma_f64 v[100:101], v[98:99], v[100:101], s[0:1]
	s_mov_b32 s0, 0x7c89e6b0
	s_mov_b32 s1, 0x3efa0199
	s_wait_alu 0xfffe
	v_fma_f64 v[100:101], v[98:99], v[100:101], s[0:1]
	s_mov_b32 s0, 0x14761f6e
	s_mov_b32 s1, 0x3f2a01a0
	s_wait_alu 0xfffe
	s_delay_alu instid0(VALU_DEP_1) | instskip(SKIP_3) | instid1(VALU_DEP_1)
	v_fma_f64 v[100:101], v[98:99], v[100:101], s[0:1]
	s_mov_b32 s0, 0x1852b7b0
	s_mov_b32 s1, 0x3f56c16c
	s_wait_alu 0xfffe
	v_fma_f64 v[100:101], v[98:99], v[100:101], s[0:1]
	s_mov_b32 s0, 0x11122322
	s_mov_b32 s1, 0x3f811111
	;; [unrolled: 9-line block ×3, first 2 shown]
	s_wait_alu 0xfffe
	s_delay_alu instid0(VALU_DEP_1) | instskip(SKIP_3) | instid1(VALU_DEP_1)
	v_fma_f64 v[100:101], v[98:99], v[100:101], s[0:1]
	s_mov_b32 s0, 11
	s_mov_b32 s1, 0x3fe00000
	s_wait_alu 0xfffe
	v_fma_f64 v[100:101], v[98:99], v[100:101], s[0:1]
	v_cmp_nlt_f64_e64 s0, 0x40900000, v[73:74]
	v_cmp_ngt_f64_e64 s1, 0xc090cc00, v[73:74]
	s_delay_alu instid0(VALU_DEP_3) | instskip(NEXT) | instid1(VALU_DEP_1)
	v_fma_f64 v[100:101], v[98:99], v[100:101], 1.0
	v_fma_f64 v[75:76], v[98:99], v[100:101], 1.0
	s_delay_alu instid0(VALU_DEP_1) | instskip(SKIP_1) | instid1(VALU_DEP_1)
	v_ldexp_f64 v[75:76], v[75:76], v102
	s_wait_alu 0xf1ff
	v_cndmask_b32_e64 v76, 0x7ff00000, v76, s0
	s_and_b32 s0, s1, s0
	s_wait_alu 0xfffe
	s_delay_alu instid0(VALU_DEP_2) | instskip(SKIP_3) | instid1(VALU_DEP_1)
	v_cndmask_b32_e64 v73, 0, v75, s0
	s_mov_b32 s0, 0x55555555
	v_cndmask_b32_e64 v74, 0, v76, s1
	s_mov_b32 s1, 0x3fe55555
	v_add_f64_e32 v[75:76], 1.0, v[73:74]
	s_delay_alu instid0(VALU_DEP_1) | instskip(SKIP_3) | instid1(VALU_DEP_3)
	v_frexp_mant_f64_e32 v[98:99], v[75:76]
	v_frexp_exp_i32_f64_e32 v102, v[75:76]
	v_add_f64_e32 v[100:101], -1.0, v[75:76]
	s_wait_alu 0xfffe
	v_cmp_gt_f64_e64 s0, s[0:1], v[98:99]
	s_delay_alu instid0(VALU_DEP_2) | instskip(SKIP_2) | instid1(VALU_DEP_3)
	v_add_f64_e64 v[98:99], v[100:101], -v[75:76]
	v_add_f64_e64 v[100:101], v[73:74], -v[100:101]
	s_wait_alu 0xf1ff
	v_subrev_co_ci_u32_e64 v118, null, 0, v102, s0
	s_delay_alu instid0(VALU_DEP_3) | instskip(SKIP_1) | instid1(VALU_DEP_2)
	v_add_f64_e32 v[98:99], 1.0, v[98:99]
	s_mov_b32 s0, 0x55555780
	v_sub_nc_u32_e32 v104, 0, v118
	s_delay_alu instid0(VALU_DEP_1) | instskip(NEXT) | instid1(VALU_DEP_3)
	v_ldexp_f64 v[75:76], v[75:76], v104
	v_add_f64_e32 v[98:99], v[100:101], v[98:99]
	s_delay_alu instid0(VALU_DEP_2) | instskip(SKIP_1) | instid1(VALU_DEP_3)
	v_add_f64_e32 v[102:103], 1.0, v[75:76]
	v_add_f64_e32 v[108:109], -1.0, v[75:76]
	v_ldexp_f64 v[98:99], v[98:99], v104
	s_delay_alu instid0(VALU_DEP_3) | instskip(NEXT) | instid1(VALU_DEP_3)
	v_add_f64_e32 v[100:101], -1.0, v[102:103]
	v_add_f64_e32 v[110:111], 1.0, v[108:109]
	s_delay_alu instid0(VALU_DEP_2) | instskip(NEXT) | instid1(VALU_DEP_2)
	v_add_f64_e64 v[100:101], v[75:76], -v[100:101]
	v_add_f64_e64 v[75:76], v[75:76], -v[110:111]
	s_delay_alu instid0(VALU_DEP_2) | instskip(NEXT) | instid1(VALU_DEP_2)
	v_add_f64_e32 v[100:101], v[98:99], v[100:101]
	v_add_f64_e32 v[75:76], v[98:99], v[75:76]
	s_delay_alu instid0(VALU_DEP_2) | instskip(NEXT) | instid1(VALU_DEP_2)
	v_add_f64_e32 v[104:105], v[102:103], v[100:101]
	v_add_f64_e32 v[110:111], v[108:109], v[75:76]
	s_delay_alu instid0(VALU_DEP_2) | instskip(SKIP_1) | instid1(VALU_DEP_2)
	v_rcp_f64_e32 v[106:107], v[104:105]
	v_add_f64_e64 v[102:103], v[104:105], -v[102:103]
	v_add_f64_e64 v[108:109], v[110:111], -v[108:109]
	s_delay_alu instid0(VALU_DEP_2) | instskip(NEXT) | instid1(TRANS32_DEP_1)
	v_add_f64_e64 v[100:101], v[100:101], -v[102:103]
	v_fma_f64 v[112:113], -v[104:105], v[106:107], 1.0
	s_delay_alu instid0(VALU_DEP_3) | instskip(NEXT) | instid1(VALU_DEP_2)
	v_add_f64_e64 v[75:76], v[75:76], -v[108:109]
	v_fma_f64 v[106:107], v[112:113], v[106:107], v[106:107]
	s_delay_alu instid0(VALU_DEP_1) | instskip(NEXT) | instid1(VALU_DEP_1)
	v_fma_f64 v[98:99], -v[104:105], v[106:107], 1.0
	v_fma_f64 v[98:99], v[98:99], v[106:107], v[106:107]
	s_delay_alu instid0(VALU_DEP_1) | instskip(NEXT) | instid1(VALU_DEP_1)
	v_mul_f64_e32 v[106:107], v[110:111], v[98:99]
	v_mul_f64_e32 v[112:113], v[104:105], v[106:107]
	s_delay_alu instid0(VALU_DEP_1) | instskip(NEXT) | instid1(VALU_DEP_1)
	v_fma_f64 v[102:103], v[106:107], v[104:105], -v[112:113]
	v_fma_f64 v[102:103], v[106:107], v[100:101], v[102:103]
	s_delay_alu instid0(VALU_DEP_1) | instskip(NEXT) | instid1(VALU_DEP_1)
	v_add_f64_e32 v[114:115], v[112:113], v[102:103]
	v_add_f64_e64 v[116:117], v[110:111], -v[114:115]
	v_add_f64_e64 v[108:109], v[114:115], -v[112:113]
	s_delay_alu instid0(VALU_DEP_2) | instskip(NEXT) | instid1(VALU_DEP_2)
	v_add_f64_e64 v[110:111], v[110:111], -v[116:117]
	v_add_f64_e64 v[102:103], v[108:109], -v[102:103]
	s_delay_alu instid0(VALU_DEP_2) | instskip(NEXT) | instid1(VALU_DEP_1)
	v_add_f64_e64 v[110:111], v[110:111], -v[114:115]
	v_add_f64_e32 v[75:76], v[75:76], v[110:111]
	s_delay_alu instid0(VALU_DEP_1) | instskip(NEXT) | instid1(VALU_DEP_1)
	v_add_f64_e32 v[75:76], v[102:103], v[75:76]
	v_add_f64_e32 v[102:103], v[116:117], v[75:76]
	s_delay_alu instid0(VALU_DEP_1) | instskip(SKIP_1) | instid1(VALU_DEP_2)
	v_mul_f64_e32 v[108:109], v[98:99], v[102:103]
	v_add_f64_e64 v[114:115], v[116:117], -v[102:103]
	v_mul_f64_e32 v[110:111], v[104:105], v[108:109]
	s_delay_alu instid0(VALU_DEP_2) | instskip(NEXT) | instid1(VALU_DEP_2)
	v_add_f64_e32 v[75:76], v[75:76], v[114:115]
	v_fma_f64 v[104:105], v[108:109], v[104:105], -v[110:111]
	s_delay_alu instid0(VALU_DEP_1) | instskip(NEXT) | instid1(VALU_DEP_1)
	v_fma_f64 v[100:101], v[108:109], v[100:101], v[104:105]
	v_add_f64_e32 v[104:105], v[110:111], v[100:101]
	s_delay_alu instid0(VALU_DEP_1) | instskip(SKIP_1) | instid1(VALU_DEP_2)
	v_add_f64_e64 v[112:113], v[102:103], -v[104:105]
	v_add_f64_e64 v[110:111], v[104:105], -v[110:111]
	;; [unrolled: 1-line block ×3, first 2 shown]
	s_delay_alu instid0(VALU_DEP_2) | instskip(NEXT) | instid1(VALU_DEP_2)
	v_add_f64_e64 v[100:101], v[110:111], -v[100:101]
	v_add_f64_e64 v[102:103], v[102:103], -v[104:105]
	s_delay_alu instid0(VALU_DEP_1) | instskip(SKIP_1) | instid1(VALU_DEP_2)
	v_add_f64_e32 v[75:76], v[75:76], v[102:103]
	v_add_f64_e32 v[102:103], v[106:107], v[108:109]
	;; [unrolled: 1-line block ×3, first 2 shown]
	s_delay_alu instid0(VALU_DEP_2) | instskip(NEXT) | instid1(VALU_DEP_2)
	v_add_f64_e64 v[100:101], v[102:103], -v[106:107]
	v_add_f64_e32 v[75:76], v[112:113], v[75:76]
	s_delay_alu instid0(VALU_DEP_2) | instskip(NEXT) | instid1(VALU_DEP_2)
	v_add_f64_e64 v[100:101], v[108:109], -v[100:101]
	v_mul_f64_e32 v[75:76], v[98:99], v[75:76]
	s_delay_alu instid0(VALU_DEP_1) | instskip(NEXT) | instid1(VALU_DEP_1)
	v_add_f64_e32 v[75:76], v[100:101], v[75:76]
	v_add_f64_e32 v[98:99], v[102:103], v[75:76]
	s_delay_alu instid0(VALU_DEP_1) | instskip(NEXT) | instid1(VALU_DEP_1)
	v_mul_f64_e32 v[100:101], v[98:99], v[98:99]
	v_fma_f64 v[104:105], v[100:101], s[46:47], s[44:45]
	s_mov_b32 s44, 0xd7f4df2e
	s_mov_b32 s45, 0x3fc7474d
	v_mul_f64_e32 v[106:107], v[98:99], v[100:101]
	s_wait_alu 0xfffe
	s_delay_alu instid0(VALU_DEP_2) | instskip(SKIP_3) | instid1(VALU_DEP_1)
	v_fma_f64 v[104:105], v[100:101], v[104:105], s[44:45]
	s_mov_b32 s44, 0x16291751
	s_mov_b32 s45, 0x3fcc71c0
	s_wait_alu 0xfffe
	v_fma_f64 v[104:105], v[100:101], v[104:105], s[44:45]
	s_mov_b32 s44, 0x9b27acf1
	s_mov_b32 s45, 0x3fd24924
	s_wait_alu 0xfffe
	s_delay_alu instid0(VALU_DEP_1) | instskip(SKIP_3) | instid1(VALU_DEP_1)
	v_fma_f64 v[104:105], v[100:101], v[104:105], s[44:45]
	s_mov_b32 s44, 0x998ef7b6
	s_mov_b32 s45, 0x3fd99999
	s_wait_alu 0xfffe
	v_fma_f64 v[104:105], v[100:101], v[104:105], s[44:45]
	s_delay_alu instid0(VALU_DEP_1)
	v_fma_f64 v[100:101], v[100:101], v[104:105], s[0:1]
	v_ldexp_f64 v[104:105], v[98:99], 1
	v_add_f64_e64 v[98:99], v[98:99], -v[102:103]
	v_cmp_nge_f64_e64 s0, -1.0, v[73:74]
	v_cmp_neq_f64_e64 s1, 0x7ff00000, v[73:74]
	v_mul_f64_e32 v[100:101], v[106:107], v[100:101]
	v_cvt_f64_i32_e32 v[106:107], v118
	v_add_f64_e64 v[75:76], v[75:76], -v[98:99]
	s_and_b32 s0, s0, s1
	s_delay_alu instid0(VALU_DEP_3) | instskip(NEXT) | instid1(VALU_DEP_3)
	v_add_f64_e32 v[102:103], v[104:105], v[100:101]
	v_mul_f64_e32 v[108:109], s[34:35], v[106:107]
	s_delay_alu instid0(VALU_DEP_3) | instskip(NEXT) | instid1(VALU_DEP_3)
	v_ldexp_f64 v[75:76], v[75:76], 1
	v_add_f64_e64 v[98:99], v[102:103], -v[104:105]
	s_delay_alu instid0(VALU_DEP_3) | instskip(SKIP_1) | instid1(VALU_DEP_3)
	v_fma_f64 v[104:105], v[106:107], s[34:35], -v[108:109]
	v_cmp_ngt_f64_e64 s34, -1.0, v[73:74]
	v_add_f64_e64 v[98:99], v[100:101], -v[98:99]
	s_delay_alu instid0(VALU_DEP_3) | instskip(NEXT) | instid1(VALU_DEP_2)
	v_fma_f64 v[100:101], v[106:107], s[38:39], v[104:105]
	v_add_f64_e32 v[75:76], v[75:76], v[98:99]
	s_delay_alu instid0(VALU_DEP_2) | instskip(NEXT) | instid1(VALU_DEP_2)
	v_add_f64_e32 v[98:99], v[108:109], v[100:101]
	v_add_f64_e32 v[104:105], v[102:103], v[75:76]
	s_delay_alu instid0(VALU_DEP_2) | instskip(NEXT) | instid1(VALU_DEP_2)
	v_add_f64_e64 v[108:109], v[98:99], -v[108:109]
	v_add_f64_e32 v[106:107], v[98:99], v[104:105]
	v_add_f64_e64 v[102:103], v[104:105], -v[102:103]
	s_delay_alu instid0(VALU_DEP_3) | instskip(NEXT) | instid1(VALU_DEP_3)
	v_add_f64_e64 v[100:101], v[100:101], -v[108:109]
	v_add_f64_e64 v[110:111], v[106:107], -v[98:99]
	s_delay_alu instid0(VALU_DEP_3) | instskip(NEXT) | instid1(VALU_DEP_2)
	v_add_f64_e64 v[75:76], v[75:76], -v[102:103]
	v_add_f64_e64 v[112:113], v[106:107], -v[110:111]
	;; [unrolled: 1-line block ×3, first 2 shown]
	s_delay_alu instid0(VALU_DEP_3) | instskip(NEXT) | instid1(VALU_DEP_3)
	v_add_f64_e32 v[104:105], v[100:101], v[75:76]
	v_add_f64_e64 v[98:99], v[98:99], -v[112:113]
	s_delay_alu instid0(VALU_DEP_1) | instskip(NEXT) | instid1(VALU_DEP_3)
	v_add_f64_e32 v[98:99], v[102:103], v[98:99]
	v_add_f64_e64 v[102:103], v[104:105], -v[100:101]
	s_delay_alu instid0(VALU_DEP_2) | instskip(NEXT) | instid1(VALU_DEP_2)
	v_add_f64_e32 v[98:99], v[104:105], v[98:99]
	v_add_f64_e64 v[104:105], v[104:105], -v[102:103]
	v_add_f64_e64 v[75:76], v[75:76], -v[102:103]
	s_delay_alu instid0(VALU_DEP_3) | instskip(NEXT) | instid1(VALU_DEP_3)
	v_add_f64_e32 v[108:109], v[106:107], v[98:99]
	v_add_f64_e64 v[100:101], v[100:101], -v[104:105]
	s_delay_alu instid0(VALU_DEP_2) | instskip(NEXT) | instid1(VALU_DEP_2)
	v_add_f64_e64 v[102:103], v[108:109], -v[106:107]
	v_add_f64_e32 v[75:76], v[75:76], v[100:101]
	s_delay_alu instid0(VALU_DEP_2) | instskip(NEXT) | instid1(VALU_DEP_1)
	v_add_f64_e64 v[98:99], v[98:99], -v[102:103]
	v_add_f64_e32 v[75:76], v[75:76], v[98:99]
	s_delay_alu instid0(VALU_DEP_1) | instskip(SKIP_1) | instid1(VALU_DEP_1)
	v_add_f64_e32 v[75:76], v[108:109], v[75:76]
	s_wait_alu 0xfffe
	v_cndmask_b32_e64 v75, 0, v75, s0
	v_cmp_neq_f64_e64 s0, -1.0, v[73:74]
	s_delay_alu instid0(VALU_DEP_3) | instskip(SKIP_1) | instid1(VALU_DEP_1)
	v_cndmask_b32_e64 v76, 0x7ff00000, v76, s1
	s_wait_alu 0xf1ff
	v_cndmask_b32_e64 v76, 0x7ff80000, v76, s34
	s_delay_alu instid0(VALU_DEP_1) | instskip(NEXT) | instid1(VALU_DEP_1)
	v_cndmask_b32_e64 v76, 0xfff00000, v76, s0
	v_add_f64_e32 v[73:74], v[71:72], v[75:76]
.LBB23_88:
	s_wait_alu 0xfffe
	s_or_b32 exec_lo, exec_lo, s42
	s_delay_alu instid0(VALU_DEP_1)
	v_dual_mov_b32 v75, v73 :: v_dual_mov_b32 v76, v74
	v_dual_mov_b32 v71, v73 :: v_dual_mov_b32 v72, v74
.LBB23_89:
	s_wait_alu 0xfffe
	s_or_b32 exec_lo, exec_lo, s41
	s_delay_alu instid0(VALU_DEP_2)
	v_mov_b32_dpp v73, v75 row_shr:2 row_mask:0xf bank_mask:0xf
	v_mov_b32_dpp v74, v76 row_shr:2 row_mask:0xf bank_mask:0xf
	s_mov_b32 s41, exec_lo
	v_cmpx_lt_u32_e32 1, v97
	s_cbranch_execz .LBB23_93
; %bb.90:
	s_delay_alu instid0(VALU_DEP_2) | instskip(SKIP_3) | instid1(VALU_DEP_3)
	v_max_num_f64_e32 v[75:76], v[73:74], v[73:74]
	v_max_num_f64_e32 v[98:99], v[71:72], v[71:72]
	v_cmp_u_f64_e64 s0, v[73:74], v[73:74]
	v_cmp_u_f64_e64 s1, v[71:72], v[71:72]
	v_min_num_f64_e32 v[100:101], v[75:76], v[98:99]
	v_max_num_f64_e32 v[75:76], v[75:76], v[98:99]
	s_wait_alu 0xf1ff
	s_delay_alu instid0(VALU_DEP_2) | instskip(NEXT) | instid1(VALU_DEP_3)
	v_cndmask_b32_e64 v98, v101, v74, s0
	v_cndmask_b32_e64 v99, v100, v73, s0
	s_delay_alu instid0(VALU_DEP_3) | instskip(NEXT) | instid1(VALU_DEP_4)
	v_cndmask_b32_e64 v100, v76, v74, s0
	v_cndmask_b32_e64 v101, v75, v73, s0
	s_delay_alu instid0(VALU_DEP_4) | instskip(NEXT) | instid1(VALU_DEP_4)
	v_cndmask_b32_e64 v76, v98, v72, s1
	v_cndmask_b32_e64 v75, v99, v71, s1
	s_delay_alu instid0(VALU_DEP_4) | instskip(NEXT) | instid1(VALU_DEP_4)
	v_cndmask_b32_e64 v72, v100, v72, s1
	v_cndmask_b32_e64 v71, v101, v71, s1
	s_delay_alu instid0(VALU_DEP_3) | instskip(NEXT) | instid1(VALU_DEP_2)
	v_cmp_class_f64_e64 s1, v[75:76], 0x1f8
	v_cmp_neq_f64_e64 s0, v[75:76], v[71:72]
	s_or_b32 s0, s0, s1
	s_wait_alu 0xfffe
	s_and_saveexec_b32 s42, s0
	s_cbranch_execz .LBB23_92
; %bb.91:
	v_add_f64_e64 v[73:74], v[75:76], -v[71:72]
	s_mov_b32 s0, 0x652b82fe
	s_mov_b32 s1, 0x3ff71547
	;; [unrolled: 1-line block ×10, first 2 shown]
	s_wait_alu 0xfffe
	s_delay_alu instid0(VALU_DEP_1) | instskip(SKIP_2) | instid1(VALU_DEP_1)
	v_mul_f64_e32 v[75:76], s[0:1], v[73:74]
	s_mov_b32 s0, 0xfca7ab0c
	s_mov_b32 s1, 0x3e928af3
	v_rndne_f64_e32 v[75:76], v[75:76]
	s_delay_alu instid0(VALU_DEP_1) | instskip(SKIP_2) | instid1(VALU_DEP_2)
	v_fma_f64 v[98:99], v[75:76], s[34:35], v[73:74]
	v_cvt_i32_f64_e32 v102, v[75:76]
	s_mov_b32 s35, 0x3fe62e42
	v_fma_f64 v[98:99], v[75:76], s[38:39], v[98:99]
	s_mov_b32 s39, 0x3c7abc9e
	s_wait_alu 0xfffe
	s_delay_alu instid0(VALU_DEP_1)
	v_fma_f64 v[100:101], v[98:99], s[44:45], s[0:1]
	s_mov_b32 s0, 0x623fde64
	s_mov_b32 s1, 0x3ec71dee
	;; [unrolled: 1-line block ×4, first 2 shown]
	s_wait_alu 0xfffe
	s_delay_alu instid0(VALU_DEP_1) | instskip(SKIP_3) | instid1(VALU_DEP_1)
	v_fma_f64 v[100:101], v[98:99], v[100:101], s[0:1]
	s_mov_b32 s0, 0x7c89e6b0
	s_mov_b32 s1, 0x3efa0199
	s_wait_alu 0xfffe
	v_fma_f64 v[100:101], v[98:99], v[100:101], s[0:1]
	s_mov_b32 s0, 0x14761f6e
	s_mov_b32 s1, 0x3f2a01a0
	s_wait_alu 0xfffe
	s_delay_alu instid0(VALU_DEP_1) | instskip(SKIP_3) | instid1(VALU_DEP_1)
	v_fma_f64 v[100:101], v[98:99], v[100:101], s[0:1]
	s_mov_b32 s0, 0x1852b7b0
	s_mov_b32 s1, 0x3f56c16c
	s_wait_alu 0xfffe
	v_fma_f64 v[100:101], v[98:99], v[100:101], s[0:1]
	s_mov_b32 s0, 0x11122322
	s_mov_b32 s1, 0x3f811111
	;; [unrolled: 9-line block ×3, first 2 shown]
	s_wait_alu 0xfffe
	s_delay_alu instid0(VALU_DEP_1) | instskip(SKIP_3) | instid1(VALU_DEP_1)
	v_fma_f64 v[100:101], v[98:99], v[100:101], s[0:1]
	s_mov_b32 s0, 11
	s_mov_b32 s1, 0x3fe00000
	s_wait_alu 0xfffe
	v_fma_f64 v[100:101], v[98:99], v[100:101], s[0:1]
	v_cmp_nlt_f64_e64 s0, 0x40900000, v[73:74]
	v_cmp_ngt_f64_e64 s1, 0xc090cc00, v[73:74]
	s_delay_alu instid0(VALU_DEP_3) | instskip(NEXT) | instid1(VALU_DEP_1)
	v_fma_f64 v[100:101], v[98:99], v[100:101], 1.0
	v_fma_f64 v[75:76], v[98:99], v[100:101], 1.0
	s_delay_alu instid0(VALU_DEP_1) | instskip(SKIP_1) | instid1(VALU_DEP_1)
	v_ldexp_f64 v[75:76], v[75:76], v102
	s_wait_alu 0xf1ff
	v_cndmask_b32_e64 v76, 0x7ff00000, v76, s0
	s_and_b32 s0, s1, s0
	s_wait_alu 0xfffe
	s_delay_alu instid0(VALU_DEP_2) | instskip(SKIP_3) | instid1(VALU_DEP_1)
	v_cndmask_b32_e64 v73, 0, v75, s0
	s_mov_b32 s0, 0x55555555
	v_cndmask_b32_e64 v74, 0, v76, s1
	s_mov_b32 s1, 0x3fe55555
	v_add_f64_e32 v[75:76], 1.0, v[73:74]
	s_delay_alu instid0(VALU_DEP_1) | instskip(SKIP_3) | instid1(VALU_DEP_3)
	v_frexp_mant_f64_e32 v[98:99], v[75:76]
	v_frexp_exp_i32_f64_e32 v102, v[75:76]
	v_add_f64_e32 v[100:101], -1.0, v[75:76]
	s_wait_alu 0xfffe
	v_cmp_gt_f64_e64 s0, s[0:1], v[98:99]
	s_delay_alu instid0(VALU_DEP_2) | instskip(SKIP_2) | instid1(VALU_DEP_3)
	v_add_f64_e64 v[98:99], v[100:101], -v[75:76]
	v_add_f64_e64 v[100:101], v[73:74], -v[100:101]
	s_wait_alu 0xf1ff
	v_subrev_co_ci_u32_e64 v118, null, 0, v102, s0
	s_delay_alu instid0(VALU_DEP_3) | instskip(SKIP_1) | instid1(VALU_DEP_2)
	v_add_f64_e32 v[98:99], 1.0, v[98:99]
	s_mov_b32 s0, 0x55555780
	v_sub_nc_u32_e32 v104, 0, v118
	s_delay_alu instid0(VALU_DEP_1) | instskip(NEXT) | instid1(VALU_DEP_3)
	v_ldexp_f64 v[75:76], v[75:76], v104
	v_add_f64_e32 v[98:99], v[100:101], v[98:99]
	s_delay_alu instid0(VALU_DEP_2) | instskip(SKIP_1) | instid1(VALU_DEP_3)
	v_add_f64_e32 v[102:103], 1.0, v[75:76]
	v_add_f64_e32 v[108:109], -1.0, v[75:76]
	v_ldexp_f64 v[98:99], v[98:99], v104
	s_delay_alu instid0(VALU_DEP_3) | instskip(NEXT) | instid1(VALU_DEP_3)
	v_add_f64_e32 v[100:101], -1.0, v[102:103]
	v_add_f64_e32 v[110:111], 1.0, v[108:109]
	s_delay_alu instid0(VALU_DEP_2) | instskip(NEXT) | instid1(VALU_DEP_2)
	v_add_f64_e64 v[100:101], v[75:76], -v[100:101]
	v_add_f64_e64 v[75:76], v[75:76], -v[110:111]
	s_delay_alu instid0(VALU_DEP_2) | instskip(NEXT) | instid1(VALU_DEP_2)
	v_add_f64_e32 v[100:101], v[98:99], v[100:101]
	v_add_f64_e32 v[75:76], v[98:99], v[75:76]
	s_delay_alu instid0(VALU_DEP_2) | instskip(NEXT) | instid1(VALU_DEP_2)
	v_add_f64_e32 v[104:105], v[102:103], v[100:101]
	v_add_f64_e32 v[110:111], v[108:109], v[75:76]
	s_delay_alu instid0(VALU_DEP_2) | instskip(SKIP_1) | instid1(VALU_DEP_2)
	v_rcp_f64_e32 v[106:107], v[104:105]
	v_add_f64_e64 v[102:103], v[104:105], -v[102:103]
	v_add_f64_e64 v[108:109], v[110:111], -v[108:109]
	s_delay_alu instid0(VALU_DEP_2) | instskip(NEXT) | instid1(TRANS32_DEP_1)
	v_add_f64_e64 v[100:101], v[100:101], -v[102:103]
	v_fma_f64 v[112:113], -v[104:105], v[106:107], 1.0
	s_delay_alu instid0(VALU_DEP_3) | instskip(NEXT) | instid1(VALU_DEP_2)
	v_add_f64_e64 v[75:76], v[75:76], -v[108:109]
	v_fma_f64 v[106:107], v[112:113], v[106:107], v[106:107]
	s_delay_alu instid0(VALU_DEP_1) | instskip(NEXT) | instid1(VALU_DEP_1)
	v_fma_f64 v[98:99], -v[104:105], v[106:107], 1.0
	v_fma_f64 v[98:99], v[98:99], v[106:107], v[106:107]
	s_delay_alu instid0(VALU_DEP_1) | instskip(NEXT) | instid1(VALU_DEP_1)
	v_mul_f64_e32 v[106:107], v[110:111], v[98:99]
	v_mul_f64_e32 v[112:113], v[104:105], v[106:107]
	s_delay_alu instid0(VALU_DEP_1) | instskip(NEXT) | instid1(VALU_DEP_1)
	v_fma_f64 v[102:103], v[106:107], v[104:105], -v[112:113]
	v_fma_f64 v[102:103], v[106:107], v[100:101], v[102:103]
	s_delay_alu instid0(VALU_DEP_1) | instskip(NEXT) | instid1(VALU_DEP_1)
	v_add_f64_e32 v[114:115], v[112:113], v[102:103]
	v_add_f64_e64 v[116:117], v[110:111], -v[114:115]
	v_add_f64_e64 v[108:109], v[114:115], -v[112:113]
	s_delay_alu instid0(VALU_DEP_2) | instskip(NEXT) | instid1(VALU_DEP_2)
	v_add_f64_e64 v[110:111], v[110:111], -v[116:117]
	v_add_f64_e64 v[102:103], v[108:109], -v[102:103]
	s_delay_alu instid0(VALU_DEP_2) | instskip(NEXT) | instid1(VALU_DEP_1)
	v_add_f64_e64 v[110:111], v[110:111], -v[114:115]
	v_add_f64_e32 v[75:76], v[75:76], v[110:111]
	s_delay_alu instid0(VALU_DEP_1) | instskip(NEXT) | instid1(VALU_DEP_1)
	v_add_f64_e32 v[75:76], v[102:103], v[75:76]
	v_add_f64_e32 v[102:103], v[116:117], v[75:76]
	s_delay_alu instid0(VALU_DEP_1) | instskip(SKIP_1) | instid1(VALU_DEP_2)
	v_mul_f64_e32 v[108:109], v[98:99], v[102:103]
	v_add_f64_e64 v[114:115], v[116:117], -v[102:103]
	v_mul_f64_e32 v[110:111], v[104:105], v[108:109]
	s_delay_alu instid0(VALU_DEP_2) | instskip(NEXT) | instid1(VALU_DEP_2)
	v_add_f64_e32 v[75:76], v[75:76], v[114:115]
	v_fma_f64 v[104:105], v[108:109], v[104:105], -v[110:111]
	s_delay_alu instid0(VALU_DEP_1) | instskip(NEXT) | instid1(VALU_DEP_1)
	v_fma_f64 v[100:101], v[108:109], v[100:101], v[104:105]
	v_add_f64_e32 v[104:105], v[110:111], v[100:101]
	s_delay_alu instid0(VALU_DEP_1) | instskip(SKIP_1) | instid1(VALU_DEP_2)
	v_add_f64_e64 v[112:113], v[102:103], -v[104:105]
	v_add_f64_e64 v[110:111], v[104:105], -v[110:111]
	;; [unrolled: 1-line block ×3, first 2 shown]
	s_delay_alu instid0(VALU_DEP_2) | instskip(NEXT) | instid1(VALU_DEP_2)
	v_add_f64_e64 v[100:101], v[110:111], -v[100:101]
	v_add_f64_e64 v[102:103], v[102:103], -v[104:105]
	s_delay_alu instid0(VALU_DEP_1) | instskip(SKIP_1) | instid1(VALU_DEP_2)
	v_add_f64_e32 v[75:76], v[75:76], v[102:103]
	v_add_f64_e32 v[102:103], v[106:107], v[108:109]
	;; [unrolled: 1-line block ×3, first 2 shown]
	s_delay_alu instid0(VALU_DEP_2) | instskip(NEXT) | instid1(VALU_DEP_2)
	v_add_f64_e64 v[100:101], v[102:103], -v[106:107]
	v_add_f64_e32 v[75:76], v[112:113], v[75:76]
	s_delay_alu instid0(VALU_DEP_2) | instskip(NEXT) | instid1(VALU_DEP_2)
	v_add_f64_e64 v[100:101], v[108:109], -v[100:101]
	v_mul_f64_e32 v[75:76], v[98:99], v[75:76]
	s_delay_alu instid0(VALU_DEP_1) | instskip(NEXT) | instid1(VALU_DEP_1)
	v_add_f64_e32 v[75:76], v[100:101], v[75:76]
	v_add_f64_e32 v[98:99], v[102:103], v[75:76]
	s_delay_alu instid0(VALU_DEP_1) | instskip(NEXT) | instid1(VALU_DEP_1)
	v_mul_f64_e32 v[100:101], v[98:99], v[98:99]
	v_fma_f64 v[104:105], v[100:101], s[46:47], s[44:45]
	s_mov_b32 s44, 0xd7f4df2e
	s_mov_b32 s45, 0x3fc7474d
	v_mul_f64_e32 v[106:107], v[98:99], v[100:101]
	s_wait_alu 0xfffe
	s_delay_alu instid0(VALU_DEP_2) | instskip(SKIP_3) | instid1(VALU_DEP_1)
	v_fma_f64 v[104:105], v[100:101], v[104:105], s[44:45]
	s_mov_b32 s44, 0x16291751
	s_mov_b32 s45, 0x3fcc71c0
	s_wait_alu 0xfffe
	v_fma_f64 v[104:105], v[100:101], v[104:105], s[44:45]
	s_mov_b32 s44, 0x9b27acf1
	s_mov_b32 s45, 0x3fd24924
	s_wait_alu 0xfffe
	s_delay_alu instid0(VALU_DEP_1) | instskip(SKIP_3) | instid1(VALU_DEP_1)
	v_fma_f64 v[104:105], v[100:101], v[104:105], s[44:45]
	s_mov_b32 s44, 0x998ef7b6
	s_mov_b32 s45, 0x3fd99999
	s_wait_alu 0xfffe
	v_fma_f64 v[104:105], v[100:101], v[104:105], s[44:45]
	s_delay_alu instid0(VALU_DEP_1)
	v_fma_f64 v[100:101], v[100:101], v[104:105], s[0:1]
	v_ldexp_f64 v[104:105], v[98:99], 1
	v_add_f64_e64 v[98:99], v[98:99], -v[102:103]
	v_cmp_nge_f64_e64 s0, -1.0, v[73:74]
	v_cmp_neq_f64_e64 s1, 0x7ff00000, v[73:74]
	v_mul_f64_e32 v[100:101], v[106:107], v[100:101]
	v_cvt_f64_i32_e32 v[106:107], v118
	v_add_f64_e64 v[75:76], v[75:76], -v[98:99]
	s_and_b32 s0, s0, s1
	s_delay_alu instid0(VALU_DEP_3) | instskip(NEXT) | instid1(VALU_DEP_3)
	v_add_f64_e32 v[102:103], v[104:105], v[100:101]
	v_mul_f64_e32 v[108:109], s[34:35], v[106:107]
	s_delay_alu instid0(VALU_DEP_3) | instskip(NEXT) | instid1(VALU_DEP_3)
	v_ldexp_f64 v[75:76], v[75:76], 1
	v_add_f64_e64 v[98:99], v[102:103], -v[104:105]
	s_delay_alu instid0(VALU_DEP_3) | instskip(SKIP_1) | instid1(VALU_DEP_3)
	v_fma_f64 v[104:105], v[106:107], s[34:35], -v[108:109]
	v_cmp_ngt_f64_e64 s34, -1.0, v[73:74]
	v_add_f64_e64 v[98:99], v[100:101], -v[98:99]
	s_delay_alu instid0(VALU_DEP_3) | instskip(NEXT) | instid1(VALU_DEP_2)
	v_fma_f64 v[100:101], v[106:107], s[38:39], v[104:105]
	v_add_f64_e32 v[75:76], v[75:76], v[98:99]
	s_delay_alu instid0(VALU_DEP_2) | instskip(NEXT) | instid1(VALU_DEP_2)
	v_add_f64_e32 v[98:99], v[108:109], v[100:101]
	v_add_f64_e32 v[104:105], v[102:103], v[75:76]
	s_delay_alu instid0(VALU_DEP_2) | instskip(NEXT) | instid1(VALU_DEP_2)
	v_add_f64_e64 v[108:109], v[98:99], -v[108:109]
	v_add_f64_e32 v[106:107], v[98:99], v[104:105]
	v_add_f64_e64 v[102:103], v[104:105], -v[102:103]
	s_delay_alu instid0(VALU_DEP_3) | instskip(NEXT) | instid1(VALU_DEP_3)
	v_add_f64_e64 v[100:101], v[100:101], -v[108:109]
	v_add_f64_e64 v[110:111], v[106:107], -v[98:99]
	s_delay_alu instid0(VALU_DEP_3) | instskip(NEXT) | instid1(VALU_DEP_2)
	v_add_f64_e64 v[75:76], v[75:76], -v[102:103]
	v_add_f64_e64 v[112:113], v[106:107], -v[110:111]
	;; [unrolled: 1-line block ×3, first 2 shown]
	s_delay_alu instid0(VALU_DEP_3) | instskip(NEXT) | instid1(VALU_DEP_3)
	v_add_f64_e32 v[104:105], v[100:101], v[75:76]
	v_add_f64_e64 v[98:99], v[98:99], -v[112:113]
	s_delay_alu instid0(VALU_DEP_1) | instskip(NEXT) | instid1(VALU_DEP_3)
	v_add_f64_e32 v[98:99], v[102:103], v[98:99]
	v_add_f64_e64 v[102:103], v[104:105], -v[100:101]
	s_delay_alu instid0(VALU_DEP_2) | instskip(NEXT) | instid1(VALU_DEP_2)
	v_add_f64_e32 v[98:99], v[104:105], v[98:99]
	v_add_f64_e64 v[104:105], v[104:105], -v[102:103]
	v_add_f64_e64 v[75:76], v[75:76], -v[102:103]
	s_delay_alu instid0(VALU_DEP_3) | instskip(NEXT) | instid1(VALU_DEP_3)
	v_add_f64_e32 v[108:109], v[106:107], v[98:99]
	v_add_f64_e64 v[100:101], v[100:101], -v[104:105]
	s_delay_alu instid0(VALU_DEP_2) | instskip(NEXT) | instid1(VALU_DEP_2)
	v_add_f64_e64 v[102:103], v[108:109], -v[106:107]
	v_add_f64_e32 v[75:76], v[75:76], v[100:101]
	s_delay_alu instid0(VALU_DEP_2) | instskip(NEXT) | instid1(VALU_DEP_1)
	v_add_f64_e64 v[98:99], v[98:99], -v[102:103]
	v_add_f64_e32 v[75:76], v[75:76], v[98:99]
	s_delay_alu instid0(VALU_DEP_1) | instskip(SKIP_1) | instid1(VALU_DEP_1)
	v_add_f64_e32 v[75:76], v[108:109], v[75:76]
	s_wait_alu 0xfffe
	v_cndmask_b32_e64 v75, 0, v75, s0
	v_cmp_neq_f64_e64 s0, -1.0, v[73:74]
	s_delay_alu instid0(VALU_DEP_3) | instskip(SKIP_1) | instid1(VALU_DEP_1)
	v_cndmask_b32_e64 v76, 0x7ff00000, v76, s1
	s_wait_alu 0xf1ff
	v_cndmask_b32_e64 v76, 0x7ff80000, v76, s34
	s_delay_alu instid0(VALU_DEP_1) | instskip(NEXT) | instid1(VALU_DEP_1)
	v_cndmask_b32_e64 v76, 0xfff00000, v76, s0
	v_add_f64_e32 v[73:74], v[71:72], v[75:76]
.LBB23_92:
	s_wait_alu 0xfffe
	s_or_b32 exec_lo, exec_lo, s42
	s_delay_alu instid0(VALU_DEP_1)
	v_dual_mov_b32 v75, v73 :: v_dual_mov_b32 v76, v74
	v_dual_mov_b32 v71, v73 :: v_dual_mov_b32 v72, v74
.LBB23_93:
	s_wait_alu 0xfffe
	s_or_b32 exec_lo, exec_lo, s41
	s_delay_alu instid0(VALU_DEP_2)
	v_mov_b32_dpp v73, v75 row_shr:4 row_mask:0xf bank_mask:0xf
	v_mov_b32_dpp v74, v76 row_shr:4 row_mask:0xf bank_mask:0xf
	s_mov_b32 s41, exec_lo
	v_cmpx_lt_u32_e32 3, v97
	s_cbranch_execz .LBB23_97
; %bb.94:
	s_delay_alu instid0(VALU_DEP_2) | instskip(SKIP_3) | instid1(VALU_DEP_3)
	v_max_num_f64_e32 v[75:76], v[73:74], v[73:74]
	v_max_num_f64_e32 v[97:98], v[71:72], v[71:72]
	v_cmp_u_f64_e64 s0, v[73:74], v[73:74]
	v_cmp_u_f64_e64 s1, v[71:72], v[71:72]
	v_min_num_f64_e32 v[99:100], v[75:76], v[97:98]
	v_max_num_f64_e32 v[75:76], v[75:76], v[97:98]
	s_wait_alu 0xf1ff
	s_delay_alu instid0(VALU_DEP_2) | instskip(NEXT) | instid1(VALU_DEP_3)
	v_cndmask_b32_e64 v97, v100, v74, s0
	v_cndmask_b32_e64 v98, v99, v73, s0
	s_delay_alu instid0(VALU_DEP_3) | instskip(NEXT) | instid1(VALU_DEP_4)
	v_cndmask_b32_e64 v99, v76, v74, s0
	v_cndmask_b32_e64 v100, v75, v73, s0
	s_delay_alu instid0(VALU_DEP_4) | instskip(NEXT) | instid1(VALU_DEP_4)
	v_cndmask_b32_e64 v76, v97, v72, s1
	v_cndmask_b32_e64 v75, v98, v71, s1
	s_delay_alu instid0(VALU_DEP_4) | instskip(NEXT) | instid1(VALU_DEP_4)
	v_cndmask_b32_e64 v72, v99, v72, s1
	v_cndmask_b32_e64 v71, v100, v71, s1
	s_delay_alu instid0(VALU_DEP_3) | instskip(NEXT) | instid1(VALU_DEP_2)
	v_cmp_class_f64_e64 s1, v[75:76], 0x1f8
	v_cmp_neq_f64_e64 s0, v[75:76], v[71:72]
	s_or_b32 s0, s0, s1
	s_wait_alu 0xfffe
	s_and_saveexec_b32 s42, s0
	s_cbranch_execz .LBB23_96
; %bb.95:
	v_add_f64_e64 v[73:74], v[75:76], -v[71:72]
	s_mov_b32 s0, 0x652b82fe
	s_mov_b32 s1, 0x3ff71547
	s_mov_b32 s35, 0xbfe62e42
	s_mov_b32 s34, 0xfefa39ef
	s_mov_b32 s39, 0xbc7abc9e
	s_mov_b32 s38, 0x3b39803f
	s_mov_b32 s44, 0x6a5dcb37
	s_mov_b32 s45, 0x3e5ade15
	s_mov_b32 s46, 0xbf559e2b
	s_mov_b32 s47, 0x3fc3ab76
	s_wait_alu 0xfffe
	s_delay_alu instid0(VALU_DEP_1) | instskip(SKIP_2) | instid1(VALU_DEP_1)
	v_mul_f64_e32 v[75:76], s[0:1], v[73:74]
	s_mov_b32 s0, 0xfca7ab0c
	s_mov_b32 s1, 0x3e928af3
	v_rndne_f64_e32 v[75:76], v[75:76]
	s_delay_alu instid0(VALU_DEP_1) | instskip(SKIP_2) | instid1(VALU_DEP_2)
	v_fma_f64 v[97:98], v[75:76], s[34:35], v[73:74]
	v_cvt_i32_f64_e32 v101, v[75:76]
	s_mov_b32 s35, 0x3fe62e42
	v_fma_f64 v[97:98], v[75:76], s[38:39], v[97:98]
	s_mov_b32 s39, 0x3c7abc9e
	s_wait_alu 0xfffe
	s_delay_alu instid0(VALU_DEP_1)
	v_fma_f64 v[99:100], v[97:98], s[44:45], s[0:1]
	s_mov_b32 s0, 0x623fde64
	s_mov_b32 s1, 0x3ec71dee
	;; [unrolled: 1-line block ×4, first 2 shown]
	s_wait_alu 0xfffe
	s_delay_alu instid0(VALU_DEP_1) | instskip(SKIP_3) | instid1(VALU_DEP_1)
	v_fma_f64 v[99:100], v[97:98], v[99:100], s[0:1]
	s_mov_b32 s0, 0x7c89e6b0
	s_mov_b32 s1, 0x3efa0199
	s_wait_alu 0xfffe
	v_fma_f64 v[99:100], v[97:98], v[99:100], s[0:1]
	s_mov_b32 s0, 0x14761f6e
	s_mov_b32 s1, 0x3f2a01a0
	s_wait_alu 0xfffe
	s_delay_alu instid0(VALU_DEP_1) | instskip(SKIP_3) | instid1(VALU_DEP_1)
	v_fma_f64 v[99:100], v[97:98], v[99:100], s[0:1]
	s_mov_b32 s0, 0x1852b7b0
	s_mov_b32 s1, 0x3f56c16c
	s_wait_alu 0xfffe
	v_fma_f64 v[99:100], v[97:98], v[99:100], s[0:1]
	s_mov_b32 s0, 0x11122322
	s_mov_b32 s1, 0x3f811111
	;; [unrolled: 9-line block ×3, first 2 shown]
	s_wait_alu 0xfffe
	s_delay_alu instid0(VALU_DEP_1) | instskip(SKIP_3) | instid1(VALU_DEP_1)
	v_fma_f64 v[99:100], v[97:98], v[99:100], s[0:1]
	s_mov_b32 s0, 11
	s_mov_b32 s1, 0x3fe00000
	s_wait_alu 0xfffe
	v_fma_f64 v[99:100], v[97:98], v[99:100], s[0:1]
	v_cmp_nlt_f64_e64 s0, 0x40900000, v[73:74]
	v_cmp_ngt_f64_e64 s1, 0xc090cc00, v[73:74]
	s_delay_alu instid0(VALU_DEP_3) | instskip(NEXT) | instid1(VALU_DEP_1)
	v_fma_f64 v[99:100], v[97:98], v[99:100], 1.0
	v_fma_f64 v[75:76], v[97:98], v[99:100], 1.0
	s_delay_alu instid0(VALU_DEP_1) | instskip(SKIP_1) | instid1(VALU_DEP_1)
	v_ldexp_f64 v[75:76], v[75:76], v101
	s_wait_alu 0xf1ff
	v_cndmask_b32_e64 v76, 0x7ff00000, v76, s0
	s_and_b32 s0, s1, s0
	s_wait_alu 0xfffe
	s_delay_alu instid0(VALU_DEP_2) | instskip(SKIP_3) | instid1(VALU_DEP_1)
	v_cndmask_b32_e64 v73, 0, v75, s0
	s_mov_b32 s0, 0x55555555
	v_cndmask_b32_e64 v74, 0, v76, s1
	s_mov_b32 s1, 0x3fe55555
	v_add_f64_e32 v[75:76], 1.0, v[73:74]
	s_delay_alu instid0(VALU_DEP_1) | instskip(SKIP_3) | instid1(VALU_DEP_3)
	v_frexp_mant_f64_e32 v[97:98], v[75:76]
	v_frexp_exp_i32_f64_e32 v101, v[75:76]
	v_add_f64_e32 v[99:100], -1.0, v[75:76]
	s_wait_alu 0xfffe
	v_cmp_gt_f64_e64 s0, s[0:1], v[97:98]
	s_delay_alu instid0(VALU_DEP_2) | instskip(SKIP_2) | instid1(VALU_DEP_3)
	v_add_f64_e64 v[97:98], v[99:100], -v[75:76]
	v_add_f64_e64 v[99:100], v[73:74], -v[99:100]
	s_wait_alu 0xf1ff
	v_subrev_co_ci_u32_e64 v117, null, 0, v101, s0
	s_delay_alu instid0(VALU_DEP_3) | instskip(SKIP_1) | instid1(VALU_DEP_2)
	v_add_f64_e32 v[97:98], 1.0, v[97:98]
	s_mov_b32 s0, 0x55555780
	v_sub_nc_u32_e32 v103, 0, v117
	s_delay_alu instid0(VALU_DEP_1) | instskip(NEXT) | instid1(VALU_DEP_3)
	v_ldexp_f64 v[75:76], v[75:76], v103
	v_add_f64_e32 v[97:98], v[99:100], v[97:98]
	s_delay_alu instid0(VALU_DEP_2) | instskip(SKIP_1) | instid1(VALU_DEP_3)
	v_add_f64_e32 v[101:102], 1.0, v[75:76]
	v_add_f64_e32 v[107:108], -1.0, v[75:76]
	v_ldexp_f64 v[97:98], v[97:98], v103
	s_delay_alu instid0(VALU_DEP_3) | instskip(NEXT) | instid1(VALU_DEP_3)
	v_add_f64_e32 v[99:100], -1.0, v[101:102]
	v_add_f64_e32 v[109:110], 1.0, v[107:108]
	s_delay_alu instid0(VALU_DEP_2) | instskip(NEXT) | instid1(VALU_DEP_2)
	v_add_f64_e64 v[99:100], v[75:76], -v[99:100]
	v_add_f64_e64 v[75:76], v[75:76], -v[109:110]
	s_delay_alu instid0(VALU_DEP_2) | instskip(NEXT) | instid1(VALU_DEP_2)
	v_add_f64_e32 v[99:100], v[97:98], v[99:100]
	v_add_f64_e32 v[75:76], v[97:98], v[75:76]
	s_delay_alu instid0(VALU_DEP_2) | instskip(NEXT) | instid1(VALU_DEP_2)
	v_add_f64_e32 v[103:104], v[101:102], v[99:100]
	v_add_f64_e32 v[109:110], v[107:108], v[75:76]
	s_delay_alu instid0(VALU_DEP_2) | instskip(SKIP_1) | instid1(VALU_DEP_2)
	v_rcp_f64_e32 v[105:106], v[103:104]
	v_add_f64_e64 v[101:102], v[103:104], -v[101:102]
	v_add_f64_e64 v[107:108], v[109:110], -v[107:108]
	s_delay_alu instid0(VALU_DEP_2) | instskip(NEXT) | instid1(TRANS32_DEP_1)
	v_add_f64_e64 v[99:100], v[99:100], -v[101:102]
	v_fma_f64 v[111:112], -v[103:104], v[105:106], 1.0
	s_delay_alu instid0(VALU_DEP_3) | instskip(NEXT) | instid1(VALU_DEP_2)
	v_add_f64_e64 v[75:76], v[75:76], -v[107:108]
	v_fma_f64 v[105:106], v[111:112], v[105:106], v[105:106]
	s_delay_alu instid0(VALU_DEP_1) | instskip(NEXT) | instid1(VALU_DEP_1)
	v_fma_f64 v[97:98], -v[103:104], v[105:106], 1.0
	v_fma_f64 v[97:98], v[97:98], v[105:106], v[105:106]
	s_delay_alu instid0(VALU_DEP_1) | instskip(NEXT) | instid1(VALU_DEP_1)
	v_mul_f64_e32 v[105:106], v[109:110], v[97:98]
	v_mul_f64_e32 v[111:112], v[103:104], v[105:106]
	s_delay_alu instid0(VALU_DEP_1) | instskip(NEXT) | instid1(VALU_DEP_1)
	v_fma_f64 v[101:102], v[105:106], v[103:104], -v[111:112]
	v_fma_f64 v[101:102], v[105:106], v[99:100], v[101:102]
	s_delay_alu instid0(VALU_DEP_1) | instskip(NEXT) | instid1(VALU_DEP_1)
	v_add_f64_e32 v[113:114], v[111:112], v[101:102]
	v_add_f64_e64 v[115:116], v[109:110], -v[113:114]
	v_add_f64_e64 v[107:108], v[113:114], -v[111:112]
	s_delay_alu instid0(VALU_DEP_2) | instskip(NEXT) | instid1(VALU_DEP_2)
	v_add_f64_e64 v[109:110], v[109:110], -v[115:116]
	v_add_f64_e64 v[101:102], v[107:108], -v[101:102]
	s_delay_alu instid0(VALU_DEP_2) | instskip(NEXT) | instid1(VALU_DEP_1)
	v_add_f64_e64 v[109:110], v[109:110], -v[113:114]
	v_add_f64_e32 v[75:76], v[75:76], v[109:110]
	s_delay_alu instid0(VALU_DEP_1) | instskip(NEXT) | instid1(VALU_DEP_1)
	v_add_f64_e32 v[75:76], v[101:102], v[75:76]
	v_add_f64_e32 v[101:102], v[115:116], v[75:76]
	s_delay_alu instid0(VALU_DEP_1) | instskip(SKIP_1) | instid1(VALU_DEP_2)
	v_mul_f64_e32 v[107:108], v[97:98], v[101:102]
	v_add_f64_e64 v[113:114], v[115:116], -v[101:102]
	v_mul_f64_e32 v[109:110], v[103:104], v[107:108]
	s_delay_alu instid0(VALU_DEP_2) | instskip(NEXT) | instid1(VALU_DEP_2)
	v_add_f64_e32 v[75:76], v[75:76], v[113:114]
	v_fma_f64 v[103:104], v[107:108], v[103:104], -v[109:110]
	s_delay_alu instid0(VALU_DEP_1) | instskip(NEXT) | instid1(VALU_DEP_1)
	v_fma_f64 v[99:100], v[107:108], v[99:100], v[103:104]
	v_add_f64_e32 v[103:104], v[109:110], v[99:100]
	s_delay_alu instid0(VALU_DEP_1) | instskip(SKIP_1) | instid1(VALU_DEP_2)
	v_add_f64_e64 v[111:112], v[101:102], -v[103:104]
	v_add_f64_e64 v[109:110], v[103:104], -v[109:110]
	;; [unrolled: 1-line block ×3, first 2 shown]
	s_delay_alu instid0(VALU_DEP_2) | instskip(NEXT) | instid1(VALU_DEP_2)
	v_add_f64_e64 v[99:100], v[109:110], -v[99:100]
	v_add_f64_e64 v[101:102], v[101:102], -v[103:104]
	s_delay_alu instid0(VALU_DEP_1) | instskip(SKIP_1) | instid1(VALU_DEP_2)
	v_add_f64_e32 v[75:76], v[75:76], v[101:102]
	v_add_f64_e32 v[101:102], v[105:106], v[107:108]
	;; [unrolled: 1-line block ×3, first 2 shown]
	s_delay_alu instid0(VALU_DEP_2) | instskip(NEXT) | instid1(VALU_DEP_2)
	v_add_f64_e64 v[99:100], v[101:102], -v[105:106]
	v_add_f64_e32 v[75:76], v[111:112], v[75:76]
	s_delay_alu instid0(VALU_DEP_2) | instskip(NEXT) | instid1(VALU_DEP_2)
	v_add_f64_e64 v[99:100], v[107:108], -v[99:100]
	v_mul_f64_e32 v[75:76], v[97:98], v[75:76]
	s_delay_alu instid0(VALU_DEP_1) | instskip(NEXT) | instid1(VALU_DEP_1)
	v_add_f64_e32 v[75:76], v[99:100], v[75:76]
	v_add_f64_e32 v[97:98], v[101:102], v[75:76]
	s_delay_alu instid0(VALU_DEP_1) | instskip(NEXT) | instid1(VALU_DEP_1)
	v_mul_f64_e32 v[99:100], v[97:98], v[97:98]
	v_fma_f64 v[103:104], v[99:100], s[46:47], s[44:45]
	s_mov_b32 s44, 0xd7f4df2e
	s_mov_b32 s45, 0x3fc7474d
	v_mul_f64_e32 v[105:106], v[97:98], v[99:100]
	s_wait_alu 0xfffe
	s_delay_alu instid0(VALU_DEP_2) | instskip(SKIP_3) | instid1(VALU_DEP_1)
	v_fma_f64 v[103:104], v[99:100], v[103:104], s[44:45]
	s_mov_b32 s44, 0x16291751
	s_mov_b32 s45, 0x3fcc71c0
	s_wait_alu 0xfffe
	v_fma_f64 v[103:104], v[99:100], v[103:104], s[44:45]
	s_mov_b32 s44, 0x9b27acf1
	s_mov_b32 s45, 0x3fd24924
	s_wait_alu 0xfffe
	s_delay_alu instid0(VALU_DEP_1) | instskip(SKIP_3) | instid1(VALU_DEP_1)
	v_fma_f64 v[103:104], v[99:100], v[103:104], s[44:45]
	s_mov_b32 s44, 0x998ef7b6
	s_mov_b32 s45, 0x3fd99999
	s_wait_alu 0xfffe
	v_fma_f64 v[103:104], v[99:100], v[103:104], s[44:45]
	s_delay_alu instid0(VALU_DEP_1)
	v_fma_f64 v[99:100], v[99:100], v[103:104], s[0:1]
	v_ldexp_f64 v[103:104], v[97:98], 1
	v_add_f64_e64 v[97:98], v[97:98], -v[101:102]
	v_cmp_nge_f64_e64 s0, -1.0, v[73:74]
	v_cmp_neq_f64_e64 s1, 0x7ff00000, v[73:74]
	v_mul_f64_e32 v[99:100], v[105:106], v[99:100]
	v_cvt_f64_i32_e32 v[105:106], v117
	v_add_f64_e64 v[75:76], v[75:76], -v[97:98]
	s_and_b32 s0, s0, s1
	s_delay_alu instid0(VALU_DEP_3) | instskip(NEXT) | instid1(VALU_DEP_3)
	v_add_f64_e32 v[101:102], v[103:104], v[99:100]
	v_mul_f64_e32 v[107:108], s[34:35], v[105:106]
	s_delay_alu instid0(VALU_DEP_3) | instskip(NEXT) | instid1(VALU_DEP_3)
	v_ldexp_f64 v[75:76], v[75:76], 1
	v_add_f64_e64 v[97:98], v[101:102], -v[103:104]
	s_delay_alu instid0(VALU_DEP_3) | instskip(SKIP_1) | instid1(VALU_DEP_3)
	v_fma_f64 v[103:104], v[105:106], s[34:35], -v[107:108]
	v_cmp_ngt_f64_e64 s34, -1.0, v[73:74]
	v_add_f64_e64 v[97:98], v[99:100], -v[97:98]
	s_delay_alu instid0(VALU_DEP_3) | instskip(NEXT) | instid1(VALU_DEP_2)
	v_fma_f64 v[99:100], v[105:106], s[38:39], v[103:104]
	v_add_f64_e32 v[75:76], v[75:76], v[97:98]
	s_delay_alu instid0(VALU_DEP_2) | instskip(NEXT) | instid1(VALU_DEP_2)
	v_add_f64_e32 v[97:98], v[107:108], v[99:100]
	v_add_f64_e32 v[103:104], v[101:102], v[75:76]
	s_delay_alu instid0(VALU_DEP_2) | instskip(NEXT) | instid1(VALU_DEP_2)
	v_add_f64_e64 v[107:108], v[97:98], -v[107:108]
	v_add_f64_e32 v[105:106], v[97:98], v[103:104]
	v_add_f64_e64 v[101:102], v[103:104], -v[101:102]
	s_delay_alu instid0(VALU_DEP_3) | instskip(NEXT) | instid1(VALU_DEP_3)
	v_add_f64_e64 v[99:100], v[99:100], -v[107:108]
	v_add_f64_e64 v[109:110], v[105:106], -v[97:98]
	s_delay_alu instid0(VALU_DEP_3) | instskip(NEXT) | instid1(VALU_DEP_2)
	v_add_f64_e64 v[75:76], v[75:76], -v[101:102]
	v_add_f64_e64 v[111:112], v[105:106], -v[109:110]
	;; [unrolled: 1-line block ×3, first 2 shown]
	s_delay_alu instid0(VALU_DEP_3) | instskip(NEXT) | instid1(VALU_DEP_3)
	v_add_f64_e32 v[103:104], v[99:100], v[75:76]
	v_add_f64_e64 v[97:98], v[97:98], -v[111:112]
	s_delay_alu instid0(VALU_DEP_1) | instskip(NEXT) | instid1(VALU_DEP_3)
	v_add_f64_e32 v[97:98], v[101:102], v[97:98]
	v_add_f64_e64 v[101:102], v[103:104], -v[99:100]
	s_delay_alu instid0(VALU_DEP_2) | instskip(NEXT) | instid1(VALU_DEP_2)
	v_add_f64_e32 v[97:98], v[103:104], v[97:98]
	v_add_f64_e64 v[103:104], v[103:104], -v[101:102]
	v_add_f64_e64 v[75:76], v[75:76], -v[101:102]
	s_delay_alu instid0(VALU_DEP_3) | instskip(NEXT) | instid1(VALU_DEP_3)
	v_add_f64_e32 v[107:108], v[105:106], v[97:98]
	v_add_f64_e64 v[99:100], v[99:100], -v[103:104]
	s_delay_alu instid0(VALU_DEP_2) | instskip(NEXT) | instid1(VALU_DEP_2)
	v_add_f64_e64 v[101:102], v[107:108], -v[105:106]
	v_add_f64_e32 v[75:76], v[75:76], v[99:100]
	s_delay_alu instid0(VALU_DEP_2) | instskip(NEXT) | instid1(VALU_DEP_1)
	v_add_f64_e64 v[97:98], v[97:98], -v[101:102]
	v_add_f64_e32 v[75:76], v[75:76], v[97:98]
	s_delay_alu instid0(VALU_DEP_1) | instskip(SKIP_1) | instid1(VALU_DEP_1)
	v_add_f64_e32 v[75:76], v[107:108], v[75:76]
	s_wait_alu 0xfffe
	v_cndmask_b32_e64 v75, 0, v75, s0
	v_cmp_neq_f64_e64 s0, -1.0, v[73:74]
	s_delay_alu instid0(VALU_DEP_3) | instskip(SKIP_1) | instid1(VALU_DEP_1)
	v_cndmask_b32_e64 v76, 0x7ff00000, v76, s1
	s_wait_alu 0xf1ff
	v_cndmask_b32_e64 v76, 0x7ff80000, v76, s34
	s_delay_alu instid0(VALU_DEP_1) | instskip(NEXT) | instid1(VALU_DEP_1)
	v_cndmask_b32_e64 v76, 0xfff00000, v76, s0
	v_add_f64_e32 v[73:74], v[71:72], v[75:76]
.LBB23_96:
	s_wait_alu 0xfffe
	s_or_b32 exec_lo, exec_lo, s42
	s_delay_alu instid0(VALU_DEP_1)
	v_dual_mov_b32 v71, v73 :: v_dual_mov_b32 v72, v74
.LBB23_97:
	s_wait_alu 0xfffe
	s_or_b32 exec_lo, exec_lo, s41
	ds_store_b64 v77, v[71:72]
.LBB23_98:
	s_wait_alu 0xfffe
	s_or_b32 exec_lo, exec_lo, s40
	s_delay_alu instid0(SALU_CYCLE_1)
	s_mov_b32 s40, exec_lo
	s_wait_loadcnt_dscnt 0x0
	s_barrier_signal -1
	s_barrier_wait -1
	global_inv scope:SCOPE_SE
                                        ; implicit-def: $vgpr71_vgpr72
	v_cmpx_lt_u32_e32 31, v0
	s_cbranch_execz .LBB23_102
; %bb.99:
	v_add_nc_u32_e32 v71, -8, v95
	v_max_num_f64_e32 v[73:74], v[69:70], v[69:70]
	v_cmp_u_f64_e64 s1, v[69:70], v[69:70]
	ds_load_b64 v[71:72], v71
	s_wait_dscnt 0x0
	v_max_num_f64_e32 v[75:76], v[71:72], v[71:72]
	v_cmp_u_f64_e64 s0, v[71:72], v[71:72]
	s_delay_alu instid0(VALU_DEP_2) | instskip(SKIP_2) | instid1(VALU_DEP_2)
	v_min_num_f64_e32 v[97:98], v[75:76], v[73:74]
	v_max_num_f64_e32 v[73:74], v[75:76], v[73:74]
	s_wait_alu 0xf1ff
	v_cndmask_b32_e64 v75, v97, v71, s0
	s_delay_alu instid0(VALU_DEP_3) | instskip(NEXT) | instid1(VALU_DEP_3)
	v_cndmask_b32_e64 v76, v98, v72, s0
	v_cndmask_b32_e64 v74, v74, v72, s0
	s_delay_alu instid0(VALU_DEP_4) | instskip(NEXT) | instid1(VALU_DEP_4)
	v_cndmask_b32_e64 v73, v73, v71, s0
	v_cndmask_b32_e64 v75, v75, v69, s1
	s_delay_alu instid0(VALU_DEP_4) | instskip(NEXT) | instid1(VALU_DEP_4)
	v_cndmask_b32_e64 v76, v76, v70, s1
	v_cndmask_b32_e64 v74, v74, v70, s1
	s_delay_alu instid0(VALU_DEP_4) | instskip(SKIP_1) | instid1(VALU_DEP_4)
	v_cndmask_b32_e64 v73, v73, v69, s1
	v_dual_mov_b32 v69, v71 :: v_dual_mov_b32 v70, v72
	v_cmp_class_f64_e64 s1, v[75:76], 0x1f8
	s_delay_alu instid0(VALU_DEP_3)
	v_cmp_neq_f64_e64 s0, v[75:76], v[73:74]
	s_or_b32 s0, s0, s1
	s_wait_alu 0xfffe
	s_and_saveexec_b32 s41, s0
	s_cbranch_execz .LBB23_101
; %bb.100:
	v_add_f64_e64 v[69:70], v[75:76], -v[73:74]
	s_mov_b32 s0, 0x652b82fe
	s_mov_b32 s1, 0x3ff71547
	;; [unrolled: 1-line block ×10, first 2 shown]
	s_wait_alu 0xfffe
	s_delay_alu instid0(VALU_DEP_1) | instskip(SKIP_2) | instid1(VALU_DEP_1)
	v_mul_f64_e32 v[75:76], s[0:1], v[69:70]
	s_mov_b32 s0, 0xfca7ab0c
	s_mov_b32 s1, 0x3e928af3
	v_rndne_f64_e32 v[75:76], v[75:76]
	s_delay_alu instid0(VALU_DEP_1) | instskip(SKIP_2) | instid1(VALU_DEP_2)
	v_fma_f64 v[97:98], v[75:76], s[34:35], v[69:70]
	v_cvt_i32_f64_e32 v95, v[75:76]
	s_mov_b32 s35, 0x3fe62e42
	v_fma_f64 v[97:98], v[75:76], s[38:39], v[97:98]
	s_mov_b32 s39, 0x3c7abc9e
	s_wait_alu 0xfffe
	s_delay_alu instid0(VALU_DEP_1)
	v_fma_f64 v[99:100], v[97:98], s[42:43], s[0:1]
	s_mov_b32 s0, 0x623fde64
	s_mov_b32 s1, 0x3ec71dee
	;; [unrolled: 1-line block ×4, first 2 shown]
	s_wait_alu 0xfffe
	s_delay_alu instid0(VALU_DEP_1) | instskip(SKIP_3) | instid1(VALU_DEP_1)
	v_fma_f64 v[99:100], v[97:98], v[99:100], s[0:1]
	s_mov_b32 s0, 0x7c89e6b0
	s_mov_b32 s1, 0x3efa0199
	s_wait_alu 0xfffe
	v_fma_f64 v[99:100], v[97:98], v[99:100], s[0:1]
	s_mov_b32 s0, 0x14761f6e
	s_mov_b32 s1, 0x3f2a01a0
	s_wait_alu 0xfffe
	s_delay_alu instid0(VALU_DEP_1) | instskip(SKIP_3) | instid1(VALU_DEP_1)
	v_fma_f64 v[99:100], v[97:98], v[99:100], s[0:1]
	s_mov_b32 s0, 0x1852b7b0
	s_mov_b32 s1, 0x3f56c16c
	s_wait_alu 0xfffe
	v_fma_f64 v[99:100], v[97:98], v[99:100], s[0:1]
	s_mov_b32 s0, 0x11122322
	s_mov_b32 s1, 0x3f811111
	;; [unrolled: 9-line block ×3, first 2 shown]
	s_wait_alu 0xfffe
	s_delay_alu instid0(VALU_DEP_1) | instskip(SKIP_3) | instid1(VALU_DEP_1)
	v_fma_f64 v[99:100], v[97:98], v[99:100], s[0:1]
	s_mov_b32 s0, 11
	s_mov_b32 s1, 0x3fe00000
	s_wait_alu 0xfffe
	v_fma_f64 v[99:100], v[97:98], v[99:100], s[0:1]
	v_cmp_nlt_f64_e64 s0, 0x40900000, v[69:70]
	v_cmp_ngt_f64_e64 s1, 0xc090cc00, v[69:70]
	s_delay_alu instid0(VALU_DEP_3) | instskip(NEXT) | instid1(VALU_DEP_1)
	v_fma_f64 v[99:100], v[97:98], v[99:100], 1.0
	v_fma_f64 v[75:76], v[97:98], v[99:100], 1.0
	s_delay_alu instid0(VALU_DEP_1) | instskip(SKIP_1) | instid1(VALU_DEP_1)
	v_ldexp_f64 v[75:76], v[75:76], v95
	s_wait_alu 0xf1ff
	v_cndmask_b32_e64 v76, 0x7ff00000, v76, s0
	s_and_b32 s0, s1, s0
	s_wait_alu 0xfffe
	s_delay_alu instid0(VALU_DEP_2) | instskip(SKIP_3) | instid1(VALU_DEP_1)
	v_cndmask_b32_e64 v69, 0, v75, s0
	s_mov_b32 s0, 0x55555555
	v_cndmask_b32_e64 v70, 0, v76, s1
	s_mov_b32 s1, 0x3fe55555
	v_add_f64_e32 v[75:76], 1.0, v[69:70]
	s_delay_alu instid0(VALU_DEP_1) | instskip(SKIP_3) | instid1(VALU_DEP_3)
	v_frexp_mant_f64_e32 v[97:98], v[75:76]
	v_frexp_exp_i32_f64_e32 v95, v[75:76]
	v_add_f64_e32 v[99:100], -1.0, v[75:76]
	s_wait_alu 0xfffe
	v_cmp_gt_f64_e64 s0, s[0:1], v[97:98]
	s_delay_alu instid0(VALU_DEP_2) | instskip(SKIP_2) | instid1(VALU_DEP_3)
	v_add_f64_e64 v[97:98], v[99:100], -v[75:76]
	v_add_f64_e64 v[99:100], v[69:70], -v[99:100]
	s_wait_alu 0xf1ff
	v_subrev_co_ci_u32_e64 v95, null, 0, v95, s0
	s_delay_alu instid0(VALU_DEP_3) | instskip(SKIP_1) | instid1(VALU_DEP_2)
	v_add_f64_e32 v[97:98], 1.0, v[97:98]
	s_mov_b32 s0, 0x55555780
	v_sub_nc_u32_e32 v103, 0, v95
	s_delay_alu instid0(VALU_DEP_1) | instskip(NEXT) | instid1(VALU_DEP_3)
	v_ldexp_f64 v[75:76], v[75:76], v103
	v_add_f64_e32 v[97:98], v[99:100], v[97:98]
	s_delay_alu instid0(VALU_DEP_2) | instskip(SKIP_1) | instid1(VALU_DEP_3)
	v_add_f64_e32 v[101:102], 1.0, v[75:76]
	v_add_f64_e32 v[107:108], -1.0, v[75:76]
	v_ldexp_f64 v[97:98], v[97:98], v103
	s_delay_alu instid0(VALU_DEP_3) | instskip(NEXT) | instid1(VALU_DEP_3)
	v_add_f64_e32 v[99:100], -1.0, v[101:102]
	v_add_f64_e32 v[109:110], 1.0, v[107:108]
	s_delay_alu instid0(VALU_DEP_2) | instskip(NEXT) | instid1(VALU_DEP_2)
	v_add_f64_e64 v[99:100], v[75:76], -v[99:100]
	v_add_f64_e64 v[75:76], v[75:76], -v[109:110]
	s_delay_alu instid0(VALU_DEP_2) | instskip(NEXT) | instid1(VALU_DEP_2)
	v_add_f64_e32 v[99:100], v[97:98], v[99:100]
	v_add_f64_e32 v[75:76], v[97:98], v[75:76]
	s_delay_alu instid0(VALU_DEP_2) | instskip(NEXT) | instid1(VALU_DEP_2)
	v_add_f64_e32 v[103:104], v[101:102], v[99:100]
	v_add_f64_e32 v[109:110], v[107:108], v[75:76]
	s_delay_alu instid0(VALU_DEP_2) | instskip(SKIP_1) | instid1(VALU_DEP_2)
	v_rcp_f64_e32 v[105:106], v[103:104]
	v_add_f64_e64 v[101:102], v[103:104], -v[101:102]
	v_add_f64_e64 v[107:108], v[109:110], -v[107:108]
	s_delay_alu instid0(VALU_DEP_2) | instskip(NEXT) | instid1(TRANS32_DEP_1)
	v_add_f64_e64 v[99:100], v[99:100], -v[101:102]
	v_fma_f64 v[111:112], -v[103:104], v[105:106], 1.0
	s_delay_alu instid0(VALU_DEP_3) | instskip(NEXT) | instid1(VALU_DEP_2)
	v_add_f64_e64 v[75:76], v[75:76], -v[107:108]
	v_fma_f64 v[105:106], v[111:112], v[105:106], v[105:106]
	s_delay_alu instid0(VALU_DEP_1) | instskip(NEXT) | instid1(VALU_DEP_1)
	v_fma_f64 v[97:98], -v[103:104], v[105:106], 1.0
	v_fma_f64 v[97:98], v[97:98], v[105:106], v[105:106]
	s_delay_alu instid0(VALU_DEP_1) | instskip(NEXT) | instid1(VALU_DEP_1)
	v_mul_f64_e32 v[105:106], v[109:110], v[97:98]
	v_mul_f64_e32 v[111:112], v[103:104], v[105:106]
	s_delay_alu instid0(VALU_DEP_1) | instskip(NEXT) | instid1(VALU_DEP_1)
	v_fma_f64 v[101:102], v[105:106], v[103:104], -v[111:112]
	v_fma_f64 v[101:102], v[105:106], v[99:100], v[101:102]
	s_delay_alu instid0(VALU_DEP_1) | instskip(NEXT) | instid1(VALU_DEP_1)
	v_add_f64_e32 v[113:114], v[111:112], v[101:102]
	v_add_f64_e64 v[115:116], v[109:110], -v[113:114]
	v_add_f64_e64 v[107:108], v[113:114], -v[111:112]
	s_delay_alu instid0(VALU_DEP_2) | instskip(NEXT) | instid1(VALU_DEP_2)
	v_add_f64_e64 v[109:110], v[109:110], -v[115:116]
	v_add_f64_e64 v[101:102], v[107:108], -v[101:102]
	s_delay_alu instid0(VALU_DEP_2) | instskip(NEXT) | instid1(VALU_DEP_1)
	v_add_f64_e64 v[109:110], v[109:110], -v[113:114]
	v_add_f64_e32 v[75:76], v[75:76], v[109:110]
	s_delay_alu instid0(VALU_DEP_1) | instskip(NEXT) | instid1(VALU_DEP_1)
	v_add_f64_e32 v[75:76], v[101:102], v[75:76]
	v_add_f64_e32 v[101:102], v[115:116], v[75:76]
	s_delay_alu instid0(VALU_DEP_1) | instskip(SKIP_1) | instid1(VALU_DEP_2)
	v_mul_f64_e32 v[107:108], v[97:98], v[101:102]
	v_add_f64_e64 v[113:114], v[115:116], -v[101:102]
	v_mul_f64_e32 v[109:110], v[103:104], v[107:108]
	s_delay_alu instid0(VALU_DEP_2) | instskip(NEXT) | instid1(VALU_DEP_2)
	v_add_f64_e32 v[75:76], v[75:76], v[113:114]
	v_fma_f64 v[103:104], v[107:108], v[103:104], -v[109:110]
	s_delay_alu instid0(VALU_DEP_1) | instskip(NEXT) | instid1(VALU_DEP_1)
	v_fma_f64 v[99:100], v[107:108], v[99:100], v[103:104]
	v_add_f64_e32 v[103:104], v[109:110], v[99:100]
	s_delay_alu instid0(VALU_DEP_1) | instskip(SKIP_1) | instid1(VALU_DEP_2)
	v_add_f64_e64 v[111:112], v[101:102], -v[103:104]
	v_add_f64_e64 v[109:110], v[103:104], -v[109:110]
	;; [unrolled: 1-line block ×3, first 2 shown]
	s_delay_alu instid0(VALU_DEP_2) | instskip(NEXT) | instid1(VALU_DEP_2)
	v_add_f64_e64 v[99:100], v[109:110], -v[99:100]
	v_add_f64_e64 v[101:102], v[101:102], -v[103:104]
	s_delay_alu instid0(VALU_DEP_1) | instskip(SKIP_1) | instid1(VALU_DEP_2)
	v_add_f64_e32 v[75:76], v[75:76], v[101:102]
	v_add_f64_e32 v[101:102], v[105:106], v[107:108]
	;; [unrolled: 1-line block ×3, first 2 shown]
	s_delay_alu instid0(VALU_DEP_2) | instskip(NEXT) | instid1(VALU_DEP_2)
	v_add_f64_e64 v[99:100], v[101:102], -v[105:106]
	v_add_f64_e32 v[75:76], v[111:112], v[75:76]
	s_delay_alu instid0(VALU_DEP_2) | instskip(NEXT) | instid1(VALU_DEP_2)
	v_add_f64_e64 v[99:100], v[107:108], -v[99:100]
	v_mul_f64_e32 v[75:76], v[97:98], v[75:76]
	s_delay_alu instid0(VALU_DEP_1) | instskip(NEXT) | instid1(VALU_DEP_1)
	v_add_f64_e32 v[75:76], v[99:100], v[75:76]
	v_add_f64_e32 v[97:98], v[101:102], v[75:76]
	s_delay_alu instid0(VALU_DEP_1) | instskip(NEXT) | instid1(VALU_DEP_1)
	v_mul_f64_e32 v[99:100], v[97:98], v[97:98]
	v_fma_f64 v[103:104], v[99:100], s[44:45], s[42:43]
	s_mov_b32 s42, 0xd7f4df2e
	s_mov_b32 s43, 0x3fc7474d
	v_mul_f64_e32 v[105:106], v[97:98], v[99:100]
	s_wait_alu 0xfffe
	s_delay_alu instid0(VALU_DEP_2) | instskip(SKIP_3) | instid1(VALU_DEP_1)
	v_fma_f64 v[103:104], v[99:100], v[103:104], s[42:43]
	s_mov_b32 s42, 0x16291751
	s_mov_b32 s43, 0x3fcc71c0
	s_wait_alu 0xfffe
	v_fma_f64 v[103:104], v[99:100], v[103:104], s[42:43]
	s_mov_b32 s42, 0x9b27acf1
	s_mov_b32 s43, 0x3fd24924
	s_wait_alu 0xfffe
	s_delay_alu instid0(VALU_DEP_1) | instskip(SKIP_3) | instid1(VALU_DEP_1)
	v_fma_f64 v[103:104], v[99:100], v[103:104], s[42:43]
	s_mov_b32 s42, 0x998ef7b6
	s_mov_b32 s43, 0x3fd99999
	s_wait_alu 0xfffe
	v_fma_f64 v[103:104], v[99:100], v[103:104], s[42:43]
	s_delay_alu instid0(VALU_DEP_1)
	v_fma_f64 v[99:100], v[99:100], v[103:104], s[0:1]
	v_ldexp_f64 v[103:104], v[97:98], 1
	v_add_f64_e64 v[97:98], v[97:98], -v[101:102]
	v_cmp_nge_f64_e64 s0, -1.0, v[69:70]
	v_cmp_neq_f64_e64 s1, 0x7ff00000, v[69:70]
	v_mul_f64_e32 v[99:100], v[105:106], v[99:100]
	v_cvt_f64_i32_e32 v[105:106], v95
	v_add_f64_e64 v[75:76], v[75:76], -v[97:98]
	s_and_b32 s0, s0, s1
	s_delay_alu instid0(VALU_DEP_3) | instskip(NEXT) | instid1(VALU_DEP_3)
	v_add_f64_e32 v[101:102], v[103:104], v[99:100]
	v_mul_f64_e32 v[107:108], s[34:35], v[105:106]
	s_delay_alu instid0(VALU_DEP_3) | instskip(NEXT) | instid1(VALU_DEP_3)
	v_ldexp_f64 v[75:76], v[75:76], 1
	v_add_f64_e64 v[97:98], v[101:102], -v[103:104]
	s_delay_alu instid0(VALU_DEP_3) | instskip(SKIP_1) | instid1(VALU_DEP_3)
	v_fma_f64 v[103:104], v[105:106], s[34:35], -v[107:108]
	v_cmp_ngt_f64_e64 s34, -1.0, v[69:70]
	v_add_f64_e64 v[97:98], v[99:100], -v[97:98]
	s_delay_alu instid0(VALU_DEP_3) | instskip(NEXT) | instid1(VALU_DEP_2)
	v_fma_f64 v[99:100], v[105:106], s[38:39], v[103:104]
	v_add_f64_e32 v[75:76], v[75:76], v[97:98]
	s_delay_alu instid0(VALU_DEP_2) | instskip(NEXT) | instid1(VALU_DEP_2)
	v_add_f64_e32 v[97:98], v[107:108], v[99:100]
	v_add_f64_e32 v[103:104], v[101:102], v[75:76]
	s_delay_alu instid0(VALU_DEP_2) | instskip(NEXT) | instid1(VALU_DEP_2)
	v_add_f64_e64 v[107:108], v[97:98], -v[107:108]
	v_add_f64_e32 v[105:106], v[97:98], v[103:104]
	v_add_f64_e64 v[101:102], v[103:104], -v[101:102]
	s_delay_alu instid0(VALU_DEP_3) | instskip(NEXT) | instid1(VALU_DEP_3)
	v_add_f64_e64 v[99:100], v[99:100], -v[107:108]
	v_add_f64_e64 v[109:110], v[105:106], -v[97:98]
	s_delay_alu instid0(VALU_DEP_3) | instskip(NEXT) | instid1(VALU_DEP_2)
	v_add_f64_e64 v[75:76], v[75:76], -v[101:102]
	v_add_f64_e64 v[111:112], v[105:106], -v[109:110]
	;; [unrolled: 1-line block ×3, first 2 shown]
	s_delay_alu instid0(VALU_DEP_3) | instskip(NEXT) | instid1(VALU_DEP_3)
	v_add_f64_e32 v[103:104], v[99:100], v[75:76]
	v_add_f64_e64 v[97:98], v[97:98], -v[111:112]
	s_delay_alu instid0(VALU_DEP_1) | instskip(NEXT) | instid1(VALU_DEP_3)
	v_add_f64_e32 v[97:98], v[101:102], v[97:98]
	v_add_f64_e64 v[101:102], v[103:104], -v[99:100]
	s_delay_alu instid0(VALU_DEP_2) | instskip(NEXT) | instid1(VALU_DEP_2)
	v_add_f64_e32 v[97:98], v[103:104], v[97:98]
	v_add_f64_e64 v[103:104], v[103:104], -v[101:102]
	v_add_f64_e64 v[75:76], v[75:76], -v[101:102]
	s_delay_alu instid0(VALU_DEP_3) | instskip(NEXT) | instid1(VALU_DEP_3)
	v_add_f64_e32 v[107:108], v[105:106], v[97:98]
	v_add_f64_e64 v[99:100], v[99:100], -v[103:104]
	s_delay_alu instid0(VALU_DEP_2) | instskip(NEXT) | instid1(VALU_DEP_2)
	v_add_f64_e64 v[101:102], v[107:108], -v[105:106]
	v_add_f64_e32 v[75:76], v[75:76], v[99:100]
	s_delay_alu instid0(VALU_DEP_2) | instskip(NEXT) | instid1(VALU_DEP_1)
	v_add_f64_e64 v[97:98], v[97:98], -v[101:102]
	v_add_f64_e32 v[75:76], v[75:76], v[97:98]
	s_delay_alu instid0(VALU_DEP_1) | instskip(SKIP_1) | instid1(VALU_DEP_1)
	v_add_f64_e32 v[75:76], v[107:108], v[75:76]
	s_wait_alu 0xfffe
	v_cndmask_b32_e64 v75, 0, v75, s0
	v_cmp_neq_f64_e64 s0, -1.0, v[69:70]
	s_delay_alu instid0(VALU_DEP_3) | instskip(SKIP_1) | instid1(VALU_DEP_1)
	v_cndmask_b32_e64 v76, 0x7ff00000, v76, s1
	s_wait_alu 0xf1ff
	v_cndmask_b32_e64 v76, 0x7ff80000, v76, s34
	s_delay_alu instid0(VALU_DEP_1) | instskip(NEXT) | instid1(VALU_DEP_1)
	v_cndmask_b32_e64 v76, 0xfff00000, v76, s0
	v_add_f64_e32 v[69:70], v[73:74], v[75:76]
.LBB23_101:
	s_wait_alu 0xfffe
	s_or_b32 exec_lo, exec_lo, s41
.LBB23_102:
	s_wait_alu 0xfffe
	s_or_b32 exec_lo, exec_lo, s40
	v_add_nc_u32_e32 v73, -1, v96
	s_mov_b32 s40, exec_lo
	s_delay_alu instid0(VALU_DEP_1) | instskip(SKIP_1) | instid1(VALU_DEP_1)
	v_cmp_gt_i32_e64 s0, 0, v73
	s_wait_alu 0xf1ff
	v_cndmask_b32_e64 v73, v73, v96, s0
	s_delay_alu instid0(VALU_DEP_1)
	v_lshlrev_b32_e32 v73, 2, v73
	ds_bpermute_b32 v69, v73, v69
	ds_bpermute_b32 v70, v73, v70
	v_cmpx_ne_u32_e32 0, v0
	s_cbranch_execz .LBB23_106
; %bb.103:
	v_cmp_eq_u32_e64 s0, 0, v96
	s_wait_dscnt 0x0
	s_wait_alu 0xf1ff
	s_delay_alu instid0(VALU_DEP_1) | instskip(SKIP_1) | instid1(VALU_DEP_1)
	v_cndmask_b32_e64 v70, v70, v72, s0
	v_cndmask_b32_e64 v69, v69, v71, s0
	v_max_num_f64_e32 v[65:66], v[69:70], v[69:70]
	v_cmp_u_f64_e64 s0, v[69:70], v[69:70]
	s_delay_alu instid0(VALU_DEP_2) | instskip(SKIP_2) | instid1(VALU_DEP_2)
	v_min_num_f64_e32 v[67:68], v[65:66], v[63:64]
	v_max_num_f64_e32 v[63:64], v[65:66], v[63:64]
	s_wait_alu 0xf1ff
	v_cndmask_b32_e64 v0, v68, v70, s0
	s_delay_alu instid0(VALU_DEP_3) | instskip(NEXT) | instid1(VALU_DEP_3)
	v_cndmask_b32_e64 v65, v67, v69, s0
	v_cndmask_b32_e64 v66, v64, v70, s0
	s_delay_alu instid0(VALU_DEP_4) | instskip(NEXT) | instid1(VALU_DEP_4)
	v_cndmask_b32_e64 v67, v63, v69, s0
	v_cndmask_b32_e64 v64, v0, v2, s33
	s_delay_alu instid0(VALU_DEP_4) | instskip(NEXT) | instid1(VALU_DEP_4)
	v_cndmask_b32_e64 v63, v65, v1, s33
	v_cndmask_b32_e64 v2, v66, v2, s33
	s_delay_alu instid0(VALU_DEP_4) | instskip(NEXT) | instid1(VALU_DEP_3)
	v_cndmask_b32_e64 v1, v67, v1, s33
	v_cmp_class_f64_e64 s1, v[63:64], 0x1f8
	s_delay_alu instid0(VALU_DEP_2)
	v_cmp_neq_f64_e64 s0, v[63:64], v[1:2]
	s_or_b32 s0, s0, s1
	s_wait_alu 0xfffe
	s_and_saveexec_b32 s41, s0
	s_cbranch_execz .LBB23_105
; %bb.104:
	v_add_f64_e64 v[63:64], v[63:64], -v[1:2]
	s_mov_b32 s0, 0x652b82fe
	s_mov_b32 s1, 0x3ff71547
	;; [unrolled: 1-line block ×10, first 2 shown]
	s_wait_alu 0xfffe
	s_delay_alu instid0(VALU_DEP_1) | instskip(SKIP_2) | instid1(VALU_DEP_1)
	v_mul_f64_e32 v[65:66], s[0:1], v[63:64]
	s_mov_b32 s0, 0xfca7ab0c
	s_mov_b32 s1, 0x3e928af3
	v_rndne_f64_e32 v[65:66], v[65:66]
	s_delay_alu instid0(VALU_DEP_1) | instskip(SKIP_2) | instid1(VALU_DEP_2)
	v_fma_f64 v[67:68], v[65:66], s[34:35], v[63:64]
	v_cvt_i32_f64_e32 v0, v[65:66]
	s_mov_b32 s35, 0x3fe62e42
	v_fma_f64 v[67:68], v[65:66], s[38:39], v[67:68]
	s_mov_b32 s39, 0x3c7abc9e
	s_wait_alu 0xfffe
	s_delay_alu instid0(VALU_DEP_1)
	v_fma_f64 v[69:70], v[67:68], s[42:43], s[0:1]
	s_mov_b32 s0, 0x623fde64
	s_mov_b32 s1, 0x3ec71dee
	;; [unrolled: 1-line block ×4, first 2 shown]
	s_wait_alu 0xfffe
	s_delay_alu instid0(VALU_DEP_1) | instskip(SKIP_3) | instid1(VALU_DEP_1)
	v_fma_f64 v[69:70], v[67:68], v[69:70], s[0:1]
	s_mov_b32 s0, 0x7c89e6b0
	s_mov_b32 s1, 0x3efa0199
	s_wait_alu 0xfffe
	v_fma_f64 v[69:70], v[67:68], v[69:70], s[0:1]
	s_mov_b32 s0, 0x14761f6e
	s_mov_b32 s1, 0x3f2a01a0
	s_wait_alu 0xfffe
	s_delay_alu instid0(VALU_DEP_1) | instskip(SKIP_3) | instid1(VALU_DEP_1)
	v_fma_f64 v[69:70], v[67:68], v[69:70], s[0:1]
	s_mov_b32 s0, 0x1852b7b0
	s_mov_b32 s1, 0x3f56c16c
	s_wait_alu 0xfffe
	v_fma_f64 v[69:70], v[67:68], v[69:70], s[0:1]
	s_mov_b32 s0, 0x11122322
	s_mov_b32 s1, 0x3f811111
	;; [unrolled: 9-line block ×3, first 2 shown]
	s_wait_alu 0xfffe
	s_delay_alu instid0(VALU_DEP_1) | instskip(SKIP_3) | instid1(VALU_DEP_1)
	v_fma_f64 v[69:70], v[67:68], v[69:70], s[0:1]
	s_mov_b32 s0, 11
	s_mov_b32 s1, 0x3fe00000
	s_wait_alu 0xfffe
	v_fma_f64 v[69:70], v[67:68], v[69:70], s[0:1]
	v_cmp_nlt_f64_e64 s0, 0x40900000, v[63:64]
	v_cmp_ngt_f64_e64 s1, 0xc090cc00, v[63:64]
	s_delay_alu instid0(VALU_DEP_3) | instskip(NEXT) | instid1(VALU_DEP_1)
	v_fma_f64 v[69:70], v[67:68], v[69:70], 1.0
	v_fma_f64 v[65:66], v[67:68], v[69:70], 1.0
	s_delay_alu instid0(VALU_DEP_1) | instskip(SKIP_1) | instid1(VALU_DEP_1)
	v_ldexp_f64 v[65:66], v[65:66], v0
	s_wait_alu 0xf1ff
	v_cndmask_b32_e64 v0, 0x7ff00000, v66, s0
	s_and_b32 s0, s1, s0
	s_wait_alu 0xfffe
	s_delay_alu instid0(VALU_DEP_2) | instskip(SKIP_3) | instid1(VALU_DEP_1)
	v_cndmask_b32_e64 v63, 0, v65, s0
	s_mov_b32 s0, 0x55555555
	v_cndmask_b32_e64 v64, 0, v0, s1
	s_mov_b32 s1, 0x3fe55555
	v_add_f64_e32 v[65:66], 1.0, v[63:64]
	v_cmp_ngt_f64_e64 s33, -1.0, v[63:64]
	s_delay_alu instid0(VALU_DEP_2) | instskip(SKIP_3) | instid1(VALU_DEP_3)
	v_frexp_mant_f64_e32 v[67:68], v[65:66]
	v_frexp_exp_i32_f64_e32 v0, v[65:66]
	v_add_f64_e32 v[69:70], -1.0, v[65:66]
	s_wait_alu 0xfffe
	v_cmp_gt_f64_e64 s0, s[0:1], v[67:68]
	s_delay_alu instid0(VALU_DEP_2) | instskip(SKIP_2) | instid1(VALU_DEP_3)
	v_add_f64_e64 v[67:68], v[69:70], -v[65:66]
	v_add_f64_e64 v[69:70], v[63:64], -v[69:70]
	s_wait_alu 0xf1ff
	v_subrev_co_ci_u32_e64 v0, null, 0, v0, s0
	s_delay_alu instid0(VALU_DEP_3) | instskip(SKIP_1) | instid1(VALU_DEP_2)
	v_add_f64_e32 v[67:68], 1.0, v[67:68]
	s_mov_b32 s0, 0x55555780
	v_sub_nc_u32_e32 v73, 0, v0
	s_delay_alu instid0(VALU_DEP_1) | instskip(NEXT) | instid1(VALU_DEP_3)
	v_ldexp_f64 v[65:66], v[65:66], v73
	v_add_f64_e32 v[67:68], v[69:70], v[67:68]
	s_delay_alu instid0(VALU_DEP_2) | instskip(SKIP_1) | instid1(VALU_DEP_3)
	v_add_f64_e32 v[71:72], 1.0, v[65:66]
	v_add_f64_e32 v[95:96], -1.0, v[65:66]
	v_ldexp_f64 v[67:68], v[67:68], v73
	s_delay_alu instid0(VALU_DEP_3) | instskip(NEXT) | instid1(VALU_DEP_3)
	v_add_f64_e32 v[69:70], -1.0, v[71:72]
	v_add_f64_e32 v[97:98], 1.0, v[95:96]
	s_delay_alu instid0(VALU_DEP_2) | instskip(NEXT) | instid1(VALU_DEP_2)
	v_add_f64_e64 v[69:70], v[65:66], -v[69:70]
	v_add_f64_e64 v[65:66], v[65:66], -v[97:98]
	s_delay_alu instid0(VALU_DEP_2) | instskip(NEXT) | instid1(VALU_DEP_2)
	v_add_f64_e32 v[69:70], v[67:68], v[69:70]
	v_add_f64_e32 v[65:66], v[67:68], v[65:66]
	s_delay_alu instid0(VALU_DEP_2) | instskip(NEXT) | instid1(VALU_DEP_2)
	v_add_f64_e32 v[73:74], v[71:72], v[69:70]
	v_add_f64_e32 v[97:98], v[95:96], v[65:66]
	s_delay_alu instid0(VALU_DEP_2) | instskip(SKIP_1) | instid1(VALU_DEP_2)
	v_rcp_f64_e32 v[75:76], v[73:74]
	v_add_f64_e64 v[71:72], v[73:74], -v[71:72]
	v_add_f64_e64 v[95:96], v[97:98], -v[95:96]
	s_delay_alu instid0(VALU_DEP_2) | instskip(NEXT) | instid1(TRANS32_DEP_1)
	v_add_f64_e64 v[69:70], v[69:70], -v[71:72]
	v_fma_f64 v[99:100], -v[73:74], v[75:76], 1.0
	s_delay_alu instid0(VALU_DEP_3) | instskip(NEXT) | instid1(VALU_DEP_2)
	v_add_f64_e64 v[65:66], v[65:66], -v[95:96]
	v_fma_f64 v[75:76], v[99:100], v[75:76], v[75:76]
	s_delay_alu instid0(VALU_DEP_1) | instskip(NEXT) | instid1(VALU_DEP_1)
	v_fma_f64 v[67:68], -v[73:74], v[75:76], 1.0
	v_fma_f64 v[67:68], v[67:68], v[75:76], v[75:76]
	s_delay_alu instid0(VALU_DEP_1) | instskip(NEXT) | instid1(VALU_DEP_1)
	v_mul_f64_e32 v[75:76], v[97:98], v[67:68]
	v_mul_f64_e32 v[99:100], v[73:74], v[75:76]
	s_delay_alu instid0(VALU_DEP_1) | instskip(NEXT) | instid1(VALU_DEP_1)
	v_fma_f64 v[71:72], v[75:76], v[73:74], -v[99:100]
	v_fma_f64 v[71:72], v[75:76], v[69:70], v[71:72]
	s_delay_alu instid0(VALU_DEP_1) | instskip(NEXT) | instid1(VALU_DEP_1)
	v_add_f64_e32 v[101:102], v[99:100], v[71:72]
	v_add_f64_e64 v[103:104], v[97:98], -v[101:102]
	v_add_f64_e64 v[95:96], v[101:102], -v[99:100]
	s_delay_alu instid0(VALU_DEP_2) | instskip(NEXT) | instid1(VALU_DEP_2)
	v_add_f64_e64 v[97:98], v[97:98], -v[103:104]
	v_add_f64_e64 v[71:72], v[95:96], -v[71:72]
	s_delay_alu instid0(VALU_DEP_2) | instskip(NEXT) | instid1(VALU_DEP_1)
	v_add_f64_e64 v[97:98], v[97:98], -v[101:102]
	v_add_f64_e32 v[65:66], v[65:66], v[97:98]
	s_delay_alu instid0(VALU_DEP_1) | instskip(NEXT) | instid1(VALU_DEP_1)
	v_add_f64_e32 v[65:66], v[71:72], v[65:66]
	v_add_f64_e32 v[71:72], v[103:104], v[65:66]
	s_delay_alu instid0(VALU_DEP_1) | instskip(SKIP_1) | instid1(VALU_DEP_2)
	v_mul_f64_e32 v[95:96], v[67:68], v[71:72]
	v_add_f64_e64 v[101:102], v[103:104], -v[71:72]
	v_mul_f64_e32 v[97:98], v[73:74], v[95:96]
	s_delay_alu instid0(VALU_DEP_2) | instskip(NEXT) | instid1(VALU_DEP_2)
	v_add_f64_e32 v[65:66], v[65:66], v[101:102]
	v_fma_f64 v[73:74], v[95:96], v[73:74], -v[97:98]
	s_delay_alu instid0(VALU_DEP_1) | instskip(NEXT) | instid1(VALU_DEP_1)
	v_fma_f64 v[69:70], v[95:96], v[69:70], v[73:74]
	v_add_f64_e32 v[73:74], v[97:98], v[69:70]
	s_delay_alu instid0(VALU_DEP_1) | instskip(SKIP_1) | instid1(VALU_DEP_2)
	v_add_f64_e64 v[99:100], v[71:72], -v[73:74]
	v_add_f64_e64 v[97:98], v[73:74], -v[97:98]
	v_add_f64_e64 v[71:72], v[71:72], -v[99:100]
	s_delay_alu instid0(VALU_DEP_2) | instskip(NEXT) | instid1(VALU_DEP_2)
	v_add_f64_e64 v[69:70], v[97:98], -v[69:70]
	v_add_f64_e64 v[71:72], v[71:72], -v[73:74]
	s_delay_alu instid0(VALU_DEP_1) | instskip(SKIP_1) | instid1(VALU_DEP_2)
	v_add_f64_e32 v[65:66], v[65:66], v[71:72]
	v_add_f64_e32 v[71:72], v[75:76], v[95:96]
	;; [unrolled: 1-line block ×3, first 2 shown]
	s_delay_alu instid0(VALU_DEP_2) | instskip(NEXT) | instid1(VALU_DEP_2)
	v_add_f64_e64 v[69:70], v[71:72], -v[75:76]
	v_add_f64_e32 v[65:66], v[99:100], v[65:66]
	s_delay_alu instid0(VALU_DEP_2) | instskip(NEXT) | instid1(VALU_DEP_2)
	v_add_f64_e64 v[69:70], v[95:96], -v[69:70]
	v_mul_f64_e32 v[65:66], v[67:68], v[65:66]
	s_delay_alu instid0(VALU_DEP_1) | instskip(NEXT) | instid1(VALU_DEP_1)
	v_add_f64_e32 v[65:66], v[69:70], v[65:66]
	v_add_f64_e32 v[67:68], v[71:72], v[65:66]
	s_delay_alu instid0(VALU_DEP_1) | instskip(NEXT) | instid1(VALU_DEP_1)
	v_mul_f64_e32 v[69:70], v[67:68], v[67:68]
	v_fma_f64 v[73:74], v[69:70], s[44:45], s[42:43]
	s_mov_b32 s42, 0xd7f4df2e
	s_mov_b32 s43, 0x3fc7474d
	v_mul_f64_e32 v[75:76], v[67:68], v[69:70]
	s_wait_alu 0xfffe
	s_delay_alu instid0(VALU_DEP_2) | instskip(SKIP_3) | instid1(VALU_DEP_1)
	v_fma_f64 v[73:74], v[69:70], v[73:74], s[42:43]
	s_mov_b32 s42, 0x16291751
	s_mov_b32 s43, 0x3fcc71c0
	s_wait_alu 0xfffe
	v_fma_f64 v[73:74], v[69:70], v[73:74], s[42:43]
	s_mov_b32 s42, 0x9b27acf1
	s_mov_b32 s43, 0x3fd24924
	s_wait_alu 0xfffe
	s_delay_alu instid0(VALU_DEP_1) | instskip(SKIP_3) | instid1(VALU_DEP_1)
	v_fma_f64 v[73:74], v[69:70], v[73:74], s[42:43]
	s_mov_b32 s42, 0x998ef7b6
	s_mov_b32 s43, 0x3fd99999
	s_wait_alu 0xfffe
	v_fma_f64 v[73:74], v[69:70], v[73:74], s[42:43]
	s_delay_alu instid0(VALU_DEP_1)
	v_fma_f64 v[69:70], v[69:70], v[73:74], s[0:1]
	v_ldexp_f64 v[73:74], v[67:68], 1
	v_add_f64_e64 v[67:68], v[67:68], -v[71:72]
	v_cmp_nge_f64_e64 s0, -1.0, v[63:64]
	v_cmp_neq_f64_e64 s1, 0x7ff00000, v[63:64]
	v_mul_f64_e32 v[69:70], v[75:76], v[69:70]
	v_cvt_f64_i32_e32 v[75:76], v0
	v_add_f64_e64 v[65:66], v[65:66], -v[67:68]
	s_and_b32 s0, s0, s1
	s_delay_alu instid0(VALU_DEP_3) | instskip(NEXT) | instid1(VALU_DEP_3)
	v_add_f64_e32 v[71:72], v[73:74], v[69:70]
	v_mul_f64_e32 v[95:96], s[34:35], v[75:76]
	s_delay_alu instid0(VALU_DEP_3) | instskip(NEXT) | instid1(VALU_DEP_3)
	v_ldexp_f64 v[65:66], v[65:66], 1
	v_add_f64_e64 v[67:68], v[71:72], -v[73:74]
	s_delay_alu instid0(VALU_DEP_3) | instskip(NEXT) | instid1(VALU_DEP_2)
	v_fma_f64 v[73:74], v[75:76], s[34:35], -v[95:96]
	v_add_f64_e64 v[67:68], v[69:70], -v[67:68]
	s_delay_alu instid0(VALU_DEP_2) | instskip(NEXT) | instid1(VALU_DEP_2)
	v_fma_f64 v[69:70], v[75:76], s[38:39], v[73:74]
	v_add_f64_e32 v[65:66], v[65:66], v[67:68]
	s_delay_alu instid0(VALU_DEP_2) | instskip(NEXT) | instid1(VALU_DEP_2)
	v_add_f64_e32 v[67:68], v[95:96], v[69:70]
	v_add_f64_e32 v[73:74], v[71:72], v[65:66]
	s_delay_alu instid0(VALU_DEP_2) | instskip(NEXT) | instid1(VALU_DEP_2)
	v_add_f64_e64 v[95:96], v[67:68], -v[95:96]
	v_add_f64_e32 v[75:76], v[67:68], v[73:74]
	v_add_f64_e64 v[71:72], v[73:74], -v[71:72]
	s_delay_alu instid0(VALU_DEP_3) | instskip(NEXT) | instid1(VALU_DEP_3)
	v_add_f64_e64 v[69:70], v[69:70], -v[95:96]
	v_add_f64_e64 v[97:98], v[75:76], -v[67:68]
	s_delay_alu instid0(VALU_DEP_3) | instskip(NEXT) | instid1(VALU_DEP_2)
	v_add_f64_e64 v[65:66], v[65:66], -v[71:72]
	v_add_f64_e64 v[99:100], v[75:76], -v[97:98]
	;; [unrolled: 1-line block ×3, first 2 shown]
	s_delay_alu instid0(VALU_DEP_3) | instskip(NEXT) | instid1(VALU_DEP_3)
	v_add_f64_e32 v[73:74], v[69:70], v[65:66]
	v_add_f64_e64 v[67:68], v[67:68], -v[99:100]
	s_delay_alu instid0(VALU_DEP_1) | instskip(NEXT) | instid1(VALU_DEP_3)
	v_add_f64_e32 v[67:68], v[71:72], v[67:68]
	v_add_f64_e64 v[71:72], v[73:74], -v[69:70]
	s_delay_alu instid0(VALU_DEP_2) | instskip(NEXT) | instid1(VALU_DEP_2)
	v_add_f64_e32 v[67:68], v[73:74], v[67:68]
	v_add_f64_e64 v[73:74], v[73:74], -v[71:72]
	v_add_f64_e64 v[65:66], v[65:66], -v[71:72]
	s_delay_alu instid0(VALU_DEP_3) | instskip(NEXT) | instid1(VALU_DEP_3)
	v_add_f64_e32 v[95:96], v[75:76], v[67:68]
	v_add_f64_e64 v[69:70], v[69:70], -v[73:74]
	s_delay_alu instid0(VALU_DEP_2) | instskip(NEXT) | instid1(VALU_DEP_2)
	v_add_f64_e64 v[71:72], v[95:96], -v[75:76]
	v_add_f64_e32 v[65:66], v[65:66], v[69:70]
	s_delay_alu instid0(VALU_DEP_2) | instskip(NEXT) | instid1(VALU_DEP_1)
	v_add_f64_e64 v[67:68], v[67:68], -v[71:72]
	v_add_f64_e32 v[65:66], v[65:66], v[67:68]
	s_delay_alu instid0(VALU_DEP_1) | instskip(SKIP_1) | instid1(VALU_DEP_1)
	v_add_f64_e32 v[65:66], v[95:96], v[65:66]
	s_wait_alu 0xfffe
	v_cndmask_b32_e64 v65, 0, v65, s0
	v_cmp_neq_f64_e64 s0, -1.0, v[63:64]
	s_delay_alu instid0(VALU_DEP_3) | instskip(NEXT) | instid1(VALU_DEP_1)
	v_cndmask_b32_e64 v0, 0x7ff00000, v66, s1
	v_cndmask_b32_e64 v0, 0x7ff80000, v0, s33
	s_wait_alu 0xf1ff
	s_delay_alu instid0(VALU_DEP_1) | instskip(NEXT) | instid1(VALU_DEP_1)
	v_cndmask_b32_e64 v66, 0xfff00000, v0, s0
	v_add_f64_e32 v[69:70], v[1:2], v[65:66]
.LBB23_105:
	s_wait_alu 0xfffe
	s_or_b32 exec_lo, exec_lo, s41
	s_delay_alu instid0(VALU_DEP_1) | instskip(SKIP_1) | instid1(VALU_DEP_1)
	v_max_num_f64_e32 v[0:1], v[69:70], v[69:70]
	;;#ASMSTART
	;;#ASMEND
	v_min_num_f64_e32 v[65:66], v[0:1], v[35:36]
	v_max_num_f64_e32 v[67:68], v[0:1], v[35:36]
	v_dual_mov_b32 v1, v69 :: v_dual_mov_b32 v2, v70
.LBB23_106:
	s_wait_alu 0xfffe
	s_or_b32 exec_lo, exec_lo, s40
	s_delay_alu instid0(VALU_DEP_1) | instskip(SKIP_1) | instid1(VALU_DEP_1)
	v_cmp_u_f64_e64 s0, v[1:2], v[1:2]
	s_wait_alu 0xf1ff
	v_cndmask_b32_e64 v0, v65, v1, s0
	v_cndmask_b32_e64 v35, v66, v2, s0
	;; [unrolled: 1-line block ×4, first 2 shown]
	s_delay_alu instid0(VALU_DEP_4) | instskip(NEXT) | instid1(VALU_DEP_4)
	v_cndmask_b32_e64 v63, v0, v3, s17
	v_cndmask_b32_e64 v64, v35, v4, s17
	s_delay_alu instid0(VALU_DEP_4) | instskip(NEXT) | instid1(VALU_DEP_4)
	v_cndmask_b32_e64 v36, v36, v4, s17
	v_cndmask_b32_e64 v35, v65, v3, s17
	v_dual_mov_b32 v4, v2 :: v_dual_mov_b32 v3, v1
	s_delay_alu instid0(VALU_DEP_4) | instskip(NEXT) | instid1(VALU_DEP_3)
	v_cmp_class_f64_e64 s1, v[63:64], 0x1f8
	v_cmp_neq_f64_e64 s0, v[63:64], v[35:36]
	s_or_b32 s0, s0, s1
	s_wait_alu 0xfffe
	s_and_saveexec_b32 s33, s0
	s_cbranch_execz .LBB23_108
; %bb.107:
	v_add_f64_e64 v[3:4], v[63:64], -v[35:36]
	s_mov_b32 s0, 0x652b82fe
	s_mov_b32 s1, 0x3ff71547
	;; [unrolled: 1-line block ×10, first 2 shown]
	s_wait_alu 0xfffe
	s_delay_alu instid0(VALU_DEP_1) | instskip(SKIP_2) | instid1(VALU_DEP_1)
	v_mul_f64_e32 v[63:64], s[0:1], v[3:4]
	s_mov_b32 s0, 0xfca7ab0c
	s_mov_b32 s1, 0x3e928af3
	v_rndne_f64_e32 v[63:64], v[63:64]
	s_delay_alu instid0(VALU_DEP_1) | instskip(SKIP_2) | instid1(VALU_DEP_2)
	v_fma_f64 v[65:66], v[63:64], s[34:35], v[3:4]
	v_cvt_i32_f64_e32 v0, v[63:64]
	s_mov_b32 s35, 0x3fe62e42
	v_fma_f64 v[65:66], v[63:64], s[38:39], v[65:66]
	s_mov_b32 s39, 0x3c7abc9e
	s_wait_alu 0xfffe
	s_delay_alu instid0(VALU_DEP_1)
	v_fma_f64 v[67:68], v[65:66], s[40:41], s[0:1]
	s_mov_b32 s0, 0x623fde64
	s_mov_b32 s1, 0x3ec71dee
	;; [unrolled: 1-line block ×4, first 2 shown]
	s_wait_alu 0xfffe
	s_delay_alu instid0(VALU_DEP_1) | instskip(SKIP_3) | instid1(VALU_DEP_1)
	v_fma_f64 v[67:68], v[65:66], v[67:68], s[0:1]
	s_mov_b32 s0, 0x7c89e6b0
	s_mov_b32 s1, 0x3efa0199
	s_wait_alu 0xfffe
	v_fma_f64 v[67:68], v[65:66], v[67:68], s[0:1]
	s_mov_b32 s0, 0x14761f6e
	s_mov_b32 s1, 0x3f2a01a0
	s_wait_alu 0xfffe
	s_delay_alu instid0(VALU_DEP_1) | instskip(SKIP_3) | instid1(VALU_DEP_1)
	v_fma_f64 v[67:68], v[65:66], v[67:68], s[0:1]
	s_mov_b32 s0, 0x1852b7b0
	s_mov_b32 s1, 0x3f56c16c
	s_wait_alu 0xfffe
	v_fma_f64 v[67:68], v[65:66], v[67:68], s[0:1]
	s_mov_b32 s0, 0x11122322
	s_mov_b32 s1, 0x3f811111
	;; [unrolled: 9-line block ×3, first 2 shown]
	s_wait_alu 0xfffe
	s_delay_alu instid0(VALU_DEP_1) | instskip(SKIP_3) | instid1(VALU_DEP_1)
	v_fma_f64 v[67:68], v[65:66], v[67:68], s[0:1]
	s_mov_b32 s0, 11
	s_mov_b32 s1, 0x3fe00000
	s_wait_alu 0xfffe
	v_fma_f64 v[67:68], v[65:66], v[67:68], s[0:1]
	v_cmp_nlt_f64_e64 s0, 0x40900000, v[3:4]
	v_cmp_ngt_f64_e64 s1, 0xc090cc00, v[3:4]
	s_delay_alu instid0(VALU_DEP_3) | instskip(NEXT) | instid1(VALU_DEP_1)
	v_fma_f64 v[67:68], v[65:66], v[67:68], 1.0
	v_fma_f64 v[63:64], v[65:66], v[67:68], 1.0
	s_delay_alu instid0(VALU_DEP_1) | instskip(SKIP_1) | instid1(VALU_DEP_1)
	v_ldexp_f64 v[63:64], v[63:64], v0
	s_wait_alu 0xf1ff
	v_cndmask_b32_e64 v0, 0x7ff00000, v64, s0
	s_and_b32 s0, s1, s0
	s_wait_alu 0xfffe
	s_delay_alu instid0(VALU_DEP_2) | instskip(SKIP_3) | instid1(VALU_DEP_1)
	v_cndmask_b32_e64 v3, 0, v63, s0
	s_mov_b32 s0, 0x55555555
	v_cndmask_b32_e64 v4, 0, v0, s1
	s_mov_b32 s1, 0x3fe55555
	v_add_f64_e32 v[63:64], 1.0, v[3:4]
	v_cmp_ngt_f64_e64 s17, -1.0, v[3:4]
	s_delay_alu instid0(VALU_DEP_2) | instskip(SKIP_3) | instid1(VALU_DEP_3)
	v_frexp_mant_f64_e32 v[65:66], v[63:64]
	v_frexp_exp_i32_f64_e32 v0, v[63:64]
	v_add_f64_e32 v[67:68], -1.0, v[63:64]
	s_wait_alu 0xfffe
	v_cmp_gt_f64_e64 s0, s[0:1], v[65:66]
	s_delay_alu instid0(VALU_DEP_2) | instskip(SKIP_2) | instid1(VALU_DEP_3)
	v_add_f64_e64 v[65:66], v[67:68], -v[63:64]
	v_add_f64_e64 v[67:68], v[3:4], -v[67:68]
	s_wait_alu 0xf1ff
	v_subrev_co_ci_u32_e64 v0, null, 0, v0, s0
	s_delay_alu instid0(VALU_DEP_3) | instskip(SKIP_1) | instid1(VALU_DEP_2)
	v_add_f64_e32 v[65:66], 1.0, v[65:66]
	s_mov_b32 s0, 0x55555780
	v_sub_nc_u32_e32 v71, 0, v0
	s_delay_alu instid0(VALU_DEP_1) | instskip(NEXT) | instid1(VALU_DEP_3)
	v_ldexp_f64 v[63:64], v[63:64], v71
	v_add_f64_e32 v[65:66], v[67:68], v[65:66]
	s_wait_dscnt 0x0
	s_delay_alu instid0(VALU_DEP_2) | instskip(SKIP_1) | instid1(VALU_DEP_3)
	v_add_f64_e32 v[69:70], 1.0, v[63:64]
	v_add_f64_e32 v[75:76], -1.0, v[63:64]
	v_ldexp_f64 v[65:66], v[65:66], v71
	s_delay_alu instid0(VALU_DEP_3) | instskip(NEXT) | instid1(VALU_DEP_3)
	v_add_f64_e32 v[67:68], -1.0, v[69:70]
	v_add_f64_e32 v[95:96], 1.0, v[75:76]
	s_delay_alu instid0(VALU_DEP_2) | instskip(NEXT) | instid1(VALU_DEP_2)
	v_add_f64_e64 v[67:68], v[63:64], -v[67:68]
	v_add_f64_e64 v[63:64], v[63:64], -v[95:96]
	s_delay_alu instid0(VALU_DEP_2) | instskip(NEXT) | instid1(VALU_DEP_2)
	v_add_f64_e32 v[67:68], v[65:66], v[67:68]
	v_add_f64_e32 v[63:64], v[65:66], v[63:64]
	s_delay_alu instid0(VALU_DEP_2) | instskip(NEXT) | instid1(VALU_DEP_2)
	v_add_f64_e32 v[71:72], v[69:70], v[67:68]
	v_add_f64_e32 v[95:96], v[75:76], v[63:64]
	s_delay_alu instid0(VALU_DEP_2) | instskip(SKIP_1) | instid1(VALU_DEP_2)
	v_rcp_f64_e32 v[73:74], v[71:72]
	v_add_f64_e64 v[69:70], v[71:72], -v[69:70]
	v_add_f64_e64 v[75:76], v[95:96], -v[75:76]
	s_delay_alu instid0(VALU_DEP_2) | instskip(NEXT) | instid1(TRANS32_DEP_1)
	v_add_f64_e64 v[67:68], v[67:68], -v[69:70]
	v_fma_f64 v[97:98], -v[71:72], v[73:74], 1.0
	s_delay_alu instid0(VALU_DEP_3) | instskip(NEXT) | instid1(VALU_DEP_2)
	v_add_f64_e64 v[63:64], v[63:64], -v[75:76]
	v_fma_f64 v[73:74], v[97:98], v[73:74], v[73:74]
	s_delay_alu instid0(VALU_DEP_1) | instskip(NEXT) | instid1(VALU_DEP_1)
	v_fma_f64 v[65:66], -v[71:72], v[73:74], 1.0
	v_fma_f64 v[65:66], v[65:66], v[73:74], v[73:74]
	s_delay_alu instid0(VALU_DEP_1) | instskip(NEXT) | instid1(VALU_DEP_1)
	v_mul_f64_e32 v[73:74], v[95:96], v[65:66]
	v_mul_f64_e32 v[97:98], v[71:72], v[73:74]
	s_delay_alu instid0(VALU_DEP_1) | instskip(NEXT) | instid1(VALU_DEP_1)
	v_fma_f64 v[69:70], v[73:74], v[71:72], -v[97:98]
	v_fma_f64 v[69:70], v[73:74], v[67:68], v[69:70]
	s_delay_alu instid0(VALU_DEP_1) | instskip(NEXT) | instid1(VALU_DEP_1)
	v_add_f64_e32 v[99:100], v[97:98], v[69:70]
	v_add_f64_e64 v[101:102], v[95:96], -v[99:100]
	v_add_f64_e64 v[75:76], v[99:100], -v[97:98]
	s_delay_alu instid0(VALU_DEP_2) | instskip(NEXT) | instid1(VALU_DEP_2)
	v_add_f64_e64 v[95:96], v[95:96], -v[101:102]
	v_add_f64_e64 v[69:70], v[75:76], -v[69:70]
	s_delay_alu instid0(VALU_DEP_2) | instskip(NEXT) | instid1(VALU_DEP_1)
	v_add_f64_e64 v[95:96], v[95:96], -v[99:100]
	v_add_f64_e32 v[63:64], v[63:64], v[95:96]
	s_delay_alu instid0(VALU_DEP_1) | instskip(NEXT) | instid1(VALU_DEP_1)
	v_add_f64_e32 v[63:64], v[69:70], v[63:64]
	v_add_f64_e32 v[69:70], v[101:102], v[63:64]
	s_delay_alu instid0(VALU_DEP_1) | instskip(SKIP_1) | instid1(VALU_DEP_2)
	v_mul_f64_e32 v[75:76], v[65:66], v[69:70]
	v_add_f64_e64 v[99:100], v[101:102], -v[69:70]
	v_mul_f64_e32 v[95:96], v[71:72], v[75:76]
	s_delay_alu instid0(VALU_DEP_2) | instskip(NEXT) | instid1(VALU_DEP_2)
	v_add_f64_e32 v[63:64], v[63:64], v[99:100]
	v_fma_f64 v[71:72], v[75:76], v[71:72], -v[95:96]
	s_delay_alu instid0(VALU_DEP_1) | instskip(NEXT) | instid1(VALU_DEP_1)
	v_fma_f64 v[67:68], v[75:76], v[67:68], v[71:72]
	v_add_f64_e32 v[71:72], v[95:96], v[67:68]
	s_delay_alu instid0(VALU_DEP_1) | instskip(SKIP_1) | instid1(VALU_DEP_2)
	v_add_f64_e64 v[97:98], v[69:70], -v[71:72]
	v_add_f64_e64 v[95:96], v[71:72], -v[95:96]
	;; [unrolled: 1-line block ×3, first 2 shown]
	s_delay_alu instid0(VALU_DEP_2) | instskip(NEXT) | instid1(VALU_DEP_2)
	v_add_f64_e64 v[67:68], v[95:96], -v[67:68]
	v_add_f64_e64 v[69:70], v[69:70], -v[71:72]
	s_delay_alu instid0(VALU_DEP_1) | instskip(SKIP_1) | instid1(VALU_DEP_2)
	v_add_f64_e32 v[63:64], v[63:64], v[69:70]
	v_add_f64_e32 v[69:70], v[73:74], v[75:76]
	;; [unrolled: 1-line block ×3, first 2 shown]
	s_delay_alu instid0(VALU_DEP_2) | instskip(NEXT) | instid1(VALU_DEP_2)
	v_add_f64_e64 v[67:68], v[69:70], -v[73:74]
	v_add_f64_e32 v[63:64], v[97:98], v[63:64]
	s_delay_alu instid0(VALU_DEP_2) | instskip(NEXT) | instid1(VALU_DEP_2)
	v_add_f64_e64 v[67:68], v[75:76], -v[67:68]
	v_mul_f64_e32 v[63:64], v[65:66], v[63:64]
	s_delay_alu instid0(VALU_DEP_1) | instskip(NEXT) | instid1(VALU_DEP_1)
	v_add_f64_e32 v[63:64], v[67:68], v[63:64]
	v_add_f64_e32 v[65:66], v[69:70], v[63:64]
	s_delay_alu instid0(VALU_DEP_1) | instskip(NEXT) | instid1(VALU_DEP_1)
	v_mul_f64_e32 v[67:68], v[65:66], v[65:66]
	v_fma_f64 v[71:72], v[67:68], s[42:43], s[40:41]
	s_mov_b32 s40, 0xd7f4df2e
	s_mov_b32 s41, 0x3fc7474d
	v_mul_f64_e32 v[73:74], v[65:66], v[67:68]
	s_wait_alu 0xfffe
	s_delay_alu instid0(VALU_DEP_2) | instskip(SKIP_3) | instid1(VALU_DEP_1)
	v_fma_f64 v[71:72], v[67:68], v[71:72], s[40:41]
	s_mov_b32 s40, 0x16291751
	s_mov_b32 s41, 0x3fcc71c0
	s_wait_alu 0xfffe
	v_fma_f64 v[71:72], v[67:68], v[71:72], s[40:41]
	s_mov_b32 s40, 0x9b27acf1
	s_mov_b32 s41, 0x3fd24924
	s_wait_alu 0xfffe
	s_delay_alu instid0(VALU_DEP_1) | instskip(SKIP_3) | instid1(VALU_DEP_1)
	v_fma_f64 v[71:72], v[67:68], v[71:72], s[40:41]
	s_mov_b32 s40, 0x998ef7b6
	s_mov_b32 s41, 0x3fd99999
	s_wait_alu 0xfffe
	v_fma_f64 v[71:72], v[67:68], v[71:72], s[40:41]
	s_delay_alu instid0(VALU_DEP_1)
	v_fma_f64 v[67:68], v[67:68], v[71:72], s[0:1]
	v_ldexp_f64 v[71:72], v[65:66], 1
	v_add_f64_e64 v[65:66], v[65:66], -v[69:70]
	v_cmp_nge_f64_e64 s0, -1.0, v[3:4]
	v_cmp_neq_f64_e64 s1, 0x7ff00000, v[3:4]
	v_mul_f64_e32 v[67:68], v[73:74], v[67:68]
	v_cvt_f64_i32_e32 v[73:74], v0
	v_add_f64_e64 v[63:64], v[63:64], -v[65:66]
	s_and_b32 s0, s0, s1
	s_delay_alu instid0(VALU_DEP_3) | instskip(NEXT) | instid1(VALU_DEP_3)
	v_add_f64_e32 v[69:70], v[71:72], v[67:68]
	v_mul_f64_e32 v[75:76], s[34:35], v[73:74]
	s_delay_alu instid0(VALU_DEP_3) | instskip(NEXT) | instid1(VALU_DEP_3)
	v_ldexp_f64 v[63:64], v[63:64], 1
	v_add_f64_e64 v[65:66], v[69:70], -v[71:72]
	s_delay_alu instid0(VALU_DEP_3) | instskip(NEXT) | instid1(VALU_DEP_2)
	v_fma_f64 v[71:72], v[73:74], s[34:35], -v[75:76]
	v_add_f64_e64 v[65:66], v[67:68], -v[65:66]
	s_delay_alu instid0(VALU_DEP_2) | instskip(NEXT) | instid1(VALU_DEP_2)
	v_fma_f64 v[67:68], v[73:74], s[38:39], v[71:72]
	v_add_f64_e32 v[63:64], v[63:64], v[65:66]
	s_delay_alu instid0(VALU_DEP_2) | instskip(NEXT) | instid1(VALU_DEP_2)
	v_add_f64_e32 v[65:66], v[75:76], v[67:68]
	v_add_f64_e32 v[71:72], v[69:70], v[63:64]
	s_delay_alu instid0(VALU_DEP_2) | instskip(NEXT) | instid1(VALU_DEP_2)
	v_add_f64_e64 v[75:76], v[65:66], -v[75:76]
	v_add_f64_e32 v[73:74], v[65:66], v[71:72]
	v_add_f64_e64 v[69:70], v[71:72], -v[69:70]
	s_delay_alu instid0(VALU_DEP_3) | instskip(NEXT) | instid1(VALU_DEP_3)
	v_add_f64_e64 v[67:68], v[67:68], -v[75:76]
	v_add_f64_e64 v[95:96], v[73:74], -v[65:66]
	s_delay_alu instid0(VALU_DEP_3) | instskip(NEXT) | instid1(VALU_DEP_2)
	v_add_f64_e64 v[63:64], v[63:64], -v[69:70]
	v_add_f64_e64 v[97:98], v[73:74], -v[95:96]
	v_add_f64_e64 v[69:70], v[71:72], -v[95:96]
	s_delay_alu instid0(VALU_DEP_3) | instskip(NEXT) | instid1(VALU_DEP_3)
	v_add_f64_e32 v[71:72], v[67:68], v[63:64]
	v_add_f64_e64 v[65:66], v[65:66], -v[97:98]
	s_delay_alu instid0(VALU_DEP_1) | instskip(NEXT) | instid1(VALU_DEP_3)
	v_add_f64_e32 v[65:66], v[69:70], v[65:66]
	v_add_f64_e64 v[69:70], v[71:72], -v[67:68]
	s_delay_alu instid0(VALU_DEP_2) | instskip(NEXT) | instid1(VALU_DEP_2)
	v_add_f64_e32 v[65:66], v[71:72], v[65:66]
	v_add_f64_e64 v[71:72], v[71:72], -v[69:70]
	v_add_f64_e64 v[63:64], v[63:64], -v[69:70]
	s_delay_alu instid0(VALU_DEP_3) | instskip(NEXT) | instid1(VALU_DEP_3)
	v_add_f64_e32 v[75:76], v[73:74], v[65:66]
	v_add_f64_e64 v[67:68], v[67:68], -v[71:72]
	s_delay_alu instid0(VALU_DEP_2) | instskip(NEXT) | instid1(VALU_DEP_2)
	v_add_f64_e64 v[69:70], v[75:76], -v[73:74]
	v_add_f64_e32 v[63:64], v[63:64], v[67:68]
	s_delay_alu instid0(VALU_DEP_2) | instskip(NEXT) | instid1(VALU_DEP_1)
	v_add_f64_e64 v[65:66], v[65:66], -v[69:70]
	v_add_f64_e32 v[63:64], v[63:64], v[65:66]
	s_delay_alu instid0(VALU_DEP_1) | instskip(SKIP_1) | instid1(VALU_DEP_1)
	v_add_f64_e32 v[63:64], v[75:76], v[63:64]
	s_wait_alu 0xfffe
	v_cndmask_b32_e64 v63, 0, v63, s0
	v_cmp_neq_f64_e64 s0, -1.0, v[3:4]
	s_delay_alu instid0(VALU_DEP_3) | instskip(NEXT) | instid1(VALU_DEP_1)
	v_cndmask_b32_e64 v0, 0x7ff00000, v64, s1
	v_cndmask_b32_e64 v0, 0x7ff80000, v0, s17
	s_wait_alu 0xf1ff
	s_delay_alu instid0(VALU_DEP_1) | instskip(NEXT) | instid1(VALU_DEP_1)
	v_cndmask_b32_e64 v64, 0xfff00000, v0, s0
	v_add_f64_e32 v[3:4], v[35:36], v[63:64]
.LBB23_108:
	s_wait_alu 0xfffe
	s_or_b32 exec_lo, exec_lo, s33
	s_delay_alu instid0(VALU_DEP_1) | instskip(SKIP_1) | instid1(VALU_DEP_2)
	v_max_num_f64_e32 v[35:36], v[3:4], v[3:4]
	v_cmp_u_f64_e64 s0, v[3:4], v[3:4]
	v_min_num_f64_e32 v[63:64], v[35:36], v[33:34]
	v_max_num_f64_e32 v[33:34], v[35:36], v[33:34]
	s_wait_alu 0xf1ff
	s_delay_alu instid0(VALU_DEP_2) | instskip(NEXT) | instid1(VALU_DEP_3)
	v_cndmask_b32_e64 v0, v63, v3, s0
	v_cndmask_b32_e64 v35, v64, v4, s0
	s_delay_alu instid0(VALU_DEP_3) | instskip(NEXT) | instid1(VALU_DEP_4)
	v_cndmask_b32_e64 v34, v34, v4, s0
	v_cndmask_b32_e64 v33, v33, v3, s0
	s_delay_alu instid0(VALU_DEP_3) | instskip(SKIP_1) | instid1(VALU_DEP_4)
	v_cndmask_b32_e64 v36, v35, v30, s18
	v_cndmask_b32_e64 v35, v0, v29, s18
	;; [unrolled: 1-line block ×3, first 2 shown]
	s_delay_alu instid0(VALU_DEP_4) | instskip(SKIP_1) | instid1(VALU_DEP_4)
	v_cndmask_b32_e64 v33, v33, v29, s18
	v_dual_mov_b32 v30, v4 :: v_dual_mov_b32 v29, v3
	v_cmp_class_f64_e64 s1, v[35:36], 0x1f8
	s_delay_alu instid0(VALU_DEP_3)
	v_cmp_neq_f64_e64 s0, v[35:36], v[33:34]
	s_or_b32 s0, s0, s1
	s_wait_alu 0xfffe
	s_and_saveexec_b32 s18, s0
	s_cbranch_execz .LBB23_110
; %bb.109:
	v_add_f64_e64 v[29:30], v[35:36], -v[33:34]
	s_mov_b32 s0, 0x652b82fe
	s_mov_b32 s1, 0x3ff71547
	;; [unrolled: 1-line block ×10, first 2 shown]
	s_wait_alu 0xfffe
	s_delay_alu instid0(VALU_DEP_1) | instskip(SKIP_2) | instid1(VALU_DEP_1)
	v_mul_f64_e32 v[35:36], s[0:1], v[29:30]
	s_mov_b32 s0, 0xfca7ab0c
	s_mov_b32 s1, 0x3e928af3
	v_rndne_f64_e32 v[35:36], v[35:36]
	s_delay_alu instid0(VALU_DEP_1) | instskip(SKIP_2) | instid1(VALU_DEP_2)
	v_fma_f64 v[63:64], v[35:36], s[34:35], v[29:30]
	v_cvt_i32_f64_e32 v0, v[35:36]
	s_mov_b32 s35, 0x3fe62e42
	v_fma_f64 v[63:64], v[35:36], s[38:39], v[63:64]
	s_mov_b32 s39, 0x3c7abc9e
	s_wait_alu 0xfffe
	s_delay_alu instid0(VALU_DEP_1)
	v_fma_f64 v[65:66], v[63:64], s[40:41], s[0:1]
	s_mov_b32 s0, 0x623fde64
	s_mov_b32 s1, 0x3ec71dee
	;; [unrolled: 1-line block ×4, first 2 shown]
	s_wait_alu 0xfffe
	s_delay_alu instid0(VALU_DEP_1) | instskip(SKIP_3) | instid1(VALU_DEP_1)
	v_fma_f64 v[65:66], v[63:64], v[65:66], s[0:1]
	s_mov_b32 s0, 0x7c89e6b0
	s_mov_b32 s1, 0x3efa0199
	s_wait_alu 0xfffe
	v_fma_f64 v[65:66], v[63:64], v[65:66], s[0:1]
	s_mov_b32 s0, 0x14761f6e
	s_mov_b32 s1, 0x3f2a01a0
	s_wait_alu 0xfffe
	s_delay_alu instid0(VALU_DEP_1) | instskip(SKIP_3) | instid1(VALU_DEP_1)
	v_fma_f64 v[65:66], v[63:64], v[65:66], s[0:1]
	s_mov_b32 s0, 0x1852b7b0
	s_mov_b32 s1, 0x3f56c16c
	s_wait_alu 0xfffe
	v_fma_f64 v[65:66], v[63:64], v[65:66], s[0:1]
	s_mov_b32 s0, 0x11122322
	s_mov_b32 s1, 0x3f811111
	;; [unrolled: 9-line block ×3, first 2 shown]
	s_wait_alu 0xfffe
	s_delay_alu instid0(VALU_DEP_1) | instskip(SKIP_3) | instid1(VALU_DEP_1)
	v_fma_f64 v[65:66], v[63:64], v[65:66], s[0:1]
	s_mov_b32 s0, 11
	s_mov_b32 s1, 0x3fe00000
	s_wait_alu 0xfffe
	v_fma_f64 v[65:66], v[63:64], v[65:66], s[0:1]
	v_cmp_nlt_f64_e64 s0, 0x40900000, v[29:30]
	v_cmp_ngt_f64_e64 s1, 0xc090cc00, v[29:30]
	s_delay_alu instid0(VALU_DEP_3) | instskip(NEXT) | instid1(VALU_DEP_1)
	v_fma_f64 v[65:66], v[63:64], v[65:66], 1.0
	v_fma_f64 v[35:36], v[63:64], v[65:66], 1.0
	s_delay_alu instid0(VALU_DEP_1) | instskip(SKIP_1) | instid1(VALU_DEP_1)
	v_ldexp_f64 v[35:36], v[35:36], v0
	s_wait_alu 0xf1ff
	v_cndmask_b32_e64 v0, 0x7ff00000, v36, s0
	s_and_b32 s0, s1, s0
	s_wait_alu 0xfffe
	s_delay_alu instid0(VALU_DEP_2) | instskip(SKIP_3) | instid1(VALU_DEP_1)
	v_cndmask_b32_e64 v29, 0, v35, s0
	s_mov_b32 s0, 0x55555555
	v_cndmask_b32_e64 v30, 0, v0, s1
	s_mov_b32 s1, 0x3fe55555
	v_add_f64_e32 v[35:36], 1.0, v[29:30]
	v_cmp_ngt_f64_e64 s17, -1.0, v[29:30]
	s_delay_alu instid0(VALU_DEP_2) | instskip(SKIP_3) | instid1(VALU_DEP_3)
	v_frexp_mant_f64_e32 v[63:64], v[35:36]
	v_frexp_exp_i32_f64_e32 v0, v[35:36]
	v_add_f64_e32 v[65:66], -1.0, v[35:36]
	s_wait_alu 0xfffe
	v_cmp_gt_f64_e64 s0, s[0:1], v[63:64]
	s_delay_alu instid0(VALU_DEP_2) | instskip(SKIP_2) | instid1(VALU_DEP_3)
	v_add_f64_e64 v[63:64], v[65:66], -v[35:36]
	v_add_f64_e64 v[65:66], v[29:30], -v[65:66]
	s_wait_alu 0xf1ff
	v_subrev_co_ci_u32_e64 v0, null, 0, v0, s0
	s_delay_alu instid0(VALU_DEP_3) | instskip(SKIP_2) | instid1(VALU_DEP_2)
	v_add_f64_e32 v[63:64], 1.0, v[63:64]
	s_mov_b32 s0, 0x55555780
	s_wait_dscnt 0x1
	v_sub_nc_u32_e32 v69, 0, v0
	s_delay_alu instid0(VALU_DEP_1) | instskip(NEXT) | instid1(VALU_DEP_3)
	v_ldexp_f64 v[35:36], v[35:36], v69
	v_add_f64_e32 v[63:64], v[65:66], v[63:64]
	s_delay_alu instid0(VALU_DEP_2) | instskip(SKIP_1) | instid1(VALU_DEP_3)
	v_add_f64_e32 v[67:68], 1.0, v[35:36]
	v_add_f64_e32 v[73:74], -1.0, v[35:36]
	v_ldexp_f64 v[63:64], v[63:64], v69
	s_delay_alu instid0(VALU_DEP_3) | instskip(NEXT) | instid1(VALU_DEP_3)
	v_add_f64_e32 v[65:66], -1.0, v[67:68]
	v_add_f64_e32 v[75:76], 1.0, v[73:74]
	s_delay_alu instid0(VALU_DEP_2) | instskip(NEXT) | instid1(VALU_DEP_2)
	v_add_f64_e64 v[65:66], v[35:36], -v[65:66]
	v_add_f64_e64 v[35:36], v[35:36], -v[75:76]
	s_delay_alu instid0(VALU_DEP_2) | instskip(NEXT) | instid1(VALU_DEP_2)
	v_add_f64_e32 v[65:66], v[63:64], v[65:66]
	v_add_f64_e32 v[35:36], v[63:64], v[35:36]
	s_wait_dscnt 0x0
	s_delay_alu instid0(VALU_DEP_2) | instskip(NEXT) | instid1(VALU_DEP_2)
	v_add_f64_e32 v[69:70], v[67:68], v[65:66]
	v_add_f64_e32 v[75:76], v[73:74], v[35:36]
	s_delay_alu instid0(VALU_DEP_2) | instskip(SKIP_1) | instid1(VALU_DEP_2)
	v_rcp_f64_e32 v[71:72], v[69:70]
	v_add_f64_e64 v[67:68], v[69:70], -v[67:68]
	v_add_f64_e64 v[73:74], v[75:76], -v[73:74]
	s_delay_alu instid0(VALU_DEP_2) | instskip(NEXT) | instid1(TRANS32_DEP_1)
	v_add_f64_e64 v[65:66], v[65:66], -v[67:68]
	v_fma_f64 v[95:96], -v[69:70], v[71:72], 1.0
	s_delay_alu instid0(VALU_DEP_3) | instskip(NEXT) | instid1(VALU_DEP_2)
	v_add_f64_e64 v[35:36], v[35:36], -v[73:74]
	v_fma_f64 v[71:72], v[95:96], v[71:72], v[71:72]
	s_delay_alu instid0(VALU_DEP_1) | instskip(NEXT) | instid1(VALU_DEP_1)
	v_fma_f64 v[63:64], -v[69:70], v[71:72], 1.0
	v_fma_f64 v[63:64], v[63:64], v[71:72], v[71:72]
	s_delay_alu instid0(VALU_DEP_1) | instskip(NEXT) | instid1(VALU_DEP_1)
	v_mul_f64_e32 v[71:72], v[75:76], v[63:64]
	v_mul_f64_e32 v[95:96], v[69:70], v[71:72]
	s_delay_alu instid0(VALU_DEP_1) | instskip(NEXT) | instid1(VALU_DEP_1)
	v_fma_f64 v[67:68], v[71:72], v[69:70], -v[95:96]
	v_fma_f64 v[67:68], v[71:72], v[65:66], v[67:68]
	s_delay_alu instid0(VALU_DEP_1) | instskip(NEXT) | instid1(VALU_DEP_1)
	v_add_f64_e32 v[97:98], v[95:96], v[67:68]
	v_add_f64_e64 v[99:100], v[75:76], -v[97:98]
	v_add_f64_e64 v[73:74], v[97:98], -v[95:96]
	s_delay_alu instid0(VALU_DEP_2) | instskip(NEXT) | instid1(VALU_DEP_2)
	v_add_f64_e64 v[75:76], v[75:76], -v[99:100]
	v_add_f64_e64 v[67:68], v[73:74], -v[67:68]
	s_delay_alu instid0(VALU_DEP_2) | instskip(NEXT) | instid1(VALU_DEP_1)
	v_add_f64_e64 v[75:76], v[75:76], -v[97:98]
	v_add_f64_e32 v[35:36], v[35:36], v[75:76]
	s_delay_alu instid0(VALU_DEP_1) | instskip(NEXT) | instid1(VALU_DEP_1)
	v_add_f64_e32 v[35:36], v[67:68], v[35:36]
	v_add_f64_e32 v[67:68], v[99:100], v[35:36]
	s_delay_alu instid0(VALU_DEP_1) | instskip(SKIP_1) | instid1(VALU_DEP_2)
	v_mul_f64_e32 v[73:74], v[63:64], v[67:68]
	v_add_f64_e64 v[97:98], v[99:100], -v[67:68]
	v_mul_f64_e32 v[75:76], v[69:70], v[73:74]
	s_delay_alu instid0(VALU_DEP_2) | instskip(NEXT) | instid1(VALU_DEP_2)
	v_add_f64_e32 v[35:36], v[35:36], v[97:98]
	v_fma_f64 v[69:70], v[73:74], v[69:70], -v[75:76]
	s_delay_alu instid0(VALU_DEP_1) | instskip(NEXT) | instid1(VALU_DEP_1)
	v_fma_f64 v[65:66], v[73:74], v[65:66], v[69:70]
	v_add_f64_e32 v[69:70], v[75:76], v[65:66]
	s_delay_alu instid0(VALU_DEP_1) | instskip(SKIP_1) | instid1(VALU_DEP_2)
	v_add_f64_e64 v[95:96], v[67:68], -v[69:70]
	v_add_f64_e64 v[75:76], v[69:70], -v[75:76]
	;; [unrolled: 1-line block ×3, first 2 shown]
	s_delay_alu instid0(VALU_DEP_2) | instskip(NEXT) | instid1(VALU_DEP_2)
	v_add_f64_e64 v[65:66], v[75:76], -v[65:66]
	v_add_f64_e64 v[67:68], v[67:68], -v[69:70]
	s_delay_alu instid0(VALU_DEP_1) | instskip(SKIP_1) | instid1(VALU_DEP_2)
	v_add_f64_e32 v[35:36], v[35:36], v[67:68]
	v_add_f64_e32 v[67:68], v[71:72], v[73:74]
	;; [unrolled: 1-line block ×3, first 2 shown]
	s_delay_alu instid0(VALU_DEP_2) | instskip(NEXT) | instid1(VALU_DEP_2)
	v_add_f64_e64 v[65:66], v[67:68], -v[71:72]
	v_add_f64_e32 v[35:36], v[95:96], v[35:36]
	s_delay_alu instid0(VALU_DEP_2) | instskip(NEXT) | instid1(VALU_DEP_2)
	v_add_f64_e64 v[65:66], v[73:74], -v[65:66]
	v_mul_f64_e32 v[35:36], v[63:64], v[35:36]
	s_delay_alu instid0(VALU_DEP_1) | instskip(NEXT) | instid1(VALU_DEP_1)
	v_add_f64_e32 v[35:36], v[65:66], v[35:36]
	v_add_f64_e32 v[63:64], v[67:68], v[35:36]
	s_delay_alu instid0(VALU_DEP_1) | instskip(NEXT) | instid1(VALU_DEP_1)
	v_mul_f64_e32 v[65:66], v[63:64], v[63:64]
	v_fma_f64 v[69:70], v[65:66], s[42:43], s[40:41]
	s_mov_b32 s40, 0xd7f4df2e
	s_mov_b32 s41, 0x3fc7474d
	v_mul_f64_e32 v[71:72], v[63:64], v[65:66]
	s_wait_alu 0xfffe
	s_delay_alu instid0(VALU_DEP_2) | instskip(SKIP_3) | instid1(VALU_DEP_1)
	v_fma_f64 v[69:70], v[65:66], v[69:70], s[40:41]
	s_mov_b32 s40, 0x16291751
	s_mov_b32 s41, 0x3fcc71c0
	s_wait_alu 0xfffe
	v_fma_f64 v[69:70], v[65:66], v[69:70], s[40:41]
	s_mov_b32 s40, 0x9b27acf1
	s_mov_b32 s41, 0x3fd24924
	s_wait_alu 0xfffe
	s_delay_alu instid0(VALU_DEP_1) | instskip(SKIP_3) | instid1(VALU_DEP_1)
	v_fma_f64 v[69:70], v[65:66], v[69:70], s[40:41]
	s_mov_b32 s40, 0x998ef7b6
	s_mov_b32 s41, 0x3fd99999
	s_wait_alu 0xfffe
	v_fma_f64 v[69:70], v[65:66], v[69:70], s[40:41]
	s_delay_alu instid0(VALU_DEP_1)
	v_fma_f64 v[65:66], v[65:66], v[69:70], s[0:1]
	v_ldexp_f64 v[69:70], v[63:64], 1
	v_add_f64_e64 v[63:64], v[63:64], -v[67:68]
	v_cmp_nge_f64_e64 s0, -1.0, v[29:30]
	v_cmp_neq_f64_e64 s1, 0x7ff00000, v[29:30]
	v_mul_f64_e32 v[65:66], v[71:72], v[65:66]
	v_cvt_f64_i32_e32 v[71:72], v0
	v_add_f64_e64 v[35:36], v[35:36], -v[63:64]
	s_and_b32 s0, s0, s1
	s_delay_alu instid0(VALU_DEP_3) | instskip(NEXT) | instid1(VALU_DEP_3)
	v_add_f64_e32 v[67:68], v[69:70], v[65:66]
	v_mul_f64_e32 v[73:74], s[34:35], v[71:72]
	s_delay_alu instid0(VALU_DEP_3) | instskip(NEXT) | instid1(VALU_DEP_3)
	v_ldexp_f64 v[35:36], v[35:36], 1
	v_add_f64_e64 v[63:64], v[67:68], -v[69:70]
	s_delay_alu instid0(VALU_DEP_3) | instskip(NEXT) | instid1(VALU_DEP_2)
	v_fma_f64 v[69:70], v[71:72], s[34:35], -v[73:74]
	v_add_f64_e64 v[63:64], v[65:66], -v[63:64]
	s_delay_alu instid0(VALU_DEP_2) | instskip(NEXT) | instid1(VALU_DEP_2)
	v_fma_f64 v[65:66], v[71:72], s[38:39], v[69:70]
	v_add_f64_e32 v[35:36], v[35:36], v[63:64]
	s_delay_alu instid0(VALU_DEP_2) | instskip(NEXT) | instid1(VALU_DEP_2)
	v_add_f64_e32 v[63:64], v[73:74], v[65:66]
	v_add_f64_e32 v[69:70], v[67:68], v[35:36]
	s_delay_alu instid0(VALU_DEP_2) | instskip(NEXT) | instid1(VALU_DEP_2)
	v_add_f64_e64 v[73:74], v[63:64], -v[73:74]
	v_add_f64_e32 v[71:72], v[63:64], v[69:70]
	v_add_f64_e64 v[67:68], v[69:70], -v[67:68]
	s_delay_alu instid0(VALU_DEP_3) | instskip(NEXT) | instid1(VALU_DEP_3)
	v_add_f64_e64 v[65:66], v[65:66], -v[73:74]
	v_add_f64_e64 v[75:76], v[71:72], -v[63:64]
	s_delay_alu instid0(VALU_DEP_3) | instskip(NEXT) | instid1(VALU_DEP_2)
	v_add_f64_e64 v[35:36], v[35:36], -v[67:68]
	v_add_f64_e64 v[95:96], v[71:72], -v[75:76]
	;; [unrolled: 1-line block ×3, first 2 shown]
	s_delay_alu instid0(VALU_DEP_3) | instskip(NEXT) | instid1(VALU_DEP_3)
	v_add_f64_e32 v[69:70], v[65:66], v[35:36]
	v_add_f64_e64 v[63:64], v[63:64], -v[95:96]
	s_delay_alu instid0(VALU_DEP_1) | instskip(NEXT) | instid1(VALU_DEP_3)
	v_add_f64_e32 v[63:64], v[67:68], v[63:64]
	v_add_f64_e64 v[67:68], v[69:70], -v[65:66]
	s_delay_alu instid0(VALU_DEP_2) | instskip(NEXT) | instid1(VALU_DEP_2)
	v_add_f64_e32 v[63:64], v[69:70], v[63:64]
	v_add_f64_e64 v[69:70], v[69:70], -v[67:68]
	v_add_f64_e64 v[35:36], v[35:36], -v[67:68]
	s_delay_alu instid0(VALU_DEP_3) | instskip(NEXT) | instid1(VALU_DEP_3)
	v_add_f64_e32 v[73:74], v[71:72], v[63:64]
	v_add_f64_e64 v[65:66], v[65:66], -v[69:70]
	s_delay_alu instid0(VALU_DEP_2) | instskip(NEXT) | instid1(VALU_DEP_2)
	v_add_f64_e64 v[67:68], v[73:74], -v[71:72]
	v_add_f64_e32 v[35:36], v[35:36], v[65:66]
	s_delay_alu instid0(VALU_DEP_2) | instskip(NEXT) | instid1(VALU_DEP_1)
	v_add_f64_e64 v[63:64], v[63:64], -v[67:68]
	v_add_f64_e32 v[35:36], v[35:36], v[63:64]
	s_delay_alu instid0(VALU_DEP_1) | instskip(SKIP_1) | instid1(VALU_DEP_1)
	v_add_f64_e32 v[35:36], v[73:74], v[35:36]
	s_wait_alu 0xfffe
	v_cndmask_b32_e64 v35, 0, v35, s0
	v_cmp_neq_f64_e64 s0, -1.0, v[29:30]
	s_delay_alu instid0(VALU_DEP_3) | instskip(NEXT) | instid1(VALU_DEP_1)
	v_cndmask_b32_e64 v0, 0x7ff00000, v36, s1
	v_cndmask_b32_e64 v0, 0x7ff80000, v0, s17
	s_wait_alu 0xf1ff
	s_delay_alu instid0(VALU_DEP_1) | instskip(NEXT) | instid1(VALU_DEP_1)
	v_cndmask_b32_e64 v36, 0xfff00000, v0, s0
	v_add_f64_e32 v[29:30], v[33:34], v[35:36]
.LBB23_110:
	s_wait_alu 0xfffe
	s_or_b32 exec_lo, exec_lo, s18
	s_delay_alu instid0(VALU_DEP_1) | instskip(SKIP_1) | instid1(VALU_DEP_2)
	v_max_num_f64_e32 v[33:34], v[29:30], v[29:30]
	v_cmp_u_f64_e64 s0, v[29:30], v[29:30]
	v_min_num_f64_e32 v[35:36], v[33:34], v[37:38]
	v_max_num_f64_e32 v[33:34], v[33:34], v[37:38]
	s_wait_alu 0xf1ff
	s_delay_alu instid0(VALU_DEP_2) | instskip(NEXT) | instid1(VALU_DEP_3)
	v_cndmask_b32_e64 v0, v35, v29, s0
	v_cndmask_b32_e64 v35, v36, v30, s0
	s_delay_alu instid0(VALU_DEP_3) | instskip(NEXT) | instid1(VALU_DEP_4)
	v_cndmask_b32_e64 v34, v34, v30, s0
	v_cndmask_b32_e64 v33, v33, v29, s0
	s_delay_alu instid0(VALU_DEP_3) | instskip(SKIP_1) | instid1(VALU_DEP_4)
	v_cndmask_b32_e64 v36, v35, v32, s19
	v_cndmask_b32_e64 v35, v0, v31, s19
	;; [unrolled: 1-line block ×3, first 2 shown]
	s_delay_alu instid0(VALU_DEP_4) | instskip(SKIP_1) | instid1(VALU_DEP_4)
	v_cndmask_b32_e64 v33, v33, v31, s19
	v_dual_mov_b32 v32, v30 :: v_dual_mov_b32 v31, v29
	v_cmp_class_f64_e64 s1, v[35:36], 0x1f8
	s_delay_alu instid0(VALU_DEP_3)
	v_cmp_neq_f64_e64 s0, v[35:36], v[33:34]
	s_or_b32 s0, s0, s1
	s_wait_alu 0xfffe
	s_and_saveexec_b32 s33, s0
	s_cbranch_execz .LBB23_112
; %bb.111:
	v_add_f64_e64 v[31:32], v[35:36], -v[33:34]
	s_mov_b32 s0, 0x652b82fe
	s_mov_b32 s1, 0x3ff71547
	;; [unrolled: 1-line block ×10, first 2 shown]
	s_wait_alu 0xfffe
	s_delay_alu instid0(VALU_DEP_1) | instskip(SKIP_2) | instid1(VALU_DEP_1)
	v_mul_f64_e32 v[35:36], s[0:1], v[31:32]
	s_mov_b32 s0, 0xfca7ab0c
	s_mov_b32 s1, 0x3e928af3
	v_rndne_f64_e32 v[35:36], v[35:36]
	s_delay_alu instid0(VALU_DEP_1) | instskip(SKIP_2) | instid1(VALU_DEP_2)
	v_fma_f64 v[37:38], v[35:36], s[18:19], v[31:32]
	v_cvt_i32_f64_e32 v0, v[35:36]
	s_mov_b32 s19, 0x3fe62e42
	v_fma_f64 v[37:38], v[35:36], s[34:35], v[37:38]
	s_mov_b32 s35, 0x3c7abc9e
	s_wait_alu 0xfffe
	s_delay_alu instid0(VALU_DEP_1)
	v_fma_f64 v[63:64], v[37:38], s[38:39], s[0:1]
	s_mov_b32 s0, 0x623fde64
	s_mov_b32 s1, 0x3ec71dee
	;; [unrolled: 1-line block ×4, first 2 shown]
	s_wait_alu 0xfffe
	s_delay_alu instid0(VALU_DEP_1) | instskip(SKIP_3) | instid1(VALU_DEP_1)
	v_fma_f64 v[63:64], v[37:38], v[63:64], s[0:1]
	s_mov_b32 s0, 0x7c89e6b0
	s_mov_b32 s1, 0x3efa0199
	s_wait_alu 0xfffe
	v_fma_f64 v[63:64], v[37:38], v[63:64], s[0:1]
	s_mov_b32 s0, 0x14761f6e
	s_mov_b32 s1, 0x3f2a01a0
	s_wait_alu 0xfffe
	s_delay_alu instid0(VALU_DEP_1) | instskip(SKIP_3) | instid1(VALU_DEP_1)
	v_fma_f64 v[63:64], v[37:38], v[63:64], s[0:1]
	s_mov_b32 s0, 0x1852b7b0
	s_mov_b32 s1, 0x3f56c16c
	s_wait_alu 0xfffe
	v_fma_f64 v[63:64], v[37:38], v[63:64], s[0:1]
	s_mov_b32 s0, 0x11122322
	s_mov_b32 s1, 0x3f811111
	s_wait_alu 0xfffe
	s_delay_alu instid0(VALU_DEP_1) | instskip(SKIP_3) | instid1(VALU_DEP_1)
	v_fma_f64 v[63:64], v[37:38], v[63:64], s[0:1]
	s_mov_b32 s0, 0x555502a1
	s_mov_b32 s1, 0x3fa55555
	s_wait_alu 0xfffe
	v_fma_f64 v[63:64], v[37:38], v[63:64], s[0:1]
	s_mov_b32 s0, 0x55555511
	s_mov_b32 s1, 0x3fc55555
	s_wait_alu 0xfffe
	s_delay_alu instid0(VALU_DEP_1) | instskip(SKIP_3) | instid1(VALU_DEP_1)
	v_fma_f64 v[63:64], v[37:38], v[63:64], s[0:1]
	s_mov_b32 s0, 11
	s_mov_b32 s1, 0x3fe00000
	s_wait_alu 0xfffe
	v_fma_f64 v[63:64], v[37:38], v[63:64], s[0:1]
	v_cmp_nlt_f64_e64 s0, 0x40900000, v[31:32]
	v_cmp_ngt_f64_e64 s1, 0xc090cc00, v[31:32]
	s_delay_alu instid0(VALU_DEP_3) | instskip(NEXT) | instid1(VALU_DEP_1)
	v_fma_f64 v[63:64], v[37:38], v[63:64], 1.0
	v_fma_f64 v[35:36], v[37:38], v[63:64], 1.0
	s_delay_alu instid0(VALU_DEP_1) | instskip(SKIP_1) | instid1(VALU_DEP_1)
	v_ldexp_f64 v[35:36], v[35:36], v0
	s_wait_alu 0xf1ff
	v_cndmask_b32_e64 v0, 0x7ff00000, v36, s0
	s_and_b32 s0, s1, s0
	s_wait_alu 0xfffe
	s_delay_alu instid0(VALU_DEP_2) | instskip(SKIP_3) | instid1(VALU_DEP_1)
	v_cndmask_b32_e64 v31, 0, v35, s0
	s_mov_b32 s0, 0x55555555
	v_cndmask_b32_e64 v32, 0, v0, s1
	s_mov_b32 s1, 0x3fe55555
	v_add_f64_e32 v[35:36], 1.0, v[31:32]
	v_cmp_ngt_f64_e64 s17, -1.0, v[31:32]
	s_delay_alu instid0(VALU_DEP_2) | instskip(SKIP_3) | instid1(VALU_DEP_3)
	v_frexp_mant_f64_e32 v[37:38], v[35:36]
	v_frexp_exp_i32_f64_e32 v0, v[35:36]
	v_add_f64_e32 v[63:64], -1.0, v[35:36]
	s_wait_alu 0xfffe
	v_cmp_gt_f64_e64 s0, s[0:1], v[37:38]
	s_delay_alu instid0(VALU_DEP_2) | instskip(SKIP_2) | instid1(VALU_DEP_3)
	v_add_f64_e64 v[37:38], v[63:64], -v[35:36]
	v_add_f64_e64 v[63:64], v[31:32], -v[63:64]
	s_wait_alu 0xf1ff
	v_subrev_co_ci_u32_e64 v0, null, 0, v0, s0
	s_delay_alu instid0(VALU_DEP_3) | instskip(SKIP_1) | instid1(VALU_DEP_2)
	v_add_f64_e32 v[37:38], 1.0, v[37:38]
	s_mov_b32 s0, 0x55555780
	v_sub_nc_u32_e32 v67, 0, v0
	s_delay_alu instid0(VALU_DEP_1) | instskip(NEXT) | instid1(VALU_DEP_3)
	v_ldexp_f64 v[35:36], v[35:36], v67
	v_add_f64_e32 v[37:38], v[63:64], v[37:38]
	s_delay_alu instid0(VALU_DEP_2) | instskip(SKIP_1) | instid1(VALU_DEP_3)
	v_add_f64_e32 v[65:66], 1.0, v[35:36]
	v_add_f64_e32 v[71:72], -1.0, v[35:36]
	v_ldexp_f64 v[37:38], v[37:38], v67
	s_delay_alu instid0(VALU_DEP_3) | instskip(NEXT) | instid1(VALU_DEP_3)
	v_add_f64_e32 v[63:64], -1.0, v[65:66]
	v_add_f64_e32 v[73:74], 1.0, v[71:72]
	s_delay_alu instid0(VALU_DEP_2) | instskip(NEXT) | instid1(VALU_DEP_2)
	v_add_f64_e64 v[63:64], v[35:36], -v[63:64]
	v_add_f64_e64 v[35:36], v[35:36], -v[73:74]
	s_delay_alu instid0(VALU_DEP_2) | instskip(NEXT) | instid1(VALU_DEP_2)
	v_add_f64_e32 v[63:64], v[37:38], v[63:64]
	v_add_f64_e32 v[35:36], v[37:38], v[35:36]
	s_delay_alu instid0(VALU_DEP_2) | instskip(NEXT) | instid1(VALU_DEP_2)
	v_add_f64_e32 v[67:68], v[65:66], v[63:64]
	v_add_f64_e32 v[73:74], v[71:72], v[35:36]
	s_wait_dscnt 0x0
	s_delay_alu instid0(VALU_DEP_2) | instskip(SKIP_1) | instid1(VALU_DEP_2)
	v_rcp_f64_e32 v[69:70], v[67:68]
	v_add_f64_e64 v[65:66], v[67:68], -v[65:66]
	v_add_f64_e64 v[71:72], v[73:74], -v[71:72]
	s_delay_alu instid0(VALU_DEP_2) | instskip(NEXT) | instid1(TRANS32_DEP_1)
	v_add_f64_e64 v[63:64], v[63:64], -v[65:66]
	v_fma_f64 v[75:76], -v[67:68], v[69:70], 1.0
	s_delay_alu instid0(VALU_DEP_3) | instskip(NEXT) | instid1(VALU_DEP_2)
	v_add_f64_e64 v[35:36], v[35:36], -v[71:72]
	v_fma_f64 v[69:70], v[75:76], v[69:70], v[69:70]
	s_delay_alu instid0(VALU_DEP_1) | instskip(NEXT) | instid1(VALU_DEP_1)
	v_fma_f64 v[37:38], -v[67:68], v[69:70], 1.0
	v_fma_f64 v[37:38], v[37:38], v[69:70], v[69:70]
	s_delay_alu instid0(VALU_DEP_1) | instskip(NEXT) | instid1(VALU_DEP_1)
	v_mul_f64_e32 v[69:70], v[73:74], v[37:38]
	v_mul_f64_e32 v[75:76], v[67:68], v[69:70]
	s_delay_alu instid0(VALU_DEP_1) | instskip(NEXT) | instid1(VALU_DEP_1)
	v_fma_f64 v[65:66], v[69:70], v[67:68], -v[75:76]
	v_fma_f64 v[65:66], v[69:70], v[63:64], v[65:66]
	s_delay_alu instid0(VALU_DEP_1) | instskip(NEXT) | instid1(VALU_DEP_1)
	v_add_f64_e32 v[95:96], v[75:76], v[65:66]
	v_add_f64_e64 v[97:98], v[73:74], -v[95:96]
	v_add_f64_e64 v[71:72], v[95:96], -v[75:76]
	s_delay_alu instid0(VALU_DEP_2) | instskip(NEXT) | instid1(VALU_DEP_2)
	v_add_f64_e64 v[73:74], v[73:74], -v[97:98]
	v_add_f64_e64 v[65:66], v[71:72], -v[65:66]
	s_delay_alu instid0(VALU_DEP_2) | instskip(NEXT) | instid1(VALU_DEP_1)
	v_add_f64_e64 v[73:74], v[73:74], -v[95:96]
	v_add_f64_e32 v[35:36], v[35:36], v[73:74]
	s_delay_alu instid0(VALU_DEP_1) | instskip(NEXT) | instid1(VALU_DEP_1)
	v_add_f64_e32 v[35:36], v[65:66], v[35:36]
	v_add_f64_e32 v[65:66], v[97:98], v[35:36]
	s_delay_alu instid0(VALU_DEP_1) | instskip(SKIP_1) | instid1(VALU_DEP_2)
	v_mul_f64_e32 v[71:72], v[37:38], v[65:66]
	v_add_f64_e64 v[95:96], v[97:98], -v[65:66]
	v_mul_f64_e32 v[73:74], v[67:68], v[71:72]
	s_delay_alu instid0(VALU_DEP_2) | instskip(NEXT) | instid1(VALU_DEP_2)
	v_add_f64_e32 v[35:36], v[35:36], v[95:96]
	v_fma_f64 v[67:68], v[71:72], v[67:68], -v[73:74]
	s_delay_alu instid0(VALU_DEP_1) | instskip(NEXT) | instid1(VALU_DEP_1)
	v_fma_f64 v[63:64], v[71:72], v[63:64], v[67:68]
	v_add_f64_e32 v[67:68], v[73:74], v[63:64]
	s_delay_alu instid0(VALU_DEP_1) | instskip(SKIP_1) | instid1(VALU_DEP_2)
	v_add_f64_e64 v[75:76], v[65:66], -v[67:68]
	v_add_f64_e64 v[73:74], v[67:68], -v[73:74]
	;; [unrolled: 1-line block ×3, first 2 shown]
	s_delay_alu instid0(VALU_DEP_2) | instskip(NEXT) | instid1(VALU_DEP_2)
	v_add_f64_e64 v[63:64], v[73:74], -v[63:64]
	v_add_f64_e64 v[65:66], v[65:66], -v[67:68]
	s_delay_alu instid0(VALU_DEP_1) | instskip(SKIP_1) | instid1(VALU_DEP_2)
	v_add_f64_e32 v[35:36], v[35:36], v[65:66]
	v_add_f64_e32 v[65:66], v[69:70], v[71:72]
	;; [unrolled: 1-line block ×3, first 2 shown]
	s_delay_alu instid0(VALU_DEP_2) | instskip(NEXT) | instid1(VALU_DEP_2)
	v_add_f64_e64 v[63:64], v[65:66], -v[69:70]
	v_add_f64_e32 v[35:36], v[75:76], v[35:36]
	s_delay_alu instid0(VALU_DEP_2) | instskip(NEXT) | instid1(VALU_DEP_2)
	v_add_f64_e64 v[63:64], v[71:72], -v[63:64]
	v_mul_f64_e32 v[35:36], v[37:38], v[35:36]
	s_delay_alu instid0(VALU_DEP_1) | instskip(NEXT) | instid1(VALU_DEP_1)
	v_add_f64_e32 v[35:36], v[63:64], v[35:36]
	v_add_f64_e32 v[37:38], v[65:66], v[35:36]
	s_delay_alu instid0(VALU_DEP_1) | instskip(NEXT) | instid1(VALU_DEP_1)
	v_mul_f64_e32 v[63:64], v[37:38], v[37:38]
	v_fma_f64 v[67:68], v[63:64], s[40:41], s[38:39]
	s_mov_b32 s38, 0xd7f4df2e
	s_mov_b32 s39, 0x3fc7474d
	v_mul_f64_e32 v[69:70], v[37:38], v[63:64]
	s_wait_alu 0xfffe
	s_delay_alu instid0(VALU_DEP_2) | instskip(SKIP_3) | instid1(VALU_DEP_1)
	v_fma_f64 v[67:68], v[63:64], v[67:68], s[38:39]
	s_mov_b32 s38, 0x16291751
	s_mov_b32 s39, 0x3fcc71c0
	s_wait_alu 0xfffe
	v_fma_f64 v[67:68], v[63:64], v[67:68], s[38:39]
	s_mov_b32 s38, 0x9b27acf1
	s_mov_b32 s39, 0x3fd24924
	s_wait_alu 0xfffe
	s_delay_alu instid0(VALU_DEP_1) | instskip(SKIP_3) | instid1(VALU_DEP_1)
	v_fma_f64 v[67:68], v[63:64], v[67:68], s[38:39]
	s_mov_b32 s38, 0x998ef7b6
	s_mov_b32 s39, 0x3fd99999
	s_wait_alu 0xfffe
	v_fma_f64 v[67:68], v[63:64], v[67:68], s[38:39]
	s_delay_alu instid0(VALU_DEP_1)
	v_fma_f64 v[63:64], v[63:64], v[67:68], s[0:1]
	v_ldexp_f64 v[67:68], v[37:38], 1
	v_add_f64_e64 v[37:38], v[37:38], -v[65:66]
	v_cmp_nge_f64_e64 s0, -1.0, v[31:32]
	v_cmp_neq_f64_e64 s1, 0x7ff00000, v[31:32]
	v_mul_f64_e32 v[63:64], v[69:70], v[63:64]
	v_cvt_f64_i32_e32 v[69:70], v0
	v_add_f64_e64 v[35:36], v[35:36], -v[37:38]
	s_and_b32 s0, s0, s1
	s_delay_alu instid0(VALU_DEP_3) | instskip(NEXT) | instid1(VALU_DEP_3)
	v_add_f64_e32 v[65:66], v[67:68], v[63:64]
	v_mul_f64_e32 v[71:72], s[18:19], v[69:70]
	s_delay_alu instid0(VALU_DEP_3) | instskip(NEXT) | instid1(VALU_DEP_3)
	v_ldexp_f64 v[35:36], v[35:36], 1
	v_add_f64_e64 v[37:38], v[65:66], -v[67:68]
	s_delay_alu instid0(VALU_DEP_3) | instskip(NEXT) | instid1(VALU_DEP_2)
	v_fma_f64 v[67:68], v[69:70], s[18:19], -v[71:72]
	v_add_f64_e64 v[37:38], v[63:64], -v[37:38]
	s_delay_alu instid0(VALU_DEP_2) | instskip(NEXT) | instid1(VALU_DEP_2)
	v_fma_f64 v[63:64], v[69:70], s[34:35], v[67:68]
	v_add_f64_e32 v[35:36], v[35:36], v[37:38]
	s_delay_alu instid0(VALU_DEP_2) | instskip(NEXT) | instid1(VALU_DEP_2)
	v_add_f64_e32 v[37:38], v[71:72], v[63:64]
	v_add_f64_e32 v[67:68], v[65:66], v[35:36]
	s_delay_alu instid0(VALU_DEP_2) | instskip(NEXT) | instid1(VALU_DEP_2)
	v_add_f64_e64 v[71:72], v[37:38], -v[71:72]
	v_add_f64_e32 v[69:70], v[37:38], v[67:68]
	v_add_f64_e64 v[65:66], v[67:68], -v[65:66]
	s_delay_alu instid0(VALU_DEP_3) | instskip(NEXT) | instid1(VALU_DEP_3)
	v_add_f64_e64 v[63:64], v[63:64], -v[71:72]
	v_add_f64_e64 v[73:74], v[69:70], -v[37:38]
	s_delay_alu instid0(VALU_DEP_3) | instskip(NEXT) | instid1(VALU_DEP_2)
	v_add_f64_e64 v[35:36], v[35:36], -v[65:66]
	v_add_f64_e64 v[75:76], v[69:70], -v[73:74]
	v_add_f64_e64 v[65:66], v[67:68], -v[73:74]
	s_delay_alu instid0(VALU_DEP_3) | instskip(NEXT) | instid1(VALU_DEP_3)
	v_add_f64_e32 v[67:68], v[63:64], v[35:36]
	v_add_f64_e64 v[37:38], v[37:38], -v[75:76]
	s_delay_alu instid0(VALU_DEP_1) | instskip(NEXT) | instid1(VALU_DEP_3)
	v_add_f64_e32 v[37:38], v[65:66], v[37:38]
	v_add_f64_e64 v[65:66], v[67:68], -v[63:64]
	s_delay_alu instid0(VALU_DEP_2) | instskip(NEXT) | instid1(VALU_DEP_2)
	v_add_f64_e32 v[37:38], v[67:68], v[37:38]
	v_add_f64_e64 v[67:68], v[67:68], -v[65:66]
	v_add_f64_e64 v[35:36], v[35:36], -v[65:66]
	s_delay_alu instid0(VALU_DEP_3) | instskip(NEXT) | instid1(VALU_DEP_3)
	v_add_f64_e32 v[71:72], v[69:70], v[37:38]
	v_add_f64_e64 v[63:64], v[63:64], -v[67:68]
	s_delay_alu instid0(VALU_DEP_2) | instskip(NEXT) | instid1(VALU_DEP_2)
	v_add_f64_e64 v[65:66], v[71:72], -v[69:70]
	v_add_f64_e32 v[35:36], v[35:36], v[63:64]
	s_delay_alu instid0(VALU_DEP_2) | instskip(NEXT) | instid1(VALU_DEP_1)
	v_add_f64_e64 v[37:38], v[37:38], -v[65:66]
	v_add_f64_e32 v[35:36], v[35:36], v[37:38]
	s_delay_alu instid0(VALU_DEP_1) | instskip(SKIP_1) | instid1(VALU_DEP_1)
	v_add_f64_e32 v[35:36], v[71:72], v[35:36]
	s_wait_alu 0xfffe
	v_cndmask_b32_e64 v35, 0, v35, s0
	v_cmp_neq_f64_e64 s0, -1.0, v[31:32]
	s_delay_alu instid0(VALU_DEP_3) | instskip(NEXT) | instid1(VALU_DEP_1)
	v_cndmask_b32_e64 v0, 0x7ff00000, v36, s1
	v_cndmask_b32_e64 v0, 0x7ff80000, v0, s17
	s_wait_alu 0xf1ff
	s_delay_alu instid0(VALU_DEP_1) | instskip(NEXT) | instid1(VALU_DEP_1)
	v_cndmask_b32_e64 v36, 0xfff00000, v0, s0
	v_add_f64_e32 v[31:32], v[33:34], v[35:36]
.LBB23_112:
	s_wait_alu 0xfffe
	s_or_b32 exec_lo, exec_lo, s33
	s_delay_alu instid0(VALU_DEP_1) | instskip(SKIP_1) | instid1(VALU_DEP_2)
	v_max_num_f64_e32 v[33:34], v[31:32], v[31:32]
	v_cmp_u_f64_e64 s0, v[31:32], v[31:32]
	v_min_num_f64_e32 v[35:36], v[33:34], v[39:40]
	v_max_num_f64_e32 v[33:34], v[33:34], v[39:40]
	s_wait_alu 0xf1ff
	s_delay_alu instid0(VALU_DEP_2) | instskip(NEXT) | instid1(VALU_DEP_3)
	v_cndmask_b32_e64 v0, v35, v31, s0
	v_cndmask_b32_e64 v35, v36, v32, s0
	s_delay_alu instid0(VALU_DEP_3) | instskip(NEXT) | instid1(VALU_DEP_4)
	v_cndmask_b32_e64 v34, v34, v32, s0
	v_cndmask_b32_e64 v33, v33, v31, s0
	s_delay_alu instid0(VALU_DEP_3) | instskip(SKIP_1) | instid1(VALU_DEP_4)
	v_cndmask_b32_e64 v36, v35, v26, s20
	v_cndmask_b32_e64 v35, v0, v25, s20
	;; [unrolled: 1-line block ×3, first 2 shown]
	s_delay_alu instid0(VALU_DEP_4) | instskip(SKIP_1) | instid1(VALU_DEP_4)
	v_cndmask_b32_e64 v33, v33, v25, s20
	v_dual_mov_b32 v25, v31 :: v_dual_mov_b32 v26, v32
	v_cmp_class_f64_e64 s1, v[35:36], 0x1f8
	s_delay_alu instid0(VALU_DEP_3)
	v_cmp_neq_f64_e64 s0, v[35:36], v[33:34]
	s_or_b32 s0, s0, s1
	s_wait_alu 0xfffe
	s_and_saveexec_b32 s20, s0
	s_cbranch_execz .LBB23_114
; %bb.113:
	v_add_f64_e64 v[25:26], v[35:36], -v[33:34]
	s_mov_b32 s0, 0x652b82fe
	s_mov_b32 s1, 0x3ff71547
	;; [unrolled: 1-line block ×10, first 2 shown]
	s_wait_alu 0xfffe
	s_delay_alu instid0(VALU_DEP_1) | instskip(SKIP_2) | instid1(VALU_DEP_1)
	v_mul_f64_e32 v[35:36], s[0:1], v[25:26]
	s_mov_b32 s0, 0xfca7ab0c
	s_mov_b32 s1, 0x3e928af3
	v_rndne_f64_e32 v[35:36], v[35:36]
	s_delay_alu instid0(VALU_DEP_1) | instskip(SKIP_2) | instid1(VALU_DEP_2)
	v_fma_f64 v[37:38], v[35:36], s[18:19], v[25:26]
	v_cvt_i32_f64_e32 v0, v[35:36]
	s_mov_b32 s19, 0x3fe62e42
	v_fma_f64 v[37:38], v[35:36], s[34:35], v[37:38]
	s_mov_b32 s35, 0x3c7abc9e
	s_wait_alu 0xfffe
	s_delay_alu instid0(VALU_DEP_1)
	v_fma_f64 v[39:40], v[37:38], s[38:39], s[0:1]
	s_mov_b32 s0, 0x623fde64
	s_mov_b32 s1, 0x3ec71dee
	;; [unrolled: 1-line block ×4, first 2 shown]
	s_wait_alu 0xfffe
	s_delay_alu instid0(VALU_DEP_1) | instskip(SKIP_3) | instid1(VALU_DEP_1)
	v_fma_f64 v[39:40], v[37:38], v[39:40], s[0:1]
	s_mov_b32 s0, 0x7c89e6b0
	s_mov_b32 s1, 0x3efa0199
	s_wait_alu 0xfffe
	v_fma_f64 v[39:40], v[37:38], v[39:40], s[0:1]
	s_mov_b32 s0, 0x14761f6e
	s_mov_b32 s1, 0x3f2a01a0
	s_wait_alu 0xfffe
	s_delay_alu instid0(VALU_DEP_1) | instskip(SKIP_3) | instid1(VALU_DEP_1)
	v_fma_f64 v[39:40], v[37:38], v[39:40], s[0:1]
	s_mov_b32 s0, 0x1852b7b0
	s_mov_b32 s1, 0x3f56c16c
	s_wait_alu 0xfffe
	v_fma_f64 v[39:40], v[37:38], v[39:40], s[0:1]
	s_mov_b32 s0, 0x11122322
	s_mov_b32 s1, 0x3f811111
	;; [unrolled: 9-line block ×3, first 2 shown]
	s_wait_alu 0xfffe
	s_delay_alu instid0(VALU_DEP_1) | instskip(SKIP_3) | instid1(VALU_DEP_1)
	v_fma_f64 v[39:40], v[37:38], v[39:40], s[0:1]
	s_mov_b32 s0, 11
	s_mov_b32 s1, 0x3fe00000
	s_wait_alu 0xfffe
	v_fma_f64 v[39:40], v[37:38], v[39:40], s[0:1]
	v_cmp_nlt_f64_e64 s0, 0x40900000, v[25:26]
	v_cmp_ngt_f64_e64 s1, 0xc090cc00, v[25:26]
	s_delay_alu instid0(VALU_DEP_3) | instskip(NEXT) | instid1(VALU_DEP_1)
	v_fma_f64 v[39:40], v[37:38], v[39:40], 1.0
	v_fma_f64 v[35:36], v[37:38], v[39:40], 1.0
	s_delay_alu instid0(VALU_DEP_1) | instskip(SKIP_1) | instid1(VALU_DEP_1)
	v_ldexp_f64 v[35:36], v[35:36], v0
	s_wait_alu 0xf1ff
	v_cndmask_b32_e64 v0, 0x7ff00000, v36, s0
	s_and_b32 s0, s1, s0
	s_wait_alu 0xfffe
	s_delay_alu instid0(VALU_DEP_2) | instskip(SKIP_3) | instid1(VALU_DEP_1)
	v_cndmask_b32_e64 v25, 0, v35, s0
	s_mov_b32 s0, 0x55555555
	v_cndmask_b32_e64 v26, 0, v0, s1
	s_mov_b32 s1, 0x3fe55555
	v_add_f64_e32 v[35:36], 1.0, v[25:26]
	v_cmp_ngt_f64_e64 s17, -1.0, v[25:26]
	s_delay_alu instid0(VALU_DEP_2) | instskip(SKIP_3) | instid1(VALU_DEP_3)
	v_frexp_mant_f64_e32 v[37:38], v[35:36]
	v_frexp_exp_i32_f64_e32 v0, v[35:36]
	v_add_f64_e32 v[39:40], -1.0, v[35:36]
	s_wait_alu 0xfffe
	v_cmp_gt_f64_e64 s0, s[0:1], v[37:38]
	s_delay_alu instid0(VALU_DEP_2) | instskip(SKIP_2) | instid1(VALU_DEP_3)
	v_add_f64_e64 v[37:38], v[39:40], -v[35:36]
	v_add_f64_e64 v[39:40], v[25:26], -v[39:40]
	s_wait_alu 0xf1ff
	v_subrev_co_ci_u32_e64 v0, null, 0, v0, s0
	s_delay_alu instid0(VALU_DEP_3) | instskip(SKIP_1) | instid1(VALU_DEP_2)
	v_add_f64_e32 v[37:38], 1.0, v[37:38]
	s_mov_b32 s0, 0x55555780
	v_sub_nc_u32_e32 v65, 0, v0
	s_delay_alu instid0(VALU_DEP_1) | instskip(NEXT) | instid1(VALU_DEP_3)
	v_ldexp_f64 v[35:36], v[35:36], v65
	v_add_f64_e32 v[37:38], v[39:40], v[37:38]
	s_delay_alu instid0(VALU_DEP_2) | instskip(SKIP_2) | instid1(VALU_DEP_3)
	v_add_f64_e32 v[63:64], 1.0, v[35:36]
	s_wait_dscnt 0x0
	v_add_f64_e32 v[69:70], -1.0, v[35:36]
	v_ldexp_f64 v[37:38], v[37:38], v65
	s_delay_alu instid0(VALU_DEP_3) | instskip(NEXT) | instid1(VALU_DEP_3)
	v_add_f64_e32 v[39:40], -1.0, v[63:64]
	v_add_f64_e32 v[71:72], 1.0, v[69:70]
	s_delay_alu instid0(VALU_DEP_2) | instskip(NEXT) | instid1(VALU_DEP_2)
	v_add_f64_e64 v[39:40], v[35:36], -v[39:40]
	v_add_f64_e64 v[35:36], v[35:36], -v[71:72]
	s_delay_alu instid0(VALU_DEP_2) | instskip(NEXT) | instid1(VALU_DEP_2)
	v_add_f64_e32 v[39:40], v[37:38], v[39:40]
	v_add_f64_e32 v[35:36], v[37:38], v[35:36]
	s_delay_alu instid0(VALU_DEP_2) | instskip(NEXT) | instid1(VALU_DEP_2)
	v_add_f64_e32 v[65:66], v[63:64], v[39:40]
	v_add_f64_e32 v[71:72], v[69:70], v[35:36]
	s_delay_alu instid0(VALU_DEP_2) | instskip(SKIP_1) | instid1(VALU_DEP_2)
	v_rcp_f64_e32 v[67:68], v[65:66]
	v_add_f64_e64 v[63:64], v[65:66], -v[63:64]
	v_add_f64_e64 v[69:70], v[71:72], -v[69:70]
	s_delay_alu instid0(VALU_DEP_2) | instskip(NEXT) | instid1(TRANS32_DEP_1)
	v_add_f64_e64 v[39:40], v[39:40], -v[63:64]
	v_fma_f64 v[73:74], -v[65:66], v[67:68], 1.0
	s_delay_alu instid0(VALU_DEP_3) | instskip(NEXT) | instid1(VALU_DEP_2)
	v_add_f64_e64 v[35:36], v[35:36], -v[69:70]
	v_fma_f64 v[67:68], v[73:74], v[67:68], v[67:68]
	s_delay_alu instid0(VALU_DEP_1) | instskip(NEXT) | instid1(VALU_DEP_1)
	v_fma_f64 v[37:38], -v[65:66], v[67:68], 1.0
	v_fma_f64 v[37:38], v[37:38], v[67:68], v[67:68]
	s_delay_alu instid0(VALU_DEP_1) | instskip(NEXT) | instid1(VALU_DEP_1)
	v_mul_f64_e32 v[67:68], v[71:72], v[37:38]
	v_mul_f64_e32 v[73:74], v[65:66], v[67:68]
	s_delay_alu instid0(VALU_DEP_1) | instskip(NEXT) | instid1(VALU_DEP_1)
	v_fma_f64 v[63:64], v[67:68], v[65:66], -v[73:74]
	v_fma_f64 v[63:64], v[67:68], v[39:40], v[63:64]
	s_delay_alu instid0(VALU_DEP_1) | instskip(NEXT) | instid1(VALU_DEP_1)
	v_add_f64_e32 v[75:76], v[73:74], v[63:64]
	v_add_f64_e64 v[95:96], v[71:72], -v[75:76]
	v_add_f64_e64 v[69:70], v[75:76], -v[73:74]
	s_delay_alu instid0(VALU_DEP_2) | instskip(NEXT) | instid1(VALU_DEP_2)
	v_add_f64_e64 v[71:72], v[71:72], -v[95:96]
	v_add_f64_e64 v[63:64], v[69:70], -v[63:64]
	s_delay_alu instid0(VALU_DEP_2) | instskip(NEXT) | instid1(VALU_DEP_1)
	v_add_f64_e64 v[71:72], v[71:72], -v[75:76]
	v_add_f64_e32 v[35:36], v[35:36], v[71:72]
	s_delay_alu instid0(VALU_DEP_1) | instskip(NEXT) | instid1(VALU_DEP_1)
	v_add_f64_e32 v[35:36], v[63:64], v[35:36]
	v_add_f64_e32 v[63:64], v[95:96], v[35:36]
	s_delay_alu instid0(VALU_DEP_1) | instskip(SKIP_1) | instid1(VALU_DEP_2)
	v_mul_f64_e32 v[69:70], v[37:38], v[63:64]
	v_add_f64_e64 v[75:76], v[95:96], -v[63:64]
	v_mul_f64_e32 v[71:72], v[65:66], v[69:70]
	s_delay_alu instid0(VALU_DEP_2) | instskip(NEXT) | instid1(VALU_DEP_2)
	v_add_f64_e32 v[35:36], v[35:36], v[75:76]
	v_fma_f64 v[65:66], v[69:70], v[65:66], -v[71:72]
	s_delay_alu instid0(VALU_DEP_1) | instskip(NEXT) | instid1(VALU_DEP_1)
	v_fma_f64 v[39:40], v[69:70], v[39:40], v[65:66]
	v_add_f64_e32 v[65:66], v[71:72], v[39:40]
	s_delay_alu instid0(VALU_DEP_1) | instskip(SKIP_1) | instid1(VALU_DEP_2)
	v_add_f64_e64 v[73:74], v[63:64], -v[65:66]
	v_add_f64_e64 v[71:72], v[65:66], -v[71:72]
	;; [unrolled: 1-line block ×3, first 2 shown]
	s_delay_alu instid0(VALU_DEP_2) | instskip(NEXT) | instid1(VALU_DEP_2)
	v_add_f64_e64 v[39:40], v[71:72], -v[39:40]
	v_add_f64_e64 v[63:64], v[63:64], -v[65:66]
	s_delay_alu instid0(VALU_DEP_1) | instskip(SKIP_1) | instid1(VALU_DEP_2)
	v_add_f64_e32 v[35:36], v[35:36], v[63:64]
	v_add_f64_e32 v[63:64], v[67:68], v[69:70]
	;; [unrolled: 1-line block ×3, first 2 shown]
	s_delay_alu instid0(VALU_DEP_2) | instskip(NEXT) | instid1(VALU_DEP_2)
	v_add_f64_e64 v[39:40], v[63:64], -v[67:68]
	v_add_f64_e32 v[35:36], v[73:74], v[35:36]
	s_delay_alu instid0(VALU_DEP_2) | instskip(NEXT) | instid1(VALU_DEP_2)
	v_add_f64_e64 v[39:40], v[69:70], -v[39:40]
	v_mul_f64_e32 v[35:36], v[37:38], v[35:36]
	s_delay_alu instid0(VALU_DEP_1) | instskip(NEXT) | instid1(VALU_DEP_1)
	v_add_f64_e32 v[35:36], v[39:40], v[35:36]
	v_add_f64_e32 v[37:38], v[63:64], v[35:36]
	s_delay_alu instid0(VALU_DEP_1) | instskip(NEXT) | instid1(VALU_DEP_1)
	v_mul_f64_e32 v[39:40], v[37:38], v[37:38]
	v_fma_f64 v[65:66], v[39:40], s[40:41], s[38:39]
	s_mov_b32 s38, 0xd7f4df2e
	s_mov_b32 s39, 0x3fc7474d
	v_mul_f64_e32 v[67:68], v[37:38], v[39:40]
	s_wait_alu 0xfffe
	s_delay_alu instid0(VALU_DEP_2) | instskip(SKIP_3) | instid1(VALU_DEP_1)
	v_fma_f64 v[65:66], v[39:40], v[65:66], s[38:39]
	s_mov_b32 s38, 0x16291751
	s_mov_b32 s39, 0x3fcc71c0
	s_wait_alu 0xfffe
	v_fma_f64 v[65:66], v[39:40], v[65:66], s[38:39]
	s_mov_b32 s38, 0x9b27acf1
	s_mov_b32 s39, 0x3fd24924
	s_wait_alu 0xfffe
	s_delay_alu instid0(VALU_DEP_1) | instskip(SKIP_3) | instid1(VALU_DEP_1)
	v_fma_f64 v[65:66], v[39:40], v[65:66], s[38:39]
	s_mov_b32 s38, 0x998ef7b6
	s_mov_b32 s39, 0x3fd99999
	s_wait_alu 0xfffe
	v_fma_f64 v[65:66], v[39:40], v[65:66], s[38:39]
	s_delay_alu instid0(VALU_DEP_1)
	v_fma_f64 v[39:40], v[39:40], v[65:66], s[0:1]
	v_ldexp_f64 v[65:66], v[37:38], 1
	v_add_f64_e64 v[37:38], v[37:38], -v[63:64]
	v_cmp_nge_f64_e64 s0, -1.0, v[25:26]
	v_cmp_neq_f64_e64 s1, 0x7ff00000, v[25:26]
	v_mul_f64_e32 v[39:40], v[67:68], v[39:40]
	v_cvt_f64_i32_e32 v[67:68], v0
	v_add_f64_e64 v[35:36], v[35:36], -v[37:38]
	s_and_b32 s0, s0, s1
	s_delay_alu instid0(VALU_DEP_3) | instskip(NEXT) | instid1(VALU_DEP_3)
	v_add_f64_e32 v[63:64], v[65:66], v[39:40]
	v_mul_f64_e32 v[69:70], s[18:19], v[67:68]
	s_delay_alu instid0(VALU_DEP_3) | instskip(NEXT) | instid1(VALU_DEP_3)
	v_ldexp_f64 v[35:36], v[35:36], 1
	v_add_f64_e64 v[37:38], v[63:64], -v[65:66]
	s_delay_alu instid0(VALU_DEP_3) | instskip(NEXT) | instid1(VALU_DEP_2)
	v_fma_f64 v[65:66], v[67:68], s[18:19], -v[69:70]
	v_add_f64_e64 v[37:38], v[39:40], -v[37:38]
	s_delay_alu instid0(VALU_DEP_2) | instskip(NEXT) | instid1(VALU_DEP_2)
	v_fma_f64 v[39:40], v[67:68], s[34:35], v[65:66]
	v_add_f64_e32 v[35:36], v[35:36], v[37:38]
	s_delay_alu instid0(VALU_DEP_2) | instskip(NEXT) | instid1(VALU_DEP_2)
	v_add_f64_e32 v[37:38], v[69:70], v[39:40]
	v_add_f64_e32 v[65:66], v[63:64], v[35:36]
	s_delay_alu instid0(VALU_DEP_2) | instskip(NEXT) | instid1(VALU_DEP_2)
	v_add_f64_e64 v[69:70], v[37:38], -v[69:70]
	v_add_f64_e32 v[67:68], v[37:38], v[65:66]
	v_add_f64_e64 v[63:64], v[65:66], -v[63:64]
	s_delay_alu instid0(VALU_DEP_3) | instskip(NEXT) | instid1(VALU_DEP_3)
	v_add_f64_e64 v[39:40], v[39:40], -v[69:70]
	v_add_f64_e64 v[71:72], v[67:68], -v[37:38]
	s_delay_alu instid0(VALU_DEP_3) | instskip(NEXT) | instid1(VALU_DEP_2)
	v_add_f64_e64 v[35:36], v[35:36], -v[63:64]
	v_add_f64_e64 v[73:74], v[67:68], -v[71:72]
	;; [unrolled: 1-line block ×3, first 2 shown]
	s_delay_alu instid0(VALU_DEP_3) | instskip(NEXT) | instid1(VALU_DEP_3)
	v_add_f64_e32 v[65:66], v[39:40], v[35:36]
	v_add_f64_e64 v[37:38], v[37:38], -v[73:74]
	s_delay_alu instid0(VALU_DEP_1) | instskip(NEXT) | instid1(VALU_DEP_3)
	v_add_f64_e32 v[37:38], v[63:64], v[37:38]
	v_add_f64_e64 v[63:64], v[65:66], -v[39:40]
	s_delay_alu instid0(VALU_DEP_2) | instskip(NEXT) | instid1(VALU_DEP_2)
	v_add_f64_e32 v[37:38], v[65:66], v[37:38]
	v_add_f64_e64 v[65:66], v[65:66], -v[63:64]
	v_add_f64_e64 v[35:36], v[35:36], -v[63:64]
	s_delay_alu instid0(VALU_DEP_3) | instskip(NEXT) | instid1(VALU_DEP_3)
	v_add_f64_e32 v[69:70], v[67:68], v[37:38]
	v_add_f64_e64 v[39:40], v[39:40], -v[65:66]
	s_delay_alu instid0(VALU_DEP_2) | instskip(NEXT) | instid1(VALU_DEP_2)
	v_add_f64_e64 v[63:64], v[69:70], -v[67:68]
	v_add_f64_e32 v[35:36], v[35:36], v[39:40]
	s_delay_alu instid0(VALU_DEP_2) | instskip(NEXT) | instid1(VALU_DEP_1)
	v_add_f64_e64 v[37:38], v[37:38], -v[63:64]
	v_add_f64_e32 v[35:36], v[35:36], v[37:38]
	s_delay_alu instid0(VALU_DEP_1) | instskip(SKIP_1) | instid1(VALU_DEP_1)
	v_add_f64_e32 v[35:36], v[69:70], v[35:36]
	s_wait_alu 0xfffe
	v_cndmask_b32_e64 v35, 0, v35, s0
	v_cmp_neq_f64_e64 s0, -1.0, v[25:26]
	s_delay_alu instid0(VALU_DEP_3) | instskip(NEXT) | instid1(VALU_DEP_1)
	v_cndmask_b32_e64 v0, 0x7ff00000, v36, s1
	v_cndmask_b32_e64 v0, 0x7ff80000, v0, s17
	s_wait_alu 0xf1ff
	s_delay_alu instid0(VALU_DEP_1) | instskip(NEXT) | instid1(VALU_DEP_1)
	v_cndmask_b32_e64 v36, 0xfff00000, v0, s0
	v_add_f64_e32 v[25:26], v[33:34], v[35:36]
.LBB23_114:
	s_wait_alu 0xfffe
	s_or_b32 exec_lo, exec_lo, s20
	s_delay_alu instid0(VALU_DEP_1) | instskip(SKIP_1) | instid1(VALU_DEP_2)
	v_max_num_f64_e32 v[33:34], v[25:26], v[25:26]
	v_cmp_u_f64_e64 s0, v[25:26], v[25:26]
	v_min_num_f64_e32 v[35:36], v[33:34], v[41:42]
	v_max_num_f64_e32 v[33:34], v[33:34], v[41:42]
	s_wait_alu 0xf1ff
	s_delay_alu instid0(VALU_DEP_2) | instskip(NEXT) | instid1(VALU_DEP_3)
	v_cndmask_b32_e64 v0, v35, v25, s0
	v_cndmask_b32_e64 v35, v36, v26, s0
	s_delay_alu instid0(VALU_DEP_3) | instskip(NEXT) | instid1(VALU_DEP_4)
	v_cndmask_b32_e64 v34, v34, v26, s0
	v_cndmask_b32_e64 v33, v33, v25, s0
	s_delay_alu instid0(VALU_DEP_3) | instskip(SKIP_1) | instid1(VALU_DEP_4)
	v_cndmask_b32_e64 v36, v35, v28, s21
	v_cndmask_b32_e64 v35, v0, v27, s21
	;; [unrolled: 1-line block ×3, first 2 shown]
	s_delay_alu instid0(VALU_DEP_4) | instskip(SKIP_1) | instid1(VALU_DEP_4)
	v_cndmask_b32_e64 v33, v33, v27, s21
	v_dual_mov_b32 v28, v26 :: v_dual_mov_b32 v27, v25
	v_cmp_class_f64_e64 s1, v[35:36], 0x1f8
	s_delay_alu instid0(VALU_DEP_3)
	v_cmp_neq_f64_e64 s0, v[35:36], v[33:34]
	s_or_b32 s0, s0, s1
	s_wait_alu 0xfffe
	s_and_saveexec_b32 s33, s0
	s_cbranch_execz .LBB23_116
; %bb.115:
	v_add_f64_e64 v[27:28], v[35:36], -v[33:34]
	s_mov_b32 s0, 0x652b82fe
	s_mov_b32 s1, 0x3ff71547
	;; [unrolled: 1-line block ×10, first 2 shown]
	s_wait_alu 0xfffe
	s_delay_alu instid0(VALU_DEP_1) | instskip(SKIP_2) | instid1(VALU_DEP_1)
	v_mul_f64_e32 v[35:36], s[0:1], v[27:28]
	s_mov_b32 s0, 0xfca7ab0c
	s_mov_b32 s1, 0x3e928af3
	v_rndne_f64_e32 v[35:36], v[35:36]
	s_delay_alu instid0(VALU_DEP_1) | instskip(SKIP_2) | instid1(VALU_DEP_2)
	v_fma_f64 v[37:38], v[35:36], s[18:19], v[27:28]
	v_cvt_i32_f64_e32 v0, v[35:36]
	s_mov_b32 s19, 0x3fe62e42
	v_fma_f64 v[37:38], v[35:36], s[20:21], v[37:38]
	s_mov_b32 s21, 0x3c7abc9e
	s_wait_alu 0xfffe
	s_delay_alu instid0(VALU_DEP_1)
	v_fma_f64 v[39:40], v[37:38], s[34:35], s[0:1]
	s_mov_b32 s0, 0x623fde64
	s_mov_b32 s1, 0x3ec71dee
	;; [unrolled: 1-line block ×4, first 2 shown]
	s_wait_alu 0xfffe
	s_delay_alu instid0(VALU_DEP_1) | instskip(SKIP_3) | instid1(VALU_DEP_1)
	v_fma_f64 v[39:40], v[37:38], v[39:40], s[0:1]
	s_mov_b32 s0, 0x7c89e6b0
	s_mov_b32 s1, 0x3efa0199
	s_wait_alu 0xfffe
	v_fma_f64 v[39:40], v[37:38], v[39:40], s[0:1]
	s_mov_b32 s0, 0x14761f6e
	s_mov_b32 s1, 0x3f2a01a0
	s_wait_alu 0xfffe
	s_delay_alu instid0(VALU_DEP_1) | instskip(SKIP_3) | instid1(VALU_DEP_1)
	v_fma_f64 v[39:40], v[37:38], v[39:40], s[0:1]
	s_mov_b32 s0, 0x1852b7b0
	s_mov_b32 s1, 0x3f56c16c
	s_wait_alu 0xfffe
	v_fma_f64 v[39:40], v[37:38], v[39:40], s[0:1]
	s_mov_b32 s0, 0x11122322
	s_mov_b32 s1, 0x3f811111
	;; [unrolled: 9-line block ×3, first 2 shown]
	s_wait_alu 0xfffe
	s_delay_alu instid0(VALU_DEP_1) | instskip(SKIP_3) | instid1(VALU_DEP_1)
	v_fma_f64 v[39:40], v[37:38], v[39:40], s[0:1]
	s_mov_b32 s0, 11
	s_mov_b32 s1, 0x3fe00000
	s_wait_alu 0xfffe
	v_fma_f64 v[39:40], v[37:38], v[39:40], s[0:1]
	v_cmp_nlt_f64_e64 s0, 0x40900000, v[27:28]
	v_cmp_ngt_f64_e64 s1, 0xc090cc00, v[27:28]
	s_delay_alu instid0(VALU_DEP_3) | instskip(NEXT) | instid1(VALU_DEP_1)
	v_fma_f64 v[39:40], v[37:38], v[39:40], 1.0
	v_fma_f64 v[35:36], v[37:38], v[39:40], 1.0
	s_delay_alu instid0(VALU_DEP_1) | instskip(SKIP_1) | instid1(VALU_DEP_1)
	v_ldexp_f64 v[35:36], v[35:36], v0
	s_wait_alu 0xf1ff
	v_cndmask_b32_e64 v0, 0x7ff00000, v36, s0
	s_and_b32 s0, s1, s0
	s_wait_alu 0xfffe
	s_delay_alu instid0(VALU_DEP_2) | instskip(SKIP_3) | instid1(VALU_DEP_1)
	v_cndmask_b32_e64 v27, 0, v35, s0
	s_mov_b32 s0, 0x55555555
	v_cndmask_b32_e64 v28, 0, v0, s1
	s_mov_b32 s1, 0x3fe55555
	v_add_f64_e32 v[35:36], 1.0, v[27:28]
	v_cmp_ngt_f64_e64 s17, -1.0, v[27:28]
	s_delay_alu instid0(VALU_DEP_2) | instskip(SKIP_3) | instid1(VALU_DEP_3)
	v_frexp_mant_f64_e32 v[37:38], v[35:36]
	v_frexp_exp_i32_f64_e32 v0, v[35:36]
	v_add_f64_e32 v[39:40], -1.0, v[35:36]
	s_wait_alu 0xfffe
	v_cmp_gt_f64_e64 s0, s[0:1], v[37:38]
	s_delay_alu instid0(VALU_DEP_2) | instskip(SKIP_2) | instid1(VALU_DEP_3)
	v_add_f64_e64 v[37:38], v[39:40], -v[35:36]
	v_add_f64_e64 v[39:40], v[27:28], -v[39:40]
	s_wait_alu 0xf1ff
	v_subrev_co_ci_u32_e64 v0, null, 0, v0, s0
	s_delay_alu instid0(VALU_DEP_3) | instskip(SKIP_1) | instid1(VALU_DEP_2)
	v_add_f64_e32 v[37:38], 1.0, v[37:38]
	s_mov_b32 s0, 0x55555780
	v_sub_nc_u32_e32 v63, 0, v0
	s_delay_alu instid0(VALU_DEP_1) | instskip(NEXT) | instid1(VALU_DEP_3)
	v_ldexp_f64 v[35:36], v[35:36], v63
	v_add_f64_e32 v[37:38], v[39:40], v[37:38]
	s_delay_alu instid0(VALU_DEP_2) | instskip(SKIP_1) | instid1(VALU_DEP_3)
	v_add_f64_e32 v[41:42], 1.0, v[35:36]
	v_add_f64_e32 v[67:68], -1.0, v[35:36]
	v_ldexp_f64 v[37:38], v[37:38], v63
	s_delay_alu instid0(VALU_DEP_3) | instskip(SKIP_1) | instid1(VALU_DEP_3)
	v_add_f64_e32 v[39:40], -1.0, v[41:42]
	s_wait_dscnt 0x0
	v_add_f64_e32 v[69:70], 1.0, v[67:68]
	s_delay_alu instid0(VALU_DEP_2) | instskip(NEXT) | instid1(VALU_DEP_2)
	v_add_f64_e64 v[39:40], v[35:36], -v[39:40]
	v_add_f64_e64 v[35:36], v[35:36], -v[69:70]
	s_delay_alu instid0(VALU_DEP_2) | instskip(NEXT) | instid1(VALU_DEP_2)
	v_add_f64_e32 v[39:40], v[37:38], v[39:40]
	v_add_f64_e32 v[35:36], v[37:38], v[35:36]
	s_delay_alu instid0(VALU_DEP_2) | instskip(NEXT) | instid1(VALU_DEP_2)
	v_add_f64_e32 v[63:64], v[41:42], v[39:40]
	v_add_f64_e32 v[69:70], v[67:68], v[35:36]
	s_delay_alu instid0(VALU_DEP_2) | instskip(SKIP_1) | instid1(VALU_DEP_2)
	v_rcp_f64_e32 v[65:66], v[63:64]
	v_add_f64_e64 v[41:42], v[63:64], -v[41:42]
	v_add_f64_e64 v[67:68], v[69:70], -v[67:68]
	s_delay_alu instid0(VALU_DEP_2) | instskip(NEXT) | instid1(TRANS32_DEP_1)
	v_add_f64_e64 v[39:40], v[39:40], -v[41:42]
	v_fma_f64 v[71:72], -v[63:64], v[65:66], 1.0
	s_delay_alu instid0(VALU_DEP_3) | instskip(NEXT) | instid1(VALU_DEP_2)
	v_add_f64_e64 v[35:36], v[35:36], -v[67:68]
	v_fma_f64 v[65:66], v[71:72], v[65:66], v[65:66]
	s_delay_alu instid0(VALU_DEP_1) | instskip(NEXT) | instid1(VALU_DEP_1)
	v_fma_f64 v[37:38], -v[63:64], v[65:66], 1.0
	v_fma_f64 v[37:38], v[37:38], v[65:66], v[65:66]
	s_delay_alu instid0(VALU_DEP_1) | instskip(NEXT) | instid1(VALU_DEP_1)
	v_mul_f64_e32 v[65:66], v[69:70], v[37:38]
	v_mul_f64_e32 v[71:72], v[63:64], v[65:66]
	s_delay_alu instid0(VALU_DEP_1) | instskip(NEXT) | instid1(VALU_DEP_1)
	v_fma_f64 v[41:42], v[65:66], v[63:64], -v[71:72]
	v_fma_f64 v[41:42], v[65:66], v[39:40], v[41:42]
	s_delay_alu instid0(VALU_DEP_1) | instskip(NEXT) | instid1(VALU_DEP_1)
	v_add_f64_e32 v[73:74], v[71:72], v[41:42]
	v_add_f64_e64 v[75:76], v[69:70], -v[73:74]
	v_add_f64_e64 v[67:68], v[73:74], -v[71:72]
	s_delay_alu instid0(VALU_DEP_2) | instskip(NEXT) | instid1(VALU_DEP_2)
	v_add_f64_e64 v[69:70], v[69:70], -v[75:76]
	v_add_f64_e64 v[41:42], v[67:68], -v[41:42]
	s_delay_alu instid0(VALU_DEP_2) | instskip(NEXT) | instid1(VALU_DEP_1)
	v_add_f64_e64 v[69:70], v[69:70], -v[73:74]
	v_add_f64_e32 v[35:36], v[35:36], v[69:70]
	s_delay_alu instid0(VALU_DEP_1) | instskip(NEXT) | instid1(VALU_DEP_1)
	v_add_f64_e32 v[35:36], v[41:42], v[35:36]
	v_add_f64_e32 v[41:42], v[75:76], v[35:36]
	s_delay_alu instid0(VALU_DEP_1) | instskip(SKIP_1) | instid1(VALU_DEP_2)
	v_mul_f64_e32 v[67:68], v[37:38], v[41:42]
	v_add_f64_e64 v[73:74], v[75:76], -v[41:42]
	v_mul_f64_e32 v[69:70], v[63:64], v[67:68]
	s_delay_alu instid0(VALU_DEP_2) | instskip(NEXT) | instid1(VALU_DEP_2)
	v_add_f64_e32 v[35:36], v[35:36], v[73:74]
	v_fma_f64 v[63:64], v[67:68], v[63:64], -v[69:70]
	s_delay_alu instid0(VALU_DEP_1) | instskip(NEXT) | instid1(VALU_DEP_1)
	v_fma_f64 v[39:40], v[67:68], v[39:40], v[63:64]
	v_add_f64_e32 v[63:64], v[69:70], v[39:40]
	s_delay_alu instid0(VALU_DEP_1) | instskip(SKIP_1) | instid1(VALU_DEP_2)
	v_add_f64_e64 v[71:72], v[41:42], -v[63:64]
	v_add_f64_e64 v[69:70], v[63:64], -v[69:70]
	;; [unrolled: 1-line block ×3, first 2 shown]
	s_delay_alu instid0(VALU_DEP_2) | instskip(NEXT) | instid1(VALU_DEP_2)
	v_add_f64_e64 v[39:40], v[69:70], -v[39:40]
	v_add_f64_e64 v[41:42], v[41:42], -v[63:64]
	s_delay_alu instid0(VALU_DEP_1) | instskip(SKIP_1) | instid1(VALU_DEP_2)
	v_add_f64_e32 v[35:36], v[35:36], v[41:42]
	v_add_f64_e32 v[41:42], v[65:66], v[67:68]
	;; [unrolled: 1-line block ×3, first 2 shown]
	s_delay_alu instid0(VALU_DEP_2) | instskip(NEXT) | instid1(VALU_DEP_2)
	v_add_f64_e64 v[39:40], v[41:42], -v[65:66]
	v_add_f64_e32 v[35:36], v[71:72], v[35:36]
	s_delay_alu instid0(VALU_DEP_2) | instskip(NEXT) | instid1(VALU_DEP_2)
	v_add_f64_e64 v[39:40], v[67:68], -v[39:40]
	v_mul_f64_e32 v[35:36], v[37:38], v[35:36]
	s_delay_alu instid0(VALU_DEP_1) | instskip(NEXT) | instid1(VALU_DEP_1)
	v_add_f64_e32 v[35:36], v[39:40], v[35:36]
	v_add_f64_e32 v[37:38], v[41:42], v[35:36]
	s_delay_alu instid0(VALU_DEP_1) | instskip(NEXT) | instid1(VALU_DEP_1)
	v_mul_f64_e32 v[39:40], v[37:38], v[37:38]
	v_fma_f64 v[63:64], v[39:40], s[38:39], s[34:35]
	s_mov_b32 s34, 0xd7f4df2e
	s_mov_b32 s35, 0x3fc7474d
	v_mul_f64_e32 v[65:66], v[37:38], v[39:40]
	s_wait_alu 0xfffe
	s_delay_alu instid0(VALU_DEP_2) | instskip(SKIP_3) | instid1(VALU_DEP_1)
	v_fma_f64 v[63:64], v[39:40], v[63:64], s[34:35]
	s_mov_b32 s34, 0x16291751
	s_mov_b32 s35, 0x3fcc71c0
	s_wait_alu 0xfffe
	v_fma_f64 v[63:64], v[39:40], v[63:64], s[34:35]
	s_mov_b32 s34, 0x9b27acf1
	s_mov_b32 s35, 0x3fd24924
	s_wait_alu 0xfffe
	s_delay_alu instid0(VALU_DEP_1) | instskip(SKIP_3) | instid1(VALU_DEP_1)
	v_fma_f64 v[63:64], v[39:40], v[63:64], s[34:35]
	s_mov_b32 s34, 0x998ef7b6
	s_mov_b32 s35, 0x3fd99999
	s_wait_alu 0xfffe
	v_fma_f64 v[63:64], v[39:40], v[63:64], s[34:35]
	s_delay_alu instid0(VALU_DEP_1)
	v_fma_f64 v[39:40], v[39:40], v[63:64], s[0:1]
	v_ldexp_f64 v[63:64], v[37:38], 1
	v_add_f64_e64 v[37:38], v[37:38], -v[41:42]
	v_cmp_nge_f64_e64 s0, -1.0, v[27:28]
	v_cmp_neq_f64_e64 s1, 0x7ff00000, v[27:28]
	v_mul_f64_e32 v[39:40], v[65:66], v[39:40]
	v_cvt_f64_i32_e32 v[65:66], v0
	v_add_f64_e64 v[35:36], v[35:36], -v[37:38]
	s_and_b32 s0, s0, s1
	s_delay_alu instid0(VALU_DEP_3) | instskip(NEXT) | instid1(VALU_DEP_3)
	v_add_f64_e32 v[41:42], v[63:64], v[39:40]
	v_mul_f64_e32 v[67:68], s[18:19], v[65:66]
	s_delay_alu instid0(VALU_DEP_3) | instskip(NEXT) | instid1(VALU_DEP_3)
	v_ldexp_f64 v[35:36], v[35:36], 1
	v_add_f64_e64 v[37:38], v[41:42], -v[63:64]
	s_delay_alu instid0(VALU_DEP_3) | instskip(NEXT) | instid1(VALU_DEP_2)
	v_fma_f64 v[63:64], v[65:66], s[18:19], -v[67:68]
	v_add_f64_e64 v[37:38], v[39:40], -v[37:38]
	s_delay_alu instid0(VALU_DEP_2) | instskip(NEXT) | instid1(VALU_DEP_2)
	v_fma_f64 v[39:40], v[65:66], s[20:21], v[63:64]
	v_add_f64_e32 v[35:36], v[35:36], v[37:38]
	s_delay_alu instid0(VALU_DEP_2) | instskip(NEXT) | instid1(VALU_DEP_2)
	v_add_f64_e32 v[37:38], v[67:68], v[39:40]
	v_add_f64_e32 v[63:64], v[41:42], v[35:36]
	s_delay_alu instid0(VALU_DEP_2) | instskip(NEXT) | instid1(VALU_DEP_2)
	v_add_f64_e64 v[67:68], v[37:38], -v[67:68]
	v_add_f64_e32 v[65:66], v[37:38], v[63:64]
	v_add_f64_e64 v[41:42], v[63:64], -v[41:42]
	s_delay_alu instid0(VALU_DEP_3) | instskip(NEXT) | instid1(VALU_DEP_3)
	v_add_f64_e64 v[39:40], v[39:40], -v[67:68]
	v_add_f64_e64 v[69:70], v[65:66], -v[37:38]
	s_delay_alu instid0(VALU_DEP_3) | instskip(NEXT) | instid1(VALU_DEP_2)
	v_add_f64_e64 v[35:36], v[35:36], -v[41:42]
	v_add_f64_e64 v[71:72], v[65:66], -v[69:70]
	;; [unrolled: 1-line block ×3, first 2 shown]
	s_delay_alu instid0(VALU_DEP_3) | instskip(NEXT) | instid1(VALU_DEP_3)
	v_add_f64_e32 v[63:64], v[39:40], v[35:36]
	v_add_f64_e64 v[37:38], v[37:38], -v[71:72]
	s_delay_alu instid0(VALU_DEP_1) | instskip(NEXT) | instid1(VALU_DEP_3)
	v_add_f64_e32 v[37:38], v[41:42], v[37:38]
	v_add_f64_e64 v[41:42], v[63:64], -v[39:40]
	s_delay_alu instid0(VALU_DEP_2) | instskip(NEXT) | instid1(VALU_DEP_2)
	v_add_f64_e32 v[37:38], v[63:64], v[37:38]
	v_add_f64_e64 v[63:64], v[63:64], -v[41:42]
	v_add_f64_e64 v[35:36], v[35:36], -v[41:42]
	s_delay_alu instid0(VALU_DEP_3) | instskip(NEXT) | instid1(VALU_DEP_3)
	v_add_f64_e32 v[67:68], v[65:66], v[37:38]
	v_add_f64_e64 v[39:40], v[39:40], -v[63:64]
	s_delay_alu instid0(VALU_DEP_2) | instskip(NEXT) | instid1(VALU_DEP_2)
	v_add_f64_e64 v[41:42], v[67:68], -v[65:66]
	v_add_f64_e32 v[35:36], v[35:36], v[39:40]
	s_delay_alu instid0(VALU_DEP_2) | instskip(NEXT) | instid1(VALU_DEP_1)
	v_add_f64_e64 v[37:38], v[37:38], -v[41:42]
	v_add_f64_e32 v[35:36], v[35:36], v[37:38]
	s_delay_alu instid0(VALU_DEP_1) | instskip(SKIP_1) | instid1(VALU_DEP_1)
	v_add_f64_e32 v[35:36], v[67:68], v[35:36]
	s_wait_alu 0xfffe
	v_cndmask_b32_e64 v35, 0, v35, s0
	v_cmp_neq_f64_e64 s0, -1.0, v[27:28]
	s_delay_alu instid0(VALU_DEP_3) | instskip(NEXT) | instid1(VALU_DEP_1)
	v_cndmask_b32_e64 v0, 0x7ff00000, v36, s1
	v_cndmask_b32_e64 v0, 0x7ff80000, v0, s17
	s_wait_alu 0xf1ff
	s_delay_alu instid0(VALU_DEP_1) | instskip(NEXT) | instid1(VALU_DEP_1)
	v_cndmask_b32_e64 v36, 0xfff00000, v0, s0
	v_add_f64_e32 v[27:28], v[33:34], v[35:36]
.LBB23_116:
	s_wait_alu 0xfffe
	s_or_b32 exec_lo, exec_lo, s33
	s_delay_alu instid0(VALU_DEP_1) | instskip(SKIP_1) | instid1(VALU_DEP_2)
	v_max_num_f64_e32 v[33:34], v[27:28], v[27:28]
	v_cmp_u_f64_e64 s0, v[27:28], v[27:28]
	v_min_num_f64_e32 v[35:36], v[33:34], v[43:44]
	v_max_num_f64_e32 v[33:34], v[33:34], v[43:44]
	s_wait_alu 0xf1ff
	s_delay_alu instid0(VALU_DEP_2) | instskip(NEXT) | instid1(VALU_DEP_3)
	v_cndmask_b32_e64 v0, v35, v27, s0
	v_cndmask_b32_e64 v35, v36, v28, s0
	s_delay_alu instid0(VALU_DEP_3) | instskip(NEXT) | instid1(VALU_DEP_4)
	v_cndmask_b32_e64 v34, v34, v28, s0
	v_cndmask_b32_e64 v33, v33, v27, s0
	s_delay_alu instid0(VALU_DEP_3) | instskip(SKIP_1) | instid1(VALU_DEP_4)
	v_cndmask_b32_e64 v36, v35, v22, s22
	v_cndmask_b32_e64 v35, v0, v21, s22
	;; [unrolled: 1-line block ×3, first 2 shown]
	s_delay_alu instid0(VALU_DEP_4) | instskip(SKIP_1) | instid1(VALU_DEP_4)
	v_cndmask_b32_e64 v33, v33, v21, s22
	v_dual_mov_b32 v21, v27 :: v_dual_mov_b32 v22, v28
	v_cmp_class_f64_e64 s1, v[35:36], 0x1f8
	s_delay_alu instid0(VALU_DEP_3)
	v_cmp_neq_f64_e64 s0, v[35:36], v[33:34]
	s_or_b32 s0, s0, s1
	s_wait_alu 0xfffe
	s_and_saveexec_b32 s22, s0
	s_cbranch_execz .LBB23_118
; %bb.117:
	v_add_f64_e64 v[21:22], v[35:36], -v[33:34]
	s_mov_b32 s0, 0x652b82fe
	s_mov_b32 s1, 0x3ff71547
	;; [unrolled: 1-line block ×10, first 2 shown]
	s_wait_alu 0xfffe
	s_delay_alu instid0(VALU_DEP_1) | instskip(SKIP_2) | instid1(VALU_DEP_1)
	v_mul_f64_e32 v[35:36], s[0:1], v[21:22]
	s_mov_b32 s0, 0xfca7ab0c
	s_mov_b32 s1, 0x3e928af3
	v_rndne_f64_e32 v[35:36], v[35:36]
	s_delay_alu instid0(VALU_DEP_1) | instskip(SKIP_2) | instid1(VALU_DEP_2)
	v_fma_f64 v[37:38], v[35:36], s[18:19], v[21:22]
	v_cvt_i32_f64_e32 v0, v[35:36]
	s_mov_b32 s19, 0x3fe62e42
	v_fma_f64 v[37:38], v[35:36], s[20:21], v[37:38]
	s_mov_b32 s21, 0x3c7abc9e
	s_wait_alu 0xfffe
	s_delay_alu instid0(VALU_DEP_1)
	v_fma_f64 v[39:40], v[37:38], s[34:35], s[0:1]
	s_mov_b32 s0, 0x623fde64
	s_mov_b32 s1, 0x3ec71dee
	;; [unrolled: 1-line block ×4, first 2 shown]
	s_wait_alu 0xfffe
	s_delay_alu instid0(VALU_DEP_1) | instskip(SKIP_3) | instid1(VALU_DEP_1)
	v_fma_f64 v[39:40], v[37:38], v[39:40], s[0:1]
	s_mov_b32 s0, 0x7c89e6b0
	s_mov_b32 s1, 0x3efa0199
	s_wait_alu 0xfffe
	v_fma_f64 v[39:40], v[37:38], v[39:40], s[0:1]
	s_mov_b32 s0, 0x14761f6e
	s_mov_b32 s1, 0x3f2a01a0
	s_wait_alu 0xfffe
	s_delay_alu instid0(VALU_DEP_1) | instskip(SKIP_3) | instid1(VALU_DEP_1)
	v_fma_f64 v[39:40], v[37:38], v[39:40], s[0:1]
	s_mov_b32 s0, 0x1852b7b0
	s_mov_b32 s1, 0x3f56c16c
	s_wait_alu 0xfffe
	v_fma_f64 v[39:40], v[37:38], v[39:40], s[0:1]
	s_mov_b32 s0, 0x11122322
	s_mov_b32 s1, 0x3f811111
	;; [unrolled: 9-line block ×3, first 2 shown]
	s_wait_alu 0xfffe
	s_delay_alu instid0(VALU_DEP_1) | instskip(SKIP_3) | instid1(VALU_DEP_1)
	v_fma_f64 v[39:40], v[37:38], v[39:40], s[0:1]
	s_mov_b32 s0, 11
	s_mov_b32 s1, 0x3fe00000
	s_wait_alu 0xfffe
	v_fma_f64 v[39:40], v[37:38], v[39:40], s[0:1]
	v_cmp_nlt_f64_e64 s0, 0x40900000, v[21:22]
	v_cmp_ngt_f64_e64 s1, 0xc090cc00, v[21:22]
	s_delay_alu instid0(VALU_DEP_3) | instskip(NEXT) | instid1(VALU_DEP_1)
	v_fma_f64 v[39:40], v[37:38], v[39:40], 1.0
	v_fma_f64 v[35:36], v[37:38], v[39:40], 1.0
	s_delay_alu instid0(VALU_DEP_1) | instskip(SKIP_1) | instid1(VALU_DEP_1)
	v_ldexp_f64 v[35:36], v[35:36], v0
	s_wait_alu 0xf1ff
	v_cndmask_b32_e64 v0, 0x7ff00000, v36, s0
	s_and_b32 s0, s1, s0
	s_wait_alu 0xfffe
	s_delay_alu instid0(VALU_DEP_2) | instskip(SKIP_3) | instid1(VALU_DEP_1)
	v_cndmask_b32_e64 v21, 0, v35, s0
	s_mov_b32 s0, 0x55555555
	v_cndmask_b32_e64 v22, 0, v0, s1
	s_mov_b32 s1, 0x3fe55555
	v_add_f64_e32 v[35:36], 1.0, v[21:22]
	v_cmp_ngt_f64_e64 s17, -1.0, v[21:22]
	s_delay_alu instid0(VALU_DEP_2) | instskip(SKIP_3) | instid1(VALU_DEP_3)
	v_frexp_mant_f64_e32 v[37:38], v[35:36]
	v_frexp_exp_i32_f64_e32 v0, v[35:36]
	v_add_f64_e32 v[39:40], -1.0, v[35:36]
	s_wait_alu 0xfffe
	v_cmp_gt_f64_e64 s0, s[0:1], v[37:38]
	s_delay_alu instid0(VALU_DEP_2) | instskip(SKIP_2) | instid1(VALU_DEP_3)
	v_add_f64_e64 v[37:38], v[39:40], -v[35:36]
	v_add_f64_e64 v[39:40], v[21:22], -v[39:40]
	s_wait_alu 0xf1ff
	v_subrev_co_ci_u32_e64 v0, null, 0, v0, s0
	s_delay_alu instid0(VALU_DEP_3) | instskip(SKIP_1) | instid1(VALU_DEP_2)
	v_add_f64_e32 v[37:38], 1.0, v[37:38]
	s_mov_b32 s0, 0x55555780
	v_sub_nc_u32_e32 v43, 0, v0
	s_delay_alu instid0(VALU_DEP_1) | instskip(NEXT) | instid1(VALU_DEP_3)
	v_ldexp_f64 v[35:36], v[35:36], v43
	v_add_f64_e32 v[37:38], v[39:40], v[37:38]
	s_delay_alu instid0(VALU_DEP_2) | instskip(SKIP_1) | instid1(VALU_DEP_3)
	v_add_f64_e32 v[41:42], 1.0, v[35:36]
	v_add_f64_e32 v[65:66], -1.0, v[35:36]
	v_ldexp_f64 v[37:38], v[37:38], v43
	s_delay_alu instid0(VALU_DEP_3) | instskip(NEXT) | instid1(VALU_DEP_3)
	v_add_f64_e32 v[39:40], -1.0, v[41:42]
	v_add_f64_e32 v[67:68], 1.0, v[65:66]
	s_delay_alu instid0(VALU_DEP_2) | instskip(NEXT) | instid1(VALU_DEP_2)
	v_add_f64_e64 v[39:40], v[35:36], -v[39:40]
	v_add_f64_e64 v[35:36], v[35:36], -v[67:68]
	s_delay_alu instid0(VALU_DEP_2) | instskip(NEXT) | instid1(VALU_DEP_2)
	v_add_f64_e32 v[39:40], v[37:38], v[39:40]
	v_add_f64_e32 v[35:36], v[37:38], v[35:36]
	s_delay_alu instid0(VALU_DEP_2) | instskip(NEXT) | instid1(VALU_DEP_2)
	v_add_f64_e32 v[43:44], v[41:42], v[39:40]
	v_add_f64_e32 v[67:68], v[65:66], v[35:36]
	s_delay_alu instid0(VALU_DEP_2) | instskip(SKIP_1) | instid1(VALU_DEP_2)
	v_rcp_f64_e32 v[63:64], v[43:44]
	v_add_f64_e64 v[41:42], v[43:44], -v[41:42]
	v_add_f64_e64 v[65:66], v[67:68], -v[65:66]
	s_delay_alu instid0(VALU_DEP_2) | instskip(SKIP_1) | instid1(TRANS32_DEP_1)
	v_add_f64_e64 v[39:40], v[39:40], -v[41:42]
	s_wait_dscnt 0x0
	v_fma_f64 v[69:70], -v[43:44], v[63:64], 1.0
	s_delay_alu instid0(VALU_DEP_3) | instskip(NEXT) | instid1(VALU_DEP_2)
	v_add_f64_e64 v[35:36], v[35:36], -v[65:66]
	v_fma_f64 v[63:64], v[69:70], v[63:64], v[63:64]
	s_delay_alu instid0(VALU_DEP_1) | instskip(NEXT) | instid1(VALU_DEP_1)
	v_fma_f64 v[37:38], -v[43:44], v[63:64], 1.0
	v_fma_f64 v[37:38], v[37:38], v[63:64], v[63:64]
	s_delay_alu instid0(VALU_DEP_1) | instskip(NEXT) | instid1(VALU_DEP_1)
	v_mul_f64_e32 v[63:64], v[67:68], v[37:38]
	v_mul_f64_e32 v[69:70], v[43:44], v[63:64]
	s_delay_alu instid0(VALU_DEP_1) | instskip(NEXT) | instid1(VALU_DEP_1)
	v_fma_f64 v[41:42], v[63:64], v[43:44], -v[69:70]
	v_fma_f64 v[41:42], v[63:64], v[39:40], v[41:42]
	s_delay_alu instid0(VALU_DEP_1) | instskip(NEXT) | instid1(VALU_DEP_1)
	v_add_f64_e32 v[71:72], v[69:70], v[41:42]
	v_add_f64_e64 v[73:74], v[67:68], -v[71:72]
	v_add_f64_e64 v[65:66], v[71:72], -v[69:70]
	s_delay_alu instid0(VALU_DEP_2) | instskip(NEXT) | instid1(VALU_DEP_2)
	v_add_f64_e64 v[67:68], v[67:68], -v[73:74]
	v_add_f64_e64 v[41:42], v[65:66], -v[41:42]
	s_delay_alu instid0(VALU_DEP_2) | instskip(NEXT) | instid1(VALU_DEP_1)
	v_add_f64_e64 v[67:68], v[67:68], -v[71:72]
	v_add_f64_e32 v[35:36], v[35:36], v[67:68]
	s_delay_alu instid0(VALU_DEP_1) | instskip(NEXT) | instid1(VALU_DEP_1)
	v_add_f64_e32 v[35:36], v[41:42], v[35:36]
	v_add_f64_e32 v[41:42], v[73:74], v[35:36]
	s_delay_alu instid0(VALU_DEP_1) | instskip(SKIP_1) | instid1(VALU_DEP_2)
	v_mul_f64_e32 v[65:66], v[37:38], v[41:42]
	v_add_f64_e64 v[71:72], v[73:74], -v[41:42]
	v_mul_f64_e32 v[67:68], v[43:44], v[65:66]
	s_delay_alu instid0(VALU_DEP_2) | instskip(NEXT) | instid1(VALU_DEP_2)
	v_add_f64_e32 v[35:36], v[35:36], v[71:72]
	v_fma_f64 v[43:44], v[65:66], v[43:44], -v[67:68]
	s_delay_alu instid0(VALU_DEP_1) | instskip(NEXT) | instid1(VALU_DEP_1)
	v_fma_f64 v[39:40], v[65:66], v[39:40], v[43:44]
	v_add_f64_e32 v[43:44], v[67:68], v[39:40]
	s_delay_alu instid0(VALU_DEP_1) | instskip(SKIP_1) | instid1(VALU_DEP_2)
	v_add_f64_e64 v[69:70], v[41:42], -v[43:44]
	v_add_f64_e64 v[67:68], v[43:44], -v[67:68]
	;; [unrolled: 1-line block ×3, first 2 shown]
	s_delay_alu instid0(VALU_DEP_2) | instskip(NEXT) | instid1(VALU_DEP_2)
	v_add_f64_e64 v[39:40], v[67:68], -v[39:40]
	v_add_f64_e64 v[41:42], v[41:42], -v[43:44]
	s_delay_alu instid0(VALU_DEP_1) | instskip(SKIP_1) | instid1(VALU_DEP_2)
	v_add_f64_e32 v[35:36], v[35:36], v[41:42]
	v_add_f64_e32 v[41:42], v[63:64], v[65:66]
	;; [unrolled: 1-line block ×3, first 2 shown]
	s_delay_alu instid0(VALU_DEP_2) | instskip(NEXT) | instid1(VALU_DEP_2)
	v_add_f64_e64 v[39:40], v[41:42], -v[63:64]
	v_add_f64_e32 v[35:36], v[69:70], v[35:36]
	s_delay_alu instid0(VALU_DEP_2) | instskip(NEXT) | instid1(VALU_DEP_2)
	v_add_f64_e64 v[39:40], v[65:66], -v[39:40]
	v_mul_f64_e32 v[35:36], v[37:38], v[35:36]
	s_delay_alu instid0(VALU_DEP_1) | instskip(NEXT) | instid1(VALU_DEP_1)
	v_add_f64_e32 v[35:36], v[39:40], v[35:36]
	v_add_f64_e32 v[37:38], v[41:42], v[35:36]
	s_delay_alu instid0(VALU_DEP_1) | instskip(NEXT) | instid1(VALU_DEP_1)
	v_mul_f64_e32 v[39:40], v[37:38], v[37:38]
	v_fma_f64 v[43:44], v[39:40], s[38:39], s[34:35]
	s_mov_b32 s34, 0xd7f4df2e
	s_mov_b32 s35, 0x3fc7474d
	v_mul_f64_e32 v[63:64], v[37:38], v[39:40]
	s_wait_alu 0xfffe
	s_delay_alu instid0(VALU_DEP_2) | instskip(SKIP_3) | instid1(VALU_DEP_1)
	v_fma_f64 v[43:44], v[39:40], v[43:44], s[34:35]
	s_mov_b32 s34, 0x16291751
	s_mov_b32 s35, 0x3fcc71c0
	s_wait_alu 0xfffe
	v_fma_f64 v[43:44], v[39:40], v[43:44], s[34:35]
	s_mov_b32 s34, 0x9b27acf1
	s_mov_b32 s35, 0x3fd24924
	s_wait_alu 0xfffe
	s_delay_alu instid0(VALU_DEP_1) | instskip(SKIP_3) | instid1(VALU_DEP_1)
	v_fma_f64 v[43:44], v[39:40], v[43:44], s[34:35]
	s_mov_b32 s34, 0x998ef7b6
	s_mov_b32 s35, 0x3fd99999
	s_wait_alu 0xfffe
	v_fma_f64 v[43:44], v[39:40], v[43:44], s[34:35]
	s_delay_alu instid0(VALU_DEP_1)
	v_fma_f64 v[39:40], v[39:40], v[43:44], s[0:1]
	v_ldexp_f64 v[43:44], v[37:38], 1
	v_add_f64_e64 v[37:38], v[37:38], -v[41:42]
	v_cmp_nge_f64_e64 s0, -1.0, v[21:22]
	v_cmp_neq_f64_e64 s1, 0x7ff00000, v[21:22]
	v_mul_f64_e32 v[39:40], v[63:64], v[39:40]
	v_cvt_f64_i32_e32 v[63:64], v0
	v_add_f64_e64 v[35:36], v[35:36], -v[37:38]
	s_and_b32 s0, s0, s1
	s_delay_alu instid0(VALU_DEP_3) | instskip(NEXT) | instid1(VALU_DEP_3)
	v_add_f64_e32 v[41:42], v[43:44], v[39:40]
	v_mul_f64_e32 v[65:66], s[18:19], v[63:64]
	s_delay_alu instid0(VALU_DEP_3) | instskip(NEXT) | instid1(VALU_DEP_3)
	v_ldexp_f64 v[35:36], v[35:36], 1
	v_add_f64_e64 v[37:38], v[41:42], -v[43:44]
	s_delay_alu instid0(VALU_DEP_3) | instskip(NEXT) | instid1(VALU_DEP_2)
	v_fma_f64 v[43:44], v[63:64], s[18:19], -v[65:66]
	v_add_f64_e64 v[37:38], v[39:40], -v[37:38]
	s_delay_alu instid0(VALU_DEP_2) | instskip(NEXT) | instid1(VALU_DEP_2)
	v_fma_f64 v[39:40], v[63:64], s[20:21], v[43:44]
	v_add_f64_e32 v[35:36], v[35:36], v[37:38]
	s_delay_alu instid0(VALU_DEP_2) | instskip(NEXT) | instid1(VALU_DEP_2)
	v_add_f64_e32 v[37:38], v[65:66], v[39:40]
	v_add_f64_e32 v[43:44], v[41:42], v[35:36]
	s_delay_alu instid0(VALU_DEP_2) | instskip(NEXT) | instid1(VALU_DEP_2)
	v_add_f64_e64 v[65:66], v[37:38], -v[65:66]
	v_add_f64_e32 v[63:64], v[37:38], v[43:44]
	v_add_f64_e64 v[41:42], v[43:44], -v[41:42]
	s_delay_alu instid0(VALU_DEP_3) | instskip(NEXT) | instid1(VALU_DEP_3)
	v_add_f64_e64 v[39:40], v[39:40], -v[65:66]
	v_add_f64_e64 v[67:68], v[63:64], -v[37:38]
	s_delay_alu instid0(VALU_DEP_3) | instskip(NEXT) | instid1(VALU_DEP_2)
	v_add_f64_e64 v[35:36], v[35:36], -v[41:42]
	v_add_f64_e64 v[69:70], v[63:64], -v[67:68]
	;; [unrolled: 1-line block ×3, first 2 shown]
	s_delay_alu instid0(VALU_DEP_3) | instskip(NEXT) | instid1(VALU_DEP_3)
	v_add_f64_e32 v[43:44], v[39:40], v[35:36]
	v_add_f64_e64 v[37:38], v[37:38], -v[69:70]
	s_delay_alu instid0(VALU_DEP_1) | instskip(NEXT) | instid1(VALU_DEP_3)
	v_add_f64_e32 v[37:38], v[41:42], v[37:38]
	v_add_f64_e64 v[41:42], v[43:44], -v[39:40]
	s_delay_alu instid0(VALU_DEP_2) | instskip(NEXT) | instid1(VALU_DEP_2)
	v_add_f64_e32 v[37:38], v[43:44], v[37:38]
	v_add_f64_e64 v[43:44], v[43:44], -v[41:42]
	v_add_f64_e64 v[35:36], v[35:36], -v[41:42]
	s_delay_alu instid0(VALU_DEP_3) | instskip(NEXT) | instid1(VALU_DEP_3)
	v_add_f64_e32 v[65:66], v[63:64], v[37:38]
	v_add_f64_e64 v[39:40], v[39:40], -v[43:44]
	s_delay_alu instid0(VALU_DEP_2) | instskip(NEXT) | instid1(VALU_DEP_2)
	v_add_f64_e64 v[41:42], v[65:66], -v[63:64]
	v_add_f64_e32 v[35:36], v[35:36], v[39:40]
	s_delay_alu instid0(VALU_DEP_2) | instskip(NEXT) | instid1(VALU_DEP_1)
	v_add_f64_e64 v[37:38], v[37:38], -v[41:42]
	v_add_f64_e32 v[35:36], v[35:36], v[37:38]
	s_delay_alu instid0(VALU_DEP_1) | instskip(SKIP_1) | instid1(VALU_DEP_1)
	v_add_f64_e32 v[35:36], v[65:66], v[35:36]
	s_wait_alu 0xfffe
	v_cndmask_b32_e64 v35, 0, v35, s0
	v_cmp_neq_f64_e64 s0, -1.0, v[21:22]
	s_delay_alu instid0(VALU_DEP_3) | instskip(NEXT) | instid1(VALU_DEP_1)
	v_cndmask_b32_e64 v0, 0x7ff00000, v36, s1
	v_cndmask_b32_e64 v0, 0x7ff80000, v0, s17
	s_wait_alu 0xf1ff
	s_delay_alu instid0(VALU_DEP_1) | instskip(NEXT) | instid1(VALU_DEP_1)
	v_cndmask_b32_e64 v36, 0xfff00000, v0, s0
	v_add_f64_e32 v[21:22], v[33:34], v[35:36]
.LBB23_118:
	s_wait_alu 0xfffe
	s_or_b32 exec_lo, exec_lo, s22
	s_delay_alu instid0(VALU_DEP_1) | instskip(SKIP_1) | instid1(VALU_DEP_2)
	v_max_num_f64_e32 v[33:34], v[21:22], v[21:22]
	v_cmp_u_f64_e64 s0, v[21:22], v[21:22]
	v_min_num_f64_e32 v[35:36], v[33:34], v[45:46]
	v_max_num_f64_e32 v[33:34], v[33:34], v[45:46]
	s_wait_alu 0xf1ff
	s_delay_alu instid0(VALU_DEP_2) | instskip(NEXT) | instid1(VALU_DEP_3)
	v_cndmask_b32_e64 v0, v35, v21, s0
	v_cndmask_b32_e64 v35, v36, v22, s0
	s_delay_alu instid0(VALU_DEP_3) | instskip(NEXT) | instid1(VALU_DEP_4)
	v_cndmask_b32_e64 v34, v34, v22, s0
	v_cndmask_b32_e64 v33, v33, v21, s0
	s_delay_alu instid0(VALU_DEP_3) | instskip(SKIP_1) | instid1(VALU_DEP_4)
	v_cndmask_b32_e64 v36, v35, v24, s23
	v_cndmask_b32_e64 v35, v0, v23, s23
	;; [unrolled: 1-line block ×3, first 2 shown]
	s_delay_alu instid0(VALU_DEP_4) | instskip(SKIP_1) | instid1(VALU_DEP_4)
	v_cndmask_b32_e64 v33, v33, v23, s23
	v_dual_mov_b32 v24, v22 :: v_dual_mov_b32 v23, v21
	v_cmp_class_f64_e64 s1, v[35:36], 0x1f8
	s_delay_alu instid0(VALU_DEP_3)
	v_cmp_neq_f64_e64 s0, v[35:36], v[33:34]
	s_or_b32 s0, s0, s1
	s_wait_alu 0xfffe
	s_and_saveexec_b32 s22, s0
	s_cbranch_execz .LBB23_120
; %bb.119:
	v_add_f64_e64 v[23:24], v[35:36], -v[33:34]
	s_mov_b32 s0, 0x652b82fe
	s_mov_b32 s1, 0x3ff71547
	;; [unrolled: 1-line block ×10, first 2 shown]
	s_wait_alu 0xfffe
	s_delay_alu instid0(VALU_DEP_1) | instskip(SKIP_2) | instid1(VALU_DEP_1)
	v_mul_f64_e32 v[35:36], s[0:1], v[23:24]
	s_mov_b32 s0, 0xfca7ab0c
	s_mov_b32 s1, 0x3e928af3
	v_rndne_f64_e32 v[35:36], v[35:36]
	s_delay_alu instid0(VALU_DEP_1) | instskip(SKIP_2) | instid1(VALU_DEP_2)
	v_fma_f64 v[37:38], v[35:36], s[18:19], v[23:24]
	v_cvt_i32_f64_e32 v0, v[35:36]
	s_mov_b32 s19, 0x3fe62e42
	v_fma_f64 v[37:38], v[35:36], s[20:21], v[37:38]
	s_mov_b32 s21, 0x3c7abc9e
	s_wait_alu 0xfffe
	s_delay_alu instid0(VALU_DEP_1)
	v_fma_f64 v[39:40], v[37:38], s[34:35], s[0:1]
	s_mov_b32 s0, 0x623fde64
	s_mov_b32 s1, 0x3ec71dee
	;; [unrolled: 1-line block ×4, first 2 shown]
	s_wait_alu 0xfffe
	s_delay_alu instid0(VALU_DEP_1) | instskip(SKIP_3) | instid1(VALU_DEP_1)
	v_fma_f64 v[39:40], v[37:38], v[39:40], s[0:1]
	s_mov_b32 s0, 0x7c89e6b0
	s_mov_b32 s1, 0x3efa0199
	s_wait_alu 0xfffe
	v_fma_f64 v[39:40], v[37:38], v[39:40], s[0:1]
	s_mov_b32 s0, 0x14761f6e
	s_mov_b32 s1, 0x3f2a01a0
	s_wait_alu 0xfffe
	s_delay_alu instid0(VALU_DEP_1) | instskip(SKIP_3) | instid1(VALU_DEP_1)
	v_fma_f64 v[39:40], v[37:38], v[39:40], s[0:1]
	s_mov_b32 s0, 0x1852b7b0
	s_mov_b32 s1, 0x3f56c16c
	s_wait_alu 0xfffe
	v_fma_f64 v[39:40], v[37:38], v[39:40], s[0:1]
	s_mov_b32 s0, 0x11122322
	s_mov_b32 s1, 0x3f811111
	;; [unrolled: 9-line block ×3, first 2 shown]
	s_wait_alu 0xfffe
	s_delay_alu instid0(VALU_DEP_1) | instskip(SKIP_3) | instid1(VALU_DEP_1)
	v_fma_f64 v[39:40], v[37:38], v[39:40], s[0:1]
	s_mov_b32 s0, 11
	s_mov_b32 s1, 0x3fe00000
	s_wait_alu 0xfffe
	v_fma_f64 v[39:40], v[37:38], v[39:40], s[0:1]
	v_cmp_nlt_f64_e64 s0, 0x40900000, v[23:24]
	v_cmp_ngt_f64_e64 s1, 0xc090cc00, v[23:24]
	s_delay_alu instid0(VALU_DEP_3) | instskip(NEXT) | instid1(VALU_DEP_1)
	v_fma_f64 v[39:40], v[37:38], v[39:40], 1.0
	v_fma_f64 v[35:36], v[37:38], v[39:40], 1.0
	s_delay_alu instid0(VALU_DEP_1) | instskip(SKIP_1) | instid1(VALU_DEP_1)
	v_ldexp_f64 v[35:36], v[35:36], v0
	s_wait_alu 0xf1ff
	v_cndmask_b32_e64 v0, 0x7ff00000, v36, s0
	s_and_b32 s0, s1, s0
	s_wait_alu 0xfffe
	s_delay_alu instid0(VALU_DEP_2) | instskip(SKIP_3) | instid1(VALU_DEP_1)
	v_cndmask_b32_e64 v23, 0, v35, s0
	s_mov_b32 s0, 0x55555555
	v_cndmask_b32_e64 v24, 0, v0, s1
	s_mov_b32 s1, 0x3fe55555
	v_add_f64_e32 v[35:36], 1.0, v[23:24]
	v_cmp_ngt_f64_e64 s17, -1.0, v[23:24]
	s_delay_alu instid0(VALU_DEP_2) | instskip(SKIP_3) | instid1(VALU_DEP_3)
	v_frexp_mant_f64_e32 v[37:38], v[35:36]
	v_frexp_exp_i32_f64_e32 v0, v[35:36]
	v_add_f64_e32 v[39:40], -1.0, v[35:36]
	s_wait_alu 0xfffe
	v_cmp_gt_f64_e64 s0, s[0:1], v[37:38]
	s_delay_alu instid0(VALU_DEP_2) | instskip(SKIP_2) | instid1(VALU_DEP_3)
	v_add_f64_e64 v[37:38], v[39:40], -v[35:36]
	v_add_f64_e64 v[39:40], v[23:24], -v[39:40]
	s_wait_alu 0xf1ff
	v_subrev_co_ci_u32_e64 v0, null, 0, v0, s0
	s_delay_alu instid0(VALU_DEP_3) | instskip(SKIP_1) | instid1(VALU_DEP_2)
	v_add_f64_e32 v[37:38], 1.0, v[37:38]
	s_mov_b32 s0, 0x55555780
	v_sub_nc_u32_e32 v43, 0, v0
	s_delay_alu instid0(VALU_DEP_1) | instskip(NEXT) | instid1(VALU_DEP_3)
	v_ldexp_f64 v[35:36], v[35:36], v43
	v_add_f64_e32 v[37:38], v[39:40], v[37:38]
	s_delay_alu instid0(VALU_DEP_2) | instskip(SKIP_1) | instid1(VALU_DEP_3)
	v_add_f64_e32 v[41:42], 1.0, v[35:36]
	v_add_f64_e32 v[63:64], -1.0, v[35:36]
	v_ldexp_f64 v[37:38], v[37:38], v43
	s_delay_alu instid0(VALU_DEP_3) | instskip(NEXT) | instid1(VALU_DEP_3)
	v_add_f64_e32 v[39:40], -1.0, v[41:42]
	v_add_f64_e32 v[65:66], 1.0, v[63:64]
	s_delay_alu instid0(VALU_DEP_2) | instskip(NEXT) | instid1(VALU_DEP_2)
	v_add_f64_e64 v[39:40], v[35:36], -v[39:40]
	v_add_f64_e64 v[35:36], v[35:36], -v[65:66]
	s_delay_alu instid0(VALU_DEP_2) | instskip(NEXT) | instid1(VALU_DEP_2)
	v_add_f64_e32 v[39:40], v[37:38], v[39:40]
	v_add_f64_e32 v[35:36], v[37:38], v[35:36]
	s_delay_alu instid0(VALU_DEP_2) | instskip(NEXT) | instid1(VALU_DEP_2)
	v_add_f64_e32 v[43:44], v[41:42], v[39:40]
	v_add_f64_e32 v[65:66], v[63:64], v[35:36]
	s_delay_alu instid0(VALU_DEP_2) | instskip(SKIP_1) | instid1(VALU_DEP_2)
	v_rcp_f64_e32 v[45:46], v[43:44]
	v_add_f64_e64 v[41:42], v[43:44], -v[41:42]
	v_add_f64_e64 v[63:64], v[65:66], -v[63:64]
	s_delay_alu instid0(VALU_DEP_2) | instskip(NEXT) | instid1(TRANS32_DEP_1)
	v_add_f64_e64 v[39:40], v[39:40], -v[41:42]
	v_fma_f64 v[67:68], -v[43:44], v[45:46], 1.0
	s_delay_alu instid0(VALU_DEP_3) | instskip(NEXT) | instid1(VALU_DEP_2)
	v_add_f64_e64 v[35:36], v[35:36], -v[63:64]
	v_fma_f64 v[45:46], v[67:68], v[45:46], v[45:46]
	s_delay_alu instid0(VALU_DEP_1) | instskip(NEXT) | instid1(VALU_DEP_1)
	v_fma_f64 v[37:38], -v[43:44], v[45:46], 1.0
	v_fma_f64 v[37:38], v[37:38], v[45:46], v[45:46]
	s_delay_alu instid0(VALU_DEP_1) | instskip(NEXT) | instid1(VALU_DEP_1)
	v_mul_f64_e32 v[45:46], v[65:66], v[37:38]
	v_mul_f64_e32 v[67:68], v[43:44], v[45:46]
	s_delay_alu instid0(VALU_DEP_1) | instskip(NEXT) | instid1(VALU_DEP_1)
	v_fma_f64 v[41:42], v[45:46], v[43:44], -v[67:68]
	v_fma_f64 v[41:42], v[45:46], v[39:40], v[41:42]
	s_wait_dscnt 0x0
	s_delay_alu instid0(VALU_DEP_1) | instskip(NEXT) | instid1(VALU_DEP_1)
	v_add_f64_e32 v[69:70], v[67:68], v[41:42]
	v_add_f64_e64 v[71:72], v[65:66], -v[69:70]
	v_add_f64_e64 v[63:64], v[69:70], -v[67:68]
	s_delay_alu instid0(VALU_DEP_2) | instskip(NEXT) | instid1(VALU_DEP_2)
	v_add_f64_e64 v[65:66], v[65:66], -v[71:72]
	v_add_f64_e64 v[41:42], v[63:64], -v[41:42]
	s_delay_alu instid0(VALU_DEP_2) | instskip(NEXT) | instid1(VALU_DEP_1)
	v_add_f64_e64 v[65:66], v[65:66], -v[69:70]
	v_add_f64_e32 v[35:36], v[35:36], v[65:66]
	s_delay_alu instid0(VALU_DEP_1) | instskip(NEXT) | instid1(VALU_DEP_1)
	v_add_f64_e32 v[35:36], v[41:42], v[35:36]
	v_add_f64_e32 v[41:42], v[71:72], v[35:36]
	s_delay_alu instid0(VALU_DEP_1) | instskip(SKIP_1) | instid1(VALU_DEP_2)
	v_mul_f64_e32 v[63:64], v[37:38], v[41:42]
	v_add_f64_e64 v[69:70], v[71:72], -v[41:42]
	v_mul_f64_e32 v[65:66], v[43:44], v[63:64]
	s_delay_alu instid0(VALU_DEP_2) | instskip(NEXT) | instid1(VALU_DEP_2)
	v_add_f64_e32 v[35:36], v[35:36], v[69:70]
	v_fma_f64 v[43:44], v[63:64], v[43:44], -v[65:66]
	s_delay_alu instid0(VALU_DEP_1) | instskip(NEXT) | instid1(VALU_DEP_1)
	v_fma_f64 v[39:40], v[63:64], v[39:40], v[43:44]
	v_add_f64_e32 v[43:44], v[65:66], v[39:40]
	s_delay_alu instid0(VALU_DEP_1) | instskip(SKIP_1) | instid1(VALU_DEP_2)
	v_add_f64_e64 v[67:68], v[41:42], -v[43:44]
	v_add_f64_e64 v[65:66], v[43:44], -v[65:66]
	;; [unrolled: 1-line block ×3, first 2 shown]
	s_delay_alu instid0(VALU_DEP_2) | instskip(NEXT) | instid1(VALU_DEP_2)
	v_add_f64_e64 v[39:40], v[65:66], -v[39:40]
	v_add_f64_e64 v[41:42], v[41:42], -v[43:44]
	s_delay_alu instid0(VALU_DEP_1) | instskip(SKIP_1) | instid1(VALU_DEP_2)
	v_add_f64_e32 v[35:36], v[35:36], v[41:42]
	v_add_f64_e32 v[41:42], v[45:46], v[63:64]
	;; [unrolled: 1-line block ×3, first 2 shown]
	s_delay_alu instid0(VALU_DEP_2) | instskip(NEXT) | instid1(VALU_DEP_2)
	v_add_f64_e64 v[39:40], v[41:42], -v[45:46]
	v_add_f64_e32 v[35:36], v[67:68], v[35:36]
	s_delay_alu instid0(VALU_DEP_2) | instskip(NEXT) | instid1(VALU_DEP_2)
	v_add_f64_e64 v[39:40], v[63:64], -v[39:40]
	v_mul_f64_e32 v[35:36], v[37:38], v[35:36]
	s_delay_alu instid0(VALU_DEP_1) | instskip(NEXT) | instid1(VALU_DEP_1)
	v_add_f64_e32 v[35:36], v[39:40], v[35:36]
	v_add_f64_e32 v[37:38], v[41:42], v[35:36]
	s_delay_alu instid0(VALU_DEP_1) | instskip(NEXT) | instid1(VALU_DEP_1)
	v_mul_f64_e32 v[39:40], v[37:38], v[37:38]
	v_fma_f64 v[43:44], v[39:40], s[38:39], s[34:35]
	s_mov_b32 s34, 0xd7f4df2e
	s_mov_b32 s35, 0x3fc7474d
	v_mul_f64_e32 v[45:46], v[37:38], v[39:40]
	s_wait_alu 0xfffe
	s_delay_alu instid0(VALU_DEP_2) | instskip(SKIP_3) | instid1(VALU_DEP_1)
	v_fma_f64 v[43:44], v[39:40], v[43:44], s[34:35]
	s_mov_b32 s34, 0x16291751
	s_mov_b32 s35, 0x3fcc71c0
	s_wait_alu 0xfffe
	v_fma_f64 v[43:44], v[39:40], v[43:44], s[34:35]
	s_mov_b32 s34, 0x9b27acf1
	s_mov_b32 s35, 0x3fd24924
	s_wait_alu 0xfffe
	s_delay_alu instid0(VALU_DEP_1) | instskip(SKIP_3) | instid1(VALU_DEP_1)
	v_fma_f64 v[43:44], v[39:40], v[43:44], s[34:35]
	s_mov_b32 s34, 0x998ef7b6
	s_mov_b32 s35, 0x3fd99999
	s_wait_alu 0xfffe
	v_fma_f64 v[43:44], v[39:40], v[43:44], s[34:35]
	s_delay_alu instid0(VALU_DEP_1)
	v_fma_f64 v[39:40], v[39:40], v[43:44], s[0:1]
	v_ldexp_f64 v[43:44], v[37:38], 1
	v_add_f64_e64 v[37:38], v[37:38], -v[41:42]
	v_cmp_nge_f64_e64 s0, -1.0, v[23:24]
	v_cmp_neq_f64_e64 s1, 0x7ff00000, v[23:24]
	v_mul_f64_e32 v[39:40], v[45:46], v[39:40]
	v_cvt_f64_i32_e32 v[45:46], v0
	v_add_f64_e64 v[35:36], v[35:36], -v[37:38]
	s_and_b32 s0, s0, s1
	s_delay_alu instid0(VALU_DEP_3) | instskip(NEXT) | instid1(VALU_DEP_3)
	v_add_f64_e32 v[41:42], v[43:44], v[39:40]
	v_mul_f64_e32 v[63:64], s[18:19], v[45:46]
	s_delay_alu instid0(VALU_DEP_3) | instskip(NEXT) | instid1(VALU_DEP_3)
	v_ldexp_f64 v[35:36], v[35:36], 1
	v_add_f64_e64 v[37:38], v[41:42], -v[43:44]
	s_delay_alu instid0(VALU_DEP_3) | instskip(NEXT) | instid1(VALU_DEP_2)
	v_fma_f64 v[43:44], v[45:46], s[18:19], -v[63:64]
	v_add_f64_e64 v[37:38], v[39:40], -v[37:38]
	s_delay_alu instid0(VALU_DEP_2) | instskip(NEXT) | instid1(VALU_DEP_2)
	v_fma_f64 v[39:40], v[45:46], s[20:21], v[43:44]
	v_add_f64_e32 v[35:36], v[35:36], v[37:38]
	s_delay_alu instid0(VALU_DEP_2) | instskip(NEXT) | instid1(VALU_DEP_2)
	v_add_f64_e32 v[37:38], v[63:64], v[39:40]
	v_add_f64_e32 v[43:44], v[41:42], v[35:36]
	s_delay_alu instid0(VALU_DEP_2) | instskip(NEXT) | instid1(VALU_DEP_2)
	v_add_f64_e64 v[63:64], v[37:38], -v[63:64]
	v_add_f64_e32 v[45:46], v[37:38], v[43:44]
	v_add_f64_e64 v[41:42], v[43:44], -v[41:42]
	s_delay_alu instid0(VALU_DEP_3) | instskip(NEXT) | instid1(VALU_DEP_3)
	v_add_f64_e64 v[39:40], v[39:40], -v[63:64]
	v_add_f64_e64 v[65:66], v[45:46], -v[37:38]
	s_delay_alu instid0(VALU_DEP_3) | instskip(NEXT) | instid1(VALU_DEP_2)
	v_add_f64_e64 v[35:36], v[35:36], -v[41:42]
	v_add_f64_e64 v[67:68], v[45:46], -v[65:66]
	;; [unrolled: 1-line block ×3, first 2 shown]
	s_delay_alu instid0(VALU_DEP_3) | instskip(NEXT) | instid1(VALU_DEP_3)
	v_add_f64_e32 v[43:44], v[39:40], v[35:36]
	v_add_f64_e64 v[37:38], v[37:38], -v[67:68]
	s_delay_alu instid0(VALU_DEP_1) | instskip(NEXT) | instid1(VALU_DEP_3)
	v_add_f64_e32 v[37:38], v[41:42], v[37:38]
	v_add_f64_e64 v[41:42], v[43:44], -v[39:40]
	s_delay_alu instid0(VALU_DEP_2) | instskip(NEXT) | instid1(VALU_DEP_2)
	v_add_f64_e32 v[37:38], v[43:44], v[37:38]
	v_add_f64_e64 v[43:44], v[43:44], -v[41:42]
	v_add_f64_e64 v[35:36], v[35:36], -v[41:42]
	s_delay_alu instid0(VALU_DEP_3) | instskip(NEXT) | instid1(VALU_DEP_3)
	v_add_f64_e32 v[63:64], v[45:46], v[37:38]
	v_add_f64_e64 v[39:40], v[39:40], -v[43:44]
	s_delay_alu instid0(VALU_DEP_2) | instskip(NEXT) | instid1(VALU_DEP_2)
	v_add_f64_e64 v[41:42], v[63:64], -v[45:46]
	v_add_f64_e32 v[35:36], v[35:36], v[39:40]
	s_delay_alu instid0(VALU_DEP_2) | instskip(NEXT) | instid1(VALU_DEP_1)
	v_add_f64_e64 v[37:38], v[37:38], -v[41:42]
	v_add_f64_e32 v[35:36], v[35:36], v[37:38]
	s_delay_alu instid0(VALU_DEP_1) | instskip(SKIP_1) | instid1(VALU_DEP_1)
	v_add_f64_e32 v[35:36], v[63:64], v[35:36]
	s_wait_alu 0xfffe
	v_cndmask_b32_e64 v35, 0, v35, s0
	v_cmp_neq_f64_e64 s0, -1.0, v[23:24]
	s_delay_alu instid0(VALU_DEP_3) | instskip(NEXT) | instid1(VALU_DEP_1)
	v_cndmask_b32_e64 v0, 0x7ff00000, v36, s1
	v_cndmask_b32_e64 v0, 0x7ff80000, v0, s17
	s_wait_alu 0xf1ff
	s_delay_alu instid0(VALU_DEP_1) | instskip(NEXT) | instid1(VALU_DEP_1)
	v_cndmask_b32_e64 v36, 0xfff00000, v0, s0
	v_add_f64_e32 v[23:24], v[33:34], v[35:36]
.LBB23_120:
	s_wait_alu 0xfffe
	s_or_b32 exec_lo, exec_lo, s22
	s_delay_alu instid0(VALU_DEP_1) | instskip(SKIP_1) | instid1(VALU_DEP_2)
	v_max_num_f64_e32 v[33:34], v[23:24], v[23:24]
	v_cmp_u_f64_e64 s0, v[23:24], v[23:24]
	v_min_num_f64_e32 v[35:36], v[33:34], v[47:48]
	v_max_num_f64_e32 v[33:34], v[33:34], v[47:48]
	s_wait_alu 0xf1ff
	s_delay_alu instid0(VALU_DEP_2) | instskip(NEXT) | instid1(VALU_DEP_3)
	v_cndmask_b32_e64 v0, v35, v23, s0
	v_cndmask_b32_e64 v35, v36, v24, s0
	s_delay_alu instid0(VALU_DEP_3) | instskip(NEXT) | instid1(VALU_DEP_4)
	v_cndmask_b32_e64 v34, v34, v24, s0
	v_cndmask_b32_e64 v33, v33, v23, s0
	s_delay_alu instid0(VALU_DEP_3) | instskip(SKIP_1) | instid1(VALU_DEP_4)
	v_cndmask_b32_e64 v36, v35, v18, s24
	v_cndmask_b32_e64 v35, v0, v17, s24
	;; [unrolled: 1-line block ×3, first 2 shown]
	s_delay_alu instid0(VALU_DEP_4) | instskip(SKIP_1) | instid1(VALU_DEP_4)
	v_cndmask_b32_e64 v33, v33, v17, s24
	v_dual_mov_b32 v17, v23 :: v_dual_mov_b32 v18, v24
	v_cmp_class_f64_e64 s1, v[35:36], 0x1f8
	s_delay_alu instid0(VALU_DEP_3)
	v_cmp_neq_f64_e64 s0, v[35:36], v[33:34]
	s_or_b32 s0, s0, s1
	s_wait_alu 0xfffe
	s_and_saveexec_b32 s22, s0
	s_cbranch_execz .LBB23_122
; %bb.121:
	v_add_f64_e64 v[17:18], v[35:36], -v[33:34]
	s_mov_b32 s0, 0x652b82fe
	s_mov_b32 s1, 0x3ff71547
	;; [unrolled: 1-line block ×10, first 2 shown]
	s_wait_alu 0xfffe
	s_delay_alu instid0(VALU_DEP_1) | instskip(SKIP_2) | instid1(VALU_DEP_1)
	v_mul_f64_e32 v[35:36], s[0:1], v[17:18]
	s_mov_b32 s0, 0xfca7ab0c
	s_mov_b32 s1, 0x3e928af3
	v_rndne_f64_e32 v[35:36], v[35:36]
	s_delay_alu instid0(VALU_DEP_1) | instskip(SKIP_2) | instid1(VALU_DEP_2)
	v_fma_f64 v[37:38], v[35:36], s[18:19], v[17:18]
	v_cvt_i32_f64_e32 v0, v[35:36]
	s_mov_b32 s19, 0x3fe62e42
	v_fma_f64 v[37:38], v[35:36], s[20:21], v[37:38]
	s_mov_b32 s21, 0x3c7abc9e
	s_wait_alu 0xfffe
	s_delay_alu instid0(VALU_DEP_1)
	v_fma_f64 v[39:40], v[37:38], s[34:35], s[0:1]
	s_mov_b32 s0, 0x623fde64
	s_mov_b32 s1, 0x3ec71dee
	;; [unrolled: 1-line block ×4, first 2 shown]
	s_wait_alu 0xfffe
	s_delay_alu instid0(VALU_DEP_1) | instskip(SKIP_3) | instid1(VALU_DEP_1)
	v_fma_f64 v[39:40], v[37:38], v[39:40], s[0:1]
	s_mov_b32 s0, 0x7c89e6b0
	s_mov_b32 s1, 0x3efa0199
	s_wait_alu 0xfffe
	v_fma_f64 v[39:40], v[37:38], v[39:40], s[0:1]
	s_mov_b32 s0, 0x14761f6e
	s_mov_b32 s1, 0x3f2a01a0
	s_wait_alu 0xfffe
	s_delay_alu instid0(VALU_DEP_1) | instskip(SKIP_3) | instid1(VALU_DEP_1)
	v_fma_f64 v[39:40], v[37:38], v[39:40], s[0:1]
	s_mov_b32 s0, 0x1852b7b0
	s_mov_b32 s1, 0x3f56c16c
	s_wait_alu 0xfffe
	v_fma_f64 v[39:40], v[37:38], v[39:40], s[0:1]
	s_mov_b32 s0, 0x11122322
	s_mov_b32 s1, 0x3f811111
	;; [unrolled: 9-line block ×3, first 2 shown]
	s_wait_alu 0xfffe
	s_delay_alu instid0(VALU_DEP_1) | instskip(SKIP_3) | instid1(VALU_DEP_1)
	v_fma_f64 v[39:40], v[37:38], v[39:40], s[0:1]
	s_mov_b32 s0, 11
	s_mov_b32 s1, 0x3fe00000
	s_wait_alu 0xfffe
	v_fma_f64 v[39:40], v[37:38], v[39:40], s[0:1]
	v_cmp_nlt_f64_e64 s0, 0x40900000, v[17:18]
	v_cmp_ngt_f64_e64 s1, 0xc090cc00, v[17:18]
	s_delay_alu instid0(VALU_DEP_3) | instskip(NEXT) | instid1(VALU_DEP_1)
	v_fma_f64 v[39:40], v[37:38], v[39:40], 1.0
	v_fma_f64 v[35:36], v[37:38], v[39:40], 1.0
	s_delay_alu instid0(VALU_DEP_1) | instskip(SKIP_1) | instid1(VALU_DEP_1)
	v_ldexp_f64 v[35:36], v[35:36], v0
	s_wait_alu 0xf1ff
	v_cndmask_b32_e64 v0, 0x7ff00000, v36, s0
	s_and_b32 s0, s1, s0
	s_wait_alu 0xfffe
	s_delay_alu instid0(VALU_DEP_2) | instskip(SKIP_3) | instid1(VALU_DEP_1)
	v_cndmask_b32_e64 v17, 0, v35, s0
	s_mov_b32 s0, 0x55555555
	v_cndmask_b32_e64 v18, 0, v0, s1
	s_mov_b32 s1, 0x3fe55555
	v_add_f64_e32 v[35:36], 1.0, v[17:18]
	v_cmp_ngt_f64_e64 s17, -1.0, v[17:18]
	s_delay_alu instid0(VALU_DEP_2) | instskip(SKIP_3) | instid1(VALU_DEP_3)
	v_frexp_mant_f64_e32 v[37:38], v[35:36]
	v_frexp_exp_i32_f64_e32 v0, v[35:36]
	v_add_f64_e32 v[39:40], -1.0, v[35:36]
	s_wait_alu 0xfffe
	v_cmp_gt_f64_e64 s0, s[0:1], v[37:38]
	s_delay_alu instid0(VALU_DEP_2) | instskip(SKIP_2) | instid1(VALU_DEP_3)
	v_add_f64_e64 v[37:38], v[39:40], -v[35:36]
	v_add_f64_e64 v[39:40], v[17:18], -v[39:40]
	s_wait_alu 0xf1ff
	v_subrev_co_ci_u32_e64 v0, null, 0, v0, s0
	s_delay_alu instid0(VALU_DEP_3) | instskip(SKIP_1) | instid1(VALU_DEP_2)
	v_add_f64_e32 v[37:38], 1.0, v[37:38]
	s_mov_b32 s0, 0x55555780
	v_sub_nc_u32_e32 v43, 0, v0
	s_delay_alu instid0(VALU_DEP_1) | instskip(NEXT) | instid1(VALU_DEP_3)
	v_ldexp_f64 v[35:36], v[35:36], v43
	v_add_f64_e32 v[37:38], v[39:40], v[37:38]
	s_delay_alu instid0(VALU_DEP_2) | instskip(SKIP_1) | instid1(VALU_DEP_3)
	v_add_f64_e32 v[41:42], 1.0, v[35:36]
	v_add_f64_e32 v[47:48], -1.0, v[35:36]
	v_ldexp_f64 v[37:38], v[37:38], v43
	s_delay_alu instid0(VALU_DEP_3) | instskip(NEXT) | instid1(VALU_DEP_3)
	v_add_f64_e32 v[39:40], -1.0, v[41:42]
	v_add_f64_e32 v[63:64], 1.0, v[47:48]
	s_delay_alu instid0(VALU_DEP_2) | instskip(NEXT) | instid1(VALU_DEP_2)
	v_add_f64_e64 v[39:40], v[35:36], -v[39:40]
	v_add_f64_e64 v[35:36], v[35:36], -v[63:64]
	s_delay_alu instid0(VALU_DEP_2) | instskip(NEXT) | instid1(VALU_DEP_2)
	v_add_f64_e32 v[39:40], v[37:38], v[39:40]
	v_add_f64_e32 v[35:36], v[37:38], v[35:36]
	s_delay_alu instid0(VALU_DEP_2) | instskip(NEXT) | instid1(VALU_DEP_2)
	v_add_f64_e32 v[43:44], v[41:42], v[39:40]
	v_add_f64_e32 v[63:64], v[47:48], v[35:36]
	s_delay_alu instid0(VALU_DEP_2) | instskip(SKIP_1) | instid1(VALU_DEP_2)
	v_rcp_f64_e32 v[45:46], v[43:44]
	v_add_f64_e64 v[41:42], v[43:44], -v[41:42]
	v_add_f64_e64 v[47:48], v[63:64], -v[47:48]
	s_delay_alu instid0(VALU_DEP_2) | instskip(NEXT) | instid1(TRANS32_DEP_1)
	v_add_f64_e64 v[39:40], v[39:40], -v[41:42]
	v_fma_f64 v[65:66], -v[43:44], v[45:46], 1.0
	s_delay_alu instid0(VALU_DEP_3) | instskip(NEXT) | instid1(VALU_DEP_2)
	v_add_f64_e64 v[35:36], v[35:36], -v[47:48]
	v_fma_f64 v[45:46], v[65:66], v[45:46], v[45:46]
	s_delay_alu instid0(VALU_DEP_1) | instskip(NEXT) | instid1(VALU_DEP_1)
	v_fma_f64 v[37:38], -v[43:44], v[45:46], 1.0
	v_fma_f64 v[37:38], v[37:38], v[45:46], v[45:46]
	s_delay_alu instid0(VALU_DEP_1) | instskip(NEXT) | instid1(VALU_DEP_1)
	v_mul_f64_e32 v[45:46], v[63:64], v[37:38]
	v_mul_f64_e32 v[65:66], v[43:44], v[45:46]
	s_delay_alu instid0(VALU_DEP_1) | instskip(NEXT) | instid1(VALU_DEP_1)
	v_fma_f64 v[41:42], v[45:46], v[43:44], -v[65:66]
	v_fma_f64 v[41:42], v[45:46], v[39:40], v[41:42]
	s_delay_alu instid0(VALU_DEP_1) | instskip(SKIP_1) | instid1(VALU_DEP_1)
	v_add_f64_e32 v[67:68], v[65:66], v[41:42]
	s_wait_dscnt 0x0
	v_add_f64_e64 v[69:70], v[63:64], -v[67:68]
	v_add_f64_e64 v[47:48], v[67:68], -v[65:66]
	s_delay_alu instid0(VALU_DEP_2) | instskip(NEXT) | instid1(VALU_DEP_2)
	v_add_f64_e64 v[63:64], v[63:64], -v[69:70]
	v_add_f64_e64 v[41:42], v[47:48], -v[41:42]
	s_delay_alu instid0(VALU_DEP_2) | instskip(NEXT) | instid1(VALU_DEP_1)
	v_add_f64_e64 v[63:64], v[63:64], -v[67:68]
	v_add_f64_e32 v[35:36], v[35:36], v[63:64]
	s_delay_alu instid0(VALU_DEP_1) | instskip(NEXT) | instid1(VALU_DEP_1)
	v_add_f64_e32 v[35:36], v[41:42], v[35:36]
	v_add_f64_e32 v[41:42], v[69:70], v[35:36]
	s_delay_alu instid0(VALU_DEP_1) | instskip(SKIP_1) | instid1(VALU_DEP_2)
	v_mul_f64_e32 v[47:48], v[37:38], v[41:42]
	v_add_f64_e64 v[67:68], v[69:70], -v[41:42]
	v_mul_f64_e32 v[63:64], v[43:44], v[47:48]
	s_delay_alu instid0(VALU_DEP_2) | instskip(NEXT) | instid1(VALU_DEP_2)
	v_add_f64_e32 v[35:36], v[35:36], v[67:68]
	v_fma_f64 v[43:44], v[47:48], v[43:44], -v[63:64]
	s_delay_alu instid0(VALU_DEP_1) | instskip(NEXT) | instid1(VALU_DEP_1)
	v_fma_f64 v[39:40], v[47:48], v[39:40], v[43:44]
	v_add_f64_e32 v[43:44], v[63:64], v[39:40]
	s_delay_alu instid0(VALU_DEP_1) | instskip(SKIP_1) | instid1(VALU_DEP_2)
	v_add_f64_e64 v[65:66], v[41:42], -v[43:44]
	v_add_f64_e64 v[63:64], v[43:44], -v[63:64]
	;; [unrolled: 1-line block ×3, first 2 shown]
	s_delay_alu instid0(VALU_DEP_2) | instskip(NEXT) | instid1(VALU_DEP_2)
	v_add_f64_e64 v[39:40], v[63:64], -v[39:40]
	v_add_f64_e64 v[41:42], v[41:42], -v[43:44]
	s_delay_alu instid0(VALU_DEP_1) | instskip(SKIP_1) | instid1(VALU_DEP_2)
	v_add_f64_e32 v[35:36], v[35:36], v[41:42]
	v_add_f64_e32 v[41:42], v[45:46], v[47:48]
	;; [unrolled: 1-line block ×3, first 2 shown]
	s_delay_alu instid0(VALU_DEP_2) | instskip(NEXT) | instid1(VALU_DEP_2)
	v_add_f64_e64 v[39:40], v[41:42], -v[45:46]
	v_add_f64_e32 v[35:36], v[65:66], v[35:36]
	s_delay_alu instid0(VALU_DEP_2) | instskip(NEXT) | instid1(VALU_DEP_2)
	v_add_f64_e64 v[39:40], v[47:48], -v[39:40]
	v_mul_f64_e32 v[35:36], v[37:38], v[35:36]
	s_delay_alu instid0(VALU_DEP_1) | instskip(NEXT) | instid1(VALU_DEP_1)
	v_add_f64_e32 v[35:36], v[39:40], v[35:36]
	v_add_f64_e32 v[37:38], v[41:42], v[35:36]
	s_delay_alu instid0(VALU_DEP_1) | instskip(NEXT) | instid1(VALU_DEP_1)
	v_mul_f64_e32 v[39:40], v[37:38], v[37:38]
	v_fma_f64 v[43:44], v[39:40], s[38:39], s[34:35]
	s_mov_b32 s34, 0xd7f4df2e
	s_mov_b32 s35, 0x3fc7474d
	v_mul_f64_e32 v[45:46], v[37:38], v[39:40]
	s_wait_alu 0xfffe
	s_delay_alu instid0(VALU_DEP_2) | instskip(SKIP_3) | instid1(VALU_DEP_1)
	v_fma_f64 v[43:44], v[39:40], v[43:44], s[34:35]
	s_mov_b32 s34, 0x16291751
	s_mov_b32 s35, 0x3fcc71c0
	s_wait_alu 0xfffe
	v_fma_f64 v[43:44], v[39:40], v[43:44], s[34:35]
	s_mov_b32 s34, 0x9b27acf1
	s_mov_b32 s35, 0x3fd24924
	s_wait_alu 0xfffe
	s_delay_alu instid0(VALU_DEP_1) | instskip(SKIP_3) | instid1(VALU_DEP_1)
	v_fma_f64 v[43:44], v[39:40], v[43:44], s[34:35]
	s_mov_b32 s34, 0x998ef7b6
	s_mov_b32 s35, 0x3fd99999
	s_wait_alu 0xfffe
	v_fma_f64 v[43:44], v[39:40], v[43:44], s[34:35]
	s_delay_alu instid0(VALU_DEP_1)
	v_fma_f64 v[39:40], v[39:40], v[43:44], s[0:1]
	v_ldexp_f64 v[43:44], v[37:38], 1
	v_add_f64_e64 v[37:38], v[37:38], -v[41:42]
	v_cmp_nge_f64_e64 s0, -1.0, v[17:18]
	v_cmp_neq_f64_e64 s1, 0x7ff00000, v[17:18]
	v_mul_f64_e32 v[39:40], v[45:46], v[39:40]
	v_cvt_f64_i32_e32 v[45:46], v0
	v_add_f64_e64 v[35:36], v[35:36], -v[37:38]
	s_and_b32 s0, s0, s1
	s_delay_alu instid0(VALU_DEP_3) | instskip(NEXT) | instid1(VALU_DEP_3)
	v_add_f64_e32 v[41:42], v[43:44], v[39:40]
	v_mul_f64_e32 v[47:48], s[18:19], v[45:46]
	s_delay_alu instid0(VALU_DEP_3) | instskip(NEXT) | instid1(VALU_DEP_3)
	v_ldexp_f64 v[35:36], v[35:36], 1
	v_add_f64_e64 v[37:38], v[41:42], -v[43:44]
	s_delay_alu instid0(VALU_DEP_3) | instskip(NEXT) | instid1(VALU_DEP_2)
	v_fma_f64 v[43:44], v[45:46], s[18:19], -v[47:48]
	v_add_f64_e64 v[37:38], v[39:40], -v[37:38]
	s_delay_alu instid0(VALU_DEP_2) | instskip(NEXT) | instid1(VALU_DEP_2)
	v_fma_f64 v[39:40], v[45:46], s[20:21], v[43:44]
	v_add_f64_e32 v[35:36], v[35:36], v[37:38]
	s_delay_alu instid0(VALU_DEP_2) | instskip(NEXT) | instid1(VALU_DEP_2)
	v_add_f64_e32 v[37:38], v[47:48], v[39:40]
	v_add_f64_e32 v[43:44], v[41:42], v[35:36]
	s_delay_alu instid0(VALU_DEP_2) | instskip(NEXT) | instid1(VALU_DEP_2)
	v_add_f64_e64 v[47:48], v[37:38], -v[47:48]
	v_add_f64_e32 v[45:46], v[37:38], v[43:44]
	v_add_f64_e64 v[41:42], v[43:44], -v[41:42]
	s_delay_alu instid0(VALU_DEP_3) | instskip(NEXT) | instid1(VALU_DEP_3)
	v_add_f64_e64 v[39:40], v[39:40], -v[47:48]
	v_add_f64_e64 v[63:64], v[45:46], -v[37:38]
	s_delay_alu instid0(VALU_DEP_3) | instskip(NEXT) | instid1(VALU_DEP_2)
	v_add_f64_e64 v[35:36], v[35:36], -v[41:42]
	v_add_f64_e64 v[65:66], v[45:46], -v[63:64]
	;; [unrolled: 1-line block ×3, first 2 shown]
	s_delay_alu instid0(VALU_DEP_3) | instskip(NEXT) | instid1(VALU_DEP_3)
	v_add_f64_e32 v[43:44], v[39:40], v[35:36]
	v_add_f64_e64 v[37:38], v[37:38], -v[65:66]
	s_delay_alu instid0(VALU_DEP_1) | instskip(NEXT) | instid1(VALU_DEP_3)
	v_add_f64_e32 v[37:38], v[41:42], v[37:38]
	v_add_f64_e64 v[41:42], v[43:44], -v[39:40]
	s_delay_alu instid0(VALU_DEP_2) | instskip(NEXT) | instid1(VALU_DEP_2)
	v_add_f64_e32 v[37:38], v[43:44], v[37:38]
	v_add_f64_e64 v[43:44], v[43:44], -v[41:42]
	v_add_f64_e64 v[35:36], v[35:36], -v[41:42]
	s_delay_alu instid0(VALU_DEP_3) | instskip(NEXT) | instid1(VALU_DEP_3)
	v_add_f64_e32 v[47:48], v[45:46], v[37:38]
	v_add_f64_e64 v[39:40], v[39:40], -v[43:44]
	s_delay_alu instid0(VALU_DEP_2) | instskip(NEXT) | instid1(VALU_DEP_2)
	v_add_f64_e64 v[41:42], v[47:48], -v[45:46]
	v_add_f64_e32 v[35:36], v[35:36], v[39:40]
	s_delay_alu instid0(VALU_DEP_2) | instskip(NEXT) | instid1(VALU_DEP_1)
	v_add_f64_e64 v[37:38], v[37:38], -v[41:42]
	v_add_f64_e32 v[35:36], v[35:36], v[37:38]
	s_delay_alu instid0(VALU_DEP_1) | instskip(SKIP_1) | instid1(VALU_DEP_1)
	v_add_f64_e32 v[35:36], v[47:48], v[35:36]
	s_wait_alu 0xfffe
	v_cndmask_b32_e64 v35, 0, v35, s0
	v_cmp_neq_f64_e64 s0, -1.0, v[17:18]
	s_delay_alu instid0(VALU_DEP_3) | instskip(NEXT) | instid1(VALU_DEP_1)
	v_cndmask_b32_e64 v0, 0x7ff00000, v36, s1
	v_cndmask_b32_e64 v0, 0x7ff80000, v0, s17
	s_wait_alu 0xf1ff
	s_delay_alu instid0(VALU_DEP_1) | instskip(NEXT) | instid1(VALU_DEP_1)
	v_cndmask_b32_e64 v36, 0xfff00000, v0, s0
	v_add_f64_e32 v[17:18], v[33:34], v[35:36]
.LBB23_122:
	s_wait_alu 0xfffe
	s_or_b32 exec_lo, exec_lo, s22
	s_delay_alu instid0(VALU_DEP_1) | instskip(SKIP_1) | instid1(VALU_DEP_2)
	v_max_num_f64_e32 v[33:34], v[17:18], v[17:18]
	v_cmp_u_f64_e64 s0, v[17:18], v[17:18]
	v_min_num_f64_e32 v[35:36], v[33:34], v[49:50]
	v_max_num_f64_e32 v[33:34], v[33:34], v[49:50]
	s_wait_alu 0xf1ff
	s_delay_alu instid0(VALU_DEP_2) | instskip(NEXT) | instid1(VALU_DEP_3)
	v_cndmask_b32_e64 v0, v35, v17, s0
	v_cndmask_b32_e64 v35, v36, v18, s0
	s_delay_alu instid0(VALU_DEP_3) | instskip(NEXT) | instid1(VALU_DEP_4)
	v_cndmask_b32_e64 v34, v34, v18, s0
	v_cndmask_b32_e64 v33, v33, v17, s0
	s_delay_alu instid0(VALU_DEP_3) | instskip(SKIP_1) | instid1(VALU_DEP_4)
	v_cndmask_b32_e64 v36, v35, v20, s25
	v_cndmask_b32_e64 v35, v0, v19, s25
	;; [unrolled: 1-line block ×3, first 2 shown]
	s_delay_alu instid0(VALU_DEP_4) | instskip(SKIP_1) | instid1(VALU_DEP_4)
	v_cndmask_b32_e64 v33, v33, v19, s25
	v_dual_mov_b32 v20, v18 :: v_dual_mov_b32 v19, v17
	v_cmp_class_f64_e64 s1, v[35:36], 0x1f8
	s_delay_alu instid0(VALU_DEP_3)
	v_cmp_neq_f64_e64 s0, v[35:36], v[33:34]
	s_or_b32 s0, s0, s1
	s_wait_alu 0xfffe
	s_and_saveexec_b32 s22, s0
	s_cbranch_execz .LBB23_124
; %bb.123:
	v_add_f64_e64 v[19:20], v[35:36], -v[33:34]
	s_mov_b32 s0, 0x652b82fe
	s_mov_b32 s1, 0x3ff71547
	;; [unrolled: 1-line block ×10, first 2 shown]
	s_wait_alu 0xfffe
	s_delay_alu instid0(VALU_DEP_1) | instskip(SKIP_2) | instid1(VALU_DEP_1)
	v_mul_f64_e32 v[35:36], s[0:1], v[19:20]
	s_mov_b32 s0, 0xfca7ab0c
	s_mov_b32 s1, 0x3e928af3
	v_rndne_f64_e32 v[35:36], v[35:36]
	s_delay_alu instid0(VALU_DEP_1) | instskip(SKIP_2) | instid1(VALU_DEP_2)
	v_fma_f64 v[37:38], v[35:36], s[18:19], v[19:20]
	v_cvt_i32_f64_e32 v0, v[35:36]
	s_mov_b32 s19, 0x3fe62e42
	v_fma_f64 v[37:38], v[35:36], s[20:21], v[37:38]
	s_mov_b32 s21, 0x3c7abc9e
	s_wait_alu 0xfffe
	s_delay_alu instid0(VALU_DEP_1)
	v_fma_f64 v[39:40], v[37:38], s[24:25], s[0:1]
	s_mov_b32 s0, 0x623fde64
	s_mov_b32 s1, 0x3ec71dee
	s_mov_b32 s24, 0x6b47b09a
	s_mov_b32 s25, 0x3fc38538
	s_wait_alu 0xfffe
	s_delay_alu instid0(VALU_DEP_1) | instskip(SKIP_3) | instid1(VALU_DEP_1)
	v_fma_f64 v[39:40], v[37:38], v[39:40], s[0:1]
	s_mov_b32 s0, 0x7c89e6b0
	s_mov_b32 s1, 0x3efa0199
	s_wait_alu 0xfffe
	v_fma_f64 v[39:40], v[37:38], v[39:40], s[0:1]
	s_mov_b32 s0, 0x14761f6e
	s_mov_b32 s1, 0x3f2a01a0
	s_wait_alu 0xfffe
	s_delay_alu instid0(VALU_DEP_1) | instskip(SKIP_3) | instid1(VALU_DEP_1)
	v_fma_f64 v[39:40], v[37:38], v[39:40], s[0:1]
	s_mov_b32 s0, 0x1852b7b0
	s_mov_b32 s1, 0x3f56c16c
	s_wait_alu 0xfffe
	v_fma_f64 v[39:40], v[37:38], v[39:40], s[0:1]
	s_mov_b32 s0, 0x11122322
	s_mov_b32 s1, 0x3f811111
	;; [unrolled: 9-line block ×3, first 2 shown]
	s_wait_alu 0xfffe
	s_delay_alu instid0(VALU_DEP_1) | instskip(SKIP_3) | instid1(VALU_DEP_1)
	v_fma_f64 v[39:40], v[37:38], v[39:40], s[0:1]
	s_mov_b32 s0, 11
	s_mov_b32 s1, 0x3fe00000
	s_wait_alu 0xfffe
	v_fma_f64 v[39:40], v[37:38], v[39:40], s[0:1]
	v_cmp_nlt_f64_e64 s0, 0x40900000, v[19:20]
	v_cmp_ngt_f64_e64 s1, 0xc090cc00, v[19:20]
	s_delay_alu instid0(VALU_DEP_3) | instskip(NEXT) | instid1(VALU_DEP_1)
	v_fma_f64 v[39:40], v[37:38], v[39:40], 1.0
	v_fma_f64 v[35:36], v[37:38], v[39:40], 1.0
	s_delay_alu instid0(VALU_DEP_1) | instskip(SKIP_1) | instid1(VALU_DEP_1)
	v_ldexp_f64 v[35:36], v[35:36], v0
	s_wait_alu 0xf1ff
	v_cndmask_b32_e64 v0, 0x7ff00000, v36, s0
	s_and_b32 s0, s1, s0
	s_wait_alu 0xfffe
	s_delay_alu instid0(VALU_DEP_2) | instskip(SKIP_3) | instid1(VALU_DEP_1)
	v_cndmask_b32_e64 v19, 0, v35, s0
	s_mov_b32 s0, 0x55555555
	v_cndmask_b32_e64 v20, 0, v0, s1
	s_mov_b32 s1, 0x3fe55555
	v_add_f64_e32 v[35:36], 1.0, v[19:20]
	v_cmp_ngt_f64_e64 s17, -1.0, v[19:20]
	s_delay_alu instid0(VALU_DEP_2) | instskip(SKIP_3) | instid1(VALU_DEP_3)
	v_frexp_mant_f64_e32 v[37:38], v[35:36]
	v_frexp_exp_i32_f64_e32 v0, v[35:36]
	v_add_f64_e32 v[39:40], -1.0, v[35:36]
	s_wait_alu 0xfffe
	v_cmp_gt_f64_e64 s0, s[0:1], v[37:38]
	s_delay_alu instid0(VALU_DEP_2) | instskip(SKIP_2) | instid1(VALU_DEP_3)
	v_add_f64_e64 v[37:38], v[39:40], -v[35:36]
	v_add_f64_e64 v[39:40], v[19:20], -v[39:40]
	s_wait_alu 0xf1ff
	v_subrev_co_ci_u32_e64 v0, null, 0, v0, s0
	s_delay_alu instid0(VALU_DEP_3) | instskip(SKIP_1) | instid1(VALU_DEP_2)
	v_add_f64_e32 v[37:38], 1.0, v[37:38]
	s_mov_b32 s0, 0x55555780
	v_sub_nc_u32_e32 v43, 0, v0
	s_delay_alu instid0(VALU_DEP_1) | instskip(NEXT) | instid1(VALU_DEP_3)
	v_ldexp_f64 v[35:36], v[35:36], v43
	v_add_f64_e32 v[37:38], v[39:40], v[37:38]
	s_delay_alu instid0(VALU_DEP_2) | instskip(SKIP_1) | instid1(VALU_DEP_3)
	v_add_f64_e32 v[41:42], 1.0, v[35:36]
	v_add_f64_e32 v[47:48], -1.0, v[35:36]
	v_ldexp_f64 v[37:38], v[37:38], v43
	s_delay_alu instid0(VALU_DEP_3) | instskip(NEXT) | instid1(VALU_DEP_3)
	v_add_f64_e32 v[39:40], -1.0, v[41:42]
	v_add_f64_e32 v[49:50], 1.0, v[47:48]
	s_delay_alu instid0(VALU_DEP_2) | instskip(NEXT) | instid1(VALU_DEP_2)
	v_add_f64_e64 v[39:40], v[35:36], -v[39:40]
	v_add_f64_e64 v[35:36], v[35:36], -v[49:50]
	s_delay_alu instid0(VALU_DEP_2) | instskip(NEXT) | instid1(VALU_DEP_2)
	v_add_f64_e32 v[39:40], v[37:38], v[39:40]
	v_add_f64_e32 v[35:36], v[37:38], v[35:36]
	s_delay_alu instid0(VALU_DEP_2) | instskip(NEXT) | instid1(VALU_DEP_2)
	v_add_f64_e32 v[43:44], v[41:42], v[39:40]
	v_add_f64_e32 v[49:50], v[47:48], v[35:36]
	s_delay_alu instid0(VALU_DEP_2) | instskip(SKIP_1) | instid1(VALU_DEP_2)
	v_rcp_f64_e32 v[45:46], v[43:44]
	v_add_f64_e64 v[41:42], v[43:44], -v[41:42]
	v_add_f64_e64 v[47:48], v[49:50], -v[47:48]
	s_delay_alu instid0(VALU_DEP_2) | instskip(NEXT) | instid1(TRANS32_DEP_1)
	v_add_f64_e64 v[39:40], v[39:40], -v[41:42]
	v_fma_f64 v[63:64], -v[43:44], v[45:46], 1.0
	s_delay_alu instid0(VALU_DEP_3) | instskip(NEXT) | instid1(VALU_DEP_2)
	v_add_f64_e64 v[35:36], v[35:36], -v[47:48]
	v_fma_f64 v[45:46], v[63:64], v[45:46], v[45:46]
	s_delay_alu instid0(VALU_DEP_1) | instskip(NEXT) | instid1(VALU_DEP_1)
	v_fma_f64 v[37:38], -v[43:44], v[45:46], 1.0
	v_fma_f64 v[37:38], v[37:38], v[45:46], v[45:46]
	s_delay_alu instid0(VALU_DEP_1) | instskip(NEXT) | instid1(VALU_DEP_1)
	v_mul_f64_e32 v[45:46], v[49:50], v[37:38]
	v_mul_f64_e32 v[63:64], v[43:44], v[45:46]
	s_delay_alu instid0(VALU_DEP_1) | instskip(NEXT) | instid1(VALU_DEP_1)
	v_fma_f64 v[41:42], v[45:46], v[43:44], -v[63:64]
	v_fma_f64 v[41:42], v[45:46], v[39:40], v[41:42]
	s_delay_alu instid0(VALU_DEP_1) | instskip(NEXT) | instid1(VALU_DEP_1)
	v_add_f64_e32 v[65:66], v[63:64], v[41:42]
	v_add_f64_e64 v[67:68], v[49:50], -v[65:66]
	v_add_f64_e64 v[47:48], v[65:66], -v[63:64]
	s_delay_alu instid0(VALU_DEP_2) | instskip(NEXT) | instid1(VALU_DEP_2)
	v_add_f64_e64 v[49:50], v[49:50], -v[67:68]
	v_add_f64_e64 v[41:42], v[47:48], -v[41:42]
	s_delay_alu instid0(VALU_DEP_2) | instskip(NEXT) | instid1(VALU_DEP_1)
	v_add_f64_e64 v[49:50], v[49:50], -v[65:66]
	v_add_f64_e32 v[35:36], v[35:36], v[49:50]
	s_delay_alu instid0(VALU_DEP_1) | instskip(NEXT) | instid1(VALU_DEP_1)
	v_add_f64_e32 v[35:36], v[41:42], v[35:36]
	v_add_f64_e32 v[41:42], v[67:68], v[35:36]
	s_delay_alu instid0(VALU_DEP_1) | instskip(SKIP_1) | instid1(VALU_DEP_2)
	v_mul_f64_e32 v[47:48], v[37:38], v[41:42]
	v_add_f64_e64 v[65:66], v[67:68], -v[41:42]
	v_mul_f64_e32 v[49:50], v[43:44], v[47:48]
	s_delay_alu instid0(VALU_DEP_2) | instskip(NEXT) | instid1(VALU_DEP_2)
	v_add_f64_e32 v[35:36], v[35:36], v[65:66]
	v_fma_f64 v[43:44], v[47:48], v[43:44], -v[49:50]
	s_delay_alu instid0(VALU_DEP_1) | instskip(NEXT) | instid1(VALU_DEP_1)
	v_fma_f64 v[39:40], v[47:48], v[39:40], v[43:44]
	v_add_f64_e32 v[43:44], v[49:50], v[39:40]
	s_delay_alu instid0(VALU_DEP_1) | instskip(SKIP_1) | instid1(VALU_DEP_2)
	v_add_f64_e64 v[63:64], v[41:42], -v[43:44]
	v_add_f64_e64 v[49:50], v[43:44], -v[49:50]
	;; [unrolled: 1-line block ×3, first 2 shown]
	s_delay_alu instid0(VALU_DEP_2) | instskip(NEXT) | instid1(VALU_DEP_2)
	v_add_f64_e64 v[39:40], v[49:50], -v[39:40]
	v_add_f64_e64 v[41:42], v[41:42], -v[43:44]
	s_delay_alu instid0(VALU_DEP_1) | instskip(SKIP_1) | instid1(VALU_DEP_2)
	v_add_f64_e32 v[35:36], v[35:36], v[41:42]
	v_add_f64_e32 v[41:42], v[45:46], v[47:48]
	;; [unrolled: 1-line block ×3, first 2 shown]
	s_delay_alu instid0(VALU_DEP_2) | instskip(NEXT) | instid1(VALU_DEP_2)
	v_add_f64_e64 v[39:40], v[41:42], -v[45:46]
	v_add_f64_e32 v[35:36], v[63:64], v[35:36]
	s_delay_alu instid0(VALU_DEP_2) | instskip(NEXT) | instid1(VALU_DEP_2)
	v_add_f64_e64 v[39:40], v[47:48], -v[39:40]
	v_mul_f64_e32 v[35:36], v[37:38], v[35:36]
	s_delay_alu instid0(VALU_DEP_1) | instskip(NEXT) | instid1(VALU_DEP_1)
	v_add_f64_e32 v[35:36], v[39:40], v[35:36]
	v_add_f64_e32 v[37:38], v[41:42], v[35:36]
	s_delay_alu instid0(VALU_DEP_1) | instskip(NEXT) | instid1(VALU_DEP_1)
	v_mul_f64_e32 v[39:40], v[37:38], v[37:38]
	v_fma_f64 v[43:44], v[39:40], s[34:35], s[24:25]
	s_mov_b32 s24, 0xd7f4df2e
	s_mov_b32 s25, 0x3fc7474d
	v_mul_f64_e32 v[45:46], v[37:38], v[39:40]
	s_wait_alu 0xfffe
	s_delay_alu instid0(VALU_DEP_2) | instskip(SKIP_3) | instid1(VALU_DEP_1)
	v_fma_f64 v[43:44], v[39:40], v[43:44], s[24:25]
	s_mov_b32 s24, 0x16291751
	s_mov_b32 s25, 0x3fcc71c0
	s_wait_alu 0xfffe
	v_fma_f64 v[43:44], v[39:40], v[43:44], s[24:25]
	s_mov_b32 s24, 0x9b27acf1
	s_mov_b32 s25, 0x3fd24924
	s_wait_alu 0xfffe
	s_delay_alu instid0(VALU_DEP_1) | instskip(SKIP_3) | instid1(VALU_DEP_1)
	v_fma_f64 v[43:44], v[39:40], v[43:44], s[24:25]
	s_mov_b32 s24, 0x998ef7b6
	s_mov_b32 s25, 0x3fd99999
	s_wait_alu 0xfffe
	v_fma_f64 v[43:44], v[39:40], v[43:44], s[24:25]
	s_delay_alu instid0(VALU_DEP_1)
	v_fma_f64 v[39:40], v[39:40], v[43:44], s[0:1]
	v_ldexp_f64 v[43:44], v[37:38], 1
	v_add_f64_e64 v[37:38], v[37:38], -v[41:42]
	v_cmp_nge_f64_e64 s0, -1.0, v[19:20]
	v_cmp_neq_f64_e64 s1, 0x7ff00000, v[19:20]
	v_mul_f64_e32 v[39:40], v[45:46], v[39:40]
	v_cvt_f64_i32_e32 v[45:46], v0
	v_add_f64_e64 v[35:36], v[35:36], -v[37:38]
	s_and_b32 s0, s0, s1
	s_delay_alu instid0(VALU_DEP_3) | instskip(NEXT) | instid1(VALU_DEP_3)
	v_add_f64_e32 v[41:42], v[43:44], v[39:40]
	v_mul_f64_e32 v[47:48], s[18:19], v[45:46]
	s_delay_alu instid0(VALU_DEP_3) | instskip(NEXT) | instid1(VALU_DEP_3)
	v_ldexp_f64 v[35:36], v[35:36], 1
	v_add_f64_e64 v[37:38], v[41:42], -v[43:44]
	s_delay_alu instid0(VALU_DEP_3) | instskip(NEXT) | instid1(VALU_DEP_2)
	v_fma_f64 v[43:44], v[45:46], s[18:19], -v[47:48]
	v_add_f64_e64 v[37:38], v[39:40], -v[37:38]
	s_delay_alu instid0(VALU_DEP_2) | instskip(NEXT) | instid1(VALU_DEP_2)
	v_fma_f64 v[39:40], v[45:46], s[20:21], v[43:44]
	v_add_f64_e32 v[35:36], v[35:36], v[37:38]
	s_delay_alu instid0(VALU_DEP_2) | instskip(NEXT) | instid1(VALU_DEP_2)
	v_add_f64_e32 v[37:38], v[47:48], v[39:40]
	v_add_f64_e32 v[43:44], v[41:42], v[35:36]
	s_delay_alu instid0(VALU_DEP_2) | instskip(NEXT) | instid1(VALU_DEP_2)
	v_add_f64_e64 v[47:48], v[37:38], -v[47:48]
	v_add_f64_e32 v[45:46], v[37:38], v[43:44]
	v_add_f64_e64 v[41:42], v[43:44], -v[41:42]
	s_delay_alu instid0(VALU_DEP_3) | instskip(NEXT) | instid1(VALU_DEP_3)
	v_add_f64_e64 v[39:40], v[39:40], -v[47:48]
	v_add_f64_e64 v[49:50], v[45:46], -v[37:38]
	s_delay_alu instid0(VALU_DEP_3) | instskip(NEXT) | instid1(VALU_DEP_2)
	v_add_f64_e64 v[35:36], v[35:36], -v[41:42]
	v_add_f64_e64 v[63:64], v[45:46], -v[49:50]
	;; [unrolled: 1-line block ×3, first 2 shown]
	s_delay_alu instid0(VALU_DEP_3) | instskip(NEXT) | instid1(VALU_DEP_3)
	v_add_f64_e32 v[43:44], v[39:40], v[35:36]
	v_add_f64_e64 v[37:38], v[37:38], -v[63:64]
	s_delay_alu instid0(VALU_DEP_1) | instskip(NEXT) | instid1(VALU_DEP_3)
	v_add_f64_e32 v[37:38], v[41:42], v[37:38]
	v_add_f64_e64 v[41:42], v[43:44], -v[39:40]
	s_delay_alu instid0(VALU_DEP_2) | instskip(NEXT) | instid1(VALU_DEP_2)
	v_add_f64_e32 v[37:38], v[43:44], v[37:38]
	v_add_f64_e64 v[43:44], v[43:44], -v[41:42]
	v_add_f64_e64 v[35:36], v[35:36], -v[41:42]
	s_delay_alu instid0(VALU_DEP_3) | instskip(NEXT) | instid1(VALU_DEP_3)
	v_add_f64_e32 v[47:48], v[45:46], v[37:38]
	v_add_f64_e64 v[39:40], v[39:40], -v[43:44]
	s_delay_alu instid0(VALU_DEP_2) | instskip(NEXT) | instid1(VALU_DEP_2)
	v_add_f64_e64 v[41:42], v[47:48], -v[45:46]
	v_add_f64_e32 v[35:36], v[35:36], v[39:40]
	s_delay_alu instid0(VALU_DEP_2) | instskip(NEXT) | instid1(VALU_DEP_1)
	v_add_f64_e64 v[37:38], v[37:38], -v[41:42]
	v_add_f64_e32 v[35:36], v[35:36], v[37:38]
	s_delay_alu instid0(VALU_DEP_1) | instskip(SKIP_1) | instid1(VALU_DEP_1)
	v_add_f64_e32 v[35:36], v[47:48], v[35:36]
	s_wait_alu 0xfffe
	v_cndmask_b32_e64 v35, 0, v35, s0
	v_cmp_neq_f64_e64 s0, -1.0, v[19:20]
	s_delay_alu instid0(VALU_DEP_3) | instskip(NEXT) | instid1(VALU_DEP_1)
	v_cndmask_b32_e64 v0, 0x7ff00000, v36, s1
	v_cndmask_b32_e64 v0, 0x7ff80000, v0, s17
	s_wait_alu 0xf1ff
	s_delay_alu instid0(VALU_DEP_1) | instskip(NEXT) | instid1(VALU_DEP_1)
	v_cndmask_b32_e64 v36, 0xfff00000, v0, s0
	v_add_f64_e32 v[19:20], v[33:34], v[35:36]
.LBB23_124:
	s_wait_alu 0xfffe
	s_or_b32 exec_lo, exec_lo, s22
	s_delay_alu instid0(VALU_DEP_1) | instskip(SKIP_1) | instid1(VALU_DEP_2)
	v_max_num_f64_e32 v[33:34], v[19:20], v[19:20]
	v_cmp_u_f64_e64 s0, v[19:20], v[19:20]
	v_min_num_f64_e32 v[35:36], v[33:34], v[51:52]
	v_max_num_f64_e32 v[33:34], v[33:34], v[51:52]
	s_wait_alu 0xf1ff
	s_delay_alu instid0(VALU_DEP_2) | instskip(NEXT) | instid1(VALU_DEP_3)
	v_cndmask_b32_e64 v0, v35, v19, s0
	v_cndmask_b32_e64 v35, v36, v20, s0
	s_delay_alu instid0(VALU_DEP_3) | instskip(NEXT) | instid1(VALU_DEP_4)
	v_cndmask_b32_e64 v34, v34, v20, s0
	v_cndmask_b32_e64 v33, v33, v19, s0
	s_delay_alu instid0(VALU_DEP_3) | instskip(SKIP_1) | instid1(VALU_DEP_4)
	v_cndmask_b32_e64 v36, v35, v14, s26
	v_cndmask_b32_e64 v35, v0, v13, s26
	;; [unrolled: 1-line block ×3, first 2 shown]
	s_delay_alu instid0(VALU_DEP_4) | instskip(SKIP_1) | instid1(VALU_DEP_4)
	v_cndmask_b32_e64 v33, v33, v13, s26
	v_dual_mov_b32 v13, v19 :: v_dual_mov_b32 v14, v20
	v_cmp_class_f64_e64 s1, v[35:36], 0x1f8
	s_delay_alu instid0(VALU_DEP_3)
	v_cmp_neq_f64_e64 s0, v[35:36], v[33:34]
	s_or_b32 s0, s0, s1
	s_wait_alu 0xfffe
	s_and_saveexec_b32 s22, s0
	s_cbranch_execz .LBB23_126
; %bb.125:
	v_add_f64_e64 v[13:14], v[35:36], -v[33:34]
	s_mov_b32 s0, 0x652b82fe
	s_mov_b32 s1, 0x3ff71547
	;; [unrolled: 1-line block ×10, first 2 shown]
	s_wait_alu 0xfffe
	s_delay_alu instid0(VALU_DEP_1) | instskip(SKIP_2) | instid1(VALU_DEP_1)
	v_mul_f64_e32 v[35:36], s[0:1], v[13:14]
	s_mov_b32 s0, 0xfca7ab0c
	s_mov_b32 s1, 0x3e928af3
	v_rndne_f64_e32 v[35:36], v[35:36]
	s_delay_alu instid0(VALU_DEP_1) | instskip(SKIP_2) | instid1(VALU_DEP_2)
	v_fma_f64 v[37:38], v[35:36], s[18:19], v[13:14]
	v_cvt_i32_f64_e32 v0, v[35:36]
	s_mov_b32 s19, 0x3fe62e42
	v_fma_f64 v[37:38], v[35:36], s[20:21], v[37:38]
	s_mov_b32 s21, 0x3c7abc9e
	s_wait_alu 0xfffe
	s_delay_alu instid0(VALU_DEP_1)
	v_fma_f64 v[39:40], v[37:38], s[24:25], s[0:1]
	s_mov_b32 s0, 0x623fde64
	s_mov_b32 s1, 0x3ec71dee
	;; [unrolled: 1-line block ×4, first 2 shown]
	s_wait_alu 0xfffe
	s_delay_alu instid0(VALU_DEP_1) | instskip(SKIP_3) | instid1(VALU_DEP_1)
	v_fma_f64 v[39:40], v[37:38], v[39:40], s[0:1]
	s_mov_b32 s0, 0x7c89e6b0
	s_mov_b32 s1, 0x3efa0199
	s_wait_alu 0xfffe
	v_fma_f64 v[39:40], v[37:38], v[39:40], s[0:1]
	s_mov_b32 s0, 0x14761f6e
	s_mov_b32 s1, 0x3f2a01a0
	s_wait_alu 0xfffe
	s_delay_alu instid0(VALU_DEP_1) | instskip(SKIP_3) | instid1(VALU_DEP_1)
	v_fma_f64 v[39:40], v[37:38], v[39:40], s[0:1]
	s_mov_b32 s0, 0x1852b7b0
	s_mov_b32 s1, 0x3f56c16c
	s_wait_alu 0xfffe
	v_fma_f64 v[39:40], v[37:38], v[39:40], s[0:1]
	s_mov_b32 s0, 0x11122322
	s_mov_b32 s1, 0x3f811111
	;; [unrolled: 9-line block ×3, first 2 shown]
	s_wait_alu 0xfffe
	s_delay_alu instid0(VALU_DEP_1) | instskip(SKIP_3) | instid1(VALU_DEP_1)
	v_fma_f64 v[39:40], v[37:38], v[39:40], s[0:1]
	s_mov_b32 s0, 11
	s_mov_b32 s1, 0x3fe00000
	s_wait_alu 0xfffe
	v_fma_f64 v[39:40], v[37:38], v[39:40], s[0:1]
	v_cmp_nlt_f64_e64 s0, 0x40900000, v[13:14]
	v_cmp_ngt_f64_e64 s1, 0xc090cc00, v[13:14]
	s_delay_alu instid0(VALU_DEP_3) | instskip(NEXT) | instid1(VALU_DEP_1)
	v_fma_f64 v[39:40], v[37:38], v[39:40], 1.0
	v_fma_f64 v[35:36], v[37:38], v[39:40], 1.0
	s_delay_alu instid0(VALU_DEP_1) | instskip(SKIP_1) | instid1(VALU_DEP_1)
	v_ldexp_f64 v[35:36], v[35:36], v0
	s_wait_alu 0xf1ff
	v_cndmask_b32_e64 v0, 0x7ff00000, v36, s0
	s_and_b32 s0, s1, s0
	s_wait_alu 0xfffe
	s_delay_alu instid0(VALU_DEP_2) | instskip(SKIP_3) | instid1(VALU_DEP_1)
	v_cndmask_b32_e64 v13, 0, v35, s0
	s_mov_b32 s0, 0x55555555
	v_cndmask_b32_e64 v14, 0, v0, s1
	s_mov_b32 s1, 0x3fe55555
	v_add_f64_e32 v[35:36], 1.0, v[13:14]
	v_cmp_ngt_f64_e64 s17, -1.0, v[13:14]
	s_delay_alu instid0(VALU_DEP_2) | instskip(SKIP_3) | instid1(VALU_DEP_3)
	v_frexp_mant_f64_e32 v[37:38], v[35:36]
	v_frexp_exp_i32_f64_e32 v0, v[35:36]
	v_add_f64_e32 v[39:40], -1.0, v[35:36]
	s_wait_alu 0xfffe
	v_cmp_gt_f64_e64 s0, s[0:1], v[37:38]
	s_delay_alu instid0(VALU_DEP_2) | instskip(SKIP_2) | instid1(VALU_DEP_3)
	v_add_f64_e64 v[37:38], v[39:40], -v[35:36]
	v_add_f64_e64 v[39:40], v[13:14], -v[39:40]
	s_wait_alu 0xf1ff
	v_subrev_co_ci_u32_e64 v0, null, 0, v0, s0
	s_delay_alu instid0(VALU_DEP_3) | instskip(SKIP_1) | instid1(VALU_DEP_2)
	v_add_f64_e32 v[37:38], 1.0, v[37:38]
	s_mov_b32 s0, 0x55555780
	v_sub_nc_u32_e32 v43, 0, v0
	s_delay_alu instid0(VALU_DEP_1) | instskip(NEXT) | instid1(VALU_DEP_3)
	v_ldexp_f64 v[35:36], v[35:36], v43
	v_add_f64_e32 v[37:38], v[39:40], v[37:38]
	s_delay_alu instid0(VALU_DEP_2) | instskip(SKIP_1) | instid1(VALU_DEP_3)
	v_add_f64_e32 v[41:42], 1.0, v[35:36]
	v_add_f64_e32 v[47:48], -1.0, v[35:36]
	v_ldexp_f64 v[37:38], v[37:38], v43
	s_delay_alu instid0(VALU_DEP_3) | instskip(NEXT) | instid1(VALU_DEP_3)
	v_add_f64_e32 v[39:40], -1.0, v[41:42]
	v_add_f64_e32 v[49:50], 1.0, v[47:48]
	s_delay_alu instid0(VALU_DEP_2) | instskip(NEXT) | instid1(VALU_DEP_2)
	v_add_f64_e64 v[39:40], v[35:36], -v[39:40]
	v_add_f64_e64 v[35:36], v[35:36], -v[49:50]
	s_delay_alu instid0(VALU_DEP_2) | instskip(NEXT) | instid1(VALU_DEP_2)
	v_add_f64_e32 v[39:40], v[37:38], v[39:40]
	v_add_f64_e32 v[35:36], v[37:38], v[35:36]
	s_delay_alu instid0(VALU_DEP_2) | instskip(NEXT) | instid1(VALU_DEP_2)
	v_add_f64_e32 v[43:44], v[41:42], v[39:40]
	v_add_f64_e32 v[49:50], v[47:48], v[35:36]
	s_delay_alu instid0(VALU_DEP_2) | instskip(SKIP_1) | instid1(VALU_DEP_2)
	v_rcp_f64_e32 v[45:46], v[43:44]
	v_add_f64_e64 v[41:42], v[43:44], -v[41:42]
	v_add_f64_e64 v[47:48], v[49:50], -v[47:48]
	s_delay_alu instid0(VALU_DEP_2) | instskip(NEXT) | instid1(TRANS32_DEP_1)
	v_add_f64_e64 v[39:40], v[39:40], -v[41:42]
	v_fma_f64 v[51:52], -v[43:44], v[45:46], 1.0
	s_delay_alu instid0(VALU_DEP_3) | instskip(NEXT) | instid1(VALU_DEP_2)
	v_add_f64_e64 v[35:36], v[35:36], -v[47:48]
	v_fma_f64 v[45:46], v[51:52], v[45:46], v[45:46]
	s_delay_alu instid0(VALU_DEP_1) | instskip(NEXT) | instid1(VALU_DEP_1)
	v_fma_f64 v[37:38], -v[43:44], v[45:46], 1.0
	v_fma_f64 v[37:38], v[37:38], v[45:46], v[45:46]
	s_delay_alu instid0(VALU_DEP_1) | instskip(NEXT) | instid1(VALU_DEP_1)
	v_mul_f64_e32 v[45:46], v[49:50], v[37:38]
	v_mul_f64_e32 v[51:52], v[43:44], v[45:46]
	s_delay_alu instid0(VALU_DEP_1) | instskip(NEXT) | instid1(VALU_DEP_1)
	v_fma_f64 v[41:42], v[45:46], v[43:44], -v[51:52]
	v_fma_f64 v[41:42], v[45:46], v[39:40], v[41:42]
	s_delay_alu instid0(VALU_DEP_1) | instskip(NEXT) | instid1(VALU_DEP_1)
	v_add_f64_e32 v[63:64], v[51:52], v[41:42]
	v_add_f64_e64 v[65:66], v[49:50], -v[63:64]
	v_add_f64_e64 v[47:48], v[63:64], -v[51:52]
	s_delay_alu instid0(VALU_DEP_2) | instskip(NEXT) | instid1(VALU_DEP_2)
	v_add_f64_e64 v[49:50], v[49:50], -v[65:66]
	v_add_f64_e64 v[41:42], v[47:48], -v[41:42]
	s_delay_alu instid0(VALU_DEP_2) | instskip(NEXT) | instid1(VALU_DEP_1)
	v_add_f64_e64 v[49:50], v[49:50], -v[63:64]
	v_add_f64_e32 v[35:36], v[35:36], v[49:50]
	s_delay_alu instid0(VALU_DEP_1) | instskip(NEXT) | instid1(VALU_DEP_1)
	v_add_f64_e32 v[35:36], v[41:42], v[35:36]
	v_add_f64_e32 v[41:42], v[65:66], v[35:36]
	s_delay_alu instid0(VALU_DEP_1) | instskip(SKIP_1) | instid1(VALU_DEP_2)
	v_mul_f64_e32 v[47:48], v[37:38], v[41:42]
	v_add_f64_e64 v[63:64], v[65:66], -v[41:42]
	v_mul_f64_e32 v[49:50], v[43:44], v[47:48]
	s_delay_alu instid0(VALU_DEP_2) | instskip(NEXT) | instid1(VALU_DEP_2)
	v_add_f64_e32 v[35:36], v[35:36], v[63:64]
	v_fma_f64 v[43:44], v[47:48], v[43:44], -v[49:50]
	s_delay_alu instid0(VALU_DEP_1) | instskip(NEXT) | instid1(VALU_DEP_1)
	v_fma_f64 v[39:40], v[47:48], v[39:40], v[43:44]
	v_add_f64_e32 v[43:44], v[49:50], v[39:40]
	s_delay_alu instid0(VALU_DEP_1) | instskip(SKIP_1) | instid1(VALU_DEP_2)
	v_add_f64_e64 v[51:52], v[41:42], -v[43:44]
	v_add_f64_e64 v[49:50], v[43:44], -v[49:50]
	v_add_f64_e64 v[41:42], v[41:42], -v[51:52]
	s_delay_alu instid0(VALU_DEP_2) | instskip(NEXT) | instid1(VALU_DEP_2)
	v_add_f64_e64 v[39:40], v[49:50], -v[39:40]
	v_add_f64_e64 v[41:42], v[41:42], -v[43:44]
	s_delay_alu instid0(VALU_DEP_1) | instskip(SKIP_1) | instid1(VALU_DEP_2)
	v_add_f64_e32 v[35:36], v[35:36], v[41:42]
	v_add_f64_e32 v[41:42], v[45:46], v[47:48]
	;; [unrolled: 1-line block ×3, first 2 shown]
	s_delay_alu instid0(VALU_DEP_2) | instskip(NEXT) | instid1(VALU_DEP_2)
	v_add_f64_e64 v[39:40], v[41:42], -v[45:46]
	v_add_f64_e32 v[35:36], v[51:52], v[35:36]
	s_delay_alu instid0(VALU_DEP_2) | instskip(NEXT) | instid1(VALU_DEP_2)
	v_add_f64_e64 v[39:40], v[47:48], -v[39:40]
	v_mul_f64_e32 v[35:36], v[37:38], v[35:36]
	s_delay_alu instid0(VALU_DEP_1) | instskip(NEXT) | instid1(VALU_DEP_1)
	v_add_f64_e32 v[35:36], v[39:40], v[35:36]
	v_add_f64_e32 v[37:38], v[41:42], v[35:36]
	s_delay_alu instid0(VALU_DEP_1) | instskip(NEXT) | instid1(VALU_DEP_1)
	v_mul_f64_e32 v[39:40], v[37:38], v[37:38]
	v_fma_f64 v[43:44], v[39:40], s[34:35], s[24:25]
	s_mov_b32 s24, 0xd7f4df2e
	s_mov_b32 s25, 0x3fc7474d
	v_mul_f64_e32 v[45:46], v[37:38], v[39:40]
	s_wait_alu 0xfffe
	s_delay_alu instid0(VALU_DEP_2) | instskip(SKIP_3) | instid1(VALU_DEP_1)
	v_fma_f64 v[43:44], v[39:40], v[43:44], s[24:25]
	s_mov_b32 s24, 0x16291751
	s_mov_b32 s25, 0x3fcc71c0
	s_wait_alu 0xfffe
	v_fma_f64 v[43:44], v[39:40], v[43:44], s[24:25]
	s_mov_b32 s24, 0x9b27acf1
	s_mov_b32 s25, 0x3fd24924
	s_wait_alu 0xfffe
	s_delay_alu instid0(VALU_DEP_1) | instskip(SKIP_3) | instid1(VALU_DEP_1)
	v_fma_f64 v[43:44], v[39:40], v[43:44], s[24:25]
	s_mov_b32 s24, 0x998ef7b6
	s_mov_b32 s25, 0x3fd99999
	s_wait_alu 0xfffe
	v_fma_f64 v[43:44], v[39:40], v[43:44], s[24:25]
	s_delay_alu instid0(VALU_DEP_1)
	v_fma_f64 v[39:40], v[39:40], v[43:44], s[0:1]
	v_ldexp_f64 v[43:44], v[37:38], 1
	v_add_f64_e64 v[37:38], v[37:38], -v[41:42]
	v_cmp_nge_f64_e64 s0, -1.0, v[13:14]
	v_cmp_neq_f64_e64 s1, 0x7ff00000, v[13:14]
	v_mul_f64_e32 v[39:40], v[45:46], v[39:40]
	v_cvt_f64_i32_e32 v[45:46], v0
	v_add_f64_e64 v[35:36], v[35:36], -v[37:38]
	s_and_b32 s0, s0, s1
	s_delay_alu instid0(VALU_DEP_3) | instskip(NEXT) | instid1(VALU_DEP_3)
	v_add_f64_e32 v[41:42], v[43:44], v[39:40]
	v_mul_f64_e32 v[47:48], s[18:19], v[45:46]
	s_delay_alu instid0(VALU_DEP_3) | instskip(NEXT) | instid1(VALU_DEP_3)
	v_ldexp_f64 v[35:36], v[35:36], 1
	v_add_f64_e64 v[37:38], v[41:42], -v[43:44]
	s_delay_alu instid0(VALU_DEP_3) | instskip(NEXT) | instid1(VALU_DEP_2)
	v_fma_f64 v[43:44], v[45:46], s[18:19], -v[47:48]
	v_add_f64_e64 v[37:38], v[39:40], -v[37:38]
	s_delay_alu instid0(VALU_DEP_2) | instskip(NEXT) | instid1(VALU_DEP_2)
	v_fma_f64 v[39:40], v[45:46], s[20:21], v[43:44]
	v_add_f64_e32 v[35:36], v[35:36], v[37:38]
	s_delay_alu instid0(VALU_DEP_2) | instskip(NEXT) | instid1(VALU_DEP_2)
	v_add_f64_e32 v[37:38], v[47:48], v[39:40]
	v_add_f64_e32 v[43:44], v[41:42], v[35:36]
	s_delay_alu instid0(VALU_DEP_2) | instskip(NEXT) | instid1(VALU_DEP_2)
	v_add_f64_e64 v[47:48], v[37:38], -v[47:48]
	v_add_f64_e32 v[45:46], v[37:38], v[43:44]
	v_add_f64_e64 v[41:42], v[43:44], -v[41:42]
	s_delay_alu instid0(VALU_DEP_3) | instskip(NEXT) | instid1(VALU_DEP_3)
	v_add_f64_e64 v[39:40], v[39:40], -v[47:48]
	v_add_f64_e64 v[49:50], v[45:46], -v[37:38]
	s_delay_alu instid0(VALU_DEP_3) | instskip(NEXT) | instid1(VALU_DEP_2)
	v_add_f64_e64 v[35:36], v[35:36], -v[41:42]
	v_add_f64_e64 v[51:52], v[45:46], -v[49:50]
	;; [unrolled: 1-line block ×3, first 2 shown]
	s_delay_alu instid0(VALU_DEP_3) | instskip(NEXT) | instid1(VALU_DEP_3)
	v_add_f64_e32 v[43:44], v[39:40], v[35:36]
	v_add_f64_e64 v[37:38], v[37:38], -v[51:52]
	s_delay_alu instid0(VALU_DEP_1) | instskip(NEXT) | instid1(VALU_DEP_3)
	v_add_f64_e32 v[37:38], v[41:42], v[37:38]
	v_add_f64_e64 v[41:42], v[43:44], -v[39:40]
	s_delay_alu instid0(VALU_DEP_2) | instskip(NEXT) | instid1(VALU_DEP_2)
	v_add_f64_e32 v[37:38], v[43:44], v[37:38]
	v_add_f64_e64 v[43:44], v[43:44], -v[41:42]
	v_add_f64_e64 v[35:36], v[35:36], -v[41:42]
	s_delay_alu instid0(VALU_DEP_3) | instskip(NEXT) | instid1(VALU_DEP_3)
	v_add_f64_e32 v[47:48], v[45:46], v[37:38]
	v_add_f64_e64 v[39:40], v[39:40], -v[43:44]
	s_delay_alu instid0(VALU_DEP_2) | instskip(NEXT) | instid1(VALU_DEP_2)
	v_add_f64_e64 v[41:42], v[47:48], -v[45:46]
	v_add_f64_e32 v[35:36], v[35:36], v[39:40]
	s_delay_alu instid0(VALU_DEP_2) | instskip(NEXT) | instid1(VALU_DEP_1)
	v_add_f64_e64 v[37:38], v[37:38], -v[41:42]
	v_add_f64_e32 v[35:36], v[35:36], v[37:38]
	s_delay_alu instid0(VALU_DEP_1) | instskip(SKIP_1) | instid1(VALU_DEP_1)
	v_add_f64_e32 v[35:36], v[47:48], v[35:36]
	s_wait_alu 0xfffe
	v_cndmask_b32_e64 v35, 0, v35, s0
	v_cmp_neq_f64_e64 s0, -1.0, v[13:14]
	s_delay_alu instid0(VALU_DEP_3) | instskip(NEXT) | instid1(VALU_DEP_1)
	v_cndmask_b32_e64 v0, 0x7ff00000, v36, s1
	v_cndmask_b32_e64 v0, 0x7ff80000, v0, s17
	s_wait_alu 0xf1ff
	s_delay_alu instid0(VALU_DEP_1) | instskip(NEXT) | instid1(VALU_DEP_1)
	v_cndmask_b32_e64 v36, 0xfff00000, v0, s0
	v_add_f64_e32 v[13:14], v[33:34], v[35:36]
.LBB23_126:
	s_wait_alu 0xfffe
	s_or_b32 exec_lo, exec_lo, s22
	s_delay_alu instid0(VALU_DEP_1) | instskip(SKIP_1) | instid1(VALU_DEP_2)
	v_max_num_f64_e32 v[33:34], v[13:14], v[13:14]
	v_cmp_u_f64_e64 s0, v[13:14], v[13:14]
	v_min_num_f64_e32 v[35:36], v[33:34], v[53:54]
	v_max_num_f64_e32 v[33:34], v[33:34], v[53:54]
	s_wait_alu 0xf1ff
	s_delay_alu instid0(VALU_DEP_2) | instskip(NEXT) | instid1(VALU_DEP_3)
	v_cndmask_b32_e64 v0, v35, v13, s0
	v_cndmask_b32_e64 v35, v36, v14, s0
	s_delay_alu instid0(VALU_DEP_3) | instskip(NEXT) | instid1(VALU_DEP_4)
	v_cndmask_b32_e64 v34, v34, v14, s0
	v_cndmask_b32_e64 v33, v33, v13, s0
	s_delay_alu instid0(VALU_DEP_3) | instskip(SKIP_1) | instid1(VALU_DEP_4)
	v_cndmask_b32_e64 v36, v35, v16, s27
	v_cndmask_b32_e64 v35, v0, v15, s27
	;; [unrolled: 1-line block ×3, first 2 shown]
	s_delay_alu instid0(VALU_DEP_4) | instskip(SKIP_1) | instid1(VALU_DEP_4)
	v_cndmask_b32_e64 v33, v33, v15, s27
	v_dual_mov_b32 v16, v14 :: v_dual_mov_b32 v15, v13
	v_cmp_class_f64_e64 s1, v[35:36], 0x1f8
	s_delay_alu instid0(VALU_DEP_3)
	v_cmp_neq_f64_e64 s0, v[35:36], v[33:34]
	s_or_b32 s0, s0, s1
	s_wait_alu 0xfffe
	s_and_saveexec_b32 s22, s0
	s_cbranch_execz .LBB23_128
; %bb.127:
	v_add_f64_e64 v[15:16], v[35:36], -v[33:34]
	s_mov_b32 s0, 0x652b82fe
	s_mov_b32 s1, 0x3ff71547
	;; [unrolled: 1-line block ×10, first 2 shown]
	s_wait_alu 0xfffe
	s_delay_alu instid0(VALU_DEP_1) | instskip(SKIP_2) | instid1(VALU_DEP_1)
	v_mul_f64_e32 v[35:36], s[0:1], v[15:16]
	s_mov_b32 s0, 0xfca7ab0c
	s_mov_b32 s1, 0x3e928af3
	v_rndne_f64_e32 v[35:36], v[35:36]
	s_delay_alu instid0(VALU_DEP_1) | instskip(SKIP_2) | instid1(VALU_DEP_2)
	v_fma_f64 v[37:38], v[35:36], s[18:19], v[15:16]
	v_cvt_i32_f64_e32 v0, v[35:36]
	s_mov_b32 s19, 0x3fe62e42
	v_fma_f64 v[37:38], v[35:36], s[20:21], v[37:38]
	s_mov_b32 s21, 0x3c7abc9e
	s_wait_alu 0xfffe
	s_delay_alu instid0(VALU_DEP_1)
	v_fma_f64 v[39:40], v[37:38], s[24:25], s[0:1]
	s_mov_b32 s0, 0x623fde64
	s_mov_b32 s1, 0x3ec71dee
	;; [unrolled: 1-line block ×4, first 2 shown]
	s_wait_alu 0xfffe
	s_delay_alu instid0(VALU_DEP_1) | instskip(SKIP_3) | instid1(VALU_DEP_1)
	v_fma_f64 v[39:40], v[37:38], v[39:40], s[0:1]
	s_mov_b32 s0, 0x7c89e6b0
	s_mov_b32 s1, 0x3efa0199
	s_wait_alu 0xfffe
	v_fma_f64 v[39:40], v[37:38], v[39:40], s[0:1]
	s_mov_b32 s0, 0x14761f6e
	s_mov_b32 s1, 0x3f2a01a0
	s_wait_alu 0xfffe
	s_delay_alu instid0(VALU_DEP_1) | instskip(SKIP_3) | instid1(VALU_DEP_1)
	v_fma_f64 v[39:40], v[37:38], v[39:40], s[0:1]
	s_mov_b32 s0, 0x1852b7b0
	s_mov_b32 s1, 0x3f56c16c
	s_wait_alu 0xfffe
	v_fma_f64 v[39:40], v[37:38], v[39:40], s[0:1]
	s_mov_b32 s0, 0x11122322
	s_mov_b32 s1, 0x3f811111
	;; [unrolled: 9-line block ×3, first 2 shown]
	s_wait_alu 0xfffe
	s_delay_alu instid0(VALU_DEP_1) | instskip(SKIP_3) | instid1(VALU_DEP_1)
	v_fma_f64 v[39:40], v[37:38], v[39:40], s[0:1]
	s_mov_b32 s0, 11
	s_mov_b32 s1, 0x3fe00000
	s_wait_alu 0xfffe
	v_fma_f64 v[39:40], v[37:38], v[39:40], s[0:1]
	v_cmp_nlt_f64_e64 s0, 0x40900000, v[15:16]
	v_cmp_ngt_f64_e64 s1, 0xc090cc00, v[15:16]
	s_delay_alu instid0(VALU_DEP_3) | instskip(NEXT) | instid1(VALU_DEP_1)
	v_fma_f64 v[39:40], v[37:38], v[39:40], 1.0
	v_fma_f64 v[35:36], v[37:38], v[39:40], 1.0
	s_delay_alu instid0(VALU_DEP_1) | instskip(SKIP_1) | instid1(VALU_DEP_1)
	v_ldexp_f64 v[35:36], v[35:36], v0
	s_wait_alu 0xf1ff
	v_cndmask_b32_e64 v0, 0x7ff00000, v36, s0
	s_and_b32 s0, s1, s0
	s_wait_alu 0xfffe
	s_delay_alu instid0(VALU_DEP_2) | instskip(SKIP_3) | instid1(VALU_DEP_1)
	v_cndmask_b32_e64 v15, 0, v35, s0
	s_mov_b32 s0, 0x55555555
	v_cndmask_b32_e64 v16, 0, v0, s1
	s_mov_b32 s1, 0x3fe55555
	v_add_f64_e32 v[35:36], 1.0, v[15:16]
	v_cmp_ngt_f64_e64 s17, -1.0, v[15:16]
	s_delay_alu instid0(VALU_DEP_2) | instskip(SKIP_3) | instid1(VALU_DEP_3)
	v_frexp_mant_f64_e32 v[37:38], v[35:36]
	v_frexp_exp_i32_f64_e32 v0, v[35:36]
	v_add_f64_e32 v[39:40], -1.0, v[35:36]
	s_wait_alu 0xfffe
	v_cmp_gt_f64_e64 s0, s[0:1], v[37:38]
	s_delay_alu instid0(VALU_DEP_2) | instskip(SKIP_2) | instid1(VALU_DEP_3)
	v_add_f64_e64 v[37:38], v[39:40], -v[35:36]
	v_add_f64_e64 v[39:40], v[15:16], -v[39:40]
	s_wait_alu 0xf1ff
	v_subrev_co_ci_u32_e64 v0, null, 0, v0, s0
	s_delay_alu instid0(VALU_DEP_3) | instskip(SKIP_1) | instid1(VALU_DEP_2)
	v_add_f64_e32 v[37:38], 1.0, v[37:38]
	s_mov_b32 s0, 0x55555780
	v_sub_nc_u32_e32 v43, 0, v0
	s_delay_alu instid0(VALU_DEP_1) | instskip(NEXT) | instid1(VALU_DEP_3)
	v_ldexp_f64 v[35:36], v[35:36], v43
	v_add_f64_e32 v[37:38], v[39:40], v[37:38]
	s_delay_alu instid0(VALU_DEP_2) | instskip(SKIP_1) | instid1(VALU_DEP_3)
	v_add_f64_e32 v[41:42], 1.0, v[35:36]
	v_add_f64_e32 v[47:48], -1.0, v[35:36]
	v_ldexp_f64 v[37:38], v[37:38], v43
	s_delay_alu instid0(VALU_DEP_3) | instskip(NEXT) | instid1(VALU_DEP_3)
	v_add_f64_e32 v[39:40], -1.0, v[41:42]
	v_add_f64_e32 v[49:50], 1.0, v[47:48]
	s_delay_alu instid0(VALU_DEP_2) | instskip(NEXT) | instid1(VALU_DEP_2)
	v_add_f64_e64 v[39:40], v[35:36], -v[39:40]
	v_add_f64_e64 v[35:36], v[35:36], -v[49:50]
	s_delay_alu instid0(VALU_DEP_2) | instskip(NEXT) | instid1(VALU_DEP_2)
	v_add_f64_e32 v[39:40], v[37:38], v[39:40]
	v_add_f64_e32 v[35:36], v[37:38], v[35:36]
	s_delay_alu instid0(VALU_DEP_2) | instskip(NEXT) | instid1(VALU_DEP_2)
	v_add_f64_e32 v[43:44], v[41:42], v[39:40]
	v_add_f64_e32 v[49:50], v[47:48], v[35:36]
	s_delay_alu instid0(VALU_DEP_2) | instskip(SKIP_1) | instid1(VALU_DEP_2)
	v_rcp_f64_e32 v[45:46], v[43:44]
	v_add_f64_e64 v[41:42], v[43:44], -v[41:42]
	v_add_f64_e64 v[47:48], v[49:50], -v[47:48]
	s_delay_alu instid0(VALU_DEP_2) | instskip(NEXT) | instid1(TRANS32_DEP_1)
	v_add_f64_e64 v[39:40], v[39:40], -v[41:42]
	v_fma_f64 v[51:52], -v[43:44], v[45:46], 1.0
	s_delay_alu instid0(VALU_DEP_3) | instskip(NEXT) | instid1(VALU_DEP_2)
	v_add_f64_e64 v[35:36], v[35:36], -v[47:48]
	v_fma_f64 v[45:46], v[51:52], v[45:46], v[45:46]
	s_delay_alu instid0(VALU_DEP_1) | instskip(NEXT) | instid1(VALU_DEP_1)
	v_fma_f64 v[37:38], -v[43:44], v[45:46], 1.0
	v_fma_f64 v[37:38], v[37:38], v[45:46], v[45:46]
	s_delay_alu instid0(VALU_DEP_1) | instskip(NEXT) | instid1(VALU_DEP_1)
	v_mul_f64_e32 v[45:46], v[49:50], v[37:38]
	v_mul_f64_e32 v[51:52], v[43:44], v[45:46]
	s_delay_alu instid0(VALU_DEP_1) | instskip(NEXT) | instid1(VALU_DEP_1)
	v_fma_f64 v[41:42], v[45:46], v[43:44], -v[51:52]
	v_fma_f64 v[41:42], v[45:46], v[39:40], v[41:42]
	s_delay_alu instid0(VALU_DEP_1) | instskip(NEXT) | instid1(VALU_DEP_1)
	v_add_f64_e32 v[53:54], v[51:52], v[41:42]
	v_add_f64_e64 v[63:64], v[49:50], -v[53:54]
	v_add_f64_e64 v[47:48], v[53:54], -v[51:52]
	s_delay_alu instid0(VALU_DEP_2) | instskip(NEXT) | instid1(VALU_DEP_2)
	v_add_f64_e64 v[49:50], v[49:50], -v[63:64]
	v_add_f64_e64 v[41:42], v[47:48], -v[41:42]
	s_delay_alu instid0(VALU_DEP_2) | instskip(NEXT) | instid1(VALU_DEP_1)
	v_add_f64_e64 v[49:50], v[49:50], -v[53:54]
	v_add_f64_e32 v[35:36], v[35:36], v[49:50]
	s_delay_alu instid0(VALU_DEP_1) | instskip(NEXT) | instid1(VALU_DEP_1)
	v_add_f64_e32 v[35:36], v[41:42], v[35:36]
	v_add_f64_e32 v[41:42], v[63:64], v[35:36]
	s_delay_alu instid0(VALU_DEP_1) | instskip(SKIP_1) | instid1(VALU_DEP_2)
	v_mul_f64_e32 v[47:48], v[37:38], v[41:42]
	v_add_f64_e64 v[53:54], v[63:64], -v[41:42]
	v_mul_f64_e32 v[49:50], v[43:44], v[47:48]
	s_delay_alu instid0(VALU_DEP_2) | instskip(NEXT) | instid1(VALU_DEP_2)
	v_add_f64_e32 v[35:36], v[35:36], v[53:54]
	v_fma_f64 v[43:44], v[47:48], v[43:44], -v[49:50]
	s_delay_alu instid0(VALU_DEP_1) | instskip(NEXT) | instid1(VALU_DEP_1)
	v_fma_f64 v[39:40], v[47:48], v[39:40], v[43:44]
	v_add_f64_e32 v[43:44], v[49:50], v[39:40]
	s_delay_alu instid0(VALU_DEP_1) | instskip(SKIP_1) | instid1(VALU_DEP_2)
	v_add_f64_e64 v[51:52], v[41:42], -v[43:44]
	v_add_f64_e64 v[49:50], v[43:44], -v[49:50]
	;; [unrolled: 1-line block ×3, first 2 shown]
	s_delay_alu instid0(VALU_DEP_2) | instskip(NEXT) | instid1(VALU_DEP_2)
	v_add_f64_e64 v[39:40], v[49:50], -v[39:40]
	v_add_f64_e64 v[41:42], v[41:42], -v[43:44]
	s_delay_alu instid0(VALU_DEP_1) | instskip(SKIP_1) | instid1(VALU_DEP_2)
	v_add_f64_e32 v[35:36], v[35:36], v[41:42]
	v_add_f64_e32 v[41:42], v[45:46], v[47:48]
	;; [unrolled: 1-line block ×3, first 2 shown]
	s_delay_alu instid0(VALU_DEP_2) | instskip(NEXT) | instid1(VALU_DEP_2)
	v_add_f64_e64 v[39:40], v[41:42], -v[45:46]
	v_add_f64_e32 v[35:36], v[51:52], v[35:36]
	s_delay_alu instid0(VALU_DEP_2) | instskip(NEXT) | instid1(VALU_DEP_2)
	v_add_f64_e64 v[39:40], v[47:48], -v[39:40]
	v_mul_f64_e32 v[35:36], v[37:38], v[35:36]
	s_delay_alu instid0(VALU_DEP_1) | instskip(NEXT) | instid1(VALU_DEP_1)
	v_add_f64_e32 v[35:36], v[39:40], v[35:36]
	v_add_f64_e32 v[37:38], v[41:42], v[35:36]
	s_delay_alu instid0(VALU_DEP_1) | instskip(NEXT) | instid1(VALU_DEP_1)
	v_mul_f64_e32 v[39:40], v[37:38], v[37:38]
	v_fma_f64 v[43:44], v[39:40], s[26:27], s[24:25]
	s_mov_b32 s24, 0xd7f4df2e
	s_mov_b32 s25, 0x3fc7474d
	v_mul_f64_e32 v[45:46], v[37:38], v[39:40]
	s_wait_alu 0xfffe
	s_delay_alu instid0(VALU_DEP_2) | instskip(SKIP_3) | instid1(VALU_DEP_1)
	v_fma_f64 v[43:44], v[39:40], v[43:44], s[24:25]
	s_mov_b32 s24, 0x16291751
	s_mov_b32 s25, 0x3fcc71c0
	s_wait_alu 0xfffe
	v_fma_f64 v[43:44], v[39:40], v[43:44], s[24:25]
	s_mov_b32 s24, 0x9b27acf1
	s_mov_b32 s25, 0x3fd24924
	s_wait_alu 0xfffe
	s_delay_alu instid0(VALU_DEP_1) | instskip(SKIP_3) | instid1(VALU_DEP_1)
	v_fma_f64 v[43:44], v[39:40], v[43:44], s[24:25]
	s_mov_b32 s24, 0x998ef7b6
	s_mov_b32 s25, 0x3fd99999
	s_wait_alu 0xfffe
	v_fma_f64 v[43:44], v[39:40], v[43:44], s[24:25]
	s_delay_alu instid0(VALU_DEP_1)
	v_fma_f64 v[39:40], v[39:40], v[43:44], s[0:1]
	v_ldexp_f64 v[43:44], v[37:38], 1
	v_add_f64_e64 v[37:38], v[37:38], -v[41:42]
	v_cmp_nge_f64_e64 s0, -1.0, v[15:16]
	v_cmp_neq_f64_e64 s1, 0x7ff00000, v[15:16]
	v_mul_f64_e32 v[39:40], v[45:46], v[39:40]
	v_cvt_f64_i32_e32 v[45:46], v0
	v_add_f64_e64 v[35:36], v[35:36], -v[37:38]
	s_and_b32 s0, s0, s1
	s_delay_alu instid0(VALU_DEP_3) | instskip(NEXT) | instid1(VALU_DEP_3)
	v_add_f64_e32 v[41:42], v[43:44], v[39:40]
	v_mul_f64_e32 v[47:48], s[18:19], v[45:46]
	s_delay_alu instid0(VALU_DEP_3) | instskip(NEXT) | instid1(VALU_DEP_3)
	v_ldexp_f64 v[35:36], v[35:36], 1
	v_add_f64_e64 v[37:38], v[41:42], -v[43:44]
	s_delay_alu instid0(VALU_DEP_3) | instskip(NEXT) | instid1(VALU_DEP_2)
	v_fma_f64 v[43:44], v[45:46], s[18:19], -v[47:48]
	v_add_f64_e64 v[37:38], v[39:40], -v[37:38]
	s_delay_alu instid0(VALU_DEP_2) | instskip(NEXT) | instid1(VALU_DEP_2)
	v_fma_f64 v[39:40], v[45:46], s[20:21], v[43:44]
	v_add_f64_e32 v[35:36], v[35:36], v[37:38]
	s_delay_alu instid0(VALU_DEP_2) | instskip(NEXT) | instid1(VALU_DEP_2)
	v_add_f64_e32 v[37:38], v[47:48], v[39:40]
	v_add_f64_e32 v[43:44], v[41:42], v[35:36]
	s_delay_alu instid0(VALU_DEP_2) | instskip(NEXT) | instid1(VALU_DEP_2)
	v_add_f64_e64 v[47:48], v[37:38], -v[47:48]
	v_add_f64_e32 v[45:46], v[37:38], v[43:44]
	v_add_f64_e64 v[41:42], v[43:44], -v[41:42]
	s_delay_alu instid0(VALU_DEP_3) | instskip(NEXT) | instid1(VALU_DEP_3)
	v_add_f64_e64 v[39:40], v[39:40], -v[47:48]
	v_add_f64_e64 v[49:50], v[45:46], -v[37:38]
	s_delay_alu instid0(VALU_DEP_3) | instskip(NEXT) | instid1(VALU_DEP_2)
	v_add_f64_e64 v[35:36], v[35:36], -v[41:42]
	v_add_f64_e64 v[51:52], v[45:46], -v[49:50]
	;; [unrolled: 1-line block ×3, first 2 shown]
	s_delay_alu instid0(VALU_DEP_3) | instskip(NEXT) | instid1(VALU_DEP_3)
	v_add_f64_e32 v[43:44], v[39:40], v[35:36]
	v_add_f64_e64 v[37:38], v[37:38], -v[51:52]
	s_delay_alu instid0(VALU_DEP_1) | instskip(NEXT) | instid1(VALU_DEP_3)
	v_add_f64_e32 v[37:38], v[41:42], v[37:38]
	v_add_f64_e64 v[41:42], v[43:44], -v[39:40]
	s_delay_alu instid0(VALU_DEP_2) | instskip(NEXT) | instid1(VALU_DEP_2)
	v_add_f64_e32 v[37:38], v[43:44], v[37:38]
	v_add_f64_e64 v[43:44], v[43:44], -v[41:42]
	v_add_f64_e64 v[35:36], v[35:36], -v[41:42]
	s_delay_alu instid0(VALU_DEP_3) | instskip(NEXT) | instid1(VALU_DEP_3)
	v_add_f64_e32 v[47:48], v[45:46], v[37:38]
	v_add_f64_e64 v[39:40], v[39:40], -v[43:44]
	s_delay_alu instid0(VALU_DEP_2) | instskip(NEXT) | instid1(VALU_DEP_2)
	v_add_f64_e64 v[41:42], v[47:48], -v[45:46]
	v_add_f64_e32 v[35:36], v[35:36], v[39:40]
	s_delay_alu instid0(VALU_DEP_2) | instskip(NEXT) | instid1(VALU_DEP_1)
	v_add_f64_e64 v[37:38], v[37:38], -v[41:42]
	v_add_f64_e32 v[35:36], v[35:36], v[37:38]
	s_delay_alu instid0(VALU_DEP_1) | instskip(SKIP_1) | instid1(VALU_DEP_1)
	v_add_f64_e32 v[35:36], v[47:48], v[35:36]
	s_wait_alu 0xfffe
	v_cndmask_b32_e64 v35, 0, v35, s0
	v_cmp_neq_f64_e64 s0, -1.0, v[15:16]
	s_delay_alu instid0(VALU_DEP_3) | instskip(NEXT) | instid1(VALU_DEP_1)
	v_cndmask_b32_e64 v0, 0x7ff00000, v36, s1
	v_cndmask_b32_e64 v0, 0x7ff80000, v0, s17
	s_wait_alu 0xf1ff
	s_delay_alu instid0(VALU_DEP_1) | instskip(NEXT) | instid1(VALU_DEP_1)
	v_cndmask_b32_e64 v36, 0xfff00000, v0, s0
	v_add_f64_e32 v[15:16], v[33:34], v[35:36]
.LBB23_128:
	s_wait_alu 0xfffe
	s_or_b32 exec_lo, exec_lo, s22
	s_delay_alu instid0(VALU_DEP_1) | instskip(SKIP_1) | instid1(VALU_DEP_2)
	v_max_num_f64_e32 v[33:34], v[15:16], v[15:16]
	v_cmp_u_f64_e64 s0, v[15:16], v[15:16]
	v_min_num_f64_e32 v[35:36], v[33:34], v[55:56]
	v_max_num_f64_e32 v[33:34], v[33:34], v[55:56]
	s_wait_alu 0xf1ff
	s_delay_alu instid0(VALU_DEP_2) | instskip(NEXT) | instid1(VALU_DEP_3)
	v_cndmask_b32_e64 v0, v35, v15, s0
	v_cndmask_b32_e64 v35, v36, v16, s0
	s_delay_alu instid0(VALU_DEP_3) | instskip(NEXT) | instid1(VALU_DEP_4)
	v_cndmask_b32_e64 v34, v34, v16, s0
	v_cndmask_b32_e64 v33, v33, v15, s0
	s_delay_alu instid0(VALU_DEP_3) | instskip(SKIP_1) | instid1(VALU_DEP_4)
	v_cndmask_b32_e64 v36, v35, v10, s28
	v_cndmask_b32_e64 v35, v0, v9, s28
	v_cndmask_b32_e64 v34, v34, v10, s28
	s_delay_alu instid0(VALU_DEP_4) | instskip(SKIP_1) | instid1(VALU_DEP_4)
	v_cndmask_b32_e64 v33, v33, v9, s28
	v_dual_mov_b32 v9, v15 :: v_dual_mov_b32 v10, v16
	v_cmp_class_f64_e64 s1, v[35:36], 0x1f8
	s_delay_alu instid0(VALU_DEP_3)
	v_cmp_neq_f64_e64 s0, v[35:36], v[33:34]
	s_or_b32 s0, s0, s1
	s_wait_alu 0xfffe
	s_and_saveexec_b32 s22, s0
	s_cbranch_execz .LBB23_130
; %bb.129:
	v_add_f64_e64 v[9:10], v[35:36], -v[33:34]
	s_mov_b32 s0, 0x652b82fe
	s_mov_b32 s1, 0x3ff71547
	;; [unrolled: 1-line block ×10, first 2 shown]
	s_wait_alu 0xfffe
	s_delay_alu instid0(VALU_DEP_1) | instskip(SKIP_2) | instid1(VALU_DEP_1)
	v_mul_f64_e32 v[35:36], s[0:1], v[9:10]
	s_mov_b32 s0, 0xfca7ab0c
	s_mov_b32 s1, 0x3e928af3
	v_rndne_f64_e32 v[35:36], v[35:36]
	s_delay_alu instid0(VALU_DEP_1) | instskip(SKIP_2) | instid1(VALU_DEP_2)
	v_fma_f64 v[37:38], v[35:36], s[18:19], v[9:10]
	v_cvt_i32_f64_e32 v0, v[35:36]
	s_mov_b32 s19, 0x3fe62e42
	v_fma_f64 v[37:38], v[35:36], s[20:21], v[37:38]
	s_mov_b32 s21, 0x3c7abc9e
	s_wait_alu 0xfffe
	s_delay_alu instid0(VALU_DEP_1)
	v_fma_f64 v[39:40], v[37:38], s[24:25], s[0:1]
	s_mov_b32 s0, 0x623fde64
	s_mov_b32 s1, 0x3ec71dee
	;; [unrolled: 1-line block ×4, first 2 shown]
	s_wait_alu 0xfffe
	s_delay_alu instid0(VALU_DEP_1) | instskip(SKIP_3) | instid1(VALU_DEP_1)
	v_fma_f64 v[39:40], v[37:38], v[39:40], s[0:1]
	s_mov_b32 s0, 0x7c89e6b0
	s_mov_b32 s1, 0x3efa0199
	s_wait_alu 0xfffe
	v_fma_f64 v[39:40], v[37:38], v[39:40], s[0:1]
	s_mov_b32 s0, 0x14761f6e
	s_mov_b32 s1, 0x3f2a01a0
	s_wait_alu 0xfffe
	s_delay_alu instid0(VALU_DEP_1) | instskip(SKIP_3) | instid1(VALU_DEP_1)
	v_fma_f64 v[39:40], v[37:38], v[39:40], s[0:1]
	s_mov_b32 s0, 0x1852b7b0
	s_mov_b32 s1, 0x3f56c16c
	s_wait_alu 0xfffe
	v_fma_f64 v[39:40], v[37:38], v[39:40], s[0:1]
	s_mov_b32 s0, 0x11122322
	s_mov_b32 s1, 0x3f811111
	;; [unrolled: 9-line block ×3, first 2 shown]
	s_wait_alu 0xfffe
	s_delay_alu instid0(VALU_DEP_1) | instskip(SKIP_3) | instid1(VALU_DEP_1)
	v_fma_f64 v[39:40], v[37:38], v[39:40], s[0:1]
	s_mov_b32 s0, 11
	s_mov_b32 s1, 0x3fe00000
	s_wait_alu 0xfffe
	v_fma_f64 v[39:40], v[37:38], v[39:40], s[0:1]
	v_cmp_nlt_f64_e64 s0, 0x40900000, v[9:10]
	v_cmp_ngt_f64_e64 s1, 0xc090cc00, v[9:10]
	s_delay_alu instid0(VALU_DEP_3) | instskip(NEXT) | instid1(VALU_DEP_1)
	v_fma_f64 v[39:40], v[37:38], v[39:40], 1.0
	v_fma_f64 v[35:36], v[37:38], v[39:40], 1.0
	s_delay_alu instid0(VALU_DEP_1) | instskip(SKIP_1) | instid1(VALU_DEP_1)
	v_ldexp_f64 v[35:36], v[35:36], v0
	s_wait_alu 0xf1ff
	v_cndmask_b32_e64 v0, 0x7ff00000, v36, s0
	s_and_b32 s0, s1, s0
	s_wait_alu 0xfffe
	s_delay_alu instid0(VALU_DEP_2) | instskip(SKIP_3) | instid1(VALU_DEP_1)
	v_cndmask_b32_e64 v9, 0, v35, s0
	s_mov_b32 s0, 0x55555555
	v_cndmask_b32_e64 v10, 0, v0, s1
	s_mov_b32 s1, 0x3fe55555
	v_add_f64_e32 v[35:36], 1.0, v[9:10]
	v_cmp_ngt_f64_e64 s17, -1.0, v[9:10]
	s_delay_alu instid0(VALU_DEP_2) | instskip(SKIP_3) | instid1(VALU_DEP_3)
	v_frexp_mant_f64_e32 v[37:38], v[35:36]
	v_frexp_exp_i32_f64_e32 v0, v[35:36]
	v_add_f64_e32 v[39:40], -1.0, v[35:36]
	s_wait_alu 0xfffe
	v_cmp_gt_f64_e64 s0, s[0:1], v[37:38]
	s_delay_alu instid0(VALU_DEP_2) | instskip(SKIP_2) | instid1(VALU_DEP_3)
	v_add_f64_e64 v[37:38], v[39:40], -v[35:36]
	v_add_f64_e64 v[39:40], v[9:10], -v[39:40]
	s_wait_alu 0xf1ff
	v_subrev_co_ci_u32_e64 v0, null, 0, v0, s0
	s_delay_alu instid0(VALU_DEP_3) | instskip(SKIP_1) | instid1(VALU_DEP_2)
	v_add_f64_e32 v[37:38], 1.0, v[37:38]
	s_mov_b32 s0, 0x55555780
	v_sub_nc_u32_e32 v43, 0, v0
	s_delay_alu instid0(VALU_DEP_1) | instskip(NEXT) | instid1(VALU_DEP_3)
	v_ldexp_f64 v[35:36], v[35:36], v43
	v_add_f64_e32 v[37:38], v[39:40], v[37:38]
	s_delay_alu instid0(VALU_DEP_2) | instskip(SKIP_1) | instid1(VALU_DEP_3)
	v_add_f64_e32 v[41:42], 1.0, v[35:36]
	v_add_f64_e32 v[47:48], -1.0, v[35:36]
	v_ldexp_f64 v[37:38], v[37:38], v43
	s_delay_alu instid0(VALU_DEP_3) | instskip(NEXT) | instid1(VALU_DEP_3)
	v_add_f64_e32 v[39:40], -1.0, v[41:42]
	v_add_f64_e32 v[49:50], 1.0, v[47:48]
	s_delay_alu instid0(VALU_DEP_2) | instskip(NEXT) | instid1(VALU_DEP_2)
	v_add_f64_e64 v[39:40], v[35:36], -v[39:40]
	v_add_f64_e64 v[35:36], v[35:36], -v[49:50]
	s_delay_alu instid0(VALU_DEP_2) | instskip(NEXT) | instid1(VALU_DEP_2)
	v_add_f64_e32 v[39:40], v[37:38], v[39:40]
	v_add_f64_e32 v[35:36], v[37:38], v[35:36]
	s_delay_alu instid0(VALU_DEP_2) | instskip(NEXT) | instid1(VALU_DEP_2)
	v_add_f64_e32 v[43:44], v[41:42], v[39:40]
	v_add_f64_e32 v[49:50], v[47:48], v[35:36]
	s_delay_alu instid0(VALU_DEP_2) | instskip(SKIP_1) | instid1(VALU_DEP_2)
	v_rcp_f64_e32 v[45:46], v[43:44]
	v_add_f64_e64 v[41:42], v[43:44], -v[41:42]
	v_add_f64_e64 v[47:48], v[49:50], -v[47:48]
	s_delay_alu instid0(VALU_DEP_2) | instskip(NEXT) | instid1(TRANS32_DEP_1)
	v_add_f64_e64 v[39:40], v[39:40], -v[41:42]
	v_fma_f64 v[51:52], -v[43:44], v[45:46], 1.0
	s_delay_alu instid0(VALU_DEP_3) | instskip(NEXT) | instid1(VALU_DEP_2)
	v_add_f64_e64 v[35:36], v[35:36], -v[47:48]
	v_fma_f64 v[45:46], v[51:52], v[45:46], v[45:46]
	s_delay_alu instid0(VALU_DEP_1) | instskip(NEXT) | instid1(VALU_DEP_1)
	v_fma_f64 v[37:38], -v[43:44], v[45:46], 1.0
	v_fma_f64 v[37:38], v[37:38], v[45:46], v[45:46]
	s_delay_alu instid0(VALU_DEP_1) | instskip(NEXT) | instid1(VALU_DEP_1)
	v_mul_f64_e32 v[45:46], v[49:50], v[37:38]
	v_mul_f64_e32 v[51:52], v[43:44], v[45:46]
	s_delay_alu instid0(VALU_DEP_1) | instskip(NEXT) | instid1(VALU_DEP_1)
	v_fma_f64 v[41:42], v[45:46], v[43:44], -v[51:52]
	v_fma_f64 v[41:42], v[45:46], v[39:40], v[41:42]
	s_delay_alu instid0(VALU_DEP_1) | instskip(NEXT) | instid1(VALU_DEP_1)
	v_add_f64_e32 v[53:54], v[51:52], v[41:42]
	v_add_f64_e64 v[55:56], v[49:50], -v[53:54]
	v_add_f64_e64 v[47:48], v[53:54], -v[51:52]
	s_delay_alu instid0(VALU_DEP_2) | instskip(NEXT) | instid1(VALU_DEP_2)
	v_add_f64_e64 v[49:50], v[49:50], -v[55:56]
	v_add_f64_e64 v[41:42], v[47:48], -v[41:42]
	s_delay_alu instid0(VALU_DEP_2) | instskip(NEXT) | instid1(VALU_DEP_1)
	v_add_f64_e64 v[49:50], v[49:50], -v[53:54]
	v_add_f64_e32 v[35:36], v[35:36], v[49:50]
	s_delay_alu instid0(VALU_DEP_1) | instskip(NEXT) | instid1(VALU_DEP_1)
	v_add_f64_e32 v[35:36], v[41:42], v[35:36]
	v_add_f64_e32 v[41:42], v[55:56], v[35:36]
	s_delay_alu instid0(VALU_DEP_1) | instskip(SKIP_1) | instid1(VALU_DEP_2)
	v_mul_f64_e32 v[47:48], v[37:38], v[41:42]
	v_add_f64_e64 v[53:54], v[55:56], -v[41:42]
	v_mul_f64_e32 v[49:50], v[43:44], v[47:48]
	s_delay_alu instid0(VALU_DEP_2) | instskip(NEXT) | instid1(VALU_DEP_2)
	v_add_f64_e32 v[35:36], v[35:36], v[53:54]
	v_fma_f64 v[43:44], v[47:48], v[43:44], -v[49:50]
	s_delay_alu instid0(VALU_DEP_1) | instskip(NEXT) | instid1(VALU_DEP_1)
	v_fma_f64 v[39:40], v[47:48], v[39:40], v[43:44]
	v_add_f64_e32 v[43:44], v[49:50], v[39:40]
	s_delay_alu instid0(VALU_DEP_1) | instskip(SKIP_1) | instid1(VALU_DEP_2)
	v_add_f64_e64 v[51:52], v[41:42], -v[43:44]
	v_add_f64_e64 v[49:50], v[43:44], -v[49:50]
	;; [unrolled: 1-line block ×3, first 2 shown]
	s_delay_alu instid0(VALU_DEP_2) | instskip(NEXT) | instid1(VALU_DEP_2)
	v_add_f64_e64 v[39:40], v[49:50], -v[39:40]
	v_add_f64_e64 v[41:42], v[41:42], -v[43:44]
	s_delay_alu instid0(VALU_DEP_1) | instskip(SKIP_1) | instid1(VALU_DEP_2)
	v_add_f64_e32 v[35:36], v[35:36], v[41:42]
	v_add_f64_e32 v[41:42], v[45:46], v[47:48]
	v_add_f64_e32 v[35:36], v[39:40], v[35:36]
	s_delay_alu instid0(VALU_DEP_2) | instskip(NEXT) | instid1(VALU_DEP_2)
	v_add_f64_e64 v[39:40], v[41:42], -v[45:46]
	v_add_f64_e32 v[35:36], v[51:52], v[35:36]
	s_delay_alu instid0(VALU_DEP_2) | instskip(NEXT) | instid1(VALU_DEP_2)
	v_add_f64_e64 v[39:40], v[47:48], -v[39:40]
	v_mul_f64_e32 v[35:36], v[37:38], v[35:36]
	s_delay_alu instid0(VALU_DEP_1) | instskip(NEXT) | instid1(VALU_DEP_1)
	v_add_f64_e32 v[35:36], v[39:40], v[35:36]
	v_add_f64_e32 v[37:38], v[41:42], v[35:36]
	s_delay_alu instid0(VALU_DEP_1) | instskip(NEXT) | instid1(VALU_DEP_1)
	v_mul_f64_e32 v[39:40], v[37:38], v[37:38]
	v_fma_f64 v[43:44], v[39:40], s[26:27], s[24:25]
	s_mov_b32 s24, 0xd7f4df2e
	s_mov_b32 s25, 0x3fc7474d
	v_mul_f64_e32 v[45:46], v[37:38], v[39:40]
	s_wait_alu 0xfffe
	s_delay_alu instid0(VALU_DEP_2) | instskip(SKIP_3) | instid1(VALU_DEP_1)
	v_fma_f64 v[43:44], v[39:40], v[43:44], s[24:25]
	s_mov_b32 s24, 0x16291751
	s_mov_b32 s25, 0x3fcc71c0
	s_wait_alu 0xfffe
	v_fma_f64 v[43:44], v[39:40], v[43:44], s[24:25]
	s_mov_b32 s24, 0x9b27acf1
	s_mov_b32 s25, 0x3fd24924
	s_wait_alu 0xfffe
	s_delay_alu instid0(VALU_DEP_1) | instskip(SKIP_3) | instid1(VALU_DEP_1)
	v_fma_f64 v[43:44], v[39:40], v[43:44], s[24:25]
	s_mov_b32 s24, 0x998ef7b6
	s_mov_b32 s25, 0x3fd99999
	s_wait_alu 0xfffe
	v_fma_f64 v[43:44], v[39:40], v[43:44], s[24:25]
	s_delay_alu instid0(VALU_DEP_1)
	v_fma_f64 v[39:40], v[39:40], v[43:44], s[0:1]
	v_ldexp_f64 v[43:44], v[37:38], 1
	v_add_f64_e64 v[37:38], v[37:38], -v[41:42]
	v_cmp_nge_f64_e64 s0, -1.0, v[9:10]
	v_cmp_neq_f64_e64 s1, 0x7ff00000, v[9:10]
	v_mul_f64_e32 v[39:40], v[45:46], v[39:40]
	v_cvt_f64_i32_e32 v[45:46], v0
	v_add_f64_e64 v[35:36], v[35:36], -v[37:38]
	s_and_b32 s0, s0, s1
	s_delay_alu instid0(VALU_DEP_3) | instskip(NEXT) | instid1(VALU_DEP_3)
	v_add_f64_e32 v[41:42], v[43:44], v[39:40]
	v_mul_f64_e32 v[47:48], s[18:19], v[45:46]
	s_delay_alu instid0(VALU_DEP_3) | instskip(NEXT) | instid1(VALU_DEP_3)
	v_ldexp_f64 v[35:36], v[35:36], 1
	v_add_f64_e64 v[37:38], v[41:42], -v[43:44]
	s_delay_alu instid0(VALU_DEP_3) | instskip(NEXT) | instid1(VALU_DEP_2)
	v_fma_f64 v[43:44], v[45:46], s[18:19], -v[47:48]
	v_add_f64_e64 v[37:38], v[39:40], -v[37:38]
	s_delay_alu instid0(VALU_DEP_2) | instskip(NEXT) | instid1(VALU_DEP_2)
	v_fma_f64 v[39:40], v[45:46], s[20:21], v[43:44]
	v_add_f64_e32 v[35:36], v[35:36], v[37:38]
	s_delay_alu instid0(VALU_DEP_2) | instskip(NEXT) | instid1(VALU_DEP_2)
	v_add_f64_e32 v[37:38], v[47:48], v[39:40]
	v_add_f64_e32 v[43:44], v[41:42], v[35:36]
	s_delay_alu instid0(VALU_DEP_2) | instskip(NEXT) | instid1(VALU_DEP_2)
	v_add_f64_e64 v[47:48], v[37:38], -v[47:48]
	v_add_f64_e32 v[45:46], v[37:38], v[43:44]
	v_add_f64_e64 v[41:42], v[43:44], -v[41:42]
	s_delay_alu instid0(VALU_DEP_3) | instskip(NEXT) | instid1(VALU_DEP_3)
	v_add_f64_e64 v[39:40], v[39:40], -v[47:48]
	v_add_f64_e64 v[49:50], v[45:46], -v[37:38]
	s_delay_alu instid0(VALU_DEP_3) | instskip(NEXT) | instid1(VALU_DEP_2)
	v_add_f64_e64 v[35:36], v[35:36], -v[41:42]
	v_add_f64_e64 v[51:52], v[45:46], -v[49:50]
	;; [unrolled: 1-line block ×3, first 2 shown]
	s_delay_alu instid0(VALU_DEP_3) | instskip(NEXT) | instid1(VALU_DEP_3)
	v_add_f64_e32 v[43:44], v[39:40], v[35:36]
	v_add_f64_e64 v[37:38], v[37:38], -v[51:52]
	s_delay_alu instid0(VALU_DEP_1) | instskip(NEXT) | instid1(VALU_DEP_3)
	v_add_f64_e32 v[37:38], v[41:42], v[37:38]
	v_add_f64_e64 v[41:42], v[43:44], -v[39:40]
	s_delay_alu instid0(VALU_DEP_2) | instskip(NEXT) | instid1(VALU_DEP_2)
	v_add_f64_e32 v[37:38], v[43:44], v[37:38]
	v_add_f64_e64 v[43:44], v[43:44], -v[41:42]
	v_add_f64_e64 v[35:36], v[35:36], -v[41:42]
	s_delay_alu instid0(VALU_DEP_3) | instskip(NEXT) | instid1(VALU_DEP_3)
	v_add_f64_e32 v[47:48], v[45:46], v[37:38]
	v_add_f64_e64 v[39:40], v[39:40], -v[43:44]
	s_delay_alu instid0(VALU_DEP_2) | instskip(NEXT) | instid1(VALU_DEP_2)
	v_add_f64_e64 v[41:42], v[47:48], -v[45:46]
	v_add_f64_e32 v[35:36], v[35:36], v[39:40]
	s_delay_alu instid0(VALU_DEP_2) | instskip(NEXT) | instid1(VALU_DEP_1)
	v_add_f64_e64 v[37:38], v[37:38], -v[41:42]
	v_add_f64_e32 v[35:36], v[35:36], v[37:38]
	s_delay_alu instid0(VALU_DEP_1) | instskip(SKIP_1) | instid1(VALU_DEP_1)
	v_add_f64_e32 v[35:36], v[47:48], v[35:36]
	s_wait_alu 0xfffe
	v_cndmask_b32_e64 v35, 0, v35, s0
	v_cmp_neq_f64_e64 s0, -1.0, v[9:10]
	s_delay_alu instid0(VALU_DEP_3) | instskip(NEXT) | instid1(VALU_DEP_1)
	v_cndmask_b32_e64 v0, 0x7ff00000, v36, s1
	v_cndmask_b32_e64 v0, 0x7ff80000, v0, s17
	s_wait_alu 0xf1ff
	s_delay_alu instid0(VALU_DEP_1) | instskip(NEXT) | instid1(VALU_DEP_1)
	v_cndmask_b32_e64 v36, 0xfff00000, v0, s0
	v_add_f64_e32 v[9:10], v[33:34], v[35:36]
.LBB23_130:
	s_wait_alu 0xfffe
	s_or_b32 exec_lo, exec_lo, s22
	s_delay_alu instid0(VALU_DEP_1) | instskip(SKIP_1) | instid1(VALU_DEP_2)
	v_max_num_f64_e32 v[33:34], v[9:10], v[9:10]
	v_cmp_u_f64_e64 s0, v[9:10], v[9:10]
	v_min_num_f64_e32 v[35:36], v[33:34], v[57:58]
	v_max_num_f64_e32 v[33:34], v[33:34], v[57:58]
	s_wait_alu 0xf1ff
	s_delay_alu instid0(VALU_DEP_2) | instskip(NEXT) | instid1(VALU_DEP_3)
	v_cndmask_b32_e64 v0, v35, v9, s0
	v_cndmask_b32_e64 v35, v36, v10, s0
	s_delay_alu instid0(VALU_DEP_3) | instskip(NEXT) | instid1(VALU_DEP_4)
	v_cndmask_b32_e64 v34, v34, v10, s0
	v_cndmask_b32_e64 v33, v33, v9, s0
	s_delay_alu instid0(VALU_DEP_3) | instskip(SKIP_1) | instid1(VALU_DEP_4)
	v_cndmask_b32_e64 v36, v35, v12, s29
	v_cndmask_b32_e64 v35, v0, v11, s29
	;; [unrolled: 1-line block ×3, first 2 shown]
	s_delay_alu instid0(VALU_DEP_4) | instskip(SKIP_1) | instid1(VALU_DEP_4)
	v_cndmask_b32_e64 v33, v33, v11, s29
	v_dual_mov_b32 v12, v10 :: v_dual_mov_b32 v11, v9
	v_cmp_class_f64_e64 s1, v[35:36], 0x1f8
	s_delay_alu instid0(VALU_DEP_3)
	v_cmp_neq_f64_e64 s0, v[35:36], v[33:34]
	s_or_b32 s0, s0, s1
	s_wait_alu 0xfffe
	s_and_saveexec_b32 s22, s0
	s_cbranch_execz .LBB23_132
; %bb.131:
	v_add_f64_e64 v[11:12], v[35:36], -v[33:34]
	s_mov_b32 s0, 0x652b82fe
	s_mov_b32 s1, 0x3ff71547
	;; [unrolled: 1-line block ×10, first 2 shown]
	s_wait_alu 0xfffe
	s_delay_alu instid0(VALU_DEP_1) | instskip(SKIP_2) | instid1(VALU_DEP_1)
	v_mul_f64_e32 v[35:36], s[0:1], v[11:12]
	s_mov_b32 s0, 0xfca7ab0c
	s_mov_b32 s1, 0x3e928af3
	v_rndne_f64_e32 v[35:36], v[35:36]
	s_delay_alu instid0(VALU_DEP_1) | instskip(SKIP_2) | instid1(VALU_DEP_2)
	v_fma_f64 v[37:38], v[35:36], s[18:19], v[11:12]
	v_cvt_i32_f64_e32 v0, v[35:36]
	s_mov_b32 s19, 0x3fe62e42
	v_fma_f64 v[37:38], v[35:36], s[20:21], v[37:38]
	s_mov_b32 s21, 0x3c7abc9e
	s_wait_alu 0xfffe
	s_delay_alu instid0(VALU_DEP_1)
	v_fma_f64 v[39:40], v[37:38], s[24:25], s[0:1]
	s_mov_b32 s0, 0x623fde64
	s_mov_b32 s1, 0x3ec71dee
	;; [unrolled: 1-line block ×4, first 2 shown]
	s_wait_alu 0xfffe
	s_delay_alu instid0(VALU_DEP_1) | instskip(SKIP_3) | instid1(VALU_DEP_1)
	v_fma_f64 v[39:40], v[37:38], v[39:40], s[0:1]
	s_mov_b32 s0, 0x7c89e6b0
	s_mov_b32 s1, 0x3efa0199
	s_wait_alu 0xfffe
	v_fma_f64 v[39:40], v[37:38], v[39:40], s[0:1]
	s_mov_b32 s0, 0x14761f6e
	s_mov_b32 s1, 0x3f2a01a0
	s_wait_alu 0xfffe
	s_delay_alu instid0(VALU_DEP_1) | instskip(SKIP_3) | instid1(VALU_DEP_1)
	v_fma_f64 v[39:40], v[37:38], v[39:40], s[0:1]
	s_mov_b32 s0, 0x1852b7b0
	s_mov_b32 s1, 0x3f56c16c
	s_wait_alu 0xfffe
	v_fma_f64 v[39:40], v[37:38], v[39:40], s[0:1]
	s_mov_b32 s0, 0x11122322
	s_mov_b32 s1, 0x3f811111
	;; [unrolled: 9-line block ×3, first 2 shown]
	s_wait_alu 0xfffe
	s_delay_alu instid0(VALU_DEP_1) | instskip(SKIP_3) | instid1(VALU_DEP_1)
	v_fma_f64 v[39:40], v[37:38], v[39:40], s[0:1]
	s_mov_b32 s0, 11
	s_mov_b32 s1, 0x3fe00000
	s_wait_alu 0xfffe
	v_fma_f64 v[39:40], v[37:38], v[39:40], s[0:1]
	v_cmp_nlt_f64_e64 s0, 0x40900000, v[11:12]
	v_cmp_ngt_f64_e64 s1, 0xc090cc00, v[11:12]
	s_delay_alu instid0(VALU_DEP_3) | instskip(NEXT) | instid1(VALU_DEP_1)
	v_fma_f64 v[39:40], v[37:38], v[39:40], 1.0
	v_fma_f64 v[35:36], v[37:38], v[39:40], 1.0
	s_delay_alu instid0(VALU_DEP_1) | instskip(SKIP_1) | instid1(VALU_DEP_1)
	v_ldexp_f64 v[35:36], v[35:36], v0
	s_wait_alu 0xf1ff
	v_cndmask_b32_e64 v0, 0x7ff00000, v36, s0
	s_and_b32 s0, s1, s0
	s_wait_alu 0xfffe
	s_delay_alu instid0(VALU_DEP_2) | instskip(SKIP_3) | instid1(VALU_DEP_1)
	v_cndmask_b32_e64 v11, 0, v35, s0
	s_mov_b32 s0, 0x55555555
	v_cndmask_b32_e64 v12, 0, v0, s1
	s_mov_b32 s1, 0x3fe55555
	v_add_f64_e32 v[35:36], 1.0, v[11:12]
	v_cmp_ngt_f64_e64 s17, -1.0, v[11:12]
	s_delay_alu instid0(VALU_DEP_2) | instskip(SKIP_3) | instid1(VALU_DEP_3)
	v_frexp_mant_f64_e32 v[37:38], v[35:36]
	v_frexp_exp_i32_f64_e32 v0, v[35:36]
	v_add_f64_e32 v[39:40], -1.0, v[35:36]
	s_wait_alu 0xfffe
	v_cmp_gt_f64_e64 s0, s[0:1], v[37:38]
	s_delay_alu instid0(VALU_DEP_2) | instskip(SKIP_2) | instid1(VALU_DEP_3)
	v_add_f64_e64 v[37:38], v[39:40], -v[35:36]
	v_add_f64_e64 v[39:40], v[11:12], -v[39:40]
	s_wait_alu 0xf1ff
	v_subrev_co_ci_u32_e64 v0, null, 0, v0, s0
	s_delay_alu instid0(VALU_DEP_3) | instskip(SKIP_1) | instid1(VALU_DEP_2)
	v_add_f64_e32 v[37:38], 1.0, v[37:38]
	s_mov_b32 s0, 0x55555780
	v_sub_nc_u32_e32 v43, 0, v0
	s_delay_alu instid0(VALU_DEP_1) | instskip(NEXT) | instid1(VALU_DEP_3)
	v_ldexp_f64 v[35:36], v[35:36], v43
	v_add_f64_e32 v[37:38], v[39:40], v[37:38]
	s_delay_alu instid0(VALU_DEP_2) | instskip(SKIP_1) | instid1(VALU_DEP_3)
	v_add_f64_e32 v[41:42], 1.0, v[35:36]
	v_add_f64_e32 v[47:48], -1.0, v[35:36]
	v_ldexp_f64 v[37:38], v[37:38], v43
	s_delay_alu instid0(VALU_DEP_3) | instskip(NEXT) | instid1(VALU_DEP_3)
	v_add_f64_e32 v[39:40], -1.0, v[41:42]
	v_add_f64_e32 v[49:50], 1.0, v[47:48]
	s_delay_alu instid0(VALU_DEP_2) | instskip(NEXT) | instid1(VALU_DEP_2)
	v_add_f64_e64 v[39:40], v[35:36], -v[39:40]
	v_add_f64_e64 v[35:36], v[35:36], -v[49:50]
	s_delay_alu instid0(VALU_DEP_2) | instskip(NEXT) | instid1(VALU_DEP_2)
	v_add_f64_e32 v[39:40], v[37:38], v[39:40]
	v_add_f64_e32 v[35:36], v[37:38], v[35:36]
	s_delay_alu instid0(VALU_DEP_2) | instskip(NEXT) | instid1(VALU_DEP_2)
	v_add_f64_e32 v[43:44], v[41:42], v[39:40]
	v_add_f64_e32 v[49:50], v[47:48], v[35:36]
	s_delay_alu instid0(VALU_DEP_2) | instskip(SKIP_1) | instid1(VALU_DEP_2)
	v_rcp_f64_e32 v[45:46], v[43:44]
	v_add_f64_e64 v[41:42], v[43:44], -v[41:42]
	v_add_f64_e64 v[47:48], v[49:50], -v[47:48]
	s_delay_alu instid0(VALU_DEP_2) | instskip(NEXT) | instid1(TRANS32_DEP_1)
	v_add_f64_e64 v[39:40], v[39:40], -v[41:42]
	v_fma_f64 v[51:52], -v[43:44], v[45:46], 1.0
	s_delay_alu instid0(VALU_DEP_3) | instskip(NEXT) | instid1(VALU_DEP_2)
	v_add_f64_e64 v[35:36], v[35:36], -v[47:48]
	v_fma_f64 v[45:46], v[51:52], v[45:46], v[45:46]
	s_delay_alu instid0(VALU_DEP_1) | instskip(NEXT) | instid1(VALU_DEP_1)
	v_fma_f64 v[37:38], -v[43:44], v[45:46], 1.0
	v_fma_f64 v[37:38], v[37:38], v[45:46], v[45:46]
	s_delay_alu instid0(VALU_DEP_1) | instskip(NEXT) | instid1(VALU_DEP_1)
	v_mul_f64_e32 v[45:46], v[49:50], v[37:38]
	v_mul_f64_e32 v[51:52], v[43:44], v[45:46]
	s_delay_alu instid0(VALU_DEP_1) | instskip(NEXT) | instid1(VALU_DEP_1)
	v_fma_f64 v[41:42], v[45:46], v[43:44], -v[51:52]
	v_fma_f64 v[41:42], v[45:46], v[39:40], v[41:42]
	s_delay_alu instid0(VALU_DEP_1) | instskip(NEXT) | instid1(VALU_DEP_1)
	v_add_f64_e32 v[53:54], v[51:52], v[41:42]
	v_add_f64_e64 v[55:56], v[49:50], -v[53:54]
	v_add_f64_e64 v[47:48], v[53:54], -v[51:52]
	s_delay_alu instid0(VALU_DEP_2) | instskip(NEXT) | instid1(VALU_DEP_2)
	v_add_f64_e64 v[49:50], v[49:50], -v[55:56]
	v_add_f64_e64 v[41:42], v[47:48], -v[41:42]
	s_delay_alu instid0(VALU_DEP_2) | instskip(NEXT) | instid1(VALU_DEP_1)
	v_add_f64_e64 v[49:50], v[49:50], -v[53:54]
	v_add_f64_e32 v[35:36], v[35:36], v[49:50]
	s_delay_alu instid0(VALU_DEP_1) | instskip(NEXT) | instid1(VALU_DEP_1)
	v_add_f64_e32 v[35:36], v[41:42], v[35:36]
	v_add_f64_e32 v[41:42], v[55:56], v[35:36]
	s_delay_alu instid0(VALU_DEP_1) | instskip(SKIP_1) | instid1(VALU_DEP_2)
	v_mul_f64_e32 v[47:48], v[37:38], v[41:42]
	v_add_f64_e64 v[53:54], v[55:56], -v[41:42]
	v_mul_f64_e32 v[49:50], v[43:44], v[47:48]
	s_delay_alu instid0(VALU_DEP_2) | instskip(NEXT) | instid1(VALU_DEP_2)
	v_add_f64_e32 v[35:36], v[35:36], v[53:54]
	v_fma_f64 v[43:44], v[47:48], v[43:44], -v[49:50]
	s_delay_alu instid0(VALU_DEP_1) | instskip(NEXT) | instid1(VALU_DEP_1)
	v_fma_f64 v[39:40], v[47:48], v[39:40], v[43:44]
	v_add_f64_e32 v[43:44], v[49:50], v[39:40]
	s_delay_alu instid0(VALU_DEP_1) | instskip(SKIP_1) | instid1(VALU_DEP_2)
	v_add_f64_e64 v[51:52], v[41:42], -v[43:44]
	v_add_f64_e64 v[49:50], v[43:44], -v[49:50]
	;; [unrolled: 1-line block ×3, first 2 shown]
	s_delay_alu instid0(VALU_DEP_2) | instskip(NEXT) | instid1(VALU_DEP_2)
	v_add_f64_e64 v[39:40], v[49:50], -v[39:40]
	v_add_f64_e64 v[41:42], v[41:42], -v[43:44]
	s_delay_alu instid0(VALU_DEP_1) | instskip(SKIP_1) | instid1(VALU_DEP_2)
	v_add_f64_e32 v[35:36], v[35:36], v[41:42]
	v_add_f64_e32 v[41:42], v[45:46], v[47:48]
	;; [unrolled: 1-line block ×3, first 2 shown]
	s_delay_alu instid0(VALU_DEP_2) | instskip(NEXT) | instid1(VALU_DEP_2)
	v_add_f64_e64 v[39:40], v[41:42], -v[45:46]
	v_add_f64_e32 v[35:36], v[51:52], v[35:36]
	s_delay_alu instid0(VALU_DEP_2) | instskip(NEXT) | instid1(VALU_DEP_2)
	v_add_f64_e64 v[39:40], v[47:48], -v[39:40]
	v_mul_f64_e32 v[35:36], v[37:38], v[35:36]
	s_delay_alu instid0(VALU_DEP_1) | instskip(NEXT) | instid1(VALU_DEP_1)
	v_add_f64_e32 v[35:36], v[39:40], v[35:36]
	v_add_f64_e32 v[37:38], v[41:42], v[35:36]
	s_delay_alu instid0(VALU_DEP_1) | instskip(NEXT) | instid1(VALU_DEP_1)
	v_mul_f64_e32 v[39:40], v[37:38], v[37:38]
	v_fma_f64 v[43:44], v[39:40], s[26:27], s[24:25]
	s_mov_b32 s24, 0xd7f4df2e
	s_mov_b32 s25, 0x3fc7474d
	v_mul_f64_e32 v[45:46], v[37:38], v[39:40]
	s_wait_alu 0xfffe
	s_delay_alu instid0(VALU_DEP_2) | instskip(SKIP_3) | instid1(VALU_DEP_1)
	v_fma_f64 v[43:44], v[39:40], v[43:44], s[24:25]
	s_mov_b32 s24, 0x16291751
	s_mov_b32 s25, 0x3fcc71c0
	s_wait_alu 0xfffe
	v_fma_f64 v[43:44], v[39:40], v[43:44], s[24:25]
	s_mov_b32 s24, 0x9b27acf1
	s_mov_b32 s25, 0x3fd24924
	s_wait_alu 0xfffe
	s_delay_alu instid0(VALU_DEP_1) | instskip(SKIP_3) | instid1(VALU_DEP_1)
	v_fma_f64 v[43:44], v[39:40], v[43:44], s[24:25]
	s_mov_b32 s24, 0x998ef7b6
	s_mov_b32 s25, 0x3fd99999
	s_wait_alu 0xfffe
	v_fma_f64 v[43:44], v[39:40], v[43:44], s[24:25]
	s_delay_alu instid0(VALU_DEP_1)
	v_fma_f64 v[39:40], v[39:40], v[43:44], s[0:1]
	v_ldexp_f64 v[43:44], v[37:38], 1
	v_add_f64_e64 v[37:38], v[37:38], -v[41:42]
	v_cmp_nge_f64_e64 s0, -1.0, v[11:12]
	v_cmp_neq_f64_e64 s1, 0x7ff00000, v[11:12]
	v_mul_f64_e32 v[39:40], v[45:46], v[39:40]
	v_cvt_f64_i32_e32 v[45:46], v0
	v_add_f64_e64 v[35:36], v[35:36], -v[37:38]
	s_and_b32 s0, s0, s1
	s_delay_alu instid0(VALU_DEP_3) | instskip(NEXT) | instid1(VALU_DEP_3)
	v_add_f64_e32 v[41:42], v[43:44], v[39:40]
	v_mul_f64_e32 v[47:48], s[18:19], v[45:46]
	s_delay_alu instid0(VALU_DEP_3) | instskip(NEXT) | instid1(VALU_DEP_3)
	v_ldexp_f64 v[35:36], v[35:36], 1
	v_add_f64_e64 v[37:38], v[41:42], -v[43:44]
	s_delay_alu instid0(VALU_DEP_3) | instskip(NEXT) | instid1(VALU_DEP_2)
	v_fma_f64 v[43:44], v[45:46], s[18:19], -v[47:48]
	v_add_f64_e64 v[37:38], v[39:40], -v[37:38]
	s_delay_alu instid0(VALU_DEP_2) | instskip(NEXT) | instid1(VALU_DEP_2)
	v_fma_f64 v[39:40], v[45:46], s[20:21], v[43:44]
	v_add_f64_e32 v[35:36], v[35:36], v[37:38]
	s_delay_alu instid0(VALU_DEP_2) | instskip(NEXT) | instid1(VALU_DEP_2)
	v_add_f64_e32 v[37:38], v[47:48], v[39:40]
	v_add_f64_e32 v[43:44], v[41:42], v[35:36]
	s_delay_alu instid0(VALU_DEP_2) | instskip(NEXT) | instid1(VALU_DEP_2)
	v_add_f64_e64 v[47:48], v[37:38], -v[47:48]
	v_add_f64_e32 v[45:46], v[37:38], v[43:44]
	v_add_f64_e64 v[41:42], v[43:44], -v[41:42]
	s_delay_alu instid0(VALU_DEP_3) | instskip(NEXT) | instid1(VALU_DEP_3)
	v_add_f64_e64 v[39:40], v[39:40], -v[47:48]
	v_add_f64_e64 v[49:50], v[45:46], -v[37:38]
	s_delay_alu instid0(VALU_DEP_3) | instskip(NEXT) | instid1(VALU_DEP_2)
	v_add_f64_e64 v[35:36], v[35:36], -v[41:42]
	v_add_f64_e64 v[51:52], v[45:46], -v[49:50]
	;; [unrolled: 1-line block ×3, first 2 shown]
	s_delay_alu instid0(VALU_DEP_3) | instskip(NEXT) | instid1(VALU_DEP_3)
	v_add_f64_e32 v[43:44], v[39:40], v[35:36]
	v_add_f64_e64 v[37:38], v[37:38], -v[51:52]
	s_delay_alu instid0(VALU_DEP_1) | instskip(NEXT) | instid1(VALU_DEP_3)
	v_add_f64_e32 v[37:38], v[41:42], v[37:38]
	v_add_f64_e64 v[41:42], v[43:44], -v[39:40]
	s_delay_alu instid0(VALU_DEP_2) | instskip(NEXT) | instid1(VALU_DEP_2)
	v_add_f64_e32 v[37:38], v[43:44], v[37:38]
	v_add_f64_e64 v[43:44], v[43:44], -v[41:42]
	v_add_f64_e64 v[35:36], v[35:36], -v[41:42]
	s_delay_alu instid0(VALU_DEP_3) | instskip(NEXT) | instid1(VALU_DEP_3)
	v_add_f64_e32 v[47:48], v[45:46], v[37:38]
	v_add_f64_e64 v[39:40], v[39:40], -v[43:44]
	s_delay_alu instid0(VALU_DEP_2) | instskip(NEXT) | instid1(VALU_DEP_2)
	v_add_f64_e64 v[41:42], v[47:48], -v[45:46]
	v_add_f64_e32 v[35:36], v[35:36], v[39:40]
	s_delay_alu instid0(VALU_DEP_2) | instskip(NEXT) | instid1(VALU_DEP_1)
	v_add_f64_e64 v[37:38], v[37:38], -v[41:42]
	v_add_f64_e32 v[35:36], v[35:36], v[37:38]
	s_delay_alu instid0(VALU_DEP_1) | instskip(SKIP_1) | instid1(VALU_DEP_1)
	v_add_f64_e32 v[35:36], v[47:48], v[35:36]
	s_wait_alu 0xfffe
	v_cndmask_b32_e64 v35, 0, v35, s0
	v_cmp_neq_f64_e64 s0, -1.0, v[11:12]
	s_delay_alu instid0(VALU_DEP_3) | instskip(NEXT) | instid1(VALU_DEP_1)
	v_cndmask_b32_e64 v0, 0x7ff00000, v36, s1
	v_cndmask_b32_e64 v0, 0x7ff80000, v0, s17
	s_wait_alu 0xf1ff
	s_delay_alu instid0(VALU_DEP_1) | instskip(NEXT) | instid1(VALU_DEP_1)
	v_cndmask_b32_e64 v36, 0xfff00000, v0, s0
	v_add_f64_e32 v[11:12], v[33:34], v[35:36]
.LBB23_132:
	s_wait_alu 0xfffe
	s_or_b32 exec_lo, exec_lo, s22
	s_delay_alu instid0(VALU_DEP_1) | instskip(SKIP_1) | instid1(VALU_DEP_2)
	v_max_num_f64_e32 v[33:34], v[11:12], v[11:12]
	v_cmp_u_f64_e64 s0, v[11:12], v[11:12]
	v_min_num_f64_e32 v[35:36], v[33:34], v[59:60]
	v_max_num_f64_e32 v[33:34], v[33:34], v[59:60]
	s_wait_alu 0xf1ff
	s_delay_alu instid0(VALU_DEP_2) | instskip(NEXT) | instid1(VALU_DEP_3)
	v_cndmask_b32_e64 v0, v35, v11, s0
	v_cndmask_b32_e64 v35, v36, v12, s0
	s_delay_alu instid0(VALU_DEP_3) | instskip(NEXT) | instid1(VALU_DEP_4)
	v_cndmask_b32_e64 v34, v34, v12, s0
	v_cndmask_b32_e64 v33, v33, v11, s0
	s_delay_alu instid0(VALU_DEP_3) | instskip(SKIP_1) | instid1(VALU_DEP_4)
	v_cndmask_b32_e64 v36, v35, v6, s30
	v_cndmask_b32_e64 v35, v0, v5, s30
	;; [unrolled: 1-line block ×3, first 2 shown]
	s_delay_alu instid0(VALU_DEP_4) | instskip(SKIP_1) | instid1(VALU_DEP_4)
	v_cndmask_b32_e64 v33, v33, v5, s30
	v_dual_mov_b32 v5, v11 :: v_dual_mov_b32 v6, v12
	v_cmp_class_f64_e64 s1, v[35:36], 0x1f8
	s_delay_alu instid0(VALU_DEP_3)
	v_cmp_neq_f64_e64 s0, v[35:36], v[33:34]
	s_or_b32 s0, s0, s1
	s_wait_alu 0xfffe
	s_and_saveexec_b32 s22, s0
	s_cbranch_execz .LBB23_134
; %bb.133:
	v_add_f64_e64 v[5:6], v[35:36], -v[33:34]
	s_mov_b32 s0, 0x652b82fe
	s_mov_b32 s1, 0x3ff71547
	;; [unrolled: 1-line block ×10, first 2 shown]
	s_wait_alu 0xfffe
	s_delay_alu instid0(VALU_DEP_1) | instskip(SKIP_2) | instid1(VALU_DEP_1)
	v_mul_f64_e32 v[35:36], s[0:1], v[5:6]
	s_mov_b32 s0, 0xfca7ab0c
	s_mov_b32 s1, 0x3e928af3
	v_rndne_f64_e32 v[35:36], v[35:36]
	s_delay_alu instid0(VALU_DEP_1) | instskip(SKIP_2) | instid1(VALU_DEP_2)
	v_fma_f64 v[37:38], v[35:36], s[18:19], v[5:6]
	v_cvt_i32_f64_e32 v0, v[35:36]
	s_mov_b32 s19, 0x3fe62e42
	v_fma_f64 v[37:38], v[35:36], s[20:21], v[37:38]
	s_mov_b32 s21, 0x3c7abc9e
	s_wait_alu 0xfffe
	s_delay_alu instid0(VALU_DEP_1)
	v_fma_f64 v[39:40], v[37:38], s[24:25], s[0:1]
	s_mov_b32 s0, 0x623fde64
	s_mov_b32 s1, 0x3ec71dee
	;; [unrolled: 1-line block ×4, first 2 shown]
	s_wait_alu 0xfffe
	s_delay_alu instid0(VALU_DEP_1) | instskip(SKIP_3) | instid1(VALU_DEP_1)
	v_fma_f64 v[39:40], v[37:38], v[39:40], s[0:1]
	s_mov_b32 s0, 0x7c89e6b0
	s_mov_b32 s1, 0x3efa0199
	s_wait_alu 0xfffe
	v_fma_f64 v[39:40], v[37:38], v[39:40], s[0:1]
	s_mov_b32 s0, 0x14761f6e
	s_mov_b32 s1, 0x3f2a01a0
	s_wait_alu 0xfffe
	s_delay_alu instid0(VALU_DEP_1) | instskip(SKIP_3) | instid1(VALU_DEP_1)
	v_fma_f64 v[39:40], v[37:38], v[39:40], s[0:1]
	s_mov_b32 s0, 0x1852b7b0
	s_mov_b32 s1, 0x3f56c16c
	s_wait_alu 0xfffe
	v_fma_f64 v[39:40], v[37:38], v[39:40], s[0:1]
	s_mov_b32 s0, 0x11122322
	s_mov_b32 s1, 0x3f811111
	;; [unrolled: 9-line block ×3, first 2 shown]
	s_wait_alu 0xfffe
	s_delay_alu instid0(VALU_DEP_1) | instskip(SKIP_3) | instid1(VALU_DEP_1)
	v_fma_f64 v[39:40], v[37:38], v[39:40], s[0:1]
	s_mov_b32 s0, 11
	s_mov_b32 s1, 0x3fe00000
	s_wait_alu 0xfffe
	v_fma_f64 v[39:40], v[37:38], v[39:40], s[0:1]
	v_cmp_nlt_f64_e64 s0, 0x40900000, v[5:6]
	v_cmp_ngt_f64_e64 s1, 0xc090cc00, v[5:6]
	s_delay_alu instid0(VALU_DEP_3) | instskip(NEXT) | instid1(VALU_DEP_1)
	v_fma_f64 v[39:40], v[37:38], v[39:40], 1.0
	v_fma_f64 v[35:36], v[37:38], v[39:40], 1.0
	s_delay_alu instid0(VALU_DEP_1) | instskip(SKIP_1) | instid1(VALU_DEP_1)
	v_ldexp_f64 v[35:36], v[35:36], v0
	s_wait_alu 0xf1ff
	v_cndmask_b32_e64 v0, 0x7ff00000, v36, s0
	s_and_b32 s0, s1, s0
	s_wait_alu 0xfffe
	s_delay_alu instid0(VALU_DEP_2) | instskip(SKIP_3) | instid1(VALU_DEP_1)
	v_cndmask_b32_e64 v5, 0, v35, s0
	s_mov_b32 s0, 0x55555555
	v_cndmask_b32_e64 v6, 0, v0, s1
	s_mov_b32 s1, 0x3fe55555
	v_add_f64_e32 v[35:36], 1.0, v[5:6]
	v_cmp_ngt_f64_e64 s17, -1.0, v[5:6]
	s_delay_alu instid0(VALU_DEP_2) | instskip(SKIP_3) | instid1(VALU_DEP_3)
	v_frexp_mant_f64_e32 v[37:38], v[35:36]
	v_frexp_exp_i32_f64_e32 v0, v[35:36]
	v_add_f64_e32 v[39:40], -1.0, v[35:36]
	s_wait_alu 0xfffe
	v_cmp_gt_f64_e64 s0, s[0:1], v[37:38]
	s_delay_alu instid0(VALU_DEP_2) | instskip(SKIP_2) | instid1(VALU_DEP_3)
	v_add_f64_e64 v[37:38], v[39:40], -v[35:36]
	v_add_f64_e64 v[39:40], v[5:6], -v[39:40]
	s_wait_alu 0xf1ff
	v_subrev_co_ci_u32_e64 v0, null, 0, v0, s0
	s_delay_alu instid0(VALU_DEP_3) | instskip(SKIP_1) | instid1(VALU_DEP_2)
	v_add_f64_e32 v[37:38], 1.0, v[37:38]
	s_mov_b32 s0, 0x55555780
	v_sub_nc_u32_e32 v43, 0, v0
	s_delay_alu instid0(VALU_DEP_1) | instskip(NEXT) | instid1(VALU_DEP_3)
	v_ldexp_f64 v[35:36], v[35:36], v43
	v_add_f64_e32 v[37:38], v[39:40], v[37:38]
	s_delay_alu instid0(VALU_DEP_2) | instskip(SKIP_1) | instid1(VALU_DEP_3)
	v_add_f64_e32 v[41:42], 1.0, v[35:36]
	v_add_f64_e32 v[47:48], -1.0, v[35:36]
	v_ldexp_f64 v[37:38], v[37:38], v43
	s_delay_alu instid0(VALU_DEP_3) | instskip(NEXT) | instid1(VALU_DEP_3)
	v_add_f64_e32 v[39:40], -1.0, v[41:42]
	v_add_f64_e32 v[49:50], 1.0, v[47:48]
	s_delay_alu instid0(VALU_DEP_2) | instskip(NEXT) | instid1(VALU_DEP_2)
	v_add_f64_e64 v[39:40], v[35:36], -v[39:40]
	v_add_f64_e64 v[35:36], v[35:36], -v[49:50]
	s_delay_alu instid0(VALU_DEP_2) | instskip(NEXT) | instid1(VALU_DEP_2)
	v_add_f64_e32 v[39:40], v[37:38], v[39:40]
	v_add_f64_e32 v[35:36], v[37:38], v[35:36]
	s_delay_alu instid0(VALU_DEP_2) | instskip(NEXT) | instid1(VALU_DEP_2)
	v_add_f64_e32 v[43:44], v[41:42], v[39:40]
	v_add_f64_e32 v[49:50], v[47:48], v[35:36]
	s_delay_alu instid0(VALU_DEP_2) | instskip(SKIP_1) | instid1(VALU_DEP_2)
	v_rcp_f64_e32 v[45:46], v[43:44]
	v_add_f64_e64 v[41:42], v[43:44], -v[41:42]
	v_add_f64_e64 v[47:48], v[49:50], -v[47:48]
	s_delay_alu instid0(VALU_DEP_2) | instskip(NEXT) | instid1(TRANS32_DEP_1)
	v_add_f64_e64 v[39:40], v[39:40], -v[41:42]
	v_fma_f64 v[51:52], -v[43:44], v[45:46], 1.0
	s_delay_alu instid0(VALU_DEP_3) | instskip(NEXT) | instid1(VALU_DEP_2)
	v_add_f64_e64 v[35:36], v[35:36], -v[47:48]
	v_fma_f64 v[45:46], v[51:52], v[45:46], v[45:46]
	s_delay_alu instid0(VALU_DEP_1) | instskip(NEXT) | instid1(VALU_DEP_1)
	v_fma_f64 v[37:38], -v[43:44], v[45:46], 1.0
	v_fma_f64 v[37:38], v[37:38], v[45:46], v[45:46]
	s_delay_alu instid0(VALU_DEP_1) | instskip(NEXT) | instid1(VALU_DEP_1)
	v_mul_f64_e32 v[45:46], v[49:50], v[37:38]
	v_mul_f64_e32 v[51:52], v[43:44], v[45:46]
	s_delay_alu instid0(VALU_DEP_1) | instskip(NEXT) | instid1(VALU_DEP_1)
	v_fma_f64 v[41:42], v[45:46], v[43:44], -v[51:52]
	v_fma_f64 v[41:42], v[45:46], v[39:40], v[41:42]
	s_delay_alu instid0(VALU_DEP_1) | instskip(NEXT) | instid1(VALU_DEP_1)
	v_add_f64_e32 v[53:54], v[51:52], v[41:42]
	v_add_f64_e64 v[55:56], v[49:50], -v[53:54]
	v_add_f64_e64 v[47:48], v[53:54], -v[51:52]
	s_delay_alu instid0(VALU_DEP_2) | instskip(NEXT) | instid1(VALU_DEP_2)
	v_add_f64_e64 v[49:50], v[49:50], -v[55:56]
	v_add_f64_e64 v[41:42], v[47:48], -v[41:42]
	s_delay_alu instid0(VALU_DEP_2) | instskip(NEXT) | instid1(VALU_DEP_1)
	v_add_f64_e64 v[49:50], v[49:50], -v[53:54]
	v_add_f64_e32 v[35:36], v[35:36], v[49:50]
	s_delay_alu instid0(VALU_DEP_1) | instskip(NEXT) | instid1(VALU_DEP_1)
	v_add_f64_e32 v[35:36], v[41:42], v[35:36]
	v_add_f64_e32 v[41:42], v[55:56], v[35:36]
	s_delay_alu instid0(VALU_DEP_1) | instskip(SKIP_1) | instid1(VALU_DEP_2)
	v_mul_f64_e32 v[47:48], v[37:38], v[41:42]
	v_add_f64_e64 v[53:54], v[55:56], -v[41:42]
	v_mul_f64_e32 v[49:50], v[43:44], v[47:48]
	s_delay_alu instid0(VALU_DEP_2) | instskip(NEXT) | instid1(VALU_DEP_2)
	v_add_f64_e32 v[35:36], v[35:36], v[53:54]
	v_fma_f64 v[43:44], v[47:48], v[43:44], -v[49:50]
	s_delay_alu instid0(VALU_DEP_1) | instskip(NEXT) | instid1(VALU_DEP_1)
	v_fma_f64 v[39:40], v[47:48], v[39:40], v[43:44]
	v_add_f64_e32 v[43:44], v[49:50], v[39:40]
	s_delay_alu instid0(VALU_DEP_1) | instskip(SKIP_1) | instid1(VALU_DEP_2)
	v_add_f64_e64 v[51:52], v[41:42], -v[43:44]
	v_add_f64_e64 v[49:50], v[43:44], -v[49:50]
	v_add_f64_e64 v[41:42], v[41:42], -v[51:52]
	s_delay_alu instid0(VALU_DEP_2) | instskip(NEXT) | instid1(VALU_DEP_2)
	v_add_f64_e64 v[39:40], v[49:50], -v[39:40]
	v_add_f64_e64 v[41:42], v[41:42], -v[43:44]
	s_delay_alu instid0(VALU_DEP_1) | instskip(SKIP_1) | instid1(VALU_DEP_2)
	v_add_f64_e32 v[35:36], v[35:36], v[41:42]
	v_add_f64_e32 v[41:42], v[45:46], v[47:48]
	;; [unrolled: 1-line block ×3, first 2 shown]
	s_delay_alu instid0(VALU_DEP_2) | instskip(NEXT) | instid1(VALU_DEP_2)
	v_add_f64_e64 v[39:40], v[41:42], -v[45:46]
	v_add_f64_e32 v[35:36], v[51:52], v[35:36]
	s_delay_alu instid0(VALU_DEP_2) | instskip(NEXT) | instid1(VALU_DEP_2)
	v_add_f64_e64 v[39:40], v[47:48], -v[39:40]
	v_mul_f64_e32 v[35:36], v[37:38], v[35:36]
	s_delay_alu instid0(VALU_DEP_1) | instskip(NEXT) | instid1(VALU_DEP_1)
	v_add_f64_e32 v[35:36], v[39:40], v[35:36]
	v_add_f64_e32 v[37:38], v[41:42], v[35:36]
	s_delay_alu instid0(VALU_DEP_1) | instskip(NEXT) | instid1(VALU_DEP_1)
	v_mul_f64_e32 v[39:40], v[37:38], v[37:38]
	v_fma_f64 v[43:44], v[39:40], s[26:27], s[24:25]
	s_mov_b32 s24, 0xd7f4df2e
	s_mov_b32 s25, 0x3fc7474d
	v_mul_f64_e32 v[45:46], v[37:38], v[39:40]
	s_wait_alu 0xfffe
	s_delay_alu instid0(VALU_DEP_2) | instskip(SKIP_3) | instid1(VALU_DEP_1)
	v_fma_f64 v[43:44], v[39:40], v[43:44], s[24:25]
	s_mov_b32 s24, 0x16291751
	s_mov_b32 s25, 0x3fcc71c0
	s_wait_alu 0xfffe
	v_fma_f64 v[43:44], v[39:40], v[43:44], s[24:25]
	s_mov_b32 s24, 0x9b27acf1
	s_mov_b32 s25, 0x3fd24924
	s_wait_alu 0xfffe
	s_delay_alu instid0(VALU_DEP_1) | instskip(SKIP_3) | instid1(VALU_DEP_1)
	v_fma_f64 v[43:44], v[39:40], v[43:44], s[24:25]
	s_mov_b32 s24, 0x998ef7b6
	s_mov_b32 s25, 0x3fd99999
	s_wait_alu 0xfffe
	v_fma_f64 v[43:44], v[39:40], v[43:44], s[24:25]
	s_delay_alu instid0(VALU_DEP_1)
	v_fma_f64 v[39:40], v[39:40], v[43:44], s[0:1]
	v_ldexp_f64 v[43:44], v[37:38], 1
	v_add_f64_e64 v[37:38], v[37:38], -v[41:42]
	v_cmp_nge_f64_e64 s0, -1.0, v[5:6]
	v_cmp_neq_f64_e64 s1, 0x7ff00000, v[5:6]
	v_mul_f64_e32 v[39:40], v[45:46], v[39:40]
	v_cvt_f64_i32_e32 v[45:46], v0
	v_add_f64_e64 v[35:36], v[35:36], -v[37:38]
	s_and_b32 s0, s0, s1
	s_delay_alu instid0(VALU_DEP_3) | instskip(NEXT) | instid1(VALU_DEP_3)
	v_add_f64_e32 v[41:42], v[43:44], v[39:40]
	v_mul_f64_e32 v[47:48], s[18:19], v[45:46]
	s_delay_alu instid0(VALU_DEP_3) | instskip(NEXT) | instid1(VALU_DEP_3)
	v_ldexp_f64 v[35:36], v[35:36], 1
	v_add_f64_e64 v[37:38], v[41:42], -v[43:44]
	s_delay_alu instid0(VALU_DEP_3) | instskip(NEXT) | instid1(VALU_DEP_2)
	v_fma_f64 v[43:44], v[45:46], s[18:19], -v[47:48]
	v_add_f64_e64 v[37:38], v[39:40], -v[37:38]
	s_delay_alu instid0(VALU_DEP_2) | instskip(NEXT) | instid1(VALU_DEP_2)
	v_fma_f64 v[39:40], v[45:46], s[20:21], v[43:44]
	v_add_f64_e32 v[35:36], v[35:36], v[37:38]
	s_delay_alu instid0(VALU_DEP_2) | instskip(NEXT) | instid1(VALU_DEP_2)
	v_add_f64_e32 v[37:38], v[47:48], v[39:40]
	v_add_f64_e32 v[43:44], v[41:42], v[35:36]
	s_delay_alu instid0(VALU_DEP_2) | instskip(NEXT) | instid1(VALU_DEP_2)
	v_add_f64_e64 v[47:48], v[37:38], -v[47:48]
	v_add_f64_e32 v[45:46], v[37:38], v[43:44]
	v_add_f64_e64 v[41:42], v[43:44], -v[41:42]
	s_delay_alu instid0(VALU_DEP_3) | instskip(NEXT) | instid1(VALU_DEP_3)
	v_add_f64_e64 v[39:40], v[39:40], -v[47:48]
	v_add_f64_e64 v[49:50], v[45:46], -v[37:38]
	s_delay_alu instid0(VALU_DEP_3) | instskip(NEXT) | instid1(VALU_DEP_2)
	v_add_f64_e64 v[35:36], v[35:36], -v[41:42]
	v_add_f64_e64 v[51:52], v[45:46], -v[49:50]
	;; [unrolled: 1-line block ×3, first 2 shown]
	s_delay_alu instid0(VALU_DEP_3) | instskip(NEXT) | instid1(VALU_DEP_3)
	v_add_f64_e32 v[43:44], v[39:40], v[35:36]
	v_add_f64_e64 v[37:38], v[37:38], -v[51:52]
	s_delay_alu instid0(VALU_DEP_1) | instskip(NEXT) | instid1(VALU_DEP_3)
	v_add_f64_e32 v[37:38], v[41:42], v[37:38]
	v_add_f64_e64 v[41:42], v[43:44], -v[39:40]
	s_delay_alu instid0(VALU_DEP_2) | instskip(NEXT) | instid1(VALU_DEP_2)
	v_add_f64_e32 v[37:38], v[43:44], v[37:38]
	v_add_f64_e64 v[43:44], v[43:44], -v[41:42]
	v_add_f64_e64 v[35:36], v[35:36], -v[41:42]
	s_delay_alu instid0(VALU_DEP_3) | instskip(NEXT) | instid1(VALU_DEP_3)
	v_add_f64_e32 v[47:48], v[45:46], v[37:38]
	v_add_f64_e64 v[39:40], v[39:40], -v[43:44]
	s_delay_alu instid0(VALU_DEP_2) | instskip(NEXT) | instid1(VALU_DEP_2)
	v_add_f64_e64 v[41:42], v[47:48], -v[45:46]
	v_add_f64_e32 v[35:36], v[35:36], v[39:40]
	s_delay_alu instid0(VALU_DEP_2) | instskip(NEXT) | instid1(VALU_DEP_1)
	v_add_f64_e64 v[37:38], v[37:38], -v[41:42]
	v_add_f64_e32 v[35:36], v[35:36], v[37:38]
	s_delay_alu instid0(VALU_DEP_1) | instskip(SKIP_1) | instid1(VALU_DEP_1)
	v_add_f64_e32 v[35:36], v[47:48], v[35:36]
	s_wait_alu 0xfffe
	v_cndmask_b32_e64 v35, 0, v35, s0
	v_cmp_neq_f64_e64 s0, -1.0, v[5:6]
	s_delay_alu instid0(VALU_DEP_3) | instskip(NEXT) | instid1(VALU_DEP_1)
	v_cndmask_b32_e64 v0, 0x7ff00000, v36, s1
	v_cndmask_b32_e64 v0, 0x7ff80000, v0, s17
	s_wait_alu 0xf1ff
	s_delay_alu instid0(VALU_DEP_1) | instskip(NEXT) | instid1(VALU_DEP_1)
	v_cndmask_b32_e64 v36, 0xfff00000, v0, s0
	v_add_f64_e32 v[5:6], v[33:34], v[35:36]
.LBB23_134:
	s_wait_alu 0xfffe
	s_or_b32 exec_lo, exec_lo, s22
	s_delay_alu instid0(VALU_DEP_1) | instskip(SKIP_1) | instid1(VALU_DEP_2)
	v_max_num_f64_e32 v[33:34], v[5:6], v[5:6]
	v_cmp_u_f64_e64 s0, v[5:6], v[5:6]
	v_min_num_f64_e32 v[35:36], v[33:34], v[61:62]
	v_max_num_f64_e32 v[33:34], v[33:34], v[61:62]
	s_wait_alu 0xf1ff
	s_delay_alu instid0(VALU_DEP_2) | instskip(NEXT) | instid1(VALU_DEP_3)
	v_cndmask_b32_e64 v0, v35, v5, s0
	v_cndmask_b32_e64 v35, v36, v6, s0
	s_delay_alu instid0(VALU_DEP_3) | instskip(NEXT) | instid1(VALU_DEP_4)
	v_cndmask_b32_e64 v34, v34, v6, s0
	v_cndmask_b32_e64 v33, v33, v5, s0
	s_delay_alu instid0(VALU_DEP_3) | instskip(SKIP_1) | instid1(VALU_DEP_4)
	v_cndmask_b32_e64 v36, v35, v8, s31
	v_cndmask_b32_e64 v35, v0, v7, s31
	v_cndmask_b32_e64 v8, v34, v8, s31
	s_delay_alu instid0(VALU_DEP_4) | instskip(SKIP_1) | instid1(VALU_DEP_4)
	v_cndmask_b32_e64 v7, v33, v7, s31
	v_dual_mov_b32 v34, v6 :: v_dual_mov_b32 v33, v5
	v_cmp_class_f64_e64 s1, v[35:36], 0x1f8
	s_delay_alu instid0(VALU_DEP_3)
	v_cmp_neq_f64_e64 s0, v[35:36], v[7:8]
	s_or_b32 s0, s0, s1
	s_wait_alu 0xfffe
	s_and_saveexec_b32 s22, s0
	s_cbranch_execz .LBB23_136
; %bb.135:
	v_add_f64_e64 v[33:34], v[35:36], -v[7:8]
	s_mov_b32 s0, 0x652b82fe
	s_mov_b32 s1, 0x3ff71547
	;; [unrolled: 1-line block ×10, first 2 shown]
	s_wait_alu 0xfffe
	s_delay_alu instid0(VALU_DEP_1) | instskip(SKIP_2) | instid1(VALU_DEP_1)
	v_mul_f64_e32 v[35:36], s[0:1], v[33:34]
	s_mov_b32 s0, 0xfca7ab0c
	s_mov_b32 s1, 0x3e928af3
	v_rndne_f64_e32 v[35:36], v[35:36]
	s_delay_alu instid0(VALU_DEP_1) | instskip(SKIP_2) | instid1(VALU_DEP_2)
	v_fma_f64 v[37:38], v[35:36], s[18:19], v[33:34]
	v_cvt_i32_f64_e32 v0, v[35:36]
	s_mov_b32 s19, 0x3fe62e42
	v_fma_f64 v[37:38], v[35:36], s[20:21], v[37:38]
	s_mov_b32 s21, 0x3c7abc9e
	s_wait_alu 0xfffe
	s_delay_alu instid0(VALU_DEP_1)
	v_fma_f64 v[39:40], v[37:38], s[24:25], s[0:1]
	s_mov_b32 s0, 0x623fde64
	s_mov_b32 s1, 0x3ec71dee
	;; [unrolled: 1-line block ×4, first 2 shown]
	s_wait_alu 0xfffe
	s_delay_alu instid0(VALU_DEP_1) | instskip(SKIP_3) | instid1(VALU_DEP_1)
	v_fma_f64 v[39:40], v[37:38], v[39:40], s[0:1]
	s_mov_b32 s0, 0x7c89e6b0
	s_mov_b32 s1, 0x3efa0199
	s_wait_alu 0xfffe
	v_fma_f64 v[39:40], v[37:38], v[39:40], s[0:1]
	s_mov_b32 s0, 0x14761f6e
	s_mov_b32 s1, 0x3f2a01a0
	s_wait_alu 0xfffe
	s_delay_alu instid0(VALU_DEP_1) | instskip(SKIP_3) | instid1(VALU_DEP_1)
	v_fma_f64 v[39:40], v[37:38], v[39:40], s[0:1]
	s_mov_b32 s0, 0x1852b7b0
	s_mov_b32 s1, 0x3f56c16c
	s_wait_alu 0xfffe
	v_fma_f64 v[39:40], v[37:38], v[39:40], s[0:1]
	s_mov_b32 s0, 0x11122322
	s_mov_b32 s1, 0x3f811111
	;; [unrolled: 9-line block ×3, first 2 shown]
	s_wait_alu 0xfffe
	s_delay_alu instid0(VALU_DEP_1) | instskip(SKIP_3) | instid1(VALU_DEP_1)
	v_fma_f64 v[39:40], v[37:38], v[39:40], s[0:1]
	s_mov_b32 s0, 11
	s_mov_b32 s1, 0x3fe00000
	s_wait_alu 0xfffe
	v_fma_f64 v[39:40], v[37:38], v[39:40], s[0:1]
	v_cmp_nlt_f64_e64 s0, 0x40900000, v[33:34]
	v_cmp_ngt_f64_e64 s1, 0xc090cc00, v[33:34]
	s_delay_alu instid0(VALU_DEP_3) | instskip(NEXT) | instid1(VALU_DEP_1)
	v_fma_f64 v[39:40], v[37:38], v[39:40], 1.0
	v_fma_f64 v[35:36], v[37:38], v[39:40], 1.0
	s_delay_alu instid0(VALU_DEP_1) | instskip(SKIP_1) | instid1(VALU_DEP_1)
	v_ldexp_f64 v[35:36], v[35:36], v0
	s_wait_alu 0xf1ff
	v_cndmask_b32_e64 v0, 0x7ff00000, v36, s0
	s_and_b32 s0, s1, s0
	s_wait_alu 0xfffe
	s_delay_alu instid0(VALU_DEP_2) | instskip(SKIP_3) | instid1(VALU_DEP_1)
	v_cndmask_b32_e64 v33, 0, v35, s0
	s_mov_b32 s0, 0x55555555
	v_cndmask_b32_e64 v34, 0, v0, s1
	s_mov_b32 s1, 0x3fe55555
	v_add_f64_e32 v[35:36], 1.0, v[33:34]
	v_cmp_ngt_f64_e64 s17, -1.0, v[33:34]
	s_delay_alu instid0(VALU_DEP_2) | instskip(SKIP_3) | instid1(VALU_DEP_3)
	v_frexp_mant_f64_e32 v[37:38], v[35:36]
	v_frexp_exp_i32_f64_e32 v0, v[35:36]
	v_add_f64_e32 v[39:40], -1.0, v[35:36]
	s_wait_alu 0xfffe
	v_cmp_gt_f64_e64 s0, s[0:1], v[37:38]
	s_delay_alu instid0(VALU_DEP_2) | instskip(SKIP_2) | instid1(VALU_DEP_3)
	v_add_f64_e64 v[37:38], v[39:40], -v[35:36]
	v_add_f64_e64 v[39:40], v[33:34], -v[39:40]
	s_wait_alu 0xf1ff
	v_subrev_co_ci_u32_e64 v0, null, 0, v0, s0
	s_delay_alu instid0(VALU_DEP_3) | instskip(SKIP_1) | instid1(VALU_DEP_2)
	v_add_f64_e32 v[37:38], 1.0, v[37:38]
	s_mov_b32 s0, 0x55555780
	v_sub_nc_u32_e32 v43, 0, v0
	s_delay_alu instid0(VALU_DEP_1) | instskip(NEXT) | instid1(VALU_DEP_3)
	v_ldexp_f64 v[35:36], v[35:36], v43
	v_add_f64_e32 v[37:38], v[39:40], v[37:38]
	s_delay_alu instid0(VALU_DEP_2) | instskip(SKIP_1) | instid1(VALU_DEP_3)
	v_add_f64_e32 v[41:42], 1.0, v[35:36]
	v_add_f64_e32 v[47:48], -1.0, v[35:36]
	v_ldexp_f64 v[37:38], v[37:38], v43
	s_delay_alu instid0(VALU_DEP_3) | instskip(NEXT) | instid1(VALU_DEP_3)
	v_add_f64_e32 v[39:40], -1.0, v[41:42]
	v_add_f64_e32 v[49:50], 1.0, v[47:48]
	s_delay_alu instid0(VALU_DEP_2) | instskip(NEXT) | instid1(VALU_DEP_2)
	v_add_f64_e64 v[39:40], v[35:36], -v[39:40]
	v_add_f64_e64 v[35:36], v[35:36], -v[49:50]
	s_delay_alu instid0(VALU_DEP_2) | instskip(NEXT) | instid1(VALU_DEP_2)
	v_add_f64_e32 v[39:40], v[37:38], v[39:40]
	v_add_f64_e32 v[35:36], v[37:38], v[35:36]
	s_delay_alu instid0(VALU_DEP_2) | instskip(NEXT) | instid1(VALU_DEP_2)
	v_add_f64_e32 v[43:44], v[41:42], v[39:40]
	v_add_f64_e32 v[49:50], v[47:48], v[35:36]
	s_delay_alu instid0(VALU_DEP_2) | instskip(SKIP_1) | instid1(VALU_DEP_2)
	v_rcp_f64_e32 v[45:46], v[43:44]
	v_add_f64_e64 v[41:42], v[43:44], -v[41:42]
	v_add_f64_e64 v[47:48], v[49:50], -v[47:48]
	s_delay_alu instid0(VALU_DEP_2) | instskip(NEXT) | instid1(TRANS32_DEP_1)
	v_add_f64_e64 v[39:40], v[39:40], -v[41:42]
	v_fma_f64 v[51:52], -v[43:44], v[45:46], 1.0
	s_delay_alu instid0(VALU_DEP_3) | instskip(NEXT) | instid1(VALU_DEP_2)
	v_add_f64_e64 v[35:36], v[35:36], -v[47:48]
	v_fma_f64 v[45:46], v[51:52], v[45:46], v[45:46]
	s_delay_alu instid0(VALU_DEP_1) | instskip(NEXT) | instid1(VALU_DEP_1)
	v_fma_f64 v[37:38], -v[43:44], v[45:46], 1.0
	v_fma_f64 v[37:38], v[37:38], v[45:46], v[45:46]
	s_delay_alu instid0(VALU_DEP_1) | instskip(NEXT) | instid1(VALU_DEP_1)
	v_mul_f64_e32 v[45:46], v[49:50], v[37:38]
	v_mul_f64_e32 v[51:52], v[43:44], v[45:46]
	s_delay_alu instid0(VALU_DEP_1) | instskip(NEXT) | instid1(VALU_DEP_1)
	v_fma_f64 v[41:42], v[45:46], v[43:44], -v[51:52]
	v_fma_f64 v[41:42], v[45:46], v[39:40], v[41:42]
	s_delay_alu instid0(VALU_DEP_1) | instskip(NEXT) | instid1(VALU_DEP_1)
	v_add_f64_e32 v[53:54], v[51:52], v[41:42]
	v_add_f64_e64 v[55:56], v[49:50], -v[53:54]
	v_add_f64_e64 v[47:48], v[53:54], -v[51:52]
	s_delay_alu instid0(VALU_DEP_2) | instskip(NEXT) | instid1(VALU_DEP_2)
	v_add_f64_e64 v[49:50], v[49:50], -v[55:56]
	v_add_f64_e64 v[41:42], v[47:48], -v[41:42]
	s_delay_alu instid0(VALU_DEP_2) | instskip(NEXT) | instid1(VALU_DEP_1)
	v_add_f64_e64 v[49:50], v[49:50], -v[53:54]
	v_add_f64_e32 v[35:36], v[35:36], v[49:50]
	s_delay_alu instid0(VALU_DEP_1) | instskip(NEXT) | instid1(VALU_DEP_1)
	v_add_f64_e32 v[35:36], v[41:42], v[35:36]
	v_add_f64_e32 v[41:42], v[55:56], v[35:36]
	s_delay_alu instid0(VALU_DEP_1) | instskip(SKIP_1) | instid1(VALU_DEP_2)
	v_mul_f64_e32 v[47:48], v[37:38], v[41:42]
	v_add_f64_e64 v[53:54], v[55:56], -v[41:42]
	v_mul_f64_e32 v[49:50], v[43:44], v[47:48]
	s_delay_alu instid0(VALU_DEP_2) | instskip(NEXT) | instid1(VALU_DEP_2)
	v_add_f64_e32 v[35:36], v[35:36], v[53:54]
	v_fma_f64 v[43:44], v[47:48], v[43:44], -v[49:50]
	s_delay_alu instid0(VALU_DEP_1) | instskip(NEXT) | instid1(VALU_DEP_1)
	v_fma_f64 v[39:40], v[47:48], v[39:40], v[43:44]
	v_add_f64_e32 v[43:44], v[49:50], v[39:40]
	s_delay_alu instid0(VALU_DEP_1) | instskip(SKIP_1) | instid1(VALU_DEP_2)
	v_add_f64_e64 v[51:52], v[41:42], -v[43:44]
	v_add_f64_e64 v[49:50], v[43:44], -v[49:50]
	;; [unrolled: 1-line block ×3, first 2 shown]
	s_delay_alu instid0(VALU_DEP_2) | instskip(NEXT) | instid1(VALU_DEP_2)
	v_add_f64_e64 v[39:40], v[49:50], -v[39:40]
	v_add_f64_e64 v[41:42], v[41:42], -v[43:44]
	s_delay_alu instid0(VALU_DEP_1) | instskip(SKIP_1) | instid1(VALU_DEP_2)
	v_add_f64_e32 v[35:36], v[35:36], v[41:42]
	v_add_f64_e32 v[41:42], v[45:46], v[47:48]
	;; [unrolled: 1-line block ×3, first 2 shown]
	s_delay_alu instid0(VALU_DEP_2) | instskip(NEXT) | instid1(VALU_DEP_2)
	v_add_f64_e64 v[39:40], v[41:42], -v[45:46]
	v_add_f64_e32 v[35:36], v[51:52], v[35:36]
	s_delay_alu instid0(VALU_DEP_2) | instskip(NEXT) | instid1(VALU_DEP_2)
	v_add_f64_e64 v[39:40], v[47:48], -v[39:40]
	v_mul_f64_e32 v[35:36], v[37:38], v[35:36]
	s_delay_alu instid0(VALU_DEP_1) | instskip(NEXT) | instid1(VALU_DEP_1)
	v_add_f64_e32 v[35:36], v[39:40], v[35:36]
	v_add_f64_e32 v[37:38], v[41:42], v[35:36]
	s_delay_alu instid0(VALU_DEP_1) | instskip(NEXT) | instid1(VALU_DEP_1)
	v_mul_f64_e32 v[39:40], v[37:38], v[37:38]
	v_fma_f64 v[43:44], v[39:40], s[26:27], s[24:25]
	s_mov_b32 s24, 0xd7f4df2e
	s_mov_b32 s25, 0x3fc7474d
	v_mul_f64_e32 v[45:46], v[37:38], v[39:40]
	s_wait_alu 0xfffe
	s_delay_alu instid0(VALU_DEP_2) | instskip(SKIP_3) | instid1(VALU_DEP_1)
	v_fma_f64 v[43:44], v[39:40], v[43:44], s[24:25]
	s_mov_b32 s24, 0x16291751
	s_mov_b32 s25, 0x3fcc71c0
	s_wait_alu 0xfffe
	v_fma_f64 v[43:44], v[39:40], v[43:44], s[24:25]
	s_mov_b32 s24, 0x9b27acf1
	s_mov_b32 s25, 0x3fd24924
	s_wait_alu 0xfffe
	s_delay_alu instid0(VALU_DEP_1) | instskip(SKIP_3) | instid1(VALU_DEP_1)
	v_fma_f64 v[43:44], v[39:40], v[43:44], s[24:25]
	s_mov_b32 s24, 0x998ef7b6
	s_mov_b32 s25, 0x3fd99999
	s_wait_alu 0xfffe
	v_fma_f64 v[43:44], v[39:40], v[43:44], s[24:25]
	s_delay_alu instid0(VALU_DEP_1)
	v_fma_f64 v[39:40], v[39:40], v[43:44], s[0:1]
	v_ldexp_f64 v[43:44], v[37:38], 1
	v_add_f64_e64 v[37:38], v[37:38], -v[41:42]
	v_cmp_nge_f64_e64 s0, -1.0, v[33:34]
	v_cmp_neq_f64_e64 s1, 0x7ff00000, v[33:34]
	v_mul_f64_e32 v[39:40], v[45:46], v[39:40]
	v_cvt_f64_i32_e32 v[45:46], v0
	v_add_f64_e64 v[35:36], v[35:36], -v[37:38]
	s_and_b32 s0, s0, s1
	s_delay_alu instid0(VALU_DEP_3) | instskip(NEXT) | instid1(VALU_DEP_3)
	v_add_f64_e32 v[41:42], v[43:44], v[39:40]
	v_mul_f64_e32 v[47:48], s[18:19], v[45:46]
	s_delay_alu instid0(VALU_DEP_3) | instskip(NEXT) | instid1(VALU_DEP_3)
	v_ldexp_f64 v[35:36], v[35:36], 1
	v_add_f64_e64 v[37:38], v[41:42], -v[43:44]
	s_delay_alu instid0(VALU_DEP_3) | instskip(NEXT) | instid1(VALU_DEP_2)
	v_fma_f64 v[43:44], v[45:46], s[18:19], -v[47:48]
	v_add_f64_e64 v[37:38], v[39:40], -v[37:38]
	s_delay_alu instid0(VALU_DEP_2) | instskip(NEXT) | instid1(VALU_DEP_2)
	v_fma_f64 v[39:40], v[45:46], s[20:21], v[43:44]
	v_add_f64_e32 v[35:36], v[35:36], v[37:38]
	s_delay_alu instid0(VALU_DEP_2) | instskip(NEXT) | instid1(VALU_DEP_2)
	v_add_f64_e32 v[37:38], v[47:48], v[39:40]
	v_add_f64_e32 v[43:44], v[41:42], v[35:36]
	s_delay_alu instid0(VALU_DEP_2) | instskip(NEXT) | instid1(VALU_DEP_2)
	v_add_f64_e64 v[47:48], v[37:38], -v[47:48]
	v_add_f64_e32 v[45:46], v[37:38], v[43:44]
	v_add_f64_e64 v[41:42], v[43:44], -v[41:42]
	s_delay_alu instid0(VALU_DEP_3) | instskip(NEXT) | instid1(VALU_DEP_3)
	v_add_f64_e64 v[39:40], v[39:40], -v[47:48]
	v_add_f64_e64 v[49:50], v[45:46], -v[37:38]
	s_delay_alu instid0(VALU_DEP_3) | instskip(NEXT) | instid1(VALU_DEP_2)
	v_add_f64_e64 v[35:36], v[35:36], -v[41:42]
	v_add_f64_e64 v[51:52], v[45:46], -v[49:50]
	;; [unrolled: 1-line block ×3, first 2 shown]
	s_delay_alu instid0(VALU_DEP_3) | instskip(NEXT) | instid1(VALU_DEP_3)
	v_add_f64_e32 v[43:44], v[39:40], v[35:36]
	v_add_f64_e64 v[37:38], v[37:38], -v[51:52]
	s_delay_alu instid0(VALU_DEP_1) | instskip(NEXT) | instid1(VALU_DEP_3)
	v_add_f64_e32 v[37:38], v[41:42], v[37:38]
	v_add_f64_e64 v[41:42], v[43:44], -v[39:40]
	s_delay_alu instid0(VALU_DEP_2) | instskip(NEXT) | instid1(VALU_DEP_2)
	v_add_f64_e32 v[37:38], v[43:44], v[37:38]
	v_add_f64_e64 v[43:44], v[43:44], -v[41:42]
	v_add_f64_e64 v[35:36], v[35:36], -v[41:42]
	s_delay_alu instid0(VALU_DEP_3) | instskip(NEXT) | instid1(VALU_DEP_3)
	v_add_f64_e32 v[47:48], v[45:46], v[37:38]
	v_add_f64_e64 v[39:40], v[39:40], -v[43:44]
	s_delay_alu instid0(VALU_DEP_2) | instskip(NEXT) | instid1(VALU_DEP_2)
	v_add_f64_e64 v[41:42], v[47:48], -v[45:46]
	v_add_f64_e32 v[35:36], v[35:36], v[39:40]
	s_delay_alu instid0(VALU_DEP_2) | instskip(NEXT) | instid1(VALU_DEP_1)
	v_add_f64_e64 v[37:38], v[37:38], -v[41:42]
	v_add_f64_e32 v[35:36], v[35:36], v[37:38]
	s_delay_alu instid0(VALU_DEP_1) | instskip(SKIP_1) | instid1(VALU_DEP_1)
	v_add_f64_e32 v[35:36], v[47:48], v[35:36]
	s_wait_alu 0xfffe
	v_cndmask_b32_e64 v35, 0, v35, s0
	v_cmp_neq_f64_e64 s0, -1.0, v[33:34]
	s_delay_alu instid0(VALU_DEP_3) | instskip(NEXT) | instid1(VALU_DEP_1)
	v_cndmask_b32_e64 v0, 0x7ff00000, v36, s1
	v_cndmask_b32_e64 v0, 0x7ff80000, v0, s17
	s_wait_alu 0xf1ff
	s_delay_alu instid0(VALU_DEP_1) | instskip(NEXT) | instid1(VALU_DEP_1)
	v_cndmask_b32_e64 v36, 0xfff00000, v0, s0
	v_add_f64_e32 v[33:34], v[7:8], v[35:36]
.LBB23_136:
	s_wait_alu 0xfffe
	s_or_b32 exec_lo, exec_lo, s22
	s_wait_loadcnt_dscnt 0x0
	s_barrier_signal -1
	s_barrier_wait -1
	global_inv scope:SCOPE_SE
	ds_store_2addr_b64 v94, v[1:2], v[3:4] offset1:1
	ds_store_2addr_b64 v94, v[29:30], v[31:32] offset0:2 offset1:3
	ds_store_2addr_b64 v94, v[25:26], v[27:28] offset0:4 offset1:5
	;; [unrolled: 1-line block ×7, first 2 shown]
	s_wait_loadcnt_dscnt 0x0
	s_barrier_signal -1
	s_barrier_wait -1
	global_inv scope:SCOPE_SE
	ds_load_b64 v[30:31], v79 offset:2048
	ds_load_b64 v[28:29], v80 offset:4096
	;; [unrolled: 1-line block ×15, first 2 shown]
	s_wait_kmcnt 0x0
	v_add_co_u32 v2, s0, s36, v77
	s_wait_alu 0xf1ff
	v_add_co_ci_u32_e64 v3, null, s37, 0, s0
	s_and_saveexec_b32 s0, vcc_lo
	s_cbranch_execnz .LBB23_153
; %bb.137:
	s_wait_alu 0xfffe
	s_or_b32 exec_lo, exec_lo, s0
	s_and_saveexec_b32 s0, s2
	s_cbranch_execnz .LBB23_154
.LBB23_138:
	s_wait_alu 0xfffe
	s_or_b32 exec_lo, exec_lo, s0
	s_and_saveexec_b32 s0, s3
	s_cbranch_execnz .LBB23_155
.LBB23_139:
	s_wait_alu 0xfffe
	s_or_b32 exec_lo, exec_lo, s0
	s_and_saveexec_b32 s0, s4
	s_cbranch_execnz .LBB23_156
.LBB23_140:
	s_wait_alu 0xfffe
	s_or_b32 exec_lo, exec_lo, s0
	s_and_saveexec_b32 s0, s5
	s_cbranch_execnz .LBB23_157
.LBB23_141:
	s_wait_alu 0xfffe
	s_or_b32 exec_lo, exec_lo, s0
	s_and_saveexec_b32 s0, s6
	s_cbranch_execnz .LBB23_158
.LBB23_142:
	s_wait_alu 0xfffe
	s_or_b32 exec_lo, exec_lo, s0
	s_and_saveexec_b32 s0, s7
	s_cbranch_execnz .LBB23_159
.LBB23_143:
	s_wait_alu 0xfffe
	s_or_b32 exec_lo, exec_lo, s0
	s_and_saveexec_b32 s0, s8
	s_cbranch_execnz .LBB23_160
.LBB23_144:
	s_wait_alu 0xfffe
	s_or_b32 exec_lo, exec_lo, s0
	s_and_saveexec_b32 s0, s9
	s_cbranch_execnz .LBB23_161
.LBB23_145:
	s_wait_alu 0xfffe
	s_or_b32 exec_lo, exec_lo, s0
	s_and_saveexec_b32 s0, s10
	s_cbranch_execnz .LBB23_162
.LBB23_146:
	s_wait_alu 0xfffe
	s_or_b32 exec_lo, exec_lo, s0
	s_and_saveexec_b32 s0, s11
	s_cbranch_execnz .LBB23_163
.LBB23_147:
	s_wait_alu 0xfffe
	s_or_b32 exec_lo, exec_lo, s0
	s_and_saveexec_b32 s0, s12
	s_cbranch_execnz .LBB23_164
.LBB23_148:
	s_wait_alu 0xfffe
	s_or_b32 exec_lo, exec_lo, s0
	s_and_saveexec_b32 s0, s13
	s_cbranch_execnz .LBB23_165
.LBB23_149:
	s_wait_alu 0xfffe
	s_or_b32 exec_lo, exec_lo, s0
	s_and_saveexec_b32 s0, s14
	s_cbranch_execnz .LBB23_166
.LBB23_150:
	s_wait_alu 0xfffe
	s_or_b32 exec_lo, exec_lo, s0
	s_and_saveexec_b32 s0, s15
	s_cbranch_execnz .LBB23_167
.LBB23_151:
	s_wait_alu 0xfffe
	s_or_b32 exec_lo, exec_lo, s0
	s_and_saveexec_b32 s0, s16
	s_cbranch_execnz .LBB23_168
.LBB23_152:
	s_nop 0
	s_sendmsg sendmsg(MSG_DEALLOC_VGPRS)
	s_endpgm
.LBB23_153:
	ds_load_b64 v[32:33], v78
	s_wait_dscnt 0x0
	global_store_b64 v[2:3], v[32:33], off
	s_wait_alu 0xfffe
	s_or_b32 exec_lo, exec_lo, s0
	s_and_saveexec_b32 s0, s2
	s_cbranch_execz .LBB23_138
.LBB23_154:
	s_wait_dscnt 0xe
	global_store_b64 v[2:3], v[30:31], off offset:2048
	s_wait_alu 0xfffe
	s_or_b32 exec_lo, exec_lo, s0
	s_and_saveexec_b32 s0, s3
	s_cbranch_execz .LBB23_139
.LBB23_155:
	s_wait_dscnt 0xd
	global_store_b64 v[2:3], v[28:29], off offset:4096
	s_wait_alu 0xfffe
	s_or_b32 exec_lo, exec_lo, s0
	s_and_saveexec_b32 s0, s4
	s_cbranch_execz .LBB23_140
.LBB23_156:
	s_wait_dscnt 0xc
	global_store_b64 v[2:3], v[26:27], off offset:6144
	s_wait_alu 0xfffe
	s_or_b32 exec_lo, exec_lo, s0
	s_and_saveexec_b32 s0, s5
	s_cbranch_execz .LBB23_141
.LBB23_157:
	s_wait_dscnt 0xb
	global_store_b64 v[2:3], v[24:25], off offset:8192
	s_wait_alu 0xfffe
	s_or_b32 exec_lo, exec_lo, s0
	s_and_saveexec_b32 s0, s6
	s_cbranch_execz .LBB23_142
.LBB23_158:
	s_wait_dscnt 0xa
	global_store_b64 v[2:3], v[22:23], off offset:10240
	s_wait_alu 0xfffe
	s_or_b32 exec_lo, exec_lo, s0
	s_and_saveexec_b32 s0, s7
	s_cbranch_execz .LBB23_143
.LBB23_159:
	s_wait_dscnt 0x9
	global_store_b64 v[2:3], v[20:21], off offset:12288
	s_wait_alu 0xfffe
	s_or_b32 exec_lo, exec_lo, s0
	s_and_saveexec_b32 s0, s8
	s_cbranch_execz .LBB23_144
.LBB23_160:
	s_wait_dscnt 0x8
	global_store_b64 v[2:3], v[18:19], off offset:14336
	s_wait_alu 0xfffe
	s_or_b32 exec_lo, exec_lo, s0
	s_and_saveexec_b32 s0, s9
	s_cbranch_execz .LBB23_145
.LBB23_161:
	s_wait_dscnt 0x7
	global_store_b64 v[2:3], v[16:17], off offset:16384
	s_wait_alu 0xfffe
	s_or_b32 exec_lo, exec_lo, s0
	s_and_saveexec_b32 s0, s10
	s_cbranch_execz .LBB23_146
.LBB23_162:
	s_wait_dscnt 0x6
	global_store_b64 v[2:3], v[14:15], off offset:18432
	s_wait_alu 0xfffe
	s_or_b32 exec_lo, exec_lo, s0
	s_and_saveexec_b32 s0, s11
	s_cbranch_execz .LBB23_147
.LBB23_163:
	s_wait_dscnt 0x5
	global_store_b64 v[2:3], v[12:13], off offset:20480
	s_wait_alu 0xfffe
	s_or_b32 exec_lo, exec_lo, s0
	s_and_saveexec_b32 s0, s12
	s_cbranch_execz .LBB23_148
.LBB23_164:
	s_wait_dscnt 0x4
	global_store_b64 v[2:3], v[10:11], off offset:22528
	s_wait_alu 0xfffe
	s_or_b32 exec_lo, exec_lo, s0
	s_and_saveexec_b32 s0, s13
	s_cbranch_execz .LBB23_149
.LBB23_165:
	s_wait_dscnt 0x3
	global_store_b64 v[2:3], v[8:9], off offset:24576
	s_wait_alu 0xfffe
	s_or_b32 exec_lo, exec_lo, s0
	s_and_saveexec_b32 s0, s14
	s_cbranch_execz .LBB23_150
.LBB23_166:
	s_wait_dscnt 0x2
	global_store_b64 v[2:3], v[6:7], off offset:26624
	s_wait_alu 0xfffe
	s_or_b32 exec_lo, exec_lo, s0
	s_and_saveexec_b32 s0, s15
	s_cbranch_execz .LBB23_151
.LBB23_167:
	s_wait_dscnt 0x1
	global_store_b64 v[2:3], v[4:5], off offset:28672
	s_wait_alu 0xfffe
	s_or_b32 exec_lo, exec_lo, s0
	s_and_saveexec_b32 s0, s16
	s_cbranch_execz .LBB23_152
.LBB23_168:
	s_wait_dscnt 0x0
	global_store_b64 v[2:3], v[0:1], off offset:30720
	s_nop 0
	s_sendmsg sendmsg(MSG_DEALLOC_VGPRS)
	s_endpgm
	.section	.rodata,"a",@progbits
	.p2align	6, 0x0
	.amdhsa_kernel _ZN7rocprim17ROCPRIM_400000_NS6detail17trampoline_kernelINS0_14default_configENS1_20scan_config_selectorIdEEZZNS1_9scan_implILNS1_25lookback_scan_determinismE0ELb0ELb0ES3_PKdPddZZZN2at6native31launch_logcumsumexp_cuda_kernelERKNSB_10TensorBaseESF_lENKUlvE_clEvENKUlvE_clEvEUlddE_dEEDaPvRmT3_T4_T5_mT6_P12ihipStream_tbENKUlT_T0_E_clISt17integral_constantIbLb0EESW_EEDaSR_SS_EUlSR_E0_NS1_11comp_targetILNS1_3genE10ELNS1_11target_archE1201ELNS1_3gpuE5ELNS1_3repE0EEENS1_30default_config_static_selectorELNS0_4arch9wavefront6targetE0EEEvT1_
		.amdhsa_group_segment_fixed_size 33792
		.amdhsa_private_segment_fixed_size 0
		.amdhsa_kernarg_size 40
		.amdhsa_user_sgpr_count 2
		.amdhsa_user_sgpr_dispatch_ptr 0
		.amdhsa_user_sgpr_queue_ptr 0
		.amdhsa_user_sgpr_kernarg_segment_ptr 1
		.amdhsa_user_sgpr_dispatch_id 0
		.amdhsa_user_sgpr_private_segment_size 0
		.amdhsa_wavefront_size32 1
		.amdhsa_uses_dynamic_stack 0
		.amdhsa_enable_private_segment 0
		.amdhsa_system_sgpr_workgroup_id_x 1
		.amdhsa_system_sgpr_workgroup_id_y 0
		.amdhsa_system_sgpr_workgroup_id_z 0
		.amdhsa_system_sgpr_workgroup_info 0
		.amdhsa_system_vgpr_workitem_id 0
		.amdhsa_next_free_vgpr 217
		.amdhsa_next_free_sgpr 48
		.amdhsa_reserve_vcc 1
		.amdhsa_float_round_mode_32 0
		.amdhsa_float_round_mode_16_64 0
		.amdhsa_float_denorm_mode_32 3
		.amdhsa_float_denorm_mode_16_64 3
		.amdhsa_fp16_overflow 0
		.amdhsa_workgroup_processor_mode 1
		.amdhsa_memory_ordered 1
		.amdhsa_forward_progress 1
		.amdhsa_inst_pref_size 255
		.amdhsa_round_robin_scheduling 0
		.amdhsa_exception_fp_ieee_invalid_op 0
		.amdhsa_exception_fp_denorm_src 0
		.amdhsa_exception_fp_ieee_div_zero 0
		.amdhsa_exception_fp_ieee_overflow 0
		.amdhsa_exception_fp_ieee_underflow 0
		.amdhsa_exception_fp_ieee_inexact 0
		.amdhsa_exception_int_div_zero 0
	.end_amdhsa_kernel
	.section	.text._ZN7rocprim17ROCPRIM_400000_NS6detail17trampoline_kernelINS0_14default_configENS1_20scan_config_selectorIdEEZZNS1_9scan_implILNS1_25lookback_scan_determinismE0ELb0ELb0ES3_PKdPddZZZN2at6native31launch_logcumsumexp_cuda_kernelERKNSB_10TensorBaseESF_lENKUlvE_clEvENKUlvE_clEvEUlddE_dEEDaPvRmT3_T4_T5_mT6_P12ihipStream_tbENKUlT_T0_E_clISt17integral_constantIbLb0EESW_EEDaSR_SS_EUlSR_E0_NS1_11comp_targetILNS1_3genE10ELNS1_11target_archE1201ELNS1_3gpuE5ELNS1_3repE0EEENS1_30default_config_static_selectorELNS0_4arch9wavefront6targetE0EEEvT1_,"axG",@progbits,_ZN7rocprim17ROCPRIM_400000_NS6detail17trampoline_kernelINS0_14default_configENS1_20scan_config_selectorIdEEZZNS1_9scan_implILNS1_25lookback_scan_determinismE0ELb0ELb0ES3_PKdPddZZZN2at6native31launch_logcumsumexp_cuda_kernelERKNSB_10TensorBaseESF_lENKUlvE_clEvENKUlvE_clEvEUlddE_dEEDaPvRmT3_T4_T5_mT6_P12ihipStream_tbENKUlT_T0_E_clISt17integral_constantIbLb0EESW_EEDaSR_SS_EUlSR_E0_NS1_11comp_targetILNS1_3genE10ELNS1_11target_archE1201ELNS1_3gpuE5ELNS1_3repE0EEENS1_30default_config_static_selectorELNS0_4arch9wavefront6targetE0EEEvT1_,comdat
.Lfunc_end23:
	.size	_ZN7rocprim17ROCPRIM_400000_NS6detail17trampoline_kernelINS0_14default_configENS1_20scan_config_selectorIdEEZZNS1_9scan_implILNS1_25lookback_scan_determinismE0ELb0ELb0ES3_PKdPddZZZN2at6native31launch_logcumsumexp_cuda_kernelERKNSB_10TensorBaseESF_lENKUlvE_clEvENKUlvE_clEvEUlddE_dEEDaPvRmT3_T4_T5_mT6_P12ihipStream_tbENKUlT_T0_E_clISt17integral_constantIbLb0EESW_EEDaSR_SS_EUlSR_E0_NS1_11comp_targetILNS1_3genE10ELNS1_11target_archE1201ELNS1_3gpuE5ELNS1_3repE0EEENS1_30default_config_static_selectorELNS0_4arch9wavefront6targetE0EEEvT1_, .Lfunc_end23-_ZN7rocprim17ROCPRIM_400000_NS6detail17trampoline_kernelINS0_14default_configENS1_20scan_config_selectorIdEEZZNS1_9scan_implILNS1_25lookback_scan_determinismE0ELb0ELb0ES3_PKdPddZZZN2at6native31launch_logcumsumexp_cuda_kernelERKNSB_10TensorBaseESF_lENKUlvE_clEvENKUlvE_clEvEUlddE_dEEDaPvRmT3_T4_T5_mT6_P12ihipStream_tbENKUlT_T0_E_clISt17integral_constantIbLb0EESW_EEDaSR_SS_EUlSR_E0_NS1_11comp_targetILNS1_3genE10ELNS1_11target_archE1201ELNS1_3gpuE5ELNS1_3repE0EEENS1_30default_config_static_selectorELNS0_4arch9wavefront6targetE0EEEvT1_
                                        ; -- End function
	.set _ZN7rocprim17ROCPRIM_400000_NS6detail17trampoline_kernelINS0_14default_configENS1_20scan_config_selectorIdEEZZNS1_9scan_implILNS1_25lookback_scan_determinismE0ELb0ELb0ES3_PKdPddZZZN2at6native31launch_logcumsumexp_cuda_kernelERKNSB_10TensorBaseESF_lENKUlvE_clEvENKUlvE_clEvEUlddE_dEEDaPvRmT3_T4_T5_mT6_P12ihipStream_tbENKUlT_T0_E_clISt17integral_constantIbLb0EESW_EEDaSR_SS_EUlSR_E0_NS1_11comp_targetILNS1_3genE10ELNS1_11target_archE1201ELNS1_3gpuE5ELNS1_3repE0EEENS1_30default_config_static_selectorELNS0_4arch9wavefront6targetE0EEEvT1_.num_vgpr, 119
	.set _ZN7rocprim17ROCPRIM_400000_NS6detail17trampoline_kernelINS0_14default_configENS1_20scan_config_selectorIdEEZZNS1_9scan_implILNS1_25lookback_scan_determinismE0ELb0ELb0ES3_PKdPddZZZN2at6native31launch_logcumsumexp_cuda_kernelERKNSB_10TensorBaseESF_lENKUlvE_clEvENKUlvE_clEvEUlddE_dEEDaPvRmT3_T4_T5_mT6_P12ihipStream_tbENKUlT_T0_E_clISt17integral_constantIbLb0EESW_EEDaSR_SS_EUlSR_E0_NS1_11comp_targetILNS1_3genE10ELNS1_11target_archE1201ELNS1_3gpuE5ELNS1_3repE0EEENS1_30default_config_static_selectorELNS0_4arch9wavefront6targetE0EEEvT1_.num_agpr, 0
	.set _ZN7rocprim17ROCPRIM_400000_NS6detail17trampoline_kernelINS0_14default_configENS1_20scan_config_selectorIdEEZZNS1_9scan_implILNS1_25lookback_scan_determinismE0ELb0ELb0ES3_PKdPddZZZN2at6native31launch_logcumsumexp_cuda_kernelERKNSB_10TensorBaseESF_lENKUlvE_clEvENKUlvE_clEvEUlddE_dEEDaPvRmT3_T4_T5_mT6_P12ihipStream_tbENKUlT_T0_E_clISt17integral_constantIbLb0EESW_EEDaSR_SS_EUlSR_E0_NS1_11comp_targetILNS1_3genE10ELNS1_11target_archE1201ELNS1_3gpuE5ELNS1_3repE0EEENS1_30default_config_static_selectorELNS0_4arch9wavefront6targetE0EEEvT1_.numbered_sgpr, 48
	.set _ZN7rocprim17ROCPRIM_400000_NS6detail17trampoline_kernelINS0_14default_configENS1_20scan_config_selectorIdEEZZNS1_9scan_implILNS1_25lookback_scan_determinismE0ELb0ELb0ES3_PKdPddZZZN2at6native31launch_logcumsumexp_cuda_kernelERKNSB_10TensorBaseESF_lENKUlvE_clEvENKUlvE_clEvEUlddE_dEEDaPvRmT3_T4_T5_mT6_P12ihipStream_tbENKUlT_T0_E_clISt17integral_constantIbLb0EESW_EEDaSR_SS_EUlSR_E0_NS1_11comp_targetILNS1_3genE10ELNS1_11target_archE1201ELNS1_3gpuE5ELNS1_3repE0EEENS1_30default_config_static_selectorELNS0_4arch9wavefront6targetE0EEEvT1_.num_named_barrier, 0
	.set _ZN7rocprim17ROCPRIM_400000_NS6detail17trampoline_kernelINS0_14default_configENS1_20scan_config_selectorIdEEZZNS1_9scan_implILNS1_25lookback_scan_determinismE0ELb0ELb0ES3_PKdPddZZZN2at6native31launch_logcumsumexp_cuda_kernelERKNSB_10TensorBaseESF_lENKUlvE_clEvENKUlvE_clEvEUlddE_dEEDaPvRmT3_T4_T5_mT6_P12ihipStream_tbENKUlT_T0_E_clISt17integral_constantIbLb0EESW_EEDaSR_SS_EUlSR_E0_NS1_11comp_targetILNS1_3genE10ELNS1_11target_archE1201ELNS1_3gpuE5ELNS1_3repE0EEENS1_30default_config_static_selectorELNS0_4arch9wavefront6targetE0EEEvT1_.private_seg_size, 0
	.set _ZN7rocprim17ROCPRIM_400000_NS6detail17trampoline_kernelINS0_14default_configENS1_20scan_config_selectorIdEEZZNS1_9scan_implILNS1_25lookback_scan_determinismE0ELb0ELb0ES3_PKdPddZZZN2at6native31launch_logcumsumexp_cuda_kernelERKNSB_10TensorBaseESF_lENKUlvE_clEvENKUlvE_clEvEUlddE_dEEDaPvRmT3_T4_T5_mT6_P12ihipStream_tbENKUlT_T0_E_clISt17integral_constantIbLb0EESW_EEDaSR_SS_EUlSR_E0_NS1_11comp_targetILNS1_3genE10ELNS1_11target_archE1201ELNS1_3gpuE5ELNS1_3repE0EEENS1_30default_config_static_selectorELNS0_4arch9wavefront6targetE0EEEvT1_.uses_vcc, 1
	.set _ZN7rocprim17ROCPRIM_400000_NS6detail17trampoline_kernelINS0_14default_configENS1_20scan_config_selectorIdEEZZNS1_9scan_implILNS1_25lookback_scan_determinismE0ELb0ELb0ES3_PKdPddZZZN2at6native31launch_logcumsumexp_cuda_kernelERKNSB_10TensorBaseESF_lENKUlvE_clEvENKUlvE_clEvEUlddE_dEEDaPvRmT3_T4_T5_mT6_P12ihipStream_tbENKUlT_T0_E_clISt17integral_constantIbLb0EESW_EEDaSR_SS_EUlSR_E0_NS1_11comp_targetILNS1_3genE10ELNS1_11target_archE1201ELNS1_3gpuE5ELNS1_3repE0EEENS1_30default_config_static_selectorELNS0_4arch9wavefront6targetE0EEEvT1_.uses_flat_scratch, 0
	.set _ZN7rocprim17ROCPRIM_400000_NS6detail17trampoline_kernelINS0_14default_configENS1_20scan_config_selectorIdEEZZNS1_9scan_implILNS1_25lookback_scan_determinismE0ELb0ELb0ES3_PKdPddZZZN2at6native31launch_logcumsumexp_cuda_kernelERKNSB_10TensorBaseESF_lENKUlvE_clEvENKUlvE_clEvEUlddE_dEEDaPvRmT3_T4_T5_mT6_P12ihipStream_tbENKUlT_T0_E_clISt17integral_constantIbLb0EESW_EEDaSR_SS_EUlSR_E0_NS1_11comp_targetILNS1_3genE10ELNS1_11target_archE1201ELNS1_3gpuE5ELNS1_3repE0EEENS1_30default_config_static_selectorELNS0_4arch9wavefront6targetE0EEEvT1_.has_dyn_sized_stack, 0
	.set _ZN7rocprim17ROCPRIM_400000_NS6detail17trampoline_kernelINS0_14default_configENS1_20scan_config_selectorIdEEZZNS1_9scan_implILNS1_25lookback_scan_determinismE0ELb0ELb0ES3_PKdPddZZZN2at6native31launch_logcumsumexp_cuda_kernelERKNSB_10TensorBaseESF_lENKUlvE_clEvENKUlvE_clEvEUlddE_dEEDaPvRmT3_T4_T5_mT6_P12ihipStream_tbENKUlT_T0_E_clISt17integral_constantIbLb0EESW_EEDaSR_SS_EUlSR_E0_NS1_11comp_targetILNS1_3genE10ELNS1_11target_archE1201ELNS1_3gpuE5ELNS1_3repE0EEENS1_30default_config_static_selectorELNS0_4arch9wavefront6targetE0EEEvT1_.has_recursion, 0
	.set _ZN7rocprim17ROCPRIM_400000_NS6detail17trampoline_kernelINS0_14default_configENS1_20scan_config_selectorIdEEZZNS1_9scan_implILNS1_25lookback_scan_determinismE0ELb0ELb0ES3_PKdPddZZZN2at6native31launch_logcumsumexp_cuda_kernelERKNSB_10TensorBaseESF_lENKUlvE_clEvENKUlvE_clEvEUlddE_dEEDaPvRmT3_T4_T5_mT6_P12ihipStream_tbENKUlT_T0_E_clISt17integral_constantIbLb0EESW_EEDaSR_SS_EUlSR_E0_NS1_11comp_targetILNS1_3genE10ELNS1_11target_archE1201ELNS1_3gpuE5ELNS1_3repE0EEENS1_30default_config_static_selectorELNS0_4arch9wavefront6targetE0EEEvT1_.has_indirect_call, 0
	.section	.AMDGPU.csdata,"",@progbits
; Kernel info:
; codeLenInByte = 74652
; TotalNumSgprs: 50
; NumVgprs: 119
; ScratchSize: 0
; MemoryBound: 0
; FloatMode: 240
; IeeeMode: 1
; LDSByteSize: 33792 bytes/workgroup (compile time only)
; SGPRBlocks: 0
; VGPRBlocks: 27
; NumSGPRsForWavesPerEU: 50
; NumVGPRsForWavesPerEU: 217
; Occupancy: 6
; WaveLimiterHint : 0
; COMPUTE_PGM_RSRC2:SCRATCH_EN: 0
; COMPUTE_PGM_RSRC2:USER_SGPR: 2
; COMPUTE_PGM_RSRC2:TRAP_HANDLER: 0
; COMPUTE_PGM_RSRC2:TGID_X_EN: 1
; COMPUTE_PGM_RSRC2:TGID_Y_EN: 0
; COMPUTE_PGM_RSRC2:TGID_Z_EN: 0
; COMPUTE_PGM_RSRC2:TIDIG_COMP_CNT: 0
	.section	.text._ZN7rocprim17ROCPRIM_400000_NS6detail17trampoline_kernelINS0_14default_configENS1_20scan_config_selectorIdEEZZNS1_9scan_implILNS1_25lookback_scan_determinismE0ELb0ELb0ES3_PKdPddZZZN2at6native31launch_logcumsumexp_cuda_kernelERKNSB_10TensorBaseESF_lENKUlvE_clEvENKUlvE_clEvEUlddE_dEEDaPvRmT3_T4_T5_mT6_P12ihipStream_tbENKUlT_T0_E_clISt17integral_constantIbLb0EESW_EEDaSR_SS_EUlSR_E0_NS1_11comp_targetILNS1_3genE10ELNS1_11target_archE1200ELNS1_3gpuE4ELNS1_3repE0EEENS1_30default_config_static_selectorELNS0_4arch9wavefront6targetE0EEEvT1_,"axG",@progbits,_ZN7rocprim17ROCPRIM_400000_NS6detail17trampoline_kernelINS0_14default_configENS1_20scan_config_selectorIdEEZZNS1_9scan_implILNS1_25lookback_scan_determinismE0ELb0ELb0ES3_PKdPddZZZN2at6native31launch_logcumsumexp_cuda_kernelERKNSB_10TensorBaseESF_lENKUlvE_clEvENKUlvE_clEvEUlddE_dEEDaPvRmT3_T4_T5_mT6_P12ihipStream_tbENKUlT_T0_E_clISt17integral_constantIbLb0EESW_EEDaSR_SS_EUlSR_E0_NS1_11comp_targetILNS1_3genE10ELNS1_11target_archE1200ELNS1_3gpuE4ELNS1_3repE0EEENS1_30default_config_static_selectorELNS0_4arch9wavefront6targetE0EEEvT1_,comdat
	.globl	_ZN7rocprim17ROCPRIM_400000_NS6detail17trampoline_kernelINS0_14default_configENS1_20scan_config_selectorIdEEZZNS1_9scan_implILNS1_25lookback_scan_determinismE0ELb0ELb0ES3_PKdPddZZZN2at6native31launch_logcumsumexp_cuda_kernelERKNSB_10TensorBaseESF_lENKUlvE_clEvENKUlvE_clEvEUlddE_dEEDaPvRmT3_T4_T5_mT6_P12ihipStream_tbENKUlT_T0_E_clISt17integral_constantIbLb0EESW_EEDaSR_SS_EUlSR_E0_NS1_11comp_targetILNS1_3genE10ELNS1_11target_archE1200ELNS1_3gpuE4ELNS1_3repE0EEENS1_30default_config_static_selectorELNS0_4arch9wavefront6targetE0EEEvT1_ ; -- Begin function _ZN7rocprim17ROCPRIM_400000_NS6detail17trampoline_kernelINS0_14default_configENS1_20scan_config_selectorIdEEZZNS1_9scan_implILNS1_25lookback_scan_determinismE0ELb0ELb0ES3_PKdPddZZZN2at6native31launch_logcumsumexp_cuda_kernelERKNSB_10TensorBaseESF_lENKUlvE_clEvENKUlvE_clEvEUlddE_dEEDaPvRmT3_T4_T5_mT6_P12ihipStream_tbENKUlT_T0_E_clISt17integral_constantIbLb0EESW_EEDaSR_SS_EUlSR_E0_NS1_11comp_targetILNS1_3genE10ELNS1_11target_archE1200ELNS1_3gpuE4ELNS1_3repE0EEENS1_30default_config_static_selectorELNS0_4arch9wavefront6targetE0EEEvT1_
	.p2align	8
	.type	_ZN7rocprim17ROCPRIM_400000_NS6detail17trampoline_kernelINS0_14default_configENS1_20scan_config_selectorIdEEZZNS1_9scan_implILNS1_25lookback_scan_determinismE0ELb0ELb0ES3_PKdPddZZZN2at6native31launch_logcumsumexp_cuda_kernelERKNSB_10TensorBaseESF_lENKUlvE_clEvENKUlvE_clEvEUlddE_dEEDaPvRmT3_T4_T5_mT6_P12ihipStream_tbENKUlT_T0_E_clISt17integral_constantIbLb0EESW_EEDaSR_SS_EUlSR_E0_NS1_11comp_targetILNS1_3genE10ELNS1_11target_archE1200ELNS1_3gpuE4ELNS1_3repE0EEENS1_30default_config_static_selectorELNS0_4arch9wavefront6targetE0EEEvT1_,@function
_ZN7rocprim17ROCPRIM_400000_NS6detail17trampoline_kernelINS0_14default_configENS1_20scan_config_selectorIdEEZZNS1_9scan_implILNS1_25lookback_scan_determinismE0ELb0ELb0ES3_PKdPddZZZN2at6native31launch_logcumsumexp_cuda_kernelERKNSB_10TensorBaseESF_lENKUlvE_clEvENKUlvE_clEvEUlddE_dEEDaPvRmT3_T4_T5_mT6_P12ihipStream_tbENKUlT_T0_E_clISt17integral_constantIbLb0EESW_EEDaSR_SS_EUlSR_E0_NS1_11comp_targetILNS1_3genE10ELNS1_11target_archE1200ELNS1_3gpuE4ELNS1_3repE0EEENS1_30default_config_static_selectorELNS0_4arch9wavefront6targetE0EEEvT1_: ; @_ZN7rocprim17ROCPRIM_400000_NS6detail17trampoline_kernelINS0_14default_configENS1_20scan_config_selectorIdEEZZNS1_9scan_implILNS1_25lookback_scan_determinismE0ELb0ELb0ES3_PKdPddZZZN2at6native31launch_logcumsumexp_cuda_kernelERKNSB_10TensorBaseESF_lENKUlvE_clEvENKUlvE_clEvEUlddE_dEEDaPvRmT3_T4_T5_mT6_P12ihipStream_tbENKUlT_T0_E_clISt17integral_constantIbLb0EESW_EEDaSR_SS_EUlSR_E0_NS1_11comp_targetILNS1_3genE10ELNS1_11target_archE1200ELNS1_3gpuE4ELNS1_3repE0EEENS1_30default_config_static_selectorELNS0_4arch9wavefront6targetE0EEEvT1_
; %bb.0:
	.section	.rodata,"a",@progbits
	.p2align	6, 0x0
	.amdhsa_kernel _ZN7rocprim17ROCPRIM_400000_NS6detail17trampoline_kernelINS0_14default_configENS1_20scan_config_selectorIdEEZZNS1_9scan_implILNS1_25lookback_scan_determinismE0ELb0ELb0ES3_PKdPddZZZN2at6native31launch_logcumsumexp_cuda_kernelERKNSB_10TensorBaseESF_lENKUlvE_clEvENKUlvE_clEvEUlddE_dEEDaPvRmT3_T4_T5_mT6_P12ihipStream_tbENKUlT_T0_E_clISt17integral_constantIbLb0EESW_EEDaSR_SS_EUlSR_E0_NS1_11comp_targetILNS1_3genE10ELNS1_11target_archE1200ELNS1_3gpuE4ELNS1_3repE0EEENS1_30default_config_static_selectorELNS0_4arch9wavefront6targetE0EEEvT1_
		.amdhsa_group_segment_fixed_size 0
		.amdhsa_private_segment_fixed_size 0
		.amdhsa_kernarg_size 40
		.amdhsa_user_sgpr_count 2
		.amdhsa_user_sgpr_dispatch_ptr 0
		.amdhsa_user_sgpr_queue_ptr 0
		.amdhsa_user_sgpr_kernarg_segment_ptr 1
		.amdhsa_user_sgpr_dispatch_id 0
		.amdhsa_user_sgpr_private_segment_size 0
		.amdhsa_wavefront_size32 1
		.amdhsa_uses_dynamic_stack 0
		.amdhsa_enable_private_segment 0
		.amdhsa_system_sgpr_workgroup_id_x 1
		.amdhsa_system_sgpr_workgroup_id_y 0
		.amdhsa_system_sgpr_workgroup_id_z 0
		.amdhsa_system_sgpr_workgroup_info 0
		.amdhsa_system_vgpr_workitem_id 0
		.amdhsa_next_free_vgpr 1
		.amdhsa_next_free_sgpr 1
		.amdhsa_reserve_vcc 0
		.amdhsa_float_round_mode_32 0
		.amdhsa_float_round_mode_16_64 0
		.amdhsa_float_denorm_mode_32 3
		.amdhsa_float_denorm_mode_16_64 3
		.amdhsa_fp16_overflow 0
		.amdhsa_workgroup_processor_mode 1
		.amdhsa_memory_ordered 1
		.amdhsa_forward_progress 1
		.amdhsa_inst_pref_size 0
		.amdhsa_round_robin_scheduling 0
		.amdhsa_exception_fp_ieee_invalid_op 0
		.amdhsa_exception_fp_denorm_src 0
		.amdhsa_exception_fp_ieee_div_zero 0
		.amdhsa_exception_fp_ieee_overflow 0
		.amdhsa_exception_fp_ieee_underflow 0
		.amdhsa_exception_fp_ieee_inexact 0
		.amdhsa_exception_int_div_zero 0
	.end_amdhsa_kernel
	.section	.text._ZN7rocprim17ROCPRIM_400000_NS6detail17trampoline_kernelINS0_14default_configENS1_20scan_config_selectorIdEEZZNS1_9scan_implILNS1_25lookback_scan_determinismE0ELb0ELb0ES3_PKdPddZZZN2at6native31launch_logcumsumexp_cuda_kernelERKNSB_10TensorBaseESF_lENKUlvE_clEvENKUlvE_clEvEUlddE_dEEDaPvRmT3_T4_T5_mT6_P12ihipStream_tbENKUlT_T0_E_clISt17integral_constantIbLb0EESW_EEDaSR_SS_EUlSR_E0_NS1_11comp_targetILNS1_3genE10ELNS1_11target_archE1200ELNS1_3gpuE4ELNS1_3repE0EEENS1_30default_config_static_selectorELNS0_4arch9wavefront6targetE0EEEvT1_,"axG",@progbits,_ZN7rocprim17ROCPRIM_400000_NS6detail17trampoline_kernelINS0_14default_configENS1_20scan_config_selectorIdEEZZNS1_9scan_implILNS1_25lookback_scan_determinismE0ELb0ELb0ES3_PKdPddZZZN2at6native31launch_logcumsumexp_cuda_kernelERKNSB_10TensorBaseESF_lENKUlvE_clEvENKUlvE_clEvEUlddE_dEEDaPvRmT3_T4_T5_mT6_P12ihipStream_tbENKUlT_T0_E_clISt17integral_constantIbLb0EESW_EEDaSR_SS_EUlSR_E0_NS1_11comp_targetILNS1_3genE10ELNS1_11target_archE1200ELNS1_3gpuE4ELNS1_3repE0EEENS1_30default_config_static_selectorELNS0_4arch9wavefront6targetE0EEEvT1_,comdat
.Lfunc_end24:
	.size	_ZN7rocprim17ROCPRIM_400000_NS6detail17trampoline_kernelINS0_14default_configENS1_20scan_config_selectorIdEEZZNS1_9scan_implILNS1_25lookback_scan_determinismE0ELb0ELb0ES3_PKdPddZZZN2at6native31launch_logcumsumexp_cuda_kernelERKNSB_10TensorBaseESF_lENKUlvE_clEvENKUlvE_clEvEUlddE_dEEDaPvRmT3_T4_T5_mT6_P12ihipStream_tbENKUlT_T0_E_clISt17integral_constantIbLb0EESW_EEDaSR_SS_EUlSR_E0_NS1_11comp_targetILNS1_3genE10ELNS1_11target_archE1200ELNS1_3gpuE4ELNS1_3repE0EEENS1_30default_config_static_selectorELNS0_4arch9wavefront6targetE0EEEvT1_, .Lfunc_end24-_ZN7rocprim17ROCPRIM_400000_NS6detail17trampoline_kernelINS0_14default_configENS1_20scan_config_selectorIdEEZZNS1_9scan_implILNS1_25lookback_scan_determinismE0ELb0ELb0ES3_PKdPddZZZN2at6native31launch_logcumsumexp_cuda_kernelERKNSB_10TensorBaseESF_lENKUlvE_clEvENKUlvE_clEvEUlddE_dEEDaPvRmT3_T4_T5_mT6_P12ihipStream_tbENKUlT_T0_E_clISt17integral_constantIbLb0EESW_EEDaSR_SS_EUlSR_E0_NS1_11comp_targetILNS1_3genE10ELNS1_11target_archE1200ELNS1_3gpuE4ELNS1_3repE0EEENS1_30default_config_static_selectorELNS0_4arch9wavefront6targetE0EEEvT1_
                                        ; -- End function
	.set _ZN7rocprim17ROCPRIM_400000_NS6detail17trampoline_kernelINS0_14default_configENS1_20scan_config_selectorIdEEZZNS1_9scan_implILNS1_25lookback_scan_determinismE0ELb0ELb0ES3_PKdPddZZZN2at6native31launch_logcumsumexp_cuda_kernelERKNSB_10TensorBaseESF_lENKUlvE_clEvENKUlvE_clEvEUlddE_dEEDaPvRmT3_T4_T5_mT6_P12ihipStream_tbENKUlT_T0_E_clISt17integral_constantIbLb0EESW_EEDaSR_SS_EUlSR_E0_NS1_11comp_targetILNS1_3genE10ELNS1_11target_archE1200ELNS1_3gpuE4ELNS1_3repE0EEENS1_30default_config_static_selectorELNS0_4arch9wavefront6targetE0EEEvT1_.num_vgpr, 0
	.set _ZN7rocprim17ROCPRIM_400000_NS6detail17trampoline_kernelINS0_14default_configENS1_20scan_config_selectorIdEEZZNS1_9scan_implILNS1_25lookback_scan_determinismE0ELb0ELb0ES3_PKdPddZZZN2at6native31launch_logcumsumexp_cuda_kernelERKNSB_10TensorBaseESF_lENKUlvE_clEvENKUlvE_clEvEUlddE_dEEDaPvRmT3_T4_T5_mT6_P12ihipStream_tbENKUlT_T0_E_clISt17integral_constantIbLb0EESW_EEDaSR_SS_EUlSR_E0_NS1_11comp_targetILNS1_3genE10ELNS1_11target_archE1200ELNS1_3gpuE4ELNS1_3repE0EEENS1_30default_config_static_selectorELNS0_4arch9wavefront6targetE0EEEvT1_.num_agpr, 0
	.set _ZN7rocprim17ROCPRIM_400000_NS6detail17trampoline_kernelINS0_14default_configENS1_20scan_config_selectorIdEEZZNS1_9scan_implILNS1_25lookback_scan_determinismE0ELb0ELb0ES3_PKdPddZZZN2at6native31launch_logcumsumexp_cuda_kernelERKNSB_10TensorBaseESF_lENKUlvE_clEvENKUlvE_clEvEUlddE_dEEDaPvRmT3_T4_T5_mT6_P12ihipStream_tbENKUlT_T0_E_clISt17integral_constantIbLb0EESW_EEDaSR_SS_EUlSR_E0_NS1_11comp_targetILNS1_3genE10ELNS1_11target_archE1200ELNS1_3gpuE4ELNS1_3repE0EEENS1_30default_config_static_selectorELNS0_4arch9wavefront6targetE0EEEvT1_.numbered_sgpr, 0
	.set _ZN7rocprim17ROCPRIM_400000_NS6detail17trampoline_kernelINS0_14default_configENS1_20scan_config_selectorIdEEZZNS1_9scan_implILNS1_25lookback_scan_determinismE0ELb0ELb0ES3_PKdPddZZZN2at6native31launch_logcumsumexp_cuda_kernelERKNSB_10TensorBaseESF_lENKUlvE_clEvENKUlvE_clEvEUlddE_dEEDaPvRmT3_T4_T5_mT6_P12ihipStream_tbENKUlT_T0_E_clISt17integral_constantIbLb0EESW_EEDaSR_SS_EUlSR_E0_NS1_11comp_targetILNS1_3genE10ELNS1_11target_archE1200ELNS1_3gpuE4ELNS1_3repE0EEENS1_30default_config_static_selectorELNS0_4arch9wavefront6targetE0EEEvT1_.num_named_barrier, 0
	.set _ZN7rocprim17ROCPRIM_400000_NS6detail17trampoline_kernelINS0_14default_configENS1_20scan_config_selectorIdEEZZNS1_9scan_implILNS1_25lookback_scan_determinismE0ELb0ELb0ES3_PKdPddZZZN2at6native31launch_logcumsumexp_cuda_kernelERKNSB_10TensorBaseESF_lENKUlvE_clEvENKUlvE_clEvEUlddE_dEEDaPvRmT3_T4_T5_mT6_P12ihipStream_tbENKUlT_T0_E_clISt17integral_constantIbLb0EESW_EEDaSR_SS_EUlSR_E0_NS1_11comp_targetILNS1_3genE10ELNS1_11target_archE1200ELNS1_3gpuE4ELNS1_3repE0EEENS1_30default_config_static_selectorELNS0_4arch9wavefront6targetE0EEEvT1_.private_seg_size, 0
	.set _ZN7rocprim17ROCPRIM_400000_NS6detail17trampoline_kernelINS0_14default_configENS1_20scan_config_selectorIdEEZZNS1_9scan_implILNS1_25lookback_scan_determinismE0ELb0ELb0ES3_PKdPddZZZN2at6native31launch_logcumsumexp_cuda_kernelERKNSB_10TensorBaseESF_lENKUlvE_clEvENKUlvE_clEvEUlddE_dEEDaPvRmT3_T4_T5_mT6_P12ihipStream_tbENKUlT_T0_E_clISt17integral_constantIbLb0EESW_EEDaSR_SS_EUlSR_E0_NS1_11comp_targetILNS1_3genE10ELNS1_11target_archE1200ELNS1_3gpuE4ELNS1_3repE0EEENS1_30default_config_static_selectorELNS0_4arch9wavefront6targetE0EEEvT1_.uses_vcc, 0
	.set _ZN7rocprim17ROCPRIM_400000_NS6detail17trampoline_kernelINS0_14default_configENS1_20scan_config_selectorIdEEZZNS1_9scan_implILNS1_25lookback_scan_determinismE0ELb0ELb0ES3_PKdPddZZZN2at6native31launch_logcumsumexp_cuda_kernelERKNSB_10TensorBaseESF_lENKUlvE_clEvENKUlvE_clEvEUlddE_dEEDaPvRmT3_T4_T5_mT6_P12ihipStream_tbENKUlT_T0_E_clISt17integral_constantIbLb0EESW_EEDaSR_SS_EUlSR_E0_NS1_11comp_targetILNS1_3genE10ELNS1_11target_archE1200ELNS1_3gpuE4ELNS1_3repE0EEENS1_30default_config_static_selectorELNS0_4arch9wavefront6targetE0EEEvT1_.uses_flat_scratch, 0
	.set _ZN7rocprim17ROCPRIM_400000_NS6detail17trampoline_kernelINS0_14default_configENS1_20scan_config_selectorIdEEZZNS1_9scan_implILNS1_25lookback_scan_determinismE0ELb0ELb0ES3_PKdPddZZZN2at6native31launch_logcumsumexp_cuda_kernelERKNSB_10TensorBaseESF_lENKUlvE_clEvENKUlvE_clEvEUlddE_dEEDaPvRmT3_T4_T5_mT6_P12ihipStream_tbENKUlT_T0_E_clISt17integral_constantIbLb0EESW_EEDaSR_SS_EUlSR_E0_NS1_11comp_targetILNS1_3genE10ELNS1_11target_archE1200ELNS1_3gpuE4ELNS1_3repE0EEENS1_30default_config_static_selectorELNS0_4arch9wavefront6targetE0EEEvT1_.has_dyn_sized_stack, 0
	.set _ZN7rocprim17ROCPRIM_400000_NS6detail17trampoline_kernelINS0_14default_configENS1_20scan_config_selectorIdEEZZNS1_9scan_implILNS1_25lookback_scan_determinismE0ELb0ELb0ES3_PKdPddZZZN2at6native31launch_logcumsumexp_cuda_kernelERKNSB_10TensorBaseESF_lENKUlvE_clEvENKUlvE_clEvEUlddE_dEEDaPvRmT3_T4_T5_mT6_P12ihipStream_tbENKUlT_T0_E_clISt17integral_constantIbLb0EESW_EEDaSR_SS_EUlSR_E0_NS1_11comp_targetILNS1_3genE10ELNS1_11target_archE1200ELNS1_3gpuE4ELNS1_3repE0EEENS1_30default_config_static_selectorELNS0_4arch9wavefront6targetE0EEEvT1_.has_recursion, 0
	.set _ZN7rocprim17ROCPRIM_400000_NS6detail17trampoline_kernelINS0_14default_configENS1_20scan_config_selectorIdEEZZNS1_9scan_implILNS1_25lookback_scan_determinismE0ELb0ELb0ES3_PKdPddZZZN2at6native31launch_logcumsumexp_cuda_kernelERKNSB_10TensorBaseESF_lENKUlvE_clEvENKUlvE_clEvEUlddE_dEEDaPvRmT3_T4_T5_mT6_P12ihipStream_tbENKUlT_T0_E_clISt17integral_constantIbLb0EESW_EEDaSR_SS_EUlSR_E0_NS1_11comp_targetILNS1_3genE10ELNS1_11target_archE1200ELNS1_3gpuE4ELNS1_3repE0EEENS1_30default_config_static_selectorELNS0_4arch9wavefront6targetE0EEEvT1_.has_indirect_call, 0
	.section	.AMDGPU.csdata,"",@progbits
; Kernel info:
; codeLenInByte = 0
; TotalNumSgprs: 0
; NumVgprs: 0
; ScratchSize: 0
; MemoryBound: 0
; FloatMode: 240
; IeeeMode: 1
; LDSByteSize: 0 bytes/workgroup (compile time only)
; SGPRBlocks: 0
; VGPRBlocks: 0
; NumSGPRsForWavesPerEU: 1
; NumVGPRsForWavesPerEU: 1
; Occupancy: 16
; WaveLimiterHint : 0
; COMPUTE_PGM_RSRC2:SCRATCH_EN: 0
; COMPUTE_PGM_RSRC2:USER_SGPR: 2
; COMPUTE_PGM_RSRC2:TRAP_HANDLER: 0
; COMPUTE_PGM_RSRC2:TGID_X_EN: 1
; COMPUTE_PGM_RSRC2:TGID_Y_EN: 0
; COMPUTE_PGM_RSRC2:TGID_Z_EN: 0
; COMPUTE_PGM_RSRC2:TIDIG_COMP_CNT: 0
	.section	.text._ZN7rocprim17ROCPRIM_400000_NS6detail17trampoline_kernelINS0_14default_configENS1_20scan_config_selectorIdEEZZNS1_9scan_implILNS1_25lookback_scan_determinismE0ELb0ELb0ES3_PKdPddZZZN2at6native31launch_logcumsumexp_cuda_kernelERKNSB_10TensorBaseESF_lENKUlvE_clEvENKUlvE_clEvEUlddE_dEEDaPvRmT3_T4_T5_mT6_P12ihipStream_tbENKUlT_T0_E_clISt17integral_constantIbLb0EESW_EEDaSR_SS_EUlSR_E0_NS1_11comp_targetILNS1_3genE9ELNS1_11target_archE1100ELNS1_3gpuE3ELNS1_3repE0EEENS1_30default_config_static_selectorELNS0_4arch9wavefront6targetE0EEEvT1_,"axG",@progbits,_ZN7rocprim17ROCPRIM_400000_NS6detail17trampoline_kernelINS0_14default_configENS1_20scan_config_selectorIdEEZZNS1_9scan_implILNS1_25lookback_scan_determinismE0ELb0ELb0ES3_PKdPddZZZN2at6native31launch_logcumsumexp_cuda_kernelERKNSB_10TensorBaseESF_lENKUlvE_clEvENKUlvE_clEvEUlddE_dEEDaPvRmT3_T4_T5_mT6_P12ihipStream_tbENKUlT_T0_E_clISt17integral_constantIbLb0EESW_EEDaSR_SS_EUlSR_E0_NS1_11comp_targetILNS1_3genE9ELNS1_11target_archE1100ELNS1_3gpuE3ELNS1_3repE0EEENS1_30default_config_static_selectorELNS0_4arch9wavefront6targetE0EEEvT1_,comdat
	.globl	_ZN7rocprim17ROCPRIM_400000_NS6detail17trampoline_kernelINS0_14default_configENS1_20scan_config_selectorIdEEZZNS1_9scan_implILNS1_25lookback_scan_determinismE0ELb0ELb0ES3_PKdPddZZZN2at6native31launch_logcumsumexp_cuda_kernelERKNSB_10TensorBaseESF_lENKUlvE_clEvENKUlvE_clEvEUlddE_dEEDaPvRmT3_T4_T5_mT6_P12ihipStream_tbENKUlT_T0_E_clISt17integral_constantIbLb0EESW_EEDaSR_SS_EUlSR_E0_NS1_11comp_targetILNS1_3genE9ELNS1_11target_archE1100ELNS1_3gpuE3ELNS1_3repE0EEENS1_30default_config_static_selectorELNS0_4arch9wavefront6targetE0EEEvT1_ ; -- Begin function _ZN7rocprim17ROCPRIM_400000_NS6detail17trampoline_kernelINS0_14default_configENS1_20scan_config_selectorIdEEZZNS1_9scan_implILNS1_25lookback_scan_determinismE0ELb0ELb0ES3_PKdPddZZZN2at6native31launch_logcumsumexp_cuda_kernelERKNSB_10TensorBaseESF_lENKUlvE_clEvENKUlvE_clEvEUlddE_dEEDaPvRmT3_T4_T5_mT6_P12ihipStream_tbENKUlT_T0_E_clISt17integral_constantIbLb0EESW_EEDaSR_SS_EUlSR_E0_NS1_11comp_targetILNS1_3genE9ELNS1_11target_archE1100ELNS1_3gpuE3ELNS1_3repE0EEENS1_30default_config_static_selectorELNS0_4arch9wavefront6targetE0EEEvT1_
	.p2align	8
	.type	_ZN7rocprim17ROCPRIM_400000_NS6detail17trampoline_kernelINS0_14default_configENS1_20scan_config_selectorIdEEZZNS1_9scan_implILNS1_25lookback_scan_determinismE0ELb0ELb0ES3_PKdPddZZZN2at6native31launch_logcumsumexp_cuda_kernelERKNSB_10TensorBaseESF_lENKUlvE_clEvENKUlvE_clEvEUlddE_dEEDaPvRmT3_T4_T5_mT6_P12ihipStream_tbENKUlT_T0_E_clISt17integral_constantIbLb0EESW_EEDaSR_SS_EUlSR_E0_NS1_11comp_targetILNS1_3genE9ELNS1_11target_archE1100ELNS1_3gpuE3ELNS1_3repE0EEENS1_30default_config_static_selectorELNS0_4arch9wavefront6targetE0EEEvT1_,@function
_ZN7rocprim17ROCPRIM_400000_NS6detail17trampoline_kernelINS0_14default_configENS1_20scan_config_selectorIdEEZZNS1_9scan_implILNS1_25lookback_scan_determinismE0ELb0ELb0ES3_PKdPddZZZN2at6native31launch_logcumsumexp_cuda_kernelERKNSB_10TensorBaseESF_lENKUlvE_clEvENKUlvE_clEvEUlddE_dEEDaPvRmT3_T4_T5_mT6_P12ihipStream_tbENKUlT_T0_E_clISt17integral_constantIbLb0EESW_EEDaSR_SS_EUlSR_E0_NS1_11comp_targetILNS1_3genE9ELNS1_11target_archE1100ELNS1_3gpuE3ELNS1_3repE0EEENS1_30default_config_static_selectorELNS0_4arch9wavefront6targetE0EEEvT1_: ; @_ZN7rocprim17ROCPRIM_400000_NS6detail17trampoline_kernelINS0_14default_configENS1_20scan_config_selectorIdEEZZNS1_9scan_implILNS1_25lookback_scan_determinismE0ELb0ELb0ES3_PKdPddZZZN2at6native31launch_logcumsumexp_cuda_kernelERKNSB_10TensorBaseESF_lENKUlvE_clEvENKUlvE_clEvEUlddE_dEEDaPvRmT3_T4_T5_mT6_P12ihipStream_tbENKUlT_T0_E_clISt17integral_constantIbLb0EESW_EEDaSR_SS_EUlSR_E0_NS1_11comp_targetILNS1_3genE9ELNS1_11target_archE1100ELNS1_3gpuE3ELNS1_3repE0EEENS1_30default_config_static_selectorELNS0_4arch9wavefront6targetE0EEEvT1_
; %bb.0:
	.section	.rodata,"a",@progbits
	.p2align	6, 0x0
	.amdhsa_kernel _ZN7rocprim17ROCPRIM_400000_NS6detail17trampoline_kernelINS0_14default_configENS1_20scan_config_selectorIdEEZZNS1_9scan_implILNS1_25lookback_scan_determinismE0ELb0ELb0ES3_PKdPddZZZN2at6native31launch_logcumsumexp_cuda_kernelERKNSB_10TensorBaseESF_lENKUlvE_clEvENKUlvE_clEvEUlddE_dEEDaPvRmT3_T4_T5_mT6_P12ihipStream_tbENKUlT_T0_E_clISt17integral_constantIbLb0EESW_EEDaSR_SS_EUlSR_E0_NS1_11comp_targetILNS1_3genE9ELNS1_11target_archE1100ELNS1_3gpuE3ELNS1_3repE0EEENS1_30default_config_static_selectorELNS0_4arch9wavefront6targetE0EEEvT1_
		.amdhsa_group_segment_fixed_size 0
		.amdhsa_private_segment_fixed_size 0
		.amdhsa_kernarg_size 40
		.amdhsa_user_sgpr_count 2
		.amdhsa_user_sgpr_dispatch_ptr 0
		.amdhsa_user_sgpr_queue_ptr 0
		.amdhsa_user_sgpr_kernarg_segment_ptr 1
		.amdhsa_user_sgpr_dispatch_id 0
		.amdhsa_user_sgpr_private_segment_size 0
		.amdhsa_wavefront_size32 1
		.amdhsa_uses_dynamic_stack 0
		.amdhsa_enable_private_segment 0
		.amdhsa_system_sgpr_workgroup_id_x 1
		.amdhsa_system_sgpr_workgroup_id_y 0
		.amdhsa_system_sgpr_workgroup_id_z 0
		.amdhsa_system_sgpr_workgroup_info 0
		.amdhsa_system_vgpr_workitem_id 0
		.amdhsa_next_free_vgpr 1
		.amdhsa_next_free_sgpr 1
		.amdhsa_reserve_vcc 0
		.amdhsa_float_round_mode_32 0
		.amdhsa_float_round_mode_16_64 0
		.amdhsa_float_denorm_mode_32 3
		.amdhsa_float_denorm_mode_16_64 3
		.amdhsa_fp16_overflow 0
		.amdhsa_workgroup_processor_mode 1
		.amdhsa_memory_ordered 1
		.amdhsa_forward_progress 1
		.amdhsa_inst_pref_size 0
		.amdhsa_round_robin_scheduling 0
		.amdhsa_exception_fp_ieee_invalid_op 0
		.amdhsa_exception_fp_denorm_src 0
		.amdhsa_exception_fp_ieee_div_zero 0
		.amdhsa_exception_fp_ieee_overflow 0
		.amdhsa_exception_fp_ieee_underflow 0
		.amdhsa_exception_fp_ieee_inexact 0
		.amdhsa_exception_int_div_zero 0
	.end_amdhsa_kernel
	.section	.text._ZN7rocprim17ROCPRIM_400000_NS6detail17trampoline_kernelINS0_14default_configENS1_20scan_config_selectorIdEEZZNS1_9scan_implILNS1_25lookback_scan_determinismE0ELb0ELb0ES3_PKdPddZZZN2at6native31launch_logcumsumexp_cuda_kernelERKNSB_10TensorBaseESF_lENKUlvE_clEvENKUlvE_clEvEUlddE_dEEDaPvRmT3_T4_T5_mT6_P12ihipStream_tbENKUlT_T0_E_clISt17integral_constantIbLb0EESW_EEDaSR_SS_EUlSR_E0_NS1_11comp_targetILNS1_3genE9ELNS1_11target_archE1100ELNS1_3gpuE3ELNS1_3repE0EEENS1_30default_config_static_selectorELNS0_4arch9wavefront6targetE0EEEvT1_,"axG",@progbits,_ZN7rocprim17ROCPRIM_400000_NS6detail17trampoline_kernelINS0_14default_configENS1_20scan_config_selectorIdEEZZNS1_9scan_implILNS1_25lookback_scan_determinismE0ELb0ELb0ES3_PKdPddZZZN2at6native31launch_logcumsumexp_cuda_kernelERKNSB_10TensorBaseESF_lENKUlvE_clEvENKUlvE_clEvEUlddE_dEEDaPvRmT3_T4_T5_mT6_P12ihipStream_tbENKUlT_T0_E_clISt17integral_constantIbLb0EESW_EEDaSR_SS_EUlSR_E0_NS1_11comp_targetILNS1_3genE9ELNS1_11target_archE1100ELNS1_3gpuE3ELNS1_3repE0EEENS1_30default_config_static_selectorELNS0_4arch9wavefront6targetE0EEEvT1_,comdat
.Lfunc_end25:
	.size	_ZN7rocprim17ROCPRIM_400000_NS6detail17trampoline_kernelINS0_14default_configENS1_20scan_config_selectorIdEEZZNS1_9scan_implILNS1_25lookback_scan_determinismE0ELb0ELb0ES3_PKdPddZZZN2at6native31launch_logcumsumexp_cuda_kernelERKNSB_10TensorBaseESF_lENKUlvE_clEvENKUlvE_clEvEUlddE_dEEDaPvRmT3_T4_T5_mT6_P12ihipStream_tbENKUlT_T0_E_clISt17integral_constantIbLb0EESW_EEDaSR_SS_EUlSR_E0_NS1_11comp_targetILNS1_3genE9ELNS1_11target_archE1100ELNS1_3gpuE3ELNS1_3repE0EEENS1_30default_config_static_selectorELNS0_4arch9wavefront6targetE0EEEvT1_, .Lfunc_end25-_ZN7rocprim17ROCPRIM_400000_NS6detail17trampoline_kernelINS0_14default_configENS1_20scan_config_selectorIdEEZZNS1_9scan_implILNS1_25lookback_scan_determinismE0ELb0ELb0ES3_PKdPddZZZN2at6native31launch_logcumsumexp_cuda_kernelERKNSB_10TensorBaseESF_lENKUlvE_clEvENKUlvE_clEvEUlddE_dEEDaPvRmT3_T4_T5_mT6_P12ihipStream_tbENKUlT_T0_E_clISt17integral_constantIbLb0EESW_EEDaSR_SS_EUlSR_E0_NS1_11comp_targetILNS1_3genE9ELNS1_11target_archE1100ELNS1_3gpuE3ELNS1_3repE0EEENS1_30default_config_static_selectorELNS0_4arch9wavefront6targetE0EEEvT1_
                                        ; -- End function
	.set _ZN7rocprim17ROCPRIM_400000_NS6detail17trampoline_kernelINS0_14default_configENS1_20scan_config_selectorIdEEZZNS1_9scan_implILNS1_25lookback_scan_determinismE0ELb0ELb0ES3_PKdPddZZZN2at6native31launch_logcumsumexp_cuda_kernelERKNSB_10TensorBaseESF_lENKUlvE_clEvENKUlvE_clEvEUlddE_dEEDaPvRmT3_T4_T5_mT6_P12ihipStream_tbENKUlT_T0_E_clISt17integral_constantIbLb0EESW_EEDaSR_SS_EUlSR_E0_NS1_11comp_targetILNS1_3genE9ELNS1_11target_archE1100ELNS1_3gpuE3ELNS1_3repE0EEENS1_30default_config_static_selectorELNS0_4arch9wavefront6targetE0EEEvT1_.num_vgpr, 0
	.set _ZN7rocprim17ROCPRIM_400000_NS6detail17trampoline_kernelINS0_14default_configENS1_20scan_config_selectorIdEEZZNS1_9scan_implILNS1_25lookback_scan_determinismE0ELb0ELb0ES3_PKdPddZZZN2at6native31launch_logcumsumexp_cuda_kernelERKNSB_10TensorBaseESF_lENKUlvE_clEvENKUlvE_clEvEUlddE_dEEDaPvRmT3_T4_T5_mT6_P12ihipStream_tbENKUlT_T0_E_clISt17integral_constantIbLb0EESW_EEDaSR_SS_EUlSR_E0_NS1_11comp_targetILNS1_3genE9ELNS1_11target_archE1100ELNS1_3gpuE3ELNS1_3repE0EEENS1_30default_config_static_selectorELNS0_4arch9wavefront6targetE0EEEvT1_.num_agpr, 0
	.set _ZN7rocprim17ROCPRIM_400000_NS6detail17trampoline_kernelINS0_14default_configENS1_20scan_config_selectorIdEEZZNS1_9scan_implILNS1_25lookback_scan_determinismE0ELb0ELb0ES3_PKdPddZZZN2at6native31launch_logcumsumexp_cuda_kernelERKNSB_10TensorBaseESF_lENKUlvE_clEvENKUlvE_clEvEUlddE_dEEDaPvRmT3_T4_T5_mT6_P12ihipStream_tbENKUlT_T0_E_clISt17integral_constantIbLb0EESW_EEDaSR_SS_EUlSR_E0_NS1_11comp_targetILNS1_3genE9ELNS1_11target_archE1100ELNS1_3gpuE3ELNS1_3repE0EEENS1_30default_config_static_selectorELNS0_4arch9wavefront6targetE0EEEvT1_.numbered_sgpr, 0
	.set _ZN7rocprim17ROCPRIM_400000_NS6detail17trampoline_kernelINS0_14default_configENS1_20scan_config_selectorIdEEZZNS1_9scan_implILNS1_25lookback_scan_determinismE0ELb0ELb0ES3_PKdPddZZZN2at6native31launch_logcumsumexp_cuda_kernelERKNSB_10TensorBaseESF_lENKUlvE_clEvENKUlvE_clEvEUlddE_dEEDaPvRmT3_T4_T5_mT6_P12ihipStream_tbENKUlT_T0_E_clISt17integral_constantIbLb0EESW_EEDaSR_SS_EUlSR_E0_NS1_11comp_targetILNS1_3genE9ELNS1_11target_archE1100ELNS1_3gpuE3ELNS1_3repE0EEENS1_30default_config_static_selectorELNS0_4arch9wavefront6targetE0EEEvT1_.num_named_barrier, 0
	.set _ZN7rocprim17ROCPRIM_400000_NS6detail17trampoline_kernelINS0_14default_configENS1_20scan_config_selectorIdEEZZNS1_9scan_implILNS1_25lookback_scan_determinismE0ELb0ELb0ES3_PKdPddZZZN2at6native31launch_logcumsumexp_cuda_kernelERKNSB_10TensorBaseESF_lENKUlvE_clEvENKUlvE_clEvEUlddE_dEEDaPvRmT3_T4_T5_mT6_P12ihipStream_tbENKUlT_T0_E_clISt17integral_constantIbLb0EESW_EEDaSR_SS_EUlSR_E0_NS1_11comp_targetILNS1_3genE9ELNS1_11target_archE1100ELNS1_3gpuE3ELNS1_3repE0EEENS1_30default_config_static_selectorELNS0_4arch9wavefront6targetE0EEEvT1_.private_seg_size, 0
	.set _ZN7rocprim17ROCPRIM_400000_NS6detail17trampoline_kernelINS0_14default_configENS1_20scan_config_selectorIdEEZZNS1_9scan_implILNS1_25lookback_scan_determinismE0ELb0ELb0ES3_PKdPddZZZN2at6native31launch_logcumsumexp_cuda_kernelERKNSB_10TensorBaseESF_lENKUlvE_clEvENKUlvE_clEvEUlddE_dEEDaPvRmT3_T4_T5_mT6_P12ihipStream_tbENKUlT_T0_E_clISt17integral_constantIbLb0EESW_EEDaSR_SS_EUlSR_E0_NS1_11comp_targetILNS1_3genE9ELNS1_11target_archE1100ELNS1_3gpuE3ELNS1_3repE0EEENS1_30default_config_static_selectorELNS0_4arch9wavefront6targetE0EEEvT1_.uses_vcc, 0
	.set _ZN7rocprim17ROCPRIM_400000_NS6detail17trampoline_kernelINS0_14default_configENS1_20scan_config_selectorIdEEZZNS1_9scan_implILNS1_25lookback_scan_determinismE0ELb0ELb0ES3_PKdPddZZZN2at6native31launch_logcumsumexp_cuda_kernelERKNSB_10TensorBaseESF_lENKUlvE_clEvENKUlvE_clEvEUlddE_dEEDaPvRmT3_T4_T5_mT6_P12ihipStream_tbENKUlT_T0_E_clISt17integral_constantIbLb0EESW_EEDaSR_SS_EUlSR_E0_NS1_11comp_targetILNS1_3genE9ELNS1_11target_archE1100ELNS1_3gpuE3ELNS1_3repE0EEENS1_30default_config_static_selectorELNS0_4arch9wavefront6targetE0EEEvT1_.uses_flat_scratch, 0
	.set _ZN7rocprim17ROCPRIM_400000_NS6detail17trampoline_kernelINS0_14default_configENS1_20scan_config_selectorIdEEZZNS1_9scan_implILNS1_25lookback_scan_determinismE0ELb0ELb0ES3_PKdPddZZZN2at6native31launch_logcumsumexp_cuda_kernelERKNSB_10TensorBaseESF_lENKUlvE_clEvENKUlvE_clEvEUlddE_dEEDaPvRmT3_T4_T5_mT6_P12ihipStream_tbENKUlT_T0_E_clISt17integral_constantIbLb0EESW_EEDaSR_SS_EUlSR_E0_NS1_11comp_targetILNS1_3genE9ELNS1_11target_archE1100ELNS1_3gpuE3ELNS1_3repE0EEENS1_30default_config_static_selectorELNS0_4arch9wavefront6targetE0EEEvT1_.has_dyn_sized_stack, 0
	.set _ZN7rocprim17ROCPRIM_400000_NS6detail17trampoline_kernelINS0_14default_configENS1_20scan_config_selectorIdEEZZNS1_9scan_implILNS1_25lookback_scan_determinismE0ELb0ELb0ES3_PKdPddZZZN2at6native31launch_logcumsumexp_cuda_kernelERKNSB_10TensorBaseESF_lENKUlvE_clEvENKUlvE_clEvEUlddE_dEEDaPvRmT3_T4_T5_mT6_P12ihipStream_tbENKUlT_T0_E_clISt17integral_constantIbLb0EESW_EEDaSR_SS_EUlSR_E0_NS1_11comp_targetILNS1_3genE9ELNS1_11target_archE1100ELNS1_3gpuE3ELNS1_3repE0EEENS1_30default_config_static_selectorELNS0_4arch9wavefront6targetE0EEEvT1_.has_recursion, 0
	.set _ZN7rocprim17ROCPRIM_400000_NS6detail17trampoline_kernelINS0_14default_configENS1_20scan_config_selectorIdEEZZNS1_9scan_implILNS1_25lookback_scan_determinismE0ELb0ELb0ES3_PKdPddZZZN2at6native31launch_logcumsumexp_cuda_kernelERKNSB_10TensorBaseESF_lENKUlvE_clEvENKUlvE_clEvEUlddE_dEEDaPvRmT3_T4_T5_mT6_P12ihipStream_tbENKUlT_T0_E_clISt17integral_constantIbLb0EESW_EEDaSR_SS_EUlSR_E0_NS1_11comp_targetILNS1_3genE9ELNS1_11target_archE1100ELNS1_3gpuE3ELNS1_3repE0EEENS1_30default_config_static_selectorELNS0_4arch9wavefront6targetE0EEEvT1_.has_indirect_call, 0
	.section	.AMDGPU.csdata,"",@progbits
; Kernel info:
; codeLenInByte = 0
; TotalNumSgprs: 0
; NumVgprs: 0
; ScratchSize: 0
; MemoryBound: 0
; FloatMode: 240
; IeeeMode: 1
; LDSByteSize: 0 bytes/workgroup (compile time only)
; SGPRBlocks: 0
; VGPRBlocks: 0
; NumSGPRsForWavesPerEU: 1
; NumVGPRsForWavesPerEU: 1
; Occupancy: 16
; WaveLimiterHint : 0
; COMPUTE_PGM_RSRC2:SCRATCH_EN: 0
; COMPUTE_PGM_RSRC2:USER_SGPR: 2
; COMPUTE_PGM_RSRC2:TRAP_HANDLER: 0
; COMPUTE_PGM_RSRC2:TGID_X_EN: 1
; COMPUTE_PGM_RSRC2:TGID_Y_EN: 0
; COMPUTE_PGM_RSRC2:TGID_Z_EN: 0
; COMPUTE_PGM_RSRC2:TIDIG_COMP_CNT: 0
	.section	.text._ZN7rocprim17ROCPRIM_400000_NS6detail17trampoline_kernelINS0_14default_configENS1_20scan_config_selectorIdEEZZNS1_9scan_implILNS1_25lookback_scan_determinismE0ELb0ELb0ES3_PKdPddZZZN2at6native31launch_logcumsumexp_cuda_kernelERKNSB_10TensorBaseESF_lENKUlvE_clEvENKUlvE_clEvEUlddE_dEEDaPvRmT3_T4_T5_mT6_P12ihipStream_tbENKUlT_T0_E_clISt17integral_constantIbLb0EESW_EEDaSR_SS_EUlSR_E0_NS1_11comp_targetILNS1_3genE8ELNS1_11target_archE1030ELNS1_3gpuE2ELNS1_3repE0EEENS1_30default_config_static_selectorELNS0_4arch9wavefront6targetE0EEEvT1_,"axG",@progbits,_ZN7rocprim17ROCPRIM_400000_NS6detail17trampoline_kernelINS0_14default_configENS1_20scan_config_selectorIdEEZZNS1_9scan_implILNS1_25lookback_scan_determinismE0ELb0ELb0ES3_PKdPddZZZN2at6native31launch_logcumsumexp_cuda_kernelERKNSB_10TensorBaseESF_lENKUlvE_clEvENKUlvE_clEvEUlddE_dEEDaPvRmT3_T4_T5_mT6_P12ihipStream_tbENKUlT_T0_E_clISt17integral_constantIbLb0EESW_EEDaSR_SS_EUlSR_E0_NS1_11comp_targetILNS1_3genE8ELNS1_11target_archE1030ELNS1_3gpuE2ELNS1_3repE0EEENS1_30default_config_static_selectorELNS0_4arch9wavefront6targetE0EEEvT1_,comdat
	.globl	_ZN7rocprim17ROCPRIM_400000_NS6detail17trampoline_kernelINS0_14default_configENS1_20scan_config_selectorIdEEZZNS1_9scan_implILNS1_25lookback_scan_determinismE0ELb0ELb0ES3_PKdPddZZZN2at6native31launch_logcumsumexp_cuda_kernelERKNSB_10TensorBaseESF_lENKUlvE_clEvENKUlvE_clEvEUlddE_dEEDaPvRmT3_T4_T5_mT6_P12ihipStream_tbENKUlT_T0_E_clISt17integral_constantIbLb0EESW_EEDaSR_SS_EUlSR_E0_NS1_11comp_targetILNS1_3genE8ELNS1_11target_archE1030ELNS1_3gpuE2ELNS1_3repE0EEENS1_30default_config_static_selectorELNS0_4arch9wavefront6targetE0EEEvT1_ ; -- Begin function _ZN7rocprim17ROCPRIM_400000_NS6detail17trampoline_kernelINS0_14default_configENS1_20scan_config_selectorIdEEZZNS1_9scan_implILNS1_25lookback_scan_determinismE0ELb0ELb0ES3_PKdPddZZZN2at6native31launch_logcumsumexp_cuda_kernelERKNSB_10TensorBaseESF_lENKUlvE_clEvENKUlvE_clEvEUlddE_dEEDaPvRmT3_T4_T5_mT6_P12ihipStream_tbENKUlT_T0_E_clISt17integral_constantIbLb0EESW_EEDaSR_SS_EUlSR_E0_NS1_11comp_targetILNS1_3genE8ELNS1_11target_archE1030ELNS1_3gpuE2ELNS1_3repE0EEENS1_30default_config_static_selectorELNS0_4arch9wavefront6targetE0EEEvT1_
	.p2align	8
	.type	_ZN7rocprim17ROCPRIM_400000_NS6detail17trampoline_kernelINS0_14default_configENS1_20scan_config_selectorIdEEZZNS1_9scan_implILNS1_25lookback_scan_determinismE0ELb0ELb0ES3_PKdPddZZZN2at6native31launch_logcumsumexp_cuda_kernelERKNSB_10TensorBaseESF_lENKUlvE_clEvENKUlvE_clEvEUlddE_dEEDaPvRmT3_T4_T5_mT6_P12ihipStream_tbENKUlT_T0_E_clISt17integral_constantIbLb0EESW_EEDaSR_SS_EUlSR_E0_NS1_11comp_targetILNS1_3genE8ELNS1_11target_archE1030ELNS1_3gpuE2ELNS1_3repE0EEENS1_30default_config_static_selectorELNS0_4arch9wavefront6targetE0EEEvT1_,@function
_ZN7rocprim17ROCPRIM_400000_NS6detail17trampoline_kernelINS0_14default_configENS1_20scan_config_selectorIdEEZZNS1_9scan_implILNS1_25lookback_scan_determinismE0ELb0ELb0ES3_PKdPddZZZN2at6native31launch_logcumsumexp_cuda_kernelERKNSB_10TensorBaseESF_lENKUlvE_clEvENKUlvE_clEvEUlddE_dEEDaPvRmT3_T4_T5_mT6_P12ihipStream_tbENKUlT_T0_E_clISt17integral_constantIbLb0EESW_EEDaSR_SS_EUlSR_E0_NS1_11comp_targetILNS1_3genE8ELNS1_11target_archE1030ELNS1_3gpuE2ELNS1_3repE0EEENS1_30default_config_static_selectorELNS0_4arch9wavefront6targetE0EEEvT1_: ; @_ZN7rocprim17ROCPRIM_400000_NS6detail17trampoline_kernelINS0_14default_configENS1_20scan_config_selectorIdEEZZNS1_9scan_implILNS1_25lookback_scan_determinismE0ELb0ELb0ES3_PKdPddZZZN2at6native31launch_logcumsumexp_cuda_kernelERKNSB_10TensorBaseESF_lENKUlvE_clEvENKUlvE_clEvEUlddE_dEEDaPvRmT3_T4_T5_mT6_P12ihipStream_tbENKUlT_T0_E_clISt17integral_constantIbLb0EESW_EEDaSR_SS_EUlSR_E0_NS1_11comp_targetILNS1_3genE8ELNS1_11target_archE1030ELNS1_3gpuE2ELNS1_3repE0EEENS1_30default_config_static_selectorELNS0_4arch9wavefront6targetE0EEEvT1_
; %bb.0:
	.section	.rodata,"a",@progbits
	.p2align	6, 0x0
	.amdhsa_kernel _ZN7rocprim17ROCPRIM_400000_NS6detail17trampoline_kernelINS0_14default_configENS1_20scan_config_selectorIdEEZZNS1_9scan_implILNS1_25lookback_scan_determinismE0ELb0ELb0ES3_PKdPddZZZN2at6native31launch_logcumsumexp_cuda_kernelERKNSB_10TensorBaseESF_lENKUlvE_clEvENKUlvE_clEvEUlddE_dEEDaPvRmT3_T4_T5_mT6_P12ihipStream_tbENKUlT_T0_E_clISt17integral_constantIbLb0EESW_EEDaSR_SS_EUlSR_E0_NS1_11comp_targetILNS1_3genE8ELNS1_11target_archE1030ELNS1_3gpuE2ELNS1_3repE0EEENS1_30default_config_static_selectorELNS0_4arch9wavefront6targetE0EEEvT1_
		.amdhsa_group_segment_fixed_size 0
		.amdhsa_private_segment_fixed_size 0
		.amdhsa_kernarg_size 40
		.amdhsa_user_sgpr_count 2
		.amdhsa_user_sgpr_dispatch_ptr 0
		.amdhsa_user_sgpr_queue_ptr 0
		.amdhsa_user_sgpr_kernarg_segment_ptr 1
		.amdhsa_user_sgpr_dispatch_id 0
		.amdhsa_user_sgpr_private_segment_size 0
		.amdhsa_wavefront_size32 1
		.amdhsa_uses_dynamic_stack 0
		.amdhsa_enable_private_segment 0
		.amdhsa_system_sgpr_workgroup_id_x 1
		.amdhsa_system_sgpr_workgroup_id_y 0
		.amdhsa_system_sgpr_workgroup_id_z 0
		.amdhsa_system_sgpr_workgroup_info 0
		.amdhsa_system_vgpr_workitem_id 0
		.amdhsa_next_free_vgpr 1
		.amdhsa_next_free_sgpr 1
		.amdhsa_reserve_vcc 0
		.amdhsa_float_round_mode_32 0
		.amdhsa_float_round_mode_16_64 0
		.amdhsa_float_denorm_mode_32 3
		.amdhsa_float_denorm_mode_16_64 3
		.amdhsa_fp16_overflow 0
		.amdhsa_workgroup_processor_mode 1
		.amdhsa_memory_ordered 1
		.amdhsa_forward_progress 1
		.amdhsa_inst_pref_size 0
		.amdhsa_round_robin_scheduling 0
		.amdhsa_exception_fp_ieee_invalid_op 0
		.amdhsa_exception_fp_denorm_src 0
		.amdhsa_exception_fp_ieee_div_zero 0
		.amdhsa_exception_fp_ieee_overflow 0
		.amdhsa_exception_fp_ieee_underflow 0
		.amdhsa_exception_fp_ieee_inexact 0
		.amdhsa_exception_int_div_zero 0
	.end_amdhsa_kernel
	.section	.text._ZN7rocprim17ROCPRIM_400000_NS6detail17trampoline_kernelINS0_14default_configENS1_20scan_config_selectorIdEEZZNS1_9scan_implILNS1_25lookback_scan_determinismE0ELb0ELb0ES3_PKdPddZZZN2at6native31launch_logcumsumexp_cuda_kernelERKNSB_10TensorBaseESF_lENKUlvE_clEvENKUlvE_clEvEUlddE_dEEDaPvRmT3_T4_T5_mT6_P12ihipStream_tbENKUlT_T0_E_clISt17integral_constantIbLb0EESW_EEDaSR_SS_EUlSR_E0_NS1_11comp_targetILNS1_3genE8ELNS1_11target_archE1030ELNS1_3gpuE2ELNS1_3repE0EEENS1_30default_config_static_selectorELNS0_4arch9wavefront6targetE0EEEvT1_,"axG",@progbits,_ZN7rocprim17ROCPRIM_400000_NS6detail17trampoline_kernelINS0_14default_configENS1_20scan_config_selectorIdEEZZNS1_9scan_implILNS1_25lookback_scan_determinismE0ELb0ELb0ES3_PKdPddZZZN2at6native31launch_logcumsumexp_cuda_kernelERKNSB_10TensorBaseESF_lENKUlvE_clEvENKUlvE_clEvEUlddE_dEEDaPvRmT3_T4_T5_mT6_P12ihipStream_tbENKUlT_T0_E_clISt17integral_constantIbLb0EESW_EEDaSR_SS_EUlSR_E0_NS1_11comp_targetILNS1_3genE8ELNS1_11target_archE1030ELNS1_3gpuE2ELNS1_3repE0EEENS1_30default_config_static_selectorELNS0_4arch9wavefront6targetE0EEEvT1_,comdat
.Lfunc_end26:
	.size	_ZN7rocprim17ROCPRIM_400000_NS6detail17trampoline_kernelINS0_14default_configENS1_20scan_config_selectorIdEEZZNS1_9scan_implILNS1_25lookback_scan_determinismE0ELb0ELb0ES3_PKdPddZZZN2at6native31launch_logcumsumexp_cuda_kernelERKNSB_10TensorBaseESF_lENKUlvE_clEvENKUlvE_clEvEUlddE_dEEDaPvRmT3_T4_T5_mT6_P12ihipStream_tbENKUlT_T0_E_clISt17integral_constantIbLb0EESW_EEDaSR_SS_EUlSR_E0_NS1_11comp_targetILNS1_3genE8ELNS1_11target_archE1030ELNS1_3gpuE2ELNS1_3repE0EEENS1_30default_config_static_selectorELNS0_4arch9wavefront6targetE0EEEvT1_, .Lfunc_end26-_ZN7rocprim17ROCPRIM_400000_NS6detail17trampoline_kernelINS0_14default_configENS1_20scan_config_selectorIdEEZZNS1_9scan_implILNS1_25lookback_scan_determinismE0ELb0ELb0ES3_PKdPddZZZN2at6native31launch_logcumsumexp_cuda_kernelERKNSB_10TensorBaseESF_lENKUlvE_clEvENKUlvE_clEvEUlddE_dEEDaPvRmT3_T4_T5_mT6_P12ihipStream_tbENKUlT_T0_E_clISt17integral_constantIbLb0EESW_EEDaSR_SS_EUlSR_E0_NS1_11comp_targetILNS1_3genE8ELNS1_11target_archE1030ELNS1_3gpuE2ELNS1_3repE0EEENS1_30default_config_static_selectorELNS0_4arch9wavefront6targetE0EEEvT1_
                                        ; -- End function
	.set _ZN7rocprim17ROCPRIM_400000_NS6detail17trampoline_kernelINS0_14default_configENS1_20scan_config_selectorIdEEZZNS1_9scan_implILNS1_25lookback_scan_determinismE0ELb0ELb0ES3_PKdPddZZZN2at6native31launch_logcumsumexp_cuda_kernelERKNSB_10TensorBaseESF_lENKUlvE_clEvENKUlvE_clEvEUlddE_dEEDaPvRmT3_T4_T5_mT6_P12ihipStream_tbENKUlT_T0_E_clISt17integral_constantIbLb0EESW_EEDaSR_SS_EUlSR_E0_NS1_11comp_targetILNS1_3genE8ELNS1_11target_archE1030ELNS1_3gpuE2ELNS1_3repE0EEENS1_30default_config_static_selectorELNS0_4arch9wavefront6targetE0EEEvT1_.num_vgpr, 0
	.set _ZN7rocprim17ROCPRIM_400000_NS6detail17trampoline_kernelINS0_14default_configENS1_20scan_config_selectorIdEEZZNS1_9scan_implILNS1_25lookback_scan_determinismE0ELb0ELb0ES3_PKdPddZZZN2at6native31launch_logcumsumexp_cuda_kernelERKNSB_10TensorBaseESF_lENKUlvE_clEvENKUlvE_clEvEUlddE_dEEDaPvRmT3_T4_T5_mT6_P12ihipStream_tbENKUlT_T0_E_clISt17integral_constantIbLb0EESW_EEDaSR_SS_EUlSR_E0_NS1_11comp_targetILNS1_3genE8ELNS1_11target_archE1030ELNS1_3gpuE2ELNS1_3repE0EEENS1_30default_config_static_selectorELNS0_4arch9wavefront6targetE0EEEvT1_.num_agpr, 0
	.set _ZN7rocprim17ROCPRIM_400000_NS6detail17trampoline_kernelINS0_14default_configENS1_20scan_config_selectorIdEEZZNS1_9scan_implILNS1_25lookback_scan_determinismE0ELb0ELb0ES3_PKdPddZZZN2at6native31launch_logcumsumexp_cuda_kernelERKNSB_10TensorBaseESF_lENKUlvE_clEvENKUlvE_clEvEUlddE_dEEDaPvRmT3_T4_T5_mT6_P12ihipStream_tbENKUlT_T0_E_clISt17integral_constantIbLb0EESW_EEDaSR_SS_EUlSR_E0_NS1_11comp_targetILNS1_3genE8ELNS1_11target_archE1030ELNS1_3gpuE2ELNS1_3repE0EEENS1_30default_config_static_selectorELNS0_4arch9wavefront6targetE0EEEvT1_.numbered_sgpr, 0
	.set _ZN7rocprim17ROCPRIM_400000_NS6detail17trampoline_kernelINS0_14default_configENS1_20scan_config_selectorIdEEZZNS1_9scan_implILNS1_25lookback_scan_determinismE0ELb0ELb0ES3_PKdPddZZZN2at6native31launch_logcumsumexp_cuda_kernelERKNSB_10TensorBaseESF_lENKUlvE_clEvENKUlvE_clEvEUlddE_dEEDaPvRmT3_T4_T5_mT6_P12ihipStream_tbENKUlT_T0_E_clISt17integral_constantIbLb0EESW_EEDaSR_SS_EUlSR_E0_NS1_11comp_targetILNS1_3genE8ELNS1_11target_archE1030ELNS1_3gpuE2ELNS1_3repE0EEENS1_30default_config_static_selectorELNS0_4arch9wavefront6targetE0EEEvT1_.num_named_barrier, 0
	.set _ZN7rocprim17ROCPRIM_400000_NS6detail17trampoline_kernelINS0_14default_configENS1_20scan_config_selectorIdEEZZNS1_9scan_implILNS1_25lookback_scan_determinismE0ELb0ELb0ES3_PKdPddZZZN2at6native31launch_logcumsumexp_cuda_kernelERKNSB_10TensorBaseESF_lENKUlvE_clEvENKUlvE_clEvEUlddE_dEEDaPvRmT3_T4_T5_mT6_P12ihipStream_tbENKUlT_T0_E_clISt17integral_constantIbLb0EESW_EEDaSR_SS_EUlSR_E0_NS1_11comp_targetILNS1_3genE8ELNS1_11target_archE1030ELNS1_3gpuE2ELNS1_3repE0EEENS1_30default_config_static_selectorELNS0_4arch9wavefront6targetE0EEEvT1_.private_seg_size, 0
	.set _ZN7rocprim17ROCPRIM_400000_NS6detail17trampoline_kernelINS0_14default_configENS1_20scan_config_selectorIdEEZZNS1_9scan_implILNS1_25lookback_scan_determinismE0ELb0ELb0ES3_PKdPddZZZN2at6native31launch_logcumsumexp_cuda_kernelERKNSB_10TensorBaseESF_lENKUlvE_clEvENKUlvE_clEvEUlddE_dEEDaPvRmT3_T4_T5_mT6_P12ihipStream_tbENKUlT_T0_E_clISt17integral_constantIbLb0EESW_EEDaSR_SS_EUlSR_E0_NS1_11comp_targetILNS1_3genE8ELNS1_11target_archE1030ELNS1_3gpuE2ELNS1_3repE0EEENS1_30default_config_static_selectorELNS0_4arch9wavefront6targetE0EEEvT1_.uses_vcc, 0
	.set _ZN7rocprim17ROCPRIM_400000_NS6detail17trampoline_kernelINS0_14default_configENS1_20scan_config_selectorIdEEZZNS1_9scan_implILNS1_25lookback_scan_determinismE0ELb0ELb0ES3_PKdPddZZZN2at6native31launch_logcumsumexp_cuda_kernelERKNSB_10TensorBaseESF_lENKUlvE_clEvENKUlvE_clEvEUlddE_dEEDaPvRmT3_T4_T5_mT6_P12ihipStream_tbENKUlT_T0_E_clISt17integral_constantIbLb0EESW_EEDaSR_SS_EUlSR_E0_NS1_11comp_targetILNS1_3genE8ELNS1_11target_archE1030ELNS1_3gpuE2ELNS1_3repE0EEENS1_30default_config_static_selectorELNS0_4arch9wavefront6targetE0EEEvT1_.uses_flat_scratch, 0
	.set _ZN7rocprim17ROCPRIM_400000_NS6detail17trampoline_kernelINS0_14default_configENS1_20scan_config_selectorIdEEZZNS1_9scan_implILNS1_25lookback_scan_determinismE0ELb0ELb0ES3_PKdPddZZZN2at6native31launch_logcumsumexp_cuda_kernelERKNSB_10TensorBaseESF_lENKUlvE_clEvENKUlvE_clEvEUlddE_dEEDaPvRmT3_T4_T5_mT6_P12ihipStream_tbENKUlT_T0_E_clISt17integral_constantIbLb0EESW_EEDaSR_SS_EUlSR_E0_NS1_11comp_targetILNS1_3genE8ELNS1_11target_archE1030ELNS1_3gpuE2ELNS1_3repE0EEENS1_30default_config_static_selectorELNS0_4arch9wavefront6targetE0EEEvT1_.has_dyn_sized_stack, 0
	.set _ZN7rocprim17ROCPRIM_400000_NS6detail17trampoline_kernelINS0_14default_configENS1_20scan_config_selectorIdEEZZNS1_9scan_implILNS1_25lookback_scan_determinismE0ELb0ELb0ES3_PKdPddZZZN2at6native31launch_logcumsumexp_cuda_kernelERKNSB_10TensorBaseESF_lENKUlvE_clEvENKUlvE_clEvEUlddE_dEEDaPvRmT3_T4_T5_mT6_P12ihipStream_tbENKUlT_T0_E_clISt17integral_constantIbLb0EESW_EEDaSR_SS_EUlSR_E0_NS1_11comp_targetILNS1_3genE8ELNS1_11target_archE1030ELNS1_3gpuE2ELNS1_3repE0EEENS1_30default_config_static_selectorELNS0_4arch9wavefront6targetE0EEEvT1_.has_recursion, 0
	.set _ZN7rocprim17ROCPRIM_400000_NS6detail17trampoline_kernelINS0_14default_configENS1_20scan_config_selectorIdEEZZNS1_9scan_implILNS1_25lookback_scan_determinismE0ELb0ELb0ES3_PKdPddZZZN2at6native31launch_logcumsumexp_cuda_kernelERKNSB_10TensorBaseESF_lENKUlvE_clEvENKUlvE_clEvEUlddE_dEEDaPvRmT3_T4_T5_mT6_P12ihipStream_tbENKUlT_T0_E_clISt17integral_constantIbLb0EESW_EEDaSR_SS_EUlSR_E0_NS1_11comp_targetILNS1_3genE8ELNS1_11target_archE1030ELNS1_3gpuE2ELNS1_3repE0EEENS1_30default_config_static_selectorELNS0_4arch9wavefront6targetE0EEEvT1_.has_indirect_call, 0
	.section	.AMDGPU.csdata,"",@progbits
; Kernel info:
; codeLenInByte = 0
; TotalNumSgprs: 0
; NumVgprs: 0
; ScratchSize: 0
; MemoryBound: 0
; FloatMode: 240
; IeeeMode: 1
; LDSByteSize: 0 bytes/workgroup (compile time only)
; SGPRBlocks: 0
; VGPRBlocks: 0
; NumSGPRsForWavesPerEU: 1
; NumVGPRsForWavesPerEU: 1
; Occupancy: 16
; WaveLimiterHint : 0
; COMPUTE_PGM_RSRC2:SCRATCH_EN: 0
; COMPUTE_PGM_RSRC2:USER_SGPR: 2
; COMPUTE_PGM_RSRC2:TRAP_HANDLER: 0
; COMPUTE_PGM_RSRC2:TGID_X_EN: 1
; COMPUTE_PGM_RSRC2:TGID_Y_EN: 0
; COMPUTE_PGM_RSRC2:TGID_Z_EN: 0
; COMPUTE_PGM_RSRC2:TIDIG_COMP_CNT: 0
	.section	.text._ZN7rocprim17ROCPRIM_400000_NS6detail31init_lookback_scan_state_kernelINS1_19lookback_scan_stateIdLb1ELb1EEENS1_16block_id_wrapperIjLb1EEEEEvT_jT0_jPNS7_10value_typeE,"axG",@progbits,_ZN7rocprim17ROCPRIM_400000_NS6detail31init_lookback_scan_state_kernelINS1_19lookback_scan_stateIdLb1ELb1EEENS1_16block_id_wrapperIjLb1EEEEEvT_jT0_jPNS7_10value_typeE,comdat
	.protected	_ZN7rocprim17ROCPRIM_400000_NS6detail31init_lookback_scan_state_kernelINS1_19lookback_scan_stateIdLb1ELb1EEENS1_16block_id_wrapperIjLb1EEEEEvT_jT0_jPNS7_10value_typeE ; -- Begin function _ZN7rocprim17ROCPRIM_400000_NS6detail31init_lookback_scan_state_kernelINS1_19lookback_scan_stateIdLb1ELb1EEENS1_16block_id_wrapperIjLb1EEEEEvT_jT0_jPNS7_10value_typeE
	.globl	_ZN7rocprim17ROCPRIM_400000_NS6detail31init_lookback_scan_state_kernelINS1_19lookback_scan_stateIdLb1ELb1EEENS1_16block_id_wrapperIjLb1EEEEEvT_jT0_jPNS7_10value_typeE
	.p2align	8
	.type	_ZN7rocprim17ROCPRIM_400000_NS6detail31init_lookback_scan_state_kernelINS1_19lookback_scan_stateIdLb1ELb1EEENS1_16block_id_wrapperIjLb1EEEEEvT_jT0_jPNS7_10value_typeE,@function
_ZN7rocprim17ROCPRIM_400000_NS6detail31init_lookback_scan_state_kernelINS1_19lookback_scan_stateIdLb1ELb1EEENS1_16block_id_wrapperIjLb1EEEEEvT_jT0_jPNS7_10value_typeE: ; @_ZN7rocprim17ROCPRIM_400000_NS6detail31init_lookback_scan_state_kernelINS1_19lookback_scan_stateIdLb1ELb1EEENS1_16block_id_wrapperIjLb1EEEEEvT_jT0_jPNS7_10value_typeE
; %bb.0:
	s_clause 0x2
	s_load_b32 s7, s[0:1], 0x34
	s_load_b64 s[2:3], s[0:1], 0x20
	s_load_b96 s[4:6], s[0:1], 0x0
	s_wait_kmcnt 0x0
	s_and_b32 s7, s7, 0xffff
	s_cmp_eq_u64 s[2:3], 0
	v_mad_co_u64_u32 v[0:1], null, ttmp9, s7, v[0:1]
	s_cbranch_scc1 .LBB27_10
; %bb.1:
	s_load_b32 s8, s[0:1], 0x18
	s_mov_b32 s9, 0
	s_wait_kmcnt 0x0
	s_cmp_lt_u32 s8, s6
	s_cselect_b32 s7, s8, 0
	s_wait_alu 0xfffe
	v_cmp_eq_u32_e32 vcc_lo, s7, v0
	s_and_saveexec_b32 s7, vcc_lo
	s_cbranch_execz .LBB27_9
; %bb.2:
	s_add_co_i32 s8, s8, 32
	s_mov_b32 s10, exec_lo
	s_lshl_b64 s[8:9], s[8:9], 4
	v_mov_b32_e32 v5, 0
	s_add_nc_u64 s[8:9], s[4:5], s[8:9]
	s_delay_alu instid0(SALU_CYCLE_1) | instskip(SKIP_2) | instid1(VALU_DEP_1)
	v_dual_mov_b32 v1, s8 :: v_dual_mov_b32 v2, s9
	;;#ASMSTART
	global_load_b128 v[1:4], v[1:2] off scope:SCOPE_DEV	
s_wait_loadcnt 0x0
	;;#ASMEND
	v_and_b32_e32 v4, 0xff, v3
	v_cmpx_eq_u64_e32 0, v[4:5]
	s_cbranch_execz .LBB27_8
; %bb.3:
	v_dual_mov_b32 v6, s8 :: v_dual_mov_b32 v7, s9
	s_mov_b32 s9, 1
	s_mov_b32 s8, 0
.LBB27_4:                               ; =>This Loop Header: Depth=1
                                        ;     Child Loop BB27_5 Depth 2
	s_wait_alu 0xfffe
	s_mov_b32 s11, s9
.LBB27_5:                               ;   Parent Loop BB27_4 Depth=1
                                        ; =>  This Inner Loop Header: Depth=2
	s_delay_alu instid0(SALU_CYCLE_1)
	s_add_co_i32 s11, s11, -1
	s_sleep 1
	s_cmp_eq_u32 s11, 0
	s_cbranch_scc0 .LBB27_5
; %bb.6:                                ;   in Loop: Header=BB27_4 Depth=1
	;;#ASMSTART
	global_load_b128 v[1:4], v[6:7] off scope:SCOPE_DEV	
s_wait_loadcnt 0x0
	;;#ASMEND
	v_and_b32_e32 v4, 0xff, v3
	s_cmp_lt_u32 s9, 32
	s_cselect_b32 s11, -1, 0
	s_delay_alu instid0(SALU_CYCLE_1) | instskip(NEXT) | instid1(VALU_DEP_1)
	s_cmp_lg_u32 s11, 0
	v_cmp_ne_u64_e32 vcc_lo, 0, v[4:5]
	s_add_co_ci_u32 s9, s9, 0
	s_or_b32 s8, vcc_lo, s8
	s_wait_alu 0xfffe
	s_and_not1_b32 exec_lo, exec_lo, s8
	s_cbranch_execnz .LBB27_4
; %bb.7:
	s_or_b32 exec_lo, exec_lo, s8
.LBB27_8:
	s_delay_alu instid0(SALU_CYCLE_1)
	s_or_b32 exec_lo, exec_lo, s10
	v_mov_b32_e32 v3, 0
	global_store_b64 v3, v[1:2], s[2:3]
.LBB27_9:
	s_wait_alu 0xfffe
	s_or_b32 exec_lo, exec_lo, s7
.LBB27_10:
	s_delay_alu instid0(SALU_CYCLE_1)
	s_mov_b32 s2, exec_lo
	v_cmpx_eq_u32_e32 0, v0
	s_cbranch_execz .LBB27_12
; %bb.11:
	s_load_b64 s[0:1], s[0:1], 0x10
	v_mov_b32_e32 v1, 0
	s_wait_kmcnt 0x0
	global_store_b32 v1, v1, s[0:1]
.LBB27_12:
	s_or_b32 exec_lo, exec_lo, s2
	s_delay_alu instid0(SALU_CYCLE_1)
	s_mov_b32 s0, exec_lo
	v_cmpx_gt_u32_e64 s6, v0
	s_cbranch_execz .LBB27_14
; %bb.13:
	v_dual_mov_b32 v2, 0 :: v_dual_add_nc_u32 v1, 32, v0
	s_delay_alu instid0(VALU_DEP_1) | instskip(SKIP_2) | instid1(VALU_DEP_3)
	v_lshlrev_b64_e32 v[4:5], 4, v[1:2]
	v_mov_b32_e32 v1, v2
	v_mov_b32_e32 v3, v2
	v_add_co_u32 v6, vcc_lo, s4, v4
	s_delay_alu instid0(VALU_DEP_1)
	v_add_co_ci_u32_e64 v7, null, s5, v5, vcc_lo
	v_mov_b32_e32 v4, v2
	global_store_b128 v[6:7], v[1:4], off
.LBB27_14:
	s_wait_alu 0xfffe
	s_or_b32 exec_lo, exec_lo, s0
	s_delay_alu instid0(SALU_CYCLE_1)
	s_mov_b32 s0, exec_lo
	v_cmpx_gt_u32_e32 32, v0
	s_cbranch_execz .LBB27_16
; %bb.15:
	v_dual_mov_b32 v1, 0 :: v_dual_mov_b32 v2, 0xff
	s_delay_alu instid0(VALU_DEP_1) | instskip(SKIP_1) | instid1(VALU_DEP_2)
	v_lshlrev_b64_e32 v[3:4], 4, v[0:1]
	v_mov_b32_e32 v0, v1
	v_add_co_u32 v5, vcc_lo, s4, v3
	s_wait_alu 0xfffd
	s_delay_alu instid0(VALU_DEP_3)
	v_add_co_ci_u32_e64 v6, null, s5, v4, vcc_lo
	v_mov_b32_e32 v3, v1
	global_store_b128 v[5:6], v[0:3], off
.LBB27_16:
	s_endpgm
	.section	.rodata,"a",@progbits
	.p2align	6, 0x0
	.amdhsa_kernel _ZN7rocprim17ROCPRIM_400000_NS6detail31init_lookback_scan_state_kernelINS1_19lookback_scan_stateIdLb1ELb1EEENS1_16block_id_wrapperIjLb1EEEEEvT_jT0_jPNS7_10value_typeE
		.amdhsa_group_segment_fixed_size 0
		.amdhsa_private_segment_fixed_size 0
		.amdhsa_kernarg_size 296
		.amdhsa_user_sgpr_count 2
		.amdhsa_user_sgpr_dispatch_ptr 0
		.amdhsa_user_sgpr_queue_ptr 0
		.amdhsa_user_sgpr_kernarg_segment_ptr 1
		.amdhsa_user_sgpr_dispatch_id 0
		.amdhsa_user_sgpr_private_segment_size 0
		.amdhsa_wavefront_size32 1
		.amdhsa_uses_dynamic_stack 0
		.amdhsa_enable_private_segment 0
		.amdhsa_system_sgpr_workgroup_id_x 1
		.amdhsa_system_sgpr_workgroup_id_y 0
		.amdhsa_system_sgpr_workgroup_id_z 0
		.amdhsa_system_sgpr_workgroup_info 0
		.amdhsa_system_vgpr_workitem_id 0
		.amdhsa_next_free_vgpr 8
		.amdhsa_next_free_sgpr 12
		.amdhsa_reserve_vcc 1
		.amdhsa_float_round_mode_32 0
		.amdhsa_float_round_mode_16_64 0
		.amdhsa_float_denorm_mode_32 3
		.amdhsa_float_denorm_mode_16_64 3
		.amdhsa_fp16_overflow 0
		.amdhsa_workgroup_processor_mode 1
		.amdhsa_memory_ordered 1
		.amdhsa_forward_progress 1
		.amdhsa_inst_pref_size 4
		.amdhsa_round_robin_scheduling 0
		.amdhsa_exception_fp_ieee_invalid_op 0
		.amdhsa_exception_fp_denorm_src 0
		.amdhsa_exception_fp_ieee_div_zero 0
		.amdhsa_exception_fp_ieee_overflow 0
		.amdhsa_exception_fp_ieee_underflow 0
		.amdhsa_exception_fp_ieee_inexact 0
		.amdhsa_exception_int_div_zero 0
	.end_amdhsa_kernel
	.section	.text._ZN7rocprim17ROCPRIM_400000_NS6detail31init_lookback_scan_state_kernelINS1_19lookback_scan_stateIdLb1ELb1EEENS1_16block_id_wrapperIjLb1EEEEEvT_jT0_jPNS7_10value_typeE,"axG",@progbits,_ZN7rocprim17ROCPRIM_400000_NS6detail31init_lookback_scan_state_kernelINS1_19lookback_scan_stateIdLb1ELb1EEENS1_16block_id_wrapperIjLb1EEEEEvT_jT0_jPNS7_10value_typeE,comdat
.Lfunc_end27:
	.size	_ZN7rocprim17ROCPRIM_400000_NS6detail31init_lookback_scan_state_kernelINS1_19lookback_scan_stateIdLb1ELb1EEENS1_16block_id_wrapperIjLb1EEEEEvT_jT0_jPNS7_10value_typeE, .Lfunc_end27-_ZN7rocprim17ROCPRIM_400000_NS6detail31init_lookback_scan_state_kernelINS1_19lookback_scan_stateIdLb1ELb1EEENS1_16block_id_wrapperIjLb1EEEEEvT_jT0_jPNS7_10value_typeE
                                        ; -- End function
	.set _ZN7rocprim17ROCPRIM_400000_NS6detail31init_lookback_scan_state_kernelINS1_19lookback_scan_stateIdLb1ELb1EEENS1_16block_id_wrapperIjLb1EEEEEvT_jT0_jPNS7_10value_typeE.num_vgpr, 8
	.set _ZN7rocprim17ROCPRIM_400000_NS6detail31init_lookback_scan_state_kernelINS1_19lookback_scan_stateIdLb1ELb1EEENS1_16block_id_wrapperIjLb1EEEEEvT_jT0_jPNS7_10value_typeE.num_agpr, 0
	.set _ZN7rocprim17ROCPRIM_400000_NS6detail31init_lookback_scan_state_kernelINS1_19lookback_scan_stateIdLb1ELb1EEENS1_16block_id_wrapperIjLb1EEEEEvT_jT0_jPNS7_10value_typeE.numbered_sgpr, 12
	.set _ZN7rocprim17ROCPRIM_400000_NS6detail31init_lookback_scan_state_kernelINS1_19lookback_scan_stateIdLb1ELb1EEENS1_16block_id_wrapperIjLb1EEEEEvT_jT0_jPNS7_10value_typeE.num_named_barrier, 0
	.set _ZN7rocprim17ROCPRIM_400000_NS6detail31init_lookback_scan_state_kernelINS1_19lookback_scan_stateIdLb1ELb1EEENS1_16block_id_wrapperIjLb1EEEEEvT_jT0_jPNS7_10value_typeE.private_seg_size, 0
	.set _ZN7rocprim17ROCPRIM_400000_NS6detail31init_lookback_scan_state_kernelINS1_19lookback_scan_stateIdLb1ELb1EEENS1_16block_id_wrapperIjLb1EEEEEvT_jT0_jPNS7_10value_typeE.uses_vcc, 1
	.set _ZN7rocprim17ROCPRIM_400000_NS6detail31init_lookback_scan_state_kernelINS1_19lookback_scan_stateIdLb1ELb1EEENS1_16block_id_wrapperIjLb1EEEEEvT_jT0_jPNS7_10value_typeE.uses_flat_scratch, 0
	.set _ZN7rocprim17ROCPRIM_400000_NS6detail31init_lookback_scan_state_kernelINS1_19lookback_scan_stateIdLb1ELb1EEENS1_16block_id_wrapperIjLb1EEEEEvT_jT0_jPNS7_10value_typeE.has_dyn_sized_stack, 0
	.set _ZN7rocprim17ROCPRIM_400000_NS6detail31init_lookback_scan_state_kernelINS1_19lookback_scan_stateIdLb1ELb1EEENS1_16block_id_wrapperIjLb1EEEEEvT_jT0_jPNS7_10value_typeE.has_recursion, 0
	.set _ZN7rocprim17ROCPRIM_400000_NS6detail31init_lookback_scan_state_kernelINS1_19lookback_scan_stateIdLb1ELb1EEENS1_16block_id_wrapperIjLb1EEEEEvT_jT0_jPNS7_10value_typeE.has_indirect_call, 0
	.section	.AMDGPU.csdata,"",@progbits
; Kernel info:
; codeLenInByte = 492
; TotalNumSgprs: 14
; NumVgprs: 8
; ScratchSize: 0
; MemoryBound: 0
; FloatMode: 240
; IeeeMode: 1
; LDSByteSize: 0 bytes/workgroup (compile time only)
; SGPRBlocks: 0
; VGPRBlocks: 0
; NumSGPRsForWavesPerEU: 14
; NumVGPRsForWavesPerEU: 8
; Occupancy: 16
; WaveLimiterHint : 0
; COMPUTE_PGM_RSRC2:SCRATCH_EN: 0
; COMPUTE_PGM_RSRC2:USER_SGPR: 2
; COMPUTE_PGM_RSRC2:TRAP_HANDLER: 0
; COMPUTE_PGM_RSRC2:TGID_X_EN: 1
; COMPUTE_PGM_RSRC2:TGID_Y_EN: 0
; COMPUTE_PGM_RSRC2:TGID_Z_EN: 0
; COMPUTE_PGM_RSRC2:TIDIG_COMP_CNT: 0
	.section	.text._ZN7rocprim17ROCPRIM_400000_NS6detail17trampoline_kernelINS0_14default_configENS1_20scan_config_selectorIdEEZZNS1_9scan_implILNS1_25lookback_scan_determinismE0ELb0ELb0ES3_PKdPddZZZN2at6native31launch_logcumsumexp_cuda_kernelERKNSB_10TensorBaseESF_lENKUlvE_clEvENKUlvE_clEvEUlddE_dEEDaPvRmT3_T4_T5_mT6_P12ihipStream_tbENKUlT_T0_E_clISt17integral_constantIbLb1EESW_EEDaSR_SS_EUlSR_E_NS1_11comp_targetILNS1_3genE0ELNS1_11target_archE4294967295ELNS1_3gpuE0ELNS1_3repE0EEENS1_30default_config_static_selectorELNS0_4arch9wavefront6targetE0EEEvT1_,"axG",@progbits,_ZN7rocprim17ROCPRIM_400000_NS6detail17trampoline_kernelINS0_14default_configENS1_20scan_config_selectorIdEEZZNS1_9scan_implILNS1_25lookback_scan_determinismE0ELb0ELb0ES3_PKdPddZZZN2at6native31launch_logcumsumexp_cuda_kernelERKNSB_10TensorBaseESF_lENKUlvE_clEvENKUlvE_clEvEUlddE_dEEDaPvRmT3_T4_T5_mT6_P12ihipStream_tbENKUlT_T0_E_clISt17integral_constantIbLb1EESW_EEDaSR_SS_EUlSR_E_NS1_11comp_targetILNS1_3genE0ELNS1_11target_archE4294967295ELNS1_3gpuE0ELNS1_3repE0EEENS1_30default_config_static_selectorELNS0_4arch9wavefront6targetE0EEEvT1_,comdat
	.globl	_ZN7rocprim17ROCPRIM_400000_NS6detail17trampoline_kernelINS0_14default_configENS1_20scan_config_selectorIdEEZZNS1_9scan_implILNS1_25lookback_scan_determinismE0ELb0ELb0ES3_PKdPddZZZN2at6native31launch_logcumsumexp_cuda_kernelERKNSB_10TensorBaseESF_lENKUlvE_clEvENKUlvE_clEvEUlddE_dEEDaPvRmT3_T4_T5_mT6_P12ihipStream_tbENKUlT_T0_E_clISt17integral_constantIbLb1EESW_EEDaSR_SS_EUlSR_E_NS1_11comp_targetILNS1_3genE0ELNS1_11target_archE4294967295ELNS1_3gpuE0ELNS1_3repE0EEENS1_30default_config_static_selectorELNS0_4arch9wavefront6targetE0EEEvT1_ ; -- Begin function _ZN7rocprim17ROCPRIM_400000_NS6detail17trampoline_kernelINS0_14default_configENS1_20scan_config_selectorIdEEZZNS1_9scan_implILNS1_25lookback_scan_determinismE0ELb0ELb0ES3_PKdPddZZZN2at6native31launch_logcumsumexp_cuda_kernelERKNSB_10TensorBaseESF_lENKUlvE_clEvENKUlvE_clEvEUlddE_dEEDaPvRmT3_T4_T5_mT6_P12ihipStream_tbENKUlT_T0_E_clISt17integral_constantIbLb1EESW_EEDaSR_SS_EUlSR_E_NS1_11comp_targetILNS1_3genE0ELNS1_11target_archE4294967295ELNS1_3gpuE0ELNS1_3repE0EEENS1_30default_config_static_selectorELNS0_4arch9wavefront6targetE0EEEvT1_
	.p2align	8
	.type	_ZN7rocprim17ROCPRIM_400000_NS6detail17trampoline_kernelINS0_14default_configENS1_20scan_config_selectorIdEEZZNS1_9scan_implILNS1_25lookback_scan_determinismE0ELb0ELb0ES3_PKdPddZZZN2at6native31launch_logcumsumexp_cuda_kernelERKNSB_10TensorBaseESF_lENKUlvE_clEvENKUlvE_clEvEUlddE_dEEDaPvRmT3_T4_T5_mT6_P12ihipStream_tbENKUlT_T0_E_clISt17integral_constantIbLb1EESW_EEDaSR_SS_EUlSR_E_NS1_11comp_targetILNS1_3genE0ELNS1_11target_archE4294967295ELNS1_3gpuE0ELNS1_3repE0EEENS1_30default_config_static_selectorELNS0_4arch9wavefront6targetE0EEEvT1_,@function
_ZN7rocprim17ROCPRIM_400000_NS6detail17trampoline_kernelINS0_14default_configENS1_20scan_config_selectorIdEEZZNS1_9scan_implILNS1_25lookback_scan_determinismE0ELb0ELb0ES3_PKdPddZZZN2at6native31launch_logcumsumexp_cuda_kernelERKNSB_10TensorBaseESF_lENKUlvE_clEvENKUlvE_clEvEUlddE_dEEDaPvRmT3_T4_T5_mT6_P12ihipStream_tbENKUlT_T0_E_clISt17integral_constantIbLb1EESW_EEDaSR_SS_EUlSR_E_NS1_11comp_targetILNS1_3genE0ELNS1_11target_archE4294967295ELNS1_3gpuE0ELNS1_3repE0EEENS1_30default_config_static_selectorELNS0_4arch9wavefront6targetE0EEEvT1_: ; @_ZN7rocprim17ROCPRIM_400000_NS6detail17trampoline_kernelINS0_14default_configENS1_20scan_config_selectorIdEEZZNS1_9scan_implILNS1_25lookback_scan_determinismE0ELb0ELb0ES3_PKdPddZZZN2at6native31launch_logcumsumexp_cuda_kernelERKNSB_10TensorBaseESF_lENKUlvE_clEvENKUlvE_clEvEUlddE_dEEDaPvRmT3_T4_T5_mT6_P12ihipStream_tbENKUlT_T0_E_clISt17integral_constantIbLb1EESW_EEDaSR_SS_EUlSR_E_NS1_11comp_targetILNS1_3genE0ELNS1_11target_archE4294967295ELNS1_3gpuE0ELNS1_3repE0EEENS1_30default_config_static_selectorELNS0_4arch9wavefront6targetE0EEEvT1_
; %bb.0:
	.section	.rodata,"a",@progbits
	.p2align	6, 0x0
	.amdhsa_kernel _ZN7rocprim17ROCPRIM_400000_NS6detail17trampoline_kernelINS0_14default_configENS1_20scan_config_selectorIdEEZZNS1_9scan_implILNS1_25lookback_scan_determinismE0ELb0ELb0ES3_PKdPddZZZN2at6native31launch_logcumsumexp_cuda_kernelERKNSB_10TensorBaseESF_lENKUlvE_clEvENKUlvE_clEvEUlddE_dEEDaPvRmT3_T4_T5_mT6_P12ihipStream_tbENKUlT_T0_E_clISt17integral_constantIbLb1EESW_EEDaSR_SS_EUlSR_E_NS1_11comp_targetILNS1_3genE0ELNS1_11target_archE4294967295ELNS1_3gpuE0ELNS1_3repE0EEENS1_30default_config_static_selectorELNS0_4arch9wavefront6targetE0EEEvT1_
		.amdhsa_group_segment_fixed_size 0
		.amdhsa_private_segment_fixed_size 0
		.amdhsa_kernarg_size 104
		.amdhsa_user_sgpr_count 2
		.amdhsa_user_sgpr_dispatch_ptr 0
		.amdhsa_user_sgpr_queue_ptr 0
		.amdhsa_user_sgpr_kernarg_segment_ptr 1
		.amdhsa_user_sgpr_dispatch_id 0
		.amdhsa_user_sgpr_private_segment_size 0
		.amdhsa_wavefront_size32 1
		.amdhsa_uses_dynamic_stack 0
		.amdhsa_enable_private_segment 0
		.amdhsa_system_sgpr_workgroup_id_x 1
		.amdhsa_system_sgpr_workgroup_id_y 0
		.amdhsa_system_sgpr_workgroup_id_z 0
		.amdhsa_system_sgpr_workgroup_info 0
		.amdhsa_system_vgpr_workitem_id 0
		.amdhsa_next_free_vgpr 1
		.amdhsa_next_free_sgpr 1
		.amdhsa_reserve_vcc 0
		.amdhsa_float_round_mode_32 0
		.amdhsa_float_round_mode_16_64 0
		.amdhsa_float_denorm_mode_32 3
		.amdhsa_float_denorm_mode_16_64 3
		.amdhsa_fp16_overflow 0
		.amdhsa_workgroup_processor_mode 1
		.amdhsa_memory_ordered 1
		.amdhsa_forward_progress 1
		.amdhsa_inst_pref_size 0
		.amdhsa_round_robin_scheduling 0
		.amdhsa_exception_fp_ieee_invalid_op 0
		.amdhsa_exception_fp_denorm_src 0
		.amdhsa_exception_fp_ieee_div_zero 0
		.amdhsa_exception_fp_ieee_overflow 0
		.amdhsa_exception_fp_ieee_underflow 0
		.amdhsa_exception_fp_ieee_inexact 0
		.amdhsa_exception_int_div_zero 0
	.end_amdhsa_kernel
	.section	.text._ZN7rocprim17ROCPRIM_400000_NS6detail17trampoline_kernelINS0_14default_configENS1_20scan_config_selectorIdEEZZNS1_9scan_implILNS1_25lookback_scan_determinismE0ELb0ELb0ES3_PKdPddZZZN2at6native31launch_logcumsumexp_cuda_kernelERKNSB_10TensorBaseESF_lENKUlvE_clEvENKUlvE_clEvEUlddE_dEEDaPvRmT3_T4_T5_mT6_P12ihipStream_tbENKUlT_T0_E_clISt17integral_constantIbLb1EESW_EEDaSR_SS_EUlSR_E_NS1_11comp_targetILNS1_3genE0ELNS1_11target_archE4294967295ELNS1_3gpuE0ELNS1_3repE0EEENS1_30default_config_static_selectorELNS0_4arch9wavefront6targetE0EEEvT1_,"axG",@progbits,_ZN7rocprim17ROCPRIM_400000_NS6detail17trampoline_kernelINS0_14default_configENS1_20scan_config_selectorIdEEZZNS1_9scan_implILNS1_25lookback_scan_determinismE0ELb0ELb0ES3_PKdPddZZZN2at6native31launch_logcumsumexp_cuda_kernelERKNSB_10TensorBaseESF_lENKUlvE_clEvENKUlvE_clEvEUlddE_dEEDaPvRmT3_T4_T5_mT6_P12ihipStream_tbENKUlT_T0_E_clISt17integral_constantIbLb1EESW_EEDaSR_SS_EUlSR_E_NS1_11comp_targetILNS1_3genE0ELNS1_11target_archE4294967295ELNS1_3gpuE0ELNS1_3repE0EEENS1_30default_config_static_selectorELNS0_4arch9wavefront6targetE0EEEvT1_,comdat
.Lfunc_end28:
	.size	_ZN7rocprim17ROCPRIM_400000_NS6detail17trampoline_kernelINS0_14default_configENS1_20scan_config_selectorIdEEZZNS1_9scan_implILNS1_25lookback_scan_determinismE0ELb0ELb0ES3_PKdPddZZZN2at6native31launch_logcumsumexp_cuda_kernelERKNSB_10TensorBaseESF_lENKUlvE_clEvENKUlvE_clEvEUlddE_dEEDaPvRmT3_T4_T5_mT6_P12ihipStream_tbENKUlT_T0_E_clISt17integral_constantIbLb1EESW_EEDaSR_SS_EUlSR_E_NS1_11comp_targetILNS1_3genE0ELNS1_11target_archE4294967295ELNS1_3gpuE0ELNS1_3repE0EEENS1_30default_config_static_selectorELNS0_4arch9wavefront6targetE0EEEvT1_, .Lfunc_end28-_ZN7rocprim17ROCPRIM_400000_NS6detail17trampoline_kernelINS0_14default_configENS1_20scan_config_selectorIdEEZZNS1_9scan_implILNS1_25lookback_scan_determinismE0ELb0ELb0ES3_PKdPddZZZN2at6native31launch_logcumsumexp_cuda_kernelERKNSB_10TensorBaseESF_lENKUlvE_clEvENKUlvE_clEvEUlddE_dEEDaPvRmT3_T4_T5_mT6_P12ihipStream_tbENKUlT_T0_E_clISt17integral_constantIbLb1EESW_EEDaSR_SS_EUlSR_E_NS1_11comp_targetILNS1_3genE0ELNS1_11target_archE4294967295ELNS1_3gpuE0ELNS1_3repE0EEENS1_30default_config_static_selectorELNS0_4arch9wavefront6targetE0EEEvT1_
                                        ; -- End function
	.set _ZN7rocprim17ROCPRIM_400000_NS6detail17trampoline_kernelINS0_14default_configENS1_20scan_config_selectorIdEEZZNS1_9scan_implILNS1_25lookback_scan_determinismE0ELb0ELb0ES3_PKdPddZZZN2at6native31launch_logcumsumexp_cuda_kernelERKNSB_10TensorBaseESF_lENKUlvE_clEvENKUlvE_clEvEUlddE_dEEDaPvRmT3_T4_T5_mT6_P12ihipStream_tbENKUlT_T0_E_clISt17integral_constantIbLb1EESW_EEDaSR_SS_EUlSR_E_NS1_11comp_targetILNS1_3genE0ELNS1_11target_archE4294967295ELNS1_3gpuE0ELNS1_3repE0EEENS1_30default_config_static_selectorELNS0_4arch9wavefront6targetE0EEEvT1_.num_vgpr, 0
	.set _ZN7rocprim17ROCPRIM_400000_NS6detail17trampoline_kernelINS0_14default_configENS1_20scan_config_selectorIdEEZZNS1_9scan_implILNS1_25lookback_scan_determinismE0ELb0ELb0ES3_PKdPddZZZN2at6native31launch_logcumsumexp_cuda_kernelERKNSB_10TensorBaseESF_lENKUlvE_clEvENKUlvE_clEvEUlddE_dEEDaPvRmT3_T4_T5_mT6_P12ihipStream_tbENKUlT_T0_E_clISt17integral_constantIbLb1EESW_EEDaSR_SS_EUlSR_E_NS1_11comp_targetILNS1_3genE0ELNS1_11target_archE4294967295ELNS1_3gpuE0ELNS1_3repE0EEENS1_30default_config_static_selectorELNS0_4arch9wavefront6targetE0EEEvT1_.num_agpr, 0
	.set _ZN7rocprim17ROCPRIM_400000_NS6detail17trampoline_kernelINS0_14default_configENS1_20scan_config_selectorIdEEZZNS1_9scan_implILNS1_25lookback_scan_determinismE0ELb0ELb0ES3_PKdPddZZZN2at6native31launch_logcumsumexp_cuda_kernelERKNSB_10TensorBaseESF_lENKUlvE_clEvENKUlvE_clEvEUlddE_dEEDaPvRmT3_T4_T5_mT6_P12ihipStream_tbENKUlT_T0_E_clISt17integral_constantIbLb1EESW_EEDaSR_SS_EUlSR_E_NS1_11comp_targetILNS1_3genE0ELNS1_11target_archE4294967295ELNS1_3gpuE0ELNS1_3repE0EEENS1_30default_config_static_selectorELNS0_4arch9wavefront6targetE0EEEvT1_.numbered_sgpr, 0
	.set _ZN7rocprim17ROCPRIM_400000_NS6detail17trampoline_kernelINS0_14default_configENS1_20scan_config_selectorIdEEZZNS1_9scan_implILNS1_25lookback_scan_determinismE0ELb0ELb0ES3_PKdPddZZZN2at6native31launch_logcumsumexp_cuda_kernelERKNSB_10TensorBaseESF_lENKUlvE_clEvENKUlvE_clEvEUlddE_dEEDaPvRmT3_T4_T5_mT6_P12ihipStream_tbENKUlT_T0_E_clISt17integral_constantIbLb1EESW_EEDaSR_SS_EUlSR_E_NS1_11comp_targetILNS1_3genE0ELNS1_11target_archE4294967295ELNS1_3gpuE0ELNS1_3repE0EEENS1_30default_config_static_selectorELNS0_4arch9wavefront6targetE0EEEvT1_.num_named_barrier, 0
	.set _ZN7rocprim17ROCPRIM_400000_NS6detail17trampoline_kernelINS0_14default_configENS1_20scan_config_selectorIdEEZZNS1_9scan_implILNS1_25lookback_scan_determinismE0ELb0ELb0ES3_PKdPddZZZN2at6native31launch_logcumsumexp_cuda_kernelERKNSB_10TensorBaseESF_lENKUlvE_clEvENKUlvE_clEvEUlddE_dEEDaPvRmT3_T4_T5_mT6_P12ihipStream_tbENKUlT_T0_E_clISt17integral_constantIbLb1EESW_EEDaSR_SS_EUlSR_E_NS1_11comp_targetILNS1_3genE0ELNS1_11target_archE4294967295ELNS1_3gpuE0ELNS1_3repE0EEENS1_30default_config_static_selectorELNS0_4arch9wavefront6targetE0EEEvT1_.private_seg_size, 0
	.set _ZN7rocprim17ROCPRIM_400000_NS6detail17trampoline_kernelINS0_14default_configENS1_20scan_config_selectorIdEEZZNS1_9scan_implILNS1_25lookback_scan_determinismE0ELb0ELb0ES3_PKdPddZZZN2at6native31launch_logcumsumexp_cuda_kernelERKNSB_10TensorBaseESF_lENKUlvE_clEvENKUlvE_clEvEUlddE_dEEDaPvRmT3_T4_T5_mT6_P12ihipStream_tbENKUlT_T0_E_clISt17integral_constantIbLb1EESW_EEDaSR_SS_EUlSR_E_NS1_11comp_targetILNS1_3genE0ELNS1_11target_archE4294967295ELNS1_3gpuE0ELNS1_3repE0EEENS1_30default_config_static_selectorELNS0_4arch9wavefront6targetE0EEEvT1_.uses_vcc, 0
	.set _ZN7rocprim17ROCPRIM_400000_NS6detail17trampoline_kernelINS0_14default_configENS1_20scan_config_selectorIdEEZZNS1_9scan_implILNS1_25lookback_scan_determinismE0ELb0ELb0ES3_PKdPddZZZN2at6native31launch_logcumsumexp_cuda_kernelERKNSB_10TensorBaseESF_lENKUlvE_clEvENKUlvE_clEvEUlddE_dEEDaPvRmT3_T4_T5_mT6_P12ihipStream_tbENKUlT_T0_E_clISt17integral_constantIbLb1EESW_EEDaSR_SS_EUlSR_E_NS1_11comp_targetILNS1_3genE0ELNS1_11target_archE4294967295ELNS1_3gpuE0ELNS1_3repE0EEENS1_30default_config_static_selectorELNS0_4arch9wavefront6targetE0EEEvT1_.uses_flat_scratch, 0
	.set _ZN7rocprim17ROCPRIM_400000_NS6detail17trampoline_kernelINS0_14default_configENS1_20scan_config_selectorIdEEZZNS1_9scan_implILNS1_25lookback_scan_determinismE0ELb0ELb0ES3_PKdPddZZZN2at6native31launch_logcumsumexp_cuda_kernelERKNSB_10TensorBaseESF_lENKUlvE_clEvENKUlvE_clEvEUlddE_dEEDaPvRmT3_T4_T5_mT6_P12ihipStream_tbENKUlT_T0_E_clISt17integral_constantIbLb1EESW_EEDaSR_SS_EUlSR_E_NS1_11comp_targetILNS1_3genE0ELNS1_11target_archE4294967295ELNS1_3gpuE0ELNS1_3repE0EEENS1_30default_config_static_selectorELNS0_4arch9wavefront6targetE0EEEvT1_.has_dyn_sized_stack, 0
	.set _ZN7rocprim17ROCPRIM_400000_NS6detail17trampoline_kernelINS0_14default_configENS1_20scan_config_selectorIdEEZZNS1_9scan_implILNS1_25lookback_scan_determinismE0ELb0ELb0ES3_PKdPddZZZN2at6native31launch_logcumsumexp_cuda_kernelERKNSB_10TensorBaseESF_lENKUlvE_clEvENKUlvE_clEvEUlddE_dEEDaPvRmT3_T4_T5_mT6_P12ihipStream_tbENKUlT_T0_E_clISt17integral_constantIbLb1EESW_EEDaSR_SS_EUlSR_E_NS1_11comp_targetILNS1_3genE0ELNS1_11target_archE4294967295ELNS1_3gpuE0ELNS1_3repE0EEENS1_30default_config_static_selectorELNS0_4arch9wavefront6targetE0EEEvT1_.has_recursion, 0
	.set _ZN7rocprim17ROCPRIM_400000_NS6detail17trampoline_kernelINS0_14default_configENS1_20scan_config_selectorIdEEZZNS1_9scan_implILNS1_25lookback_scan_determinismE0ELb0ELb0ES3_PKdPddZZZN2at6native31launch_logcumsumexp_cuda_kernelERKNSB_10TensorBaseESF_lENKUlvE_clEvENKUlvE_clEvEUlddE_dEEDaPvRmT3_T4_T5_mT6_P12ihipStream_tbENKUlT_T0_E_clISt17integral_constantIbLb1EESW_EEDaSR_SS_EUlSR_E_NS1_11comp_targetILNS1_3genE0ELNS1_11target_archE4294967295ELNS1_3gpuE0ELNS1_3repE0EEENS1_30default_config_static_selectorELNS0_4arch9wavefront6targetE0EEEvT1_.has_indirect_call, 0
	.section	.AMDGPU.csdata,"",@progbits
; Kernel info:
; codeLenInByte = 0
; TotalNumSgprs: 0
; NumVgprs: 0
; ScratchSize: 0
; MemoryBound: 0
; FloatMode: 240
; IeeeMode: 1
; LDSByteSize: 0 bytes/workgroup (compile time only)
; SGPRBlocks: 0
; VGPRBlocks: 0
; NumSGPRsForWavesPerEU: 1
; NumVGPRsForWavesPerEU: 1
; Occupancy: 16
; WaveLimiterHint : 0
; COMPUTE_PGM_RSRC2:SCRATCH_EN: 0
; COMPUTE_PGM_RSRC2:USER_SGPR: 2
; COMPUTE_PGM_RSRC2:TRAP_HANDLER: 0
; COMPUTE_PGM_RSRC2:TGID_X_EN: 1
; COMPUTE_PGM_RSRC2:TGID_Y_EN: 0
; COMPUTE_PGM_RSRC2:TGID_Z_EN: 0
; COMPUTE_PGM_RSRC2:TIDIG_COMP_CNT: 0
	.section	.text._ZN7rocprim17ROCPRIM_400000_NS6detail17trampoline_kernelINS0_14default_configENS1_20scan_config_selectorIdEEZZNS1_9scan_implILNS1_25lookback_scan_determinismE0ELb0ELb0ES3_PKdPddZZZN2at6native31launch_logcumsumexp_cuda_kernelERKNSB_10TensorBaseESF_lENKUlvE_clEvENKUlvE_clEvEUlddE_dEEDaPvRmT3_T4_T5_mT6_P12ihipStream_tbENKUlT_T0_E_clISt17integral_constantIbLb1EESW_EEDaSR_SS_EUlSR_E_NS1_11comp_targetILNS1_3genE5ELNS1_11target_archE942ELNS1_3gpuE9ELNS1_3repE0EEENS1_30default_config_static_selectorELNS0_4arch9wavefront6targetE0EEEvT1_,"axG",@progbits,_ZN7rocprim17ROCPRIM_400000_NS6detail17trampoline_kernelINS0_14default_configENS1_20scan_config_selectorIdEEZZNS1_9scan_implILNS1_25lookback_scan_determinismE0ELb0ELb0ES3_PKdPddZZZN2at6native31launch_logcumsumexp_cuda_kernelERKNSB_10TensorBaseESF_lENKUlvE_clEvENKUlvE_clEvEUlddE_dEEDaPvRmT3_T4_T5_mT6_P12ihipStream_tbENKUlT_T0_E_clISt17integral_constantIbLb1EESW_EEDaSR_SS_EUlSR_E_NS1_11comp_targetILNS1_3genE5ELNS1_11target_archE942ELNS1_3gpuE9ELNS1_3repE0EEENS1_30default_config_static_selectorELNS0_4arch9wavefront6targetE0EEEvT1_,comdat
	.globl	_ZN7rocprim17ROCPRIM_400000_NS6detail17trampoline_kernelINS0_14default_configENS1_20scan_config_selectorIdEEZZNS1_9scan_implILNS1_25lookback_scan_determinismE0ELb0ELb0ES3_PKdPddZZZN2at6native31launch_logcumsumexp_cuda_kernelERKNSB_10TensorBaseESF_lENKUlvE_clEvENKUlvE_clEvEUlddE_dEEDaPvRmT3_T4_T5_mT6_P12ihipStream_tbENKUlT_T0_E_clISt17integral_constantIbLb1EESW_EEDaSR_SS_EUlSR_E_NS1_11comp_targetILNS1_3genE5ELNS1_11target_archE942ELNS1_3gpuE9ELNS1_3repE0EEENS1_30default_config_static_selectorELNS0_4arch9wavefront6targetE0EEEvT1_ ; -- Begin function _ZN7rocprim17ROCPRIM_400000_NS6detail17trampoline_kernelINS0_14default_configENS1_20scan_config_selectorIdEEZZNS1_9scan_implILNS1_25lookback_scan_determinismE0ELb0ELb0ES3_PKdPddZZZN2at6native31launch_logcumsumexp_cuda_kernelERKNSB_10TensorBaseESF_lENKUlvE_clEvENKUlvE_clEvEUlddE_dEEDaPvRmT3_T4_T5_mT6_P12ihipStream_tbENKUlT_T0_E_clISt17integral_constantIbLb1EESW_EEDaSR_SS_EUlSR_E_NS1_11comp_targetILNS1_3genE5ELNS1_11target_archE942ELNS1_3gpuE9ELNS1_3repE0EEENS1_30default_config_static_selectorELNS0_4arch9wavefront6targetE0EEEvT1_
	.p2align	8
	.type	_ZN7rocprim17ROCPRIM_400000_NS6detail17trampoline_kernelINS0_14default_configENS1_20scan_config_selectorIdEEZZNS1_9scan_implILNS1_25lookback_scan_determinismE0ELb0ELb0ES3_PKdPddZZZN2at6native31launch_logcumsumexp_cuda_kernelERKNSB_10TensorBaseESF_lENKUlvE_clEvENKUlvE_clEvEUlddE_dEEDaPvRmT3_T4_T5_mT6_P12ihipStream_tbENKUlT_T0_E_clISt17integral_constantIbLb1EESW_EEDaSR_SS_EUlSR_E_NS1_11comp_targetILNS1_3genE5ELNS1_11target_archE942ELNS1_3gpuE9ELNS1_3repE0EEENS1_30default_config_static_selectorELNS0_4arch9wavefront6targetE0EEEvT1_,@function
_ZN7rocprim17ROCPRIM_400000_NS6detail17trampoline_kernelINS0_14default_configENS1_20scan_config_selectorIdEEZZNS1_9scan_implILNS1_25lookback_scan_determinismE0ELb0ELb0ES3_PKdPddZZZN2at6native31launch_logcumsumexp_cuda_kernelERKNSB_10TensorBaseESF_lENKUlvE_clEvENKUlvE_clEvEUlddE_dEEDaPvRmT3_T4_T5_mT6_P12ihipStream_tbENKUlT_T0_E_clISt17integral_constantIbLb1EESW_EEDaSR_SS_EUlSR_E_NS1_11comp_targetILNS1_3genE5ELNS1_11target_archE942ELNS1_3gpuE9ELNS1_3repE0EEENS1_30default_config_static_selectorELNS0_4arch9wavefront6targetE0EEEvT1_: ; @_ZN7rocprim17ROCPRIM_400000_NS6detail17trampoline_kernelINS0_14default_configENS1_20scan_config_selectorIdEEZZNS1_9scan_implILNS1_25lookback_scan_determinismE0ELb0ELb0ES3_PKdPddZZZN2at6native31launch_logcumsumexp_cuda_kernelERKNSB_10TensorBaseESF_lENKUlvE_clEvENKUlvE_clEvEUlddE_dEEDaPvRmT3_T4_T5_mT6_P12ihipStream_tbENKUlT_T0_E_clISt17integral_constantIbLb1EESW_EEDaSR_SS_EUlSR_E_NS1_11comp_targetILNS1_3genE5ELNS1_11target_archE942ELNS1_3gpuE9ELNS1_3repE0EEENS1_30default_config_static_selectorELNS0_4arch9wavefront6targetE0EEEvT1_
; %bb.0:
	.section	.rodata,"a",@progbits
	.p2align	6, 0x0
	.amdhsa_kernel _ZN7rocprim17ROCPRIM_400000_NS6detail17trampoline_kernelINS0_14default_configENS1_20scan_config_selectorIdEEZZNS1_9scan_implILNS1_25lookback_scan_determinismE0ELb0ELb0ES3_PKdPddZZZN2at6native31launch_logcumsumexp_cuda_kernelERKNSB_10TensorBaseESF_lENKUlvE_clEvENKUlvE_clEvEUlddE_dEEDaPvRmT3_T4_T5_mT6_P12ihipStream_tbENKUlT_T0_E_clISt17integral_constantIbLb1EESW_EEDaSR_SS_EUlSR_E_NS1_11comp_targetILNS1_3genE5ELNS1_11target_archE942ELNS1_3gpuE9ELNS1_3repE0EEENS1_30default_config_static_selectorELNS0_4arch9wavefront6targetE0EEEvT1_
		.amdhsa_group_segment_fixed_size 0
		.amdhsa_private_segment_fixed_size 0
		.amdhsa_kernarg_size 104
		.amdhsa_user_sgpr_count 2
		.amdhsa_user_sgpr_dispatch_ptr 0
		.amdhsa_user_sgpr_queue_ptr 0
		.amdhsa_user_sgpr_kernarg_segment_ptr 1
		.amdhsa_user_sgpr_dispatch_id 0
		.amdhsa_user_sgpr_private_segment_size 0
		.amdhsa_wavefront_size32 1
		.amdhsa_uses_dynamic_stack 0
		.amdhsa_enable_private_segment 0
		.amdhsa_system_sgpr_workgroup_id_x 1
		.amdhsa_system_sgpr_workgroup_id_y 0
		.amdhsa_system_sgpr_workgroup_id_z 0
		.amdhsa_system_sgpr_workgroup_info 0
		.amdhsa_system_vgpr_workitem_id 0
		.amdhsa_next_free_vgpr 1
		.amdhsa_next_free_sgpr 1
		.amdhsa_reserve_vcc 0
		.amdhsa_float_round_mode_32 0
		.amdhsa_float_round_mode_16_64 0
		.amdhsa_float_denorm_mode_32 3
		.amdhsa_float_denorm_mode_16_64 3
		.amdhsa_fp16_overflow 0
		.amdhsa_workgroup_processor_mode 1
		.amdhsa_memory_ordered 1
		.amdhsa_forward_progress 1
		.amdhsa_inst_pref_size 0
		.amdhsa_round_robin_scheduling 0
		.amdhsa_exception_fp_ieee_invalid_op 0
		.amdhsa_exception_fp_denorm_src 0
		.amdhsa_exception_fp_ieee_div_zero 0
		.amdhsa_exception_fp_ieee_overflow 0
		.amdhsa_exception_fp_ieee_underflow 0
		.amdhsa_exception_fp_ieee_inexact 0
		.amdhsa_exception_int_div_zero 0
	.end_amdhsa_kernel
	.section	.text._ZN7rocprim17ROCPRIM_400000_NS6detail17trampoline_kernelINS0_14default_configENS1_20scan_config_selectorIdEEZZNS1_9scan_implILNS1_25lookback_scan_determinismE0ELb0ELb0ES3_PKdPddZZZN2at6native31launch_logcumsumexp_cuda_kernelERKNSB_10TensorBaseESF_lENKUlvE_clEvENKUlvE_clEvEUlddE_dEEDaPvRmT3_T4_T5_mT6_P12ihipStream_tbENKUlT_T0_E_clISt17integral_constantIbLb1EESW_EEDaSR_SS_EUlSR_E_NS1_11comp_targetILNS1_3genE5ELNS1_11target_archE942ELNS1_3gpuE9ELNS1_3repE0EEENS1_30default_config_static_selectorELNS0_4arch9wavefront6targetE0EEEvT1_,"axG",@progbits,_ZN7rocprim17ROCPRIM_400000_NS6detail17trampoline_kernelINS0_14default_configENS1_20scan_config_selectorIdEEZZNS1_9scan_implILNS1_25lookback_scan_determinismE0ELb0ELb0ES3_PKdPddZZZN2at6native31launch_logcumsumexp_cuda_kernelERKNSB_10TensorBaseESF_lENKUlvE_clEvENKUlvE_clEvEUlddE_dEEDaPvRmT3_T4_T5_mT6_P12ihipStream_tbENKUlT_T0_E_clISt17integral_constantIbLb1EESW_EEDaSR_SS_EUlSR_E_NS1_11comp_targetILNS1_3genE5ELNS1_11target_archE942ELNS1_3gpuE9ELNS1_3repE0EEENS1_30default_config_static_selectorELNS0_4arch9wavefront6targetE0EEEvT1_,comdat
.Lfunc_end29:
	.size	_ZN7rocprim17ROCPRIM_400000_NS6detail17trampoline_kernelINS0_14default_configENS1_20scan_config_selectorIdEEZZNS1_9scan_implILNS1_25lookback_scan_determinismE0ELb0ELb0ES3_PKdPddZZZN2at6native31launch_logcumsumexp_cuda_kernelERKNSB_10TensorBaseESF_lENKUlvE_clEvENKUlvE_clEvEUlddE_dEEDaPvRmT3_T4_T5_mT6_P12ihipStream_tbENKUlT_T0_E_clISt17integral_constantIbLb1EESW_EEDaSR_SS_EUlSR_E_NS1_11comp_targetILNS1_3genE5ELNS1_11target_archE942ELNS1_3gpuE9ELNS1_3repE0EEENS1_30default_config_static_selectorELNS0_4arch9wavefront6targetE0EEEvT1_, .Lfunc_end29-_ZN7rocprim17ROCPRIM_400000_NS6detail17trampoline_kernelINS0_14default_configENS1_20scan_config_selectorIdEEZZNS1_9scan_implILNS1_25lookback_scan_determinismE0ELb0ELb0ES3_PKdPddZZZN2at6native31launch_logcumsumexp_cuda_kernelERKNSB_10TensorBaseESF_lENKUlvE_clEvENKUlvE_clEvEUlddE_dEEDaPvRmT3_T4_T5_mT6_P12ihipStream_tbENKUlT_T0_E_clISt17integral_constantIbLb1EESW_EEDaSR_SS_EUlSR_E_NS1_11comp_targetILNS1_3genE5ELNS1_11target_archE942ELNS1_3gpuE9ELNS1_3repE0EEENS1_30default_config_static_selectorELNS0_4arch9wavefront6targetE0EEEvT1_
                                        ; -- End function
	.set _ZN7rocprim17ROCPRIM_400000_NS6detail17trampoline_kernelINS0_14default_configENS1_20scan_config_selectorIdEEZZNS1_9scan_implILNS1_25lookback_scan_determinismE0ELb0ELb0ES3_PKdPddZZZN2at6native31launch_logcumsumexp_cuda_kernelERKNSB_10TensorBaseESF_lENKUlvE_clEvENKUlvE_clEvEUlddE_dEEDaPvRmT3_T4_T5_mT6_P12ihipStream_tbENKUlT_T0_E_clISt17integral_constantIbLb1EESW_EEDaSR_SS_EUlSR_E_NS1_11comp_targetILNS1_3genE5ELNS1_11target_archE942ELNS1_3gpuE9ELNS1_3repE0EEENS1_30default_config_static_selectorELNS0_4arch9wavefront6targetE0EEEvT1_.num_vgpr, 0
	.set _ZN7rocprim17ROCPRIM_400000_NS6detail17trampoline_kernelINS0_14default_configENS1_20scan_config_selectorIdEEZZNS1_9scan_implILNS1_25lookback_scan_determinismE0ELb0ELb0ES3_PKdPddZZZN2at6native31launch_logcumsumexp_cuda_kernelERKNSB_10TensorBaseESF_lENKUlvE_clEvENKUlvE_clEvEUlddE_dEEDaPvRmT3_T4_T5_mT6_P12ihipStream_tbENKUlT_T0_E_clISt17integral_constantIbLb1EESW_EEDaSR_SS_EUlSR_E_NS1_11comp_targetILNS1_3genE5ELNS1_11target_archE942ELNS1_3gpuE9ELNS1_3repE0EEENS1_30default_config_static_selectorELNS0_4arch9wavefront6targetE0EEEvT1_.num_agpr, 0
	.set _ZN7rocprim17ROCPRIM_400000_NS6detail17trampoline_kernelINS0_14default_configENS1_20scan_config_selectorIdEEZZNS1_9scan_implILNS1_25lookback_scan_determinismE0ELb0ELb0ES3_PKdPddZZZN2at6native31launch_logcumsumexp_cuda_kernelERKNSB_10TensorBaseESF_lENKUlvE_clEvENKUlvE_clEvEUlddE_dEEDaPvRmT3_T4_T5_mT6_P12ihipStream_tbENKUlT_T0_E_clISt17integral_constantIbLb1EESW_EEDaSR_SS_EUlSR_E_NS1_11comp_targetILNS1_3genE5ELNS1_11target_archE942ELNS1_3gpuE9ELNS1_3repE0EEENS1_30default_config_static_selectorELNS0_4arch9wavefront6targetE0EEEvT1_.numbered_sgpr, 0
	.set _ZN7rocprim17ROCPRIM_400000_NS6detail17trampoline_kernelINS0_14default_configENS1_20scan_config_selectorIdEEZZNS1_9scan_implILNS1_25lookback_scan_determinismE0ELb0ELb0ES3_PKdPddZZZN2at6native31launch_logcumsumexp_cuda_kernelERKNSB_10TensorBaseESF_lENKUlvE_clEvENKUlvE_clEvEUlddE_dEEDaPvRmT3_T4_T5_mT6_P12ihipStream_tbENKUlT_T0_E_clISt17integral_constantIbLb1EESW_EEDaSR_SS_EUlSR_E_NS1_11comp_targetILNS1_3genE5ELNS1_11target_archE942ELNS1_3gpuE9ELNS1_3repE0EEENS1_30default_config_static_selectorELNS0_4arch9wavefront6targetE0EEEvT1_.num_named_barrier, 0
	.set _ZN7rocprim17ROCPRIM_400000_NS6detail17trampoline_kernelINS0_14default_configENS1_20scan_config_selectorIdEEZZNS1_9scan_implILNS1_25lookback_scan_determinismE0ELb0ELb0ES3_PKdPddZZZN2at6native31launch_logcumsumexp_cuda_kernelERKNSB_10TensorBaseESF_lENKUlvE_clEvENKUlvE_clEvEUlddE_dEEDaPvRmT3_T4_T5_mT6_P12ihipStream_tbENKUlT_T0_E_clISt17integral_constantIbLb1EESW_EEDaSR_SS_EUlSR_E_NS1_11comp_targetILNS1_3genE5ELNS1_11target_archE942ELNS1_3gpuE9ELNS1_3repE0EEENS1_30default_config_static_selectorELNS0_4arch9wavefront6targetE0EEEvT1_.private_seg_size, 0
	.set _ZN7rocprim17ROCPRIM_400000_NS6detail17trampoline_kernelINS0_14default_configENS1_20scan_config_selectorIdEEZZNS1_9scan_implILNS1_25lookback_scan_determinismE0ELb0ELb0ES3_PKdPddZZZN2at6native31launch_logcumsumexp_cuda_kernelERKNSB_10TensorBaseESF_lENKUlvE_clEvENKUlvE_clEvEUlddE_dEEDaPvRmT3_T4_T5_mT6_P12ihipStream_tbENKUlT_T0_E_clISt17integral_constantIbLb1EESW_EEDaSR_SS_EUlSR_E_NS1_11comp_targetILNS1_3genE5ELNS1_11target_archE942ELNS1_3gpuE9ELNS1_3repE0EEENS1_30default_config_static_selectorELNS0_4arch9wavefront6targetE0EEEvT1_.uses_vcc, 0
	.set _ZN7rocprim17ROCPRIM_400000_NS6detail17trampoline_kernelINS0_14default_configENS1_20scan_config_selectorIdEEZZNS1_9scan_implILNS1_25lookback_scan_determinismE0ELb0ELb0ES3_PKdPddZZZN2at6native31launch_logcumsumexp_cuda_kernelERKNSB_10TensorBaseESF_lENKUlvE_clEvENKUlvE_clEvEUlddE_dEEDaPvRmT3_T4_T5_mT6_P12ihipStream_tbENKUlT_T0_E_clISt17integral_constantIbLb1EESW_EEDaSR_SS_EUlSR_E_NS1_11comp_targetILNS1_3genE5ELNS1_11target_archE942ELNS1_3gpuE9ELNS1_3repE0EEENS1_30default_config_static_selectorELNS0_4arch9wavefront6targetE0EEEvT1_.uses_flat_scratch, 0
	.set _ZN7rocprim17ROCPRIM_400000_NS6detail17trampoline_kernelINS0_14default_configENS1_20scan_config_selectorIdEEZZNS1_9scan_implILNS1_25lookback_scan_determinismE0ELb0ELb0ES3_PKdPddZZZN2at6native31launch_logcumsumexp_cuda_kernelERKNSB_10TensorBaseESF_lENKUlvE_clEvENKUlvE_clEvEUlddE_dEEDaPvRmT3_T4_T5_mT6_P12ihipStream_tbENKUlT_T0_E_clISt17integral_constantIbLb1EESW_EEDaSR_SS_EUlSR_E_NS1_11comp_targetILNS1_3genE5ELNS1_11target_archE942ELNS1_3gpuE9ELNS1_3repE0EEENS1_30default_config_static_selectorELNS0_4arch9wavefront6targetE0EEEvT1_.has_dyn_sized_stack, 0
	.set _ZN7rocprim17ROCPRIM_400000_NS6detail17trampoline_kernelINS0_14default_configENS1_20scan_config_selectorIdEEZZNS1_9scan_implILNS1_25lookback_scan_determinismE0ELb0ELb0ES3_PKdPddZZZN2at6native31launch_logcumsumexp_cuda_kernelERKNSB_10TensorBaseESF_lENKUlvE_clEvENKUlvE_clEvEUlddE_dEEDaPvRmT3_T4_T5_mT6_P12ihipStream_tbENKUlT_T0_E_clISt17integral_constantIbLb1EESW_EEDaSR_SS_EUlSR_E_NS1_11comp_targetILNS1_3genE5ELNS1_11target_archE942ELNS1_3gpuE9ELNS1_3repE0EEENS1_30default_config_static_selectorELNS0_4arch9wavefront6targetE0EEEvT1_.has_recursion, 0
	.set _ZN7rocprim17ROCPRIM_400000_NS6detail17trampoline_kernelINS0_14default_configENS1_20scan_config_selectorIdEEZZNS1_9scan_implILNS1_25lookback_scan_determinismE0ELb0ELb0ES3_PKdPddZZZN2at6native31launch_logcumsumexp_cuda_kernelERKNSB_10TensorBaseESF_lENKUlvE_clEvENKUlvE_clEvEUlddE_dEEDaPvRmT3_T4_T5_mT6_P12ihipStream_tbENKUlT_T0_E_clISt17integral_constantIbLb1EESW_EEDaSR_SS_EUlSR_E_NS1_11comp_targetILNS1_3genE5ELNS1_11target_archE942ELNS1_3gpuE9ELNS1_3repE0EEENS1_30default_config_static_selectorELNS0_4arch9wavefront6targetE0EEEvT1_.has_indirect_call, 0
	.section	.AMDGPU.csdata,"",@progbits
; Kernel info:
; codeLenInByte = 0
; TotalNumSgprs: 0
; NumVgprs: 0
; ScratchSize: 0
; MemoryBound: 0
; FloatMode: 240
; IeeeMode: 1
; LDSByteSize: 0 bytes/workgroup (compile time only)
; SGPRBlocks: 0
; VGPRBlocks: 0
; NumSGPRsForWavesPerEU: 1
; NumVGPRsForWavesPerEU: 1
; Occupancy: 16
; WaveLimiterHint : 0
; COMPUTE_PGM_RSRC2:SCRATCH_EN: 0
; COMPUTE_PGM_RSRC2:USER_SGPR: 2
; COMPUTE_PGM_RSRC2:TRAP_HANDLER: 0
; COMPUTE_PGM_RSRC2:TGID_X_EN: 1
; COMPUTE_PGM_RSRC2:TGID_Y_EN: 0
; COMPUTE_PGM_RSRC2:TGID_Z_EN: 0
; COMPUTE_PGM_RSRC2:TIDIG_COMP_CNT: 0
	.section	.text._ZN7rocprim17ROCPRIM_400000_NS6detail17trampoline_kernelINS0_14default_configENS1_20scan_config_selectorIdEEZZNS1_9scan_implILNS1_25lookback_scan_determinismE0ELb0ELb0ES3_PKdPddZZZN2at6native31launch_logcumsumexp_cuda_kernelERKNSB_10TensorBaseESF_lENKUlvE_clEvENKUlvE_clEvEUlddE_dEEDaPvRmT3_T4_T5_mT6_P12ihipStream_tbENKUlT_T0_E_clISt17integral_constantIbLb1EESW_EEDaSR_SS_EUlSR_E_NS1_11comp_targetILNS1_3genE4ELNS1_11target_archE910ELNS1_3gpuE8ELNS1_3repE0EEENS1_30default_config_static_selectorELNS0_4arch9wavefront6targetE0EEEvT1_,"axG",@progbits,_ZN7rocprim17ROCPRIM_400000_NS6detail17trampoline_kernelINS0_14default_configENS1_20scan_config_selectorIdEEZZNS1_9scan_implILNS1_25lookback_scan_determinismE0ELb0ELb0ES3_PKdPddZZZN2at6native31launch_logcumsumexp_cuda_kernelERKNSB_10TensorBaseESF_lENKUlvE_clEvENKUlvE_clEvEUlddE_dEEDaPvRmT3_T4_T5_mT6_P12ihipStream_tbENKUlT_T0_E_clISt17integral_constantIbLb1EESW_EEDaSR_SS_EUlSR_E_NS1_11comp_targetILNS1_3genE4ELNS1_11target_archE910ELNS1_3gpuE8ELNS1_3repE0EEENS1_30default_config_static_selectorELNS0_4arch9wavefront6targetE0EEEvT1_,comdat
	.globl	_ZN7rocprim17ROCPRIM_400000_NS6detail17trampoline_kernelINS0_14default_configENS1_20scan_config_selectorIdEEZZNS1_9scan_implILNS1_25lookback_scan_determinismE0ELb0ELb0ES3_PKdPddZZZN2at6native31launch_logcumsumexp_cuda_kernelERKNSB_10TensorBaseESF_lENKUlvE_clEvENKUlvE_clEvEUlddE_dEEDaPvRmT3_T4_T5_mT6_P12ihipStream_tbENKUlT_T0_E_clISt17integral_constantIbLb1EESW_EEDaSR_SS_EUlSR_E_NS1_11comp_targetILNS1_3genE4ELNS1_11target_archE910ELNS1_3gpuE8ELNS1_3repE0EEENS1_30default_config_static_selectorELNS0_4arch9wavefront6targetE0EEEvT1_ ; -- Begin function _ZN7rocprim17ROCPRIM_400000_NS6detail17trampoline_kernelINS0_14default_configENS1_20scan_config_selectorIdEEZZNS1_9scan_implILNS1_25lookback_scan_determinismE0ELb0ELb0ES3_PKdPddZZZN2at6native31launch_logcumsumexp_cuda_kernelERKNSB_10TensorBaseESF_lENKUlvE_clEvENKUlvE_clEvEUlddE_dEEDaPvRmT3_T4_T5_mT6_P12ihipStream_tbENKUlT_T0_E_clISt17integral_constantIbLb1EESW_EEDaSR_SS_EUlSR_E_NS1_11comp_targetILNS1_3genE4ELNS1_11target_archE910ELNS1_3gpuE8ELNS1_3repE0EEENS1_30default_config_static_selectorELNS0_4arch9wavefront6targetE0EEEvT1_
	.p2align	8
	.type	_ZN7rocprim17ROCPRIM_400000_NS6detail17trampoline_kernelINS0_14default_configENS1_20scan_config_selectorIdEEZZNS1_9scan_implILNS1_25lookback_scan_determinismE0ELb0ELb0ES3_PKdPddZZZN2at6native31launch_logcumsumexp_cuda_kernelERKNSB_10TensorBaseESF_lENKUlvE_clEvENKUlvE_clEvEUlddE_dEEDaPvRmT3_T4_T5_mT6_P12ihipStream_tbENKUlT_T0_E_clISt17integral_constantIbLb1EESW_EEDaSR_SS_EUlSR_E_NS1_11comp_targetILNS1_3genE4ELNS1_11target_archE910ELNS1_3gpuE8ELNS1_3repE0EEENS1_30default_config_static_selectorELNS0_4arch9wavefront6targetE0EEEvT1_,@function
_ZN7rocprim17ROCPRIM_400000_NS6detail17trampoline_kernelINS0_14default_configENS1_20scan_config_selectorIdEEZZNS1_9scan_implILNS1_25lookback_scan_determinismE0ELb0ELb0ES3_PKdPddZZZN2at6native31launch_logcumsumexp_cuda_kernelERKNSB_10TensorBaseESF_lENKUlvE_clEvENKUlvE_clEvEUlddE_dEEDaPvRmT3_T4_T5_mT6_P12ihipStream_tbENKUlT_T0_E_clISt17integral_constantIbLb1EESW_EEDaSR_SS_EUlSR_E_NS1_11comp_targetILNS1_3genE4ELNS1_11target_archE910ELNS1_3gpuE8ELNS1_3repE0EEENS1_30default_config_static_selectorELNS0_4arch9wavefront6targetE0EEEvT1_: ; @_ZN7rocprim17ROCPRIM_400000_NS6detail17trampoline_kernelINS0_14default_configENS1_20scan_config_selectorIdEEZZNS1_9scan_implILNS1_25lookback_scan_determinismE0ELb0ELb0ES3_PKdPddZZZN2at6native31launch_logcumsumexp_cuda_kernelERKNSB_10TensorBaseESF_lENKUlvE_clEvENKUlvE_clEvEUlddE_dEEDaPvRmT3_T4_T5_mT6_P12ihipStream_tbENKUlT_T0_E_clISt17integral_constantIbLb1EESW_EEDaSR_SS_EUlSR_E_NS1_11comp_targetILNS1_3genE4ELNS1_11target_archE910ELNS1_3gpuE8ELNS1_3repE0EEENS1_30default_config_static_selectorELNS0_4arch9wavefront6targetE0EEEvT1_
; %bb.0:
	.section	.rodata,"a",@progbits
	.p2align	6, 0x0
	.amdhsa_kernel _ZN7rocprim17ROCPRIM_400000_NS6detail17trampoline_kernelINS0_14default_configENS1_20scan_config_selectorIdEEZZNS1_9scan_implILNS1_25lookback_scan_determinismE0ELb0ELb0ES3_PKdPddZZZN2at6native31launch_logcumsumexp_cuda_kernelERKNSB_10TensorBaseESF_lENKUlvE_clEvENKUlvE_clEvEUlddE_dEEDaPvRmT3_T4_T5_mT6_P12ihipStream_tbENKUlT_T0_E_clISt17integral_constantIbLb1EESW_EEDaSR_SS_EUlSR_E_NS1_11comp_targetILNS1_3genE4ELNS1_11target_archE910ELNS1_3gpuE8ELNS1_3repE0EEENS1_30default_config_static_selectorELNS0_4arch9wavefront6targetE0EEEvT1_
		.amdhsa_group_segment_fixed_size 0
		.amdhsa_private_segment_fixed_size 0
		.amdhsa_kernarg_size 104
		.amdhsa_user_sgpr_count 2
		.amdhsa_user_sgpr_dispatch_ptr 0
		.amdhsa_user_sgpr_queue_ptr 0
		.amdhsa_user_sgpr_kernarg_segment_ptr 1
		.amdhsa_user_sgpr_dispatch_id 0
		.amdhsa_user_sgpr_private_segment_size 0
		.amdhsa_wavefront_size32 1
		.amdhsa_uses_dynamic_stack 0
		.amdhsa_enable_private_segment 0
		.amdhsa_system_sgpr_workgroup_id_x 1
		.amdhsa_system_sgpr_workgroup_id_y 0
		.amdhsa_system_sgpr_workgroup_id_z 0
		.amdhsa_system_sgpr_workgroup_info 0
		.amdhsa_system_vgpr_workitem_id 0
		.amdhsa_next_free_vgpr 1
		.amdhsa_next_free_sgpr 1
		.amdhsa_reserve_vcc 0
		.amdhsa_float_round_mode_32 0
		.amdhsa_float_round_mode_16_64 0
		.amdhsa_float_denorm_mode_32 3
		.amdhsa_float_denorm_mode_16_64 3
		.amdhsa_fp16_overflow 0
		.amdhsa_workgroup_processor_mode 1
		.amdhsa_memory_ordered 1
		.amdhsa_forward_progress 1
		.amdhsa_inst_pref_size 0
		.amdhsa_round_robin_scheduling 0
		.amdhsa_exception_fp_ieee_invalid_op 0
		.amdhsa_exception_fp_denorm_src 0
		.amdhsa_exception_fp_ieee_div_zero 0
		.amdhsa_exception_fp_ieee_overflow 0
		.amdhsa_exception_fp_ieee_underflow 0
		.amdhsa_exception_fp_ieee_inexact 0
		.amdhsa_exception_int_div_zero 0
	.end_amdhsa_kernel
	.section	.text._ZN7rocprim17ROCPRIM_400000_NS6detail17trampoline_kernelINS0_14default_configENS1_20scan_config_selectorIdEEZZNS1_9scan_implILNS1_25lookback_scan_determinismE0ELb0ELb0ES3_PKdPddZZZN2at6native31launch_logcumsumexp_cuda_kernelERKNSB_10TensorBaseESF_lENKUlvE_clEvENKUlvE_clEvEUlddE_dEEDaPvRmT3_T4_T5_mT6_P12ihipStream_tbENKUlT_T0_E_clISt17integral_constantIbLb1EESW_EEDaSR_SS_EUlSR_E_NS1_11comp_targetILNS1_3genE4ELNS1_11target_archE910ELNS1_3gpuE8ELNS1_3repE0EEENS1_30default_config_static_selectorELNS0_4arch9wavefront6targetE0EEEvT1_,"axG",@progbits,_ZN7rocprim17ROCPRIM_400000_NS6detail17trampoline_kernelINS0_14default_configENS1_20scan_config_selectorIdEEZZNS1_9scan_implILNS1_25lookback_scan_determinismE0ELb0ELb0ES3_PKdPddZZZN2at6native31launch_logcumsumexp_cuda_kernelERKNSB_10TensorBaseESF_lENKUlvE_clEvENKUlvE_clEvEUlddE_dEEDaPvRmT3_T4_T5_mT6_P12ihipStream_tbENKUlT_T0_E_clISt17integral_constantIbLb1EESW_EEDaSR_SS_EUlSR_E_NS1_11comp_targetILNS1_3genE4ELNS1_11target_archE910ELNS1_3gpuE8ELNS1_3repE0EEENS1_30default_config_static_selectorELNS0_4arch9wavefront6targetE0EEEvT1_,comdat
.Lfunc_end30:
	.size	_ZN7rocprim17ROCPRIM_400000_NS6detail17trampoline_kernelINS0_14default_configENS1_20scan_config_selectorIdEEZZNS1_9scan_implILNS1_25lookback_scan_determinismE0ELb0ELb0ES3_PKdPddZZZN2at6native31launch_logcumsumexp_cuda_kernelERKNSB_10TensorBaseESF_lENKUlvE_clEvENKUlvE_clEvEUlddE_dEEDaPvRmT3_T4_T5_mT6_P12ihipStream_tbENKUlT_T0_E_clISt17integral_constantIbLb1EESW_EEDaSR_SS_EUlSR_E_NS1_11comp_targetILNS1_3genE4ELNS1_11target_archE910ELNS1_3gpuE8ELNS1_3repE0EEENS1_30default_config_static_selectorELNS0_4arch9wavefront6targetE0EEEvT1_, .Lfunc_end30-_ZN7rocprim17ROCPRIM_400000_NS6detail17trampoline_kernelINS0_14default_configENS1_20scan_config_selectorIdEEZZNS1_9scan_implILNS1_25lookback_scan_determinismE0ELb0ELb0ES3_PKdPddZZZN2at6native31launch_logcumsumexp_cuda_kernelERKNSB_10TensorBaseESF_lENKUlvE_clEvENKUlvE_clEvEUlddE_dEEDaPvRmT3_T4_T5_mT6_P12ihipStream_tbENKUlT_T0_E_clISt17integral_constantIbLb1EESW_EEDaSR_SS_EUlSR_E_NS1_11comp_targetILNS1_3genE4ELNS1_11target_archE910ELNS1_3gpuE8ELNS1_3repE0EEENS1_30default_config_static_selectorELNS0_4arch9wavefront6targetE0EEEvT1_
                                        ; -- End function
	.set _ZN7rocprim17ROCPRIM_400000_NS6detail17trampoline_kernelINS0_14default_configENS1_20scan_config_selectorIdEEZZNS1_9scan_implILNS1_25lookback_scan_determinismE0ELb0ELb0ES3_PKdPddZZZN2at6native31launch_logcumsumexp_cuda_kernelERKNSB_10TensorBaseESF_lENKUlvE_clEvENKUlvE_clEvEUlddE_dEEDaPvRmT3_T4_T5_mT6_P12ihipStream_tbENKUlT_T0_E_clISt17integral_constantIbLb1EESW_EEDaSR_SS_EUlSR_E_NS1_11comp_targetILNS1_3genE4ELNS1_11target_archE910ELNS1_3gpuE8ELNS1_3repE0EEENS1_30default_config_static_selectorELNS0_4arch9wavefront6targetE0EEEvT1_.num_vgpr, 0
	.set _ZN7rocprim17ROCPRIM_400000_NS6detail17trampoline_kernelINS0_14default_configENS1_20scan_config_selectorIdEEZZNS1_9scan_implILNS1_25lookback_scan_determinismE0ELb0ELb0ES3_PKdPddZZZN2at6native31launch_logcumsumexp_cuda_kernelERKNSB_10TensorBaseESF_lENKUlvE_clEvENKUlvE_clEvEUlddE_dEEDaPvRmT3_T4_T5_mT6_P12ihipStream_tbENKUlT_T0_E_clISt17integral_constantIbLb1EESW_EEDaSR_SS_EUlSR_E_NS1_11comp_targetILNS1_3genE4ELNS1_11target_archE910ELNS1_3gpuE8ELNS1_3repE0EEENS1_30default_config_static_selectorELNS0_4arch9wavefront6targetE0EEEvT1_.num_agpr, 0
	.set _ZN7rocprim17ROCPRIM_400000_NS6detail17trampoline_kernelINS0_14default_configENS1_20scan_config_selectorIdEEZZNS1_9scan_implILNS1_25lookback_scan_determinismE0ELb0ELb0ES3_PKdPddZZZN2at6native31launch_logcumsumexp_cuda_kernelERKNSB_10TensorBaseESF_lENKUlvE_clEvENKUlvE_clEvEUlddE_dEEDaPvRmT3_T4_T5_mT6_P12ihipStream_tbENKUlT_T0_E_clISt17integral_constantIbLb1EESW_EEDaSR_SS_EUlSR_E_NS1_11comp_targetILNS1_3genE4ELNS1_11target_archE910ELNS1_3gpuE8ELNS1_3repE0EEENS1_30default_config_static_selectorELNS0_4arch9wavefront6targetE0EEEvT1_.numbered_sgpr, 0
	.set _ZN7rocprim17ROCPRIM_400000_NS6detail17trampoline_kernelINS0_14default_configENS1_20scan_config_selectorIdEEZZNS1_9scan_implILNS1_25lookback_scan_determinismE0ELb0ELb0ES3_PKdPddZZZN2at6native31launch_logcumsumexp_cuda_kernelERKNSB_10TensorBaseESF_lENKUlvE_clEvENKUlvE_clEvEUlddE_dEEDaPvRmT3_T4_T5_mT6_P12ihipStream_tbENKUlT_T0_E_clISt17integral_constantIbLb1EESW_EEDaSR_SS_EUlSR_E_NS1_11comp_targetILNS1_3genE4ELNS1_11target_archE910ELNS1_3gpuE8ELNS1_3repE0EEENS1_30default_config_static_selectorELNS0_4arch9wavefront6targetE0EEEvT1_.num_named_barrier, 0
	.set _ZN7rocprim17ROCPRIM_400000_NS6detail17trampoline_kernelINS0_14default_configENS1_20scan_config_selectorIdEEZZNS1_9scan_implILNS1_25lookback_scan_determinismE0ELb0ELb0ES3_PKdPddZZZN2at6native31launch_logcumsumexp_cuda_kernelERKNSB_10TensorBaseESF_lENKUlvE_clEvENKUlvE_clEvEUlddE_dEEDaPvRmT3_T4_T5_mT6_P12ihipStream_tbENKUlT_T0_E_clISt17integral_constantIbLb1EESW_EEDaSR_SS_EUlSR_E_NS1_11comp_targetILNS1_3genE4ELNS1_11target_archE910ELNS1_3gpuE8ELNS1_3repE0EEENS1_30default_config_static_selectorELNS0_4arch9wavefront6targetE0EEEvT1_.private_seg_size, 0
	.set _ZN7rocprim17ROCPRIM_400000_NS6detail17trampoline_kernelINS0_14default_configENS1_20scan_config_selectorIdEEZZNS1_9scan_implILNS1_25lookback_scan_determinismE0ELb0ELb0ES3_PKdPddZZZN2at6native31launch_logcumsumexp_cuda_kernelERKNSB_10TensorBaseESF_lENKUlvE_clEvENKUlvE_clEvEUlddE_dEEDaPvRmT3_T4_T5_mT6_P12ihipStream_tbENKUlT_T0_E_clISt17integral_constantIbLb1EESW_EEDaSR_SS_EUlSR_E_NS1_11comp_targetILNS1_3genE4ELNS1_11target_archE910ELNS1_3gpuE8ELNS1_3repE0EEENS1_30default_config_static_selectorELNS0_4arch9wavefront6targetE0EEEvT1_.uses_vcc, 0
	.set _ZN7rocprim17ROCPRIM_400000_NS6detail17trampoline_kernelINS0_14default_configENS1_20scan_config_selectorIdEEZZNS1_9scan_implILNS1_25lookback_scan_determinismE0ELb0ELb0ES3_PKdPddZZZN2at6native31launch_logcumsumexp_cuda_kernelERKNSB_10TensorBaseESF_lENKUlvE_clEvENKUlvE_clEvEUlddE_dEEDaPvRmT3_T4_T5_mT6_P12ihipStream_tbENKUlT_T0_E_clISt17integral_constantIbLb1EESW_EEDaSR_SS_EUlSR_E_NS1_11comp_targetILNS1_3genE4ELNS1_11target_archE910ELNS1_3gpuE8ELNS1_3repE0EEENS1_30default_config_static_selectorELNS0_4arch9wavefront6targetE0EEEvT1_.uses_flat_scratch, 0
	.set _ZN7rocprim17ROCPRIM_400000_NS6detail17trampoline_kernelINS0_14default_configENS1_20scan_config_selectorIdEEZZNS1_9scan_implILNS1_25lookback_scan_determinismE0ELb0ELb0ES3_PKdPddZZZN2at6native31launch_logcumsumexp_cuda_kernelERKNSB_10TensorBaseESF_lENKUlvE_clEvENKUlvE_clEvEUlddE_dEEDaPvRmT3_T4_T5_mT6_P12ihipStream_tbENKUlT_T0_E_clISt17integral_constantIbLb1EESW_EEDaSR_SS_EUlSR_E_NS1_11comp_targetILNS1_3genE4ELNS1_11target_archE910ELNS1_3gpuE8ELNS1_3repE0EEENS1_30default_config_static_selectorELNS0_4arch9wavefront6targetE0EEEvT1_.has_dyn_sized_stack, 0
	.set _ZN7rocprim17ROCPRIM_400000_NS6detail17trampoline_kernelINS0_14default_configENS1_20scan_config_selectorIdEEZZNS1_9scan_implILNS1_25lookback_scan_determinismE0ELb0ELb0ES3_PKdPddZZZN2at6native31launch_logcumsumexp_cuda_kernelERKNSB_10TensorBaseESF_lENKUlvE_clEvENKUlvE_clEvEUlddE_dEEDaPvRmT3_T4_T5_mT6_P12ihipStream_tbENKUlT_T0_E_clISt17integral_constantIbLb1EESW_EEDaSR_SS_EUlSR_E_NS1_11comp_targetILNS1_3genE4ELNS1_11target_archE910ELNS1_3gpuE8ELNS1_3repE0EEENS1_30default_config_static_selectorELNS0_4arch9wavefront6targetE0EEEvT1_.has_recursion, 0
	.set _ZN7rocprim17ROCPRIM_400000_NS6detail17trampoline_kernelINS0_14default_configENS1_20scan_config_selectorIdEEZZNS1_9scan_implILNS1_25lookback_scan_determinismE0ELb0ELb0ES3_PKdPddZZZN2at6native31launch_logcumsumexp_cuda_kernelERKNSB_10TensorBaseESF_lENKUlvE_clEvENKUlvE_clEvEUlddE_dEEDaPvRmT3_T4_T5_mT6_P12ihipStream_tbENKUlT_T0_E_clISt17integral_constantIbLb1EESW_EEDaSR_SS_EUlSR_E_NS1_11comp_targetILNS1_3genE4ELNS1_11target_archE910ELNS1_3gpuE8ELNS1_3repE0EEENS1_30default_config_static_selectorELNS0_4arch9wavefront6targetE0EEEvT1_.has_indirect_call, 0
	.section	.AMDGPU.csdata,"",@progbits
; Kernel info:
; codeLenInByte = 0
; TotalNumSgprs: 0
; NumVgprs: 0
; ScratchSize: 0
; MemoryBound: 0
; FloatMode: 240
; IeeeMode: 1
; LDSByteSize: 0 bytes/workgroup (compile time only)
; SGPRBlocks: 0
; VGPRBlocks: 0
; NumSGPRsForWavesPerEU: 1
; NumVGPRsForWavesPerEU: 1
; Occupancy: 16
; WaveLimiterHint : 0
; COMPUTE_PGM_RSRC2:SCRATCH_EN: 0
; COMPUTE_PGM_RSRC2:USER_SGPR: 2
; COMPUTE_PGM_RSRC2:TRAP_HANDLER: 0
; COMPUTE_PGM_RSRC2:TGID_X_EN: 1
; COMPUTE_PGM_RSRC2:TGID_Y_EN: 0
; COMPUTE_PGM_RSRC2:TGID_Z_EN: 0
; COMPUTE_PGM_RSRC2:TIDIG_COMP_CNT: 0
	.section	.text._ZN7rocprim17ROCPRIM_400000_NS6detail17trampoline_kernelINS0_14default_configENS1_20scan_config_selectorIdEEZZNS1_9scan_implILNS1_25lookback_scan_determinismE0ELb0ELb0ES3_PKdPddZZZN2at6native31launch_logcumsumexp_cuda_kernelERKNSB_10TensorBaseESF_lENKUlvE_clEvENKUlvE_clEvEUlddE_dEEDaPvRmT3_T4_T5_mT6_P12ihipStream_tbENKUlT_T0_E_clISt17integral_constantIbLb1EESW_EEDaSR_SS_EUlSR_E_NS1_11comp_targetILNS1_3genE3ELNS1_11target_archE908ELNS1_3gpuE7ELNS1_3repE0EEENS1_30default_config_static_selectorELNS0_4arch9wavefront6targetE0EEEvT1_,"axG",@progbits,_ZN7rocprim17ROCPRIM_400000_NS6detail17trampoline_kernelINS0_14default_configENS1_20scan_config_selectorIdEEZZNS1_9scan_implILNS1_25lookback_scan_determinismE0ELb0ELb0ES3_PKdPddZZZN2at6native31launch_logcumsumexp_cuda_kernelERKNSB_10TensorBaseESF_lENKUlvE_clEvENKUlvE_clEvEUlddE_dEEDaPvRmT3_T4_T5_mT6_P12ihipStream_tbENKUlT_T0_E_clISt17integral_constantIbLb1EESW_EEDaSR_SS_EUlSR_E_NS1_11comp_targetILNS1_3genE3ELNS1_11target_archE908ELNS1_3gpuE7ELNS1_3repE0EEENS1_30default_config_static_selectorELNS0_4arch9wavefront6targetE0EEEvT1_,comdat
	.globl	_ZN7rocprim17ROCPRIM_400000_NS6detail17trampoline_kernelINS0_14default_configENS1_20scan_config_selectorIdEEZZNS1_9scan_implILNS1_25lookback_scan_determinismE0ELb0ELb0ES3_PKdPddZZZN2at6native31launch_logcumsumexp_cuda_kernelERKNSB_10TensorBaseESF_lENKUlvE_clEvENKUlvE_clEvEUlddE_dEEDaPvRmT3_T4_T5_mT6_P12ihipStream_tbENKUlT_T0_E_clISt17integral_constantIbLb1EESW_EEDaSR_SS_EUlSR_E_NS1_11comp_targetILNS1_3genE3ELNS1_11target_archE908ELNS1_3gpuE7ELNS1_3repE0EEENS1_30default_config_static_selectorELNS0_4arch9wavefront6targetE0EEEvT1_ ; -- Begin function _ZN7rocprim17ROCPRIM_400000_NS6detail17trampoline_kernelINS0_14default_configENS1_20scan_config_selectorIdEEZZNS1_9scan_implILNS1_25lookback_scan_determinismE0ELb0ELb0ES3_PKdPddZZZN2at6native31launch_logcumsumexp_cuda_kernelERKNSB_10TensorBaseESF_lENKUlvE_clEvENKUlvE_clEvEUlddE_dEEDaPvRmT3_T4_T5_mT6_P12ihipStream_tbENKUlT_T0_E_clISt17integral_constantIbLb1EESW_EEDaSR_SS_EUlSR_E_NS1_11comp_targetILNS1_3genE3ELNS1_11target_archE908ELNS1_3gpuE7ELNS1_3repE0EEENS1_30default_config_static_selectorELNS0_4arch9wavefront6targetE0EEEvT1_
	.p2align	8
	.type	_ZN7rocprim17ROCPRIM_400000_NS6detail17trampoline_kernelINS0_14default_configENS1_20scan_config_selectorIdEEZZNS1_9scan_implILNS1_25lookback_scan_determinismE0ELb0ELb0ES3_PKdPddZZZN2at6native31launch_logcumsumexp_cuda_kernelERKNSB_10TensorBaseESF_lENKUlvE_clEvENKUlvE_clEvEUlddE_dEEDaPvRmT3_T4_T5_mT6_P12ihipStream_tbENKUlT_T0_E_clISt17integral_constantIbLb1EESW_EEDaSR_SS_EUlSR_E_NS1_11comp_targetILNS1_3genE3ELNS1_11target_archE908ELNS1_3gpuE7ELNS1_3repE0EEENS1_30default_config_static_selectorELNS0_4arch9wavefront6targetE0EEEvT1_,@function
_ZN7rocprim17ROCPRIM_400000_NS6detail17trampoline_kernelINS0_14default_configENS1_20scan_config_selectorIdEEZZNS1_9scan_implILNS1_25lookback_scan_determinismE0ELb0ELb0ES3_PKdPddZZZN2at6native31launch_logcumsumexp_cuda_kernelERKNSB_10TensorBaseESF_lENKUlvE_clEvENKUlvE_clEvEUlddE_dEEDaPvRmT3_T4_T5_mT6_P12ihipStream_tbENKUlT_T0_E_clISt17integral_constantIbLb1EESW_EEDaSR_SS_EUlSR_E_NS1_11comp_targetILNS1_3genE3ELNS1_11target_archE908ELNS1_3gpuE7ELNS1_3repE0EEENS1_30default_config_static_selectorELNS0_4arch9wavefront6targetE0EEEvT1_: ; @_ZN7rocprim17ROCPRIM_400000_NS6detail17trampoline_kernelINS0_14default_configENS1_20scan_config_selectorIdEEZZNS1_9scan_implILNS1_25lookback_scan_determinismE0ELb0ELb0ES3_PKdPddZZZN2at6native31launch_logcumsumexp_cuda_kernelERKNSB_10TensorBaseESF_lENKUlvE_clEvENKUlvE_clEvEUlddE_dEEDaPvRmT3_T4_T5_mT6_P12ihipStream_tbENKUlT_T0_E_clISt17integral_constantIbLb1EESW_EEDaSR_SS_EUlSR_E_NS1_11comp_targetILNS1_3genE3ELNS1_11target_archE908ELNS1_3gpuE7ELNS1_3repE0EEENS1_30default_config_static_selectorELNS0_4arch9wavefront6targetE0EEEvT1_
; %bb.0:
	.section	.rodata,"a",@progbits
	.p2align	6, 0x0
	.amdhsa_kernel _ZN7rocprim17ROCPRIM_400000_NS6detail17trampoline_kernelINS0_14default_configENS1_20scan_config_selectorIdEEZZNS1_9scan_implILNS1_25lookback_scan_determinismE0ELb0ELb0ES3_PKdPddZZZN2at6native31launch_logcumsumexp_cuda_kernelERKNSB_10TensorBaseESF_lENKUlvE_clEvENKUlvE_clEvEUlddE_dEEDaPvRmT3_T4_T5_mT6_P12ihipStream_tbENKUlT_T0_E_clISt17integral_constantIbLb1EESW_EEDaSR_SS_EUlSR_E_NS1_11comp_targetILNS1_3genE3ELNS1_11target_archE908ELNS1_3gpuE7ELNS1_3repE0EEENS1_30default_config_static_selectorELNS0_4arch9wavefront6targetE0EEEvT1_
		.amdhsa_group_segment_fixed_size 0
		.amdhsa_private_segment_fixed_size 0
		.amdhsa_kernarg_size 104
		.amdhsa_user_sgpr_count 2
		.amdhsa_user_sgpr_dispatch_ptr 0
		.amdhsa_user_sgpr_queue_ptr 0
		.amdhsa_user_sgpr_kernarg_segment_ptr 1
		.amdhsa_user_sgpr_dispatch_id 0
		.amdhsa_user_sgpr_private_segment_size 0
		.amdhsa_wavefront_size32 1
		.amdhsa_uses_dynamic_stack 0
		.amdhsa_enable_private_segment 0
		.amdhsa_system_sgpr_workgroup_id_x 1
		.amdhsa_system_sgpr_workgroup_id_y 0
		.amdhsa_system_sgpr_workgroup_id_z 0
		.amdhsa_system_sgpr_workgroup_info 0
		.amdhsa_system_vgpr_workitem_id 0
		.amdhsa_next_free_vgpr 1
		.amdhsa_next_free_sgpr 1
		.amdhsa_reserve_vcc 0
		.amdhsa_float_round_mode_32 0
		.amdhsa_float_round_mode_16_64 0
		.amdhsa_float_denorm_mode_32 3
		.amdhsa_float_denorm_mode_16_64 3
		.amdhsa_fp16_overflow 0
		.amdhsa_workgroup_processor_mode 1
		.amdhsa_memory_ordered 1
		.amdhsa_forward_progress 1
		.amdhsa_inst_pref_size 0
		.amdhsa_round_robin_scheduling 0
		.amdhsa_exception_fp_ieee_invalid_op 0
		.amdhsa_exception_fp_denorm_src 0
		.amdhsa_exception_fp_ieee_div_zero 0
		.amdhsa_exception_fp_ieee_overflow 0
		.amdhsa_exception_fp_ieee_underflow 0
		.amdhsa_exception_fp_ieee_inexact 0
		.amdhsa_exception_int_div_zero 0
	.end_amdhsa_kernel
	.section	.text._ZN7rocprim17ROCPRIM_400000_NS6detail17trampoline_kernelINS0_14default_configENS1_20scan_config_selectorIdEEZZNS1_9scan_implILNS1_25lookback_scan_determinismE0ELb0ELb0ES3_PKdPddZZZN2at6native31launch_logcumsumexp_cuda_kernelERKNSB_10TensorBaseESF_lENKUlvE_clEvENKUlvE_clEvEUlddE_dEEDaPvRmT3_T4_T5_mT6_P12ihipStream_tbENKUlT_T0_E_clISt17integral_constantIbLb1EESW_EEDaSR_SS_EUlSR_E_NS1_11comp_targetILNS1_3genE3ELNS1_11target_archE908ELNS1_3gpuE7ELNS1_3repE0EEENS1_30default_config_static_selectorELNS0_4arch9wavefront6targetE0EEEvT1_,"axG",@progbits,_ZN7rocprim17ROCPRIM_400000_NS6detail17trampoline_kernelINS0_14default_configENS1_20scan_config_selectorIdEEZZNS1_9scan_implILNS1_25lookback_scan_determinismE0ELb0ELb0ES3_PKdPddZZZN2at6native31launch_logcumsumexp_cuda_kernelERKNSB_10TensorBaseESF_lENKUlvE_clEvENKUlvE_clEvEUlddE_dEEDaPvRmT3_T4_T5_mT6_P12ihipStream_tbENKUlT_T0_E_clISt17integral_constantIbLb1EESW_EEDaSR_SS_EUlSR_E_NS1_11comp_targetILNS1_3genE3ELNS1_11target_archE908ELNS1_3gpuE7ELNS1_3repE0EEENS1_30default_config_static_selectorELNS0_4arch9wavefront6targetE0EEEvT1_,comdat
.Lfunc_end31:
	.size	_ZN7rocprim17ROCPRIM_400000_NS6detail17trampoline_kernelINS0_14default_configENS1_20scan_config_selectorIdEEZZNS1_9scan_implILNS1_25lookback_scan_determinismE0ELb0ELb0ES3_PKdPddZZZN2at6native31launch_logcumsumexp_cuda_kernelERKNSB_10TensorBaseESF_lENKUlvE_clEvENKUlvE_clEvEUlddE_dEEDaPvRmT3_T4_T5_mT6_P12ihipStream_tbENKUlT_T0_E_clISt17integral_constantIbLb1EESW_EEDaSR_SS_EUlSR_E_NS1_11comp_targetILNS1_3genE3ELNS1_11target_archE908ELNS1_3gpuE7ELNS1_3repE0EEENS1_30default_config_static_selectorELNS0_4arch9wavefront6targetE0EEEvT1_, .Lfunc_end31-_ZN7rocprim17ROCPRIM_400000_NS6detail17trampoline_kernelINS0_14default_configENS1_20scan_config_selectorIdEEZZNS1_9scan_implILNS1_25lookback_scan_determinismE0ELb0ELb0ES3_PKdPddZZZN2at6native31launch_logcumsumexp_cuda_kernelERKNSB_10TensorBaseESF_lENKUlvE_clEvENKUlvE_clEvEUlddE_dEEDaPvRmT3_T4_T5_mT6_P12ihipStream_tbENKUlT_T0_E_clISt17integral_constantIbLb1EESW_EEDaSR_SS_EUlSR_E_NS1_11comp_targetILNS1_3genE3ELNS1_11target_archE908ELNS1_3gpuE7ELNS1_3repE0EEENS1_30default_config_static_selectorELNS0_4arch9wavefront6targetE0EEEvT1_
                                        ; -- End function
	.set _ZN7rocprim17ROCPRIM_400000_NS6detail17trampoline_kernelINS0_14default_configENS1_20scan_config_selectorIdEEZZNS1_9scan_implILNS1_25lookback_scan_determinismE0ELb0ELb0ES3_PKdPddZZZN2at6native31launch_logcumsumexp_cuda_kernelERKNSB_10TensorBaseESF_lENKUlvE_clEvENKUlvE_clEvEUlddE_dEEDaPvRmT3_T4_T5_mT6_P12ihipStream_tbENKUlT_T0_E_clISt17integral_constantIbLb1EESW_EEDaSR_SS_EUlSR_E_NS1_11comp_targetILNS1_3genE3ELNS1_11target_archE908ELNS1_3gpuE7ELNS1_3repE0EEENS1_30default_config_static_selectorELNS0_4arch9wavefront6targetE0EEEvT1_.num_vgpr, 0
	.set _ZN7rocprim17ROCPRIM_400000_NS6detail17trampoline_kernelINS0_14default_configENS1_20scan_config_selectorIdEEZZNS1_9scan_implILNS1_25lookback_scan_determinismE0ELb0ELb0ES3_PKdPddZZZN2at6native31launch_logcumsumexp_cuda_kernelERKNSB_10TensorBaseESF_lENKUlvE_clEvENKUlvE_clEvEUlddE_dEEDaPvRmT3_T4_T5_mT6_P12ihipStream_tbENKUlT_T0_E_clISt17integral_constantIbLb1EESW_EEDaSR_SS_EUlSR_E_NS1_11comp_targetILNS1_3genE3ELNS1_11target_archE908ELNS1_3gpuE7ELNS1_3repE0EEENS1_30default_config_static_selectorELNS0_4arch9wavefront6targetE0EEEvT1_.num_agpr, 0
	.set _ZN7rocprim17ROCPRIM_400000_NS6detail17trampoline_kernelINS0_14default_configENS1_20scan_config_selectorIdEEZZNS1_9scan_implILNS1_25lookback_scan_determinismE0ELb0ELb0ES3_PKdPddZZZN2at6native31launch_logcumsumexp_cuda_kernelERKNSB_10TensorBaseESF_lENKUlvE_clEvENKUlvE_clEvEUlddE_dEEDaPvRmT3_T4_T5_mT6_P12ihipStream_tbENKUlT_T0_E_clISt17integral_constantIbLb1EESW_EEDaSR_SS_EUlSR_E_NS1_11comp_targetILNS1_3genE3ELNS1_11target_archE908ELNS1_3gpuE7ELNS1_3repE0EEENS1_30default_config_static_selectorELNS0_4arch9wavefront6targetE0EEEvT1_.numbered_sgpr, 0
	.set _ZN7rocprim17ROCPRIM_400000_NS6detail17trampoline_kernelINS0_14default_configENS1_20scan_config_selectorIdEEZZNS1_9scan_implILNS1_25lookback_scan_determinismE0ELb0ELb0ES3_PKdPddZZZN2at6native31launch_logcumsumexp_cuda_kernelERKNSB_10TensorBaseESF_lENKUlvE_clEvENKUlvE_clEvEUlddE_dEEDaPvRmT3_T4_T5_mT6_P12ihipStream_tbENKUlT_T0_E_clISt17integral_constantIbLb1EESW_EEDaSR_SS_EUlSR_E_NS1_11comp_targetILNS1_3genE3ELNS1_11target_archE908ELNS1_3gpuE7ELNS1_3repE0EEENS1_30default_config_static_selectorELNS0_4arch9wavefront6targetE0EEEvT1_.num_named_barrier, 0
	.set _ZN7rocprim17ROCPRIM_400000_NS6detail17trampoline_kernelINS0_14default_configENS1_20scan_config_selectorIdEEZZNS1_9scan_implILNS1_25lookback_scan_determinismE0ELb0ELb0ES3_PKdPddZZZN2at6native31launch_logcumsumexp_cuda_kernelERKNSB_10TensorBaseESF_lENKUlvE_clEvENKUlvE_clEvEUlddE_dEEDaPvRmT3_T4_T5_mT6_P12ihipStream_tbENKUlT_T0_E_clISt17integral_constantIbLb1EESW_EEDaSR_SS_EUlSR_E_NS1_11comp_targetILNS1_3genE3ELNS1_11target_archE908ELNS1_3gpuE7ELNS1_3repE0EEENS1_30default_config_static_selectorELNS0_4arch9wavefront6targetE0EEEvT1_.private_seg_size, 0
	.set _ZN7rocprim17ROCPRIM_400000_NS6detail17trampoline_kernelINS0_14default_configENS1_20scan_config_selectorIdEEZZNS1_9scan_implILNS1_25lookback_scan_determinismE0ELb0ELb0ES3_PKdPddZZZN2at6native31launch_logcumsumexp_cuda_kernelERKNSB_10TensorBaseESF_lENKUlvE_clEvENKUlvE_clEvEUlddE_dEEDaPvRmT3_T4_T5_mT6_P12ihipStream_tbENKUlT_T0_E_clISt17integral_constantIbLb1EESW_EEDaSR_SS_EUlSR_E_NS1_11comp_targetILNS1_3genE3ELNS1_11target_archE908ELNS1_3gpuE7ELNS1_3repE0EEENS1_30default_config_static_selectorELNS0_4arch9wavefront6targetE0EEEvT1_.uses_vcc, 0
	.set _ZN7rocprim17ROCPRIM_400000_NS6detail17trampoline_kernelINS0_14default_configENS1_20scan_config_selectorIdEEZZNS1_9scan_implILNS1_25lookback_scan_determinismE0ELb0ELb0ES3_PKdPddZZZN2at6native31launch_logcumsumexp_cuda_kernelERKNSB_10TensorBaseESF_lENKUlvE_clEvENKUlvE_clEvEUlddE_dEEDaPvRmT3_T4_T5_mT6_P12ihipStream_tbENKUlT_T0_E_clISt17integral_constantIbLb1EESW_EEDaSR_SS_EUlSR_E_NS1_11comp_targetILNS1_3genE3ELNS1_11target_archE908ELNS1_3gpuE7ELNS1_3repE0EEENS1_30default_config_static_selectorELNS0_4arch9wavefront6targetE0EEEvT1_.uses_flat_scratch, 0
	.set _ZN7rocprim17ROCPRIM_400000_NS6detail17trampoline_kernelINS0_14default_configENS1_20scan_config_selectorIdEEZZNS1_9scan_implILNS1_25lookback_scan_determinismE0ELb0ELb0ES3_PKdPddZZZN2at6native31launch_logcumsumexp_cuda_kernelERKNSB_10TensorBaseESF_lENKUlvE_clEvENKUlvE_clEvEUlddE_dEEDaPvRmT3_T4_T5_mT6_P12ihipStream_tbENKUlT_T0_E_clISt17integral_constantIbLb1EESW_EEDaSR_SS_EUlSR_E_NS1_11comp_targetILNS1_3genE3ELNS1_11target_archE908ELNS1_3gpuE7ELNS1_3repE0EEENS1_30default_config_static_selectorELNS0_4arch9wavefront6targetE0EEEvT1_.has_dyn_sized_stack, 0
	.set _ZN7rocprim17ROCPRIM_400000_NS6detail17trampoline_kernelINS0_14default_configENS1_20scan_config_selectorIdEEZZNS1_9scan_implILNS1_25lookback_scan_determinismE0ELb0ELb0ES3_PKdPddZZZN2at6native31launch_logcumsumexp_cuda_kernelERKNSB_10TensorBaseESF_lENKUlvE_clEvENKUlvE_clEvEUlddE_dEEDaPvRmT3_T4_T5_mT6_P12ihipStream_tbENKUlT_T0_E_clISt17integral_constantIbLb1EESW_EEDaSR_SS_EUlSR_E_NS1_11comp_targetILNS1_3genE3ELNS1_11target_archE908ELNS1_3gpuE7ELNS1_3repE0EEENS1_30default_config_static_selectorELNS0_4arch9wavefront6targetE0EEEvT1_.has_recursion, 0
	.set _ZN7rocprim17ROCPRIM_400000_NS6detail17trampoline_kernelINS0_14default_configENS1_20scan_config_selectorIdEEZZNS1_9scan_implILNS1_25lookback_scan_determinismE0ELb0ELb0ES3_PKdPddZZZN2at6native31launch_logcumsumexp_cuda_kernelERKNSB_10TensorBaseESF_lENKUlvE_clEvENKUlvE_clEvEUlddE_dEEDaPvRmT3_T4_T5_mT6_P12ihipStream_tbENKUlT_T0_E_clISt17integral_constantIbLb1EESW_EEDaSR_SS_EUlSR_E_NS1_11comp_targetILNS1_3genE3ELNS1_11target_archE908ELNS1_3gpuE7ELNS1_3repE0EEENS1_30default_config_static_selectorELNS0_4arch9wavefront6targetE0EEEvT1_.has_indirect_call, 0
	.section	.AMDGPU.csdata,"",@progbits
; Kernel info:
; codeLenInByte = 0
; TotalNumSgprs: 0
; NumVgprs: 0
; ScratchSize: 0
; MemoryBound: 0
; FloatMode: 240
; IeeeMode: 1
; LDSByteSize: 0 bytes/workgroup (compile time only)
; SGPRBlocks: 0
; VGPRBlocks: 0
; NumSGPRsForWavesPerEU: 1
; NumVGPRsForWavesPerEU: 1
; Occupancy: 16
; WaveLimiterHint : 0
; COMPUTE_PGM_RSRC2:SCRATCH_EN: 0
; COMPUTE_PGM_RSRC2:USER_SGPR: 2
; COMPUTE_PGM_RSRC2:TRAP_HANDLER: 0
; COMPUTE_PGM_RSRC2:TGID_X_EN: 1
; COMPUTE_PGM_RSRC2:TGID_Y_EN: 0
; COMPUTE_PGM_RSRC2:TGID_Z_EN: 0
; COMPUTE_PGM_RSRC2:TIDIG_COMP_CNT: 0
	.section	.text._ZN7rocprim17ROCPRIM_400000_NS6detail17trampoline_kernelINS0_14default_configENS1_20scan_config_selectorIdEEZZNS1_9scan_implILNS1_25lookback_scan_determinismE0ELb0ELb0ES3_PKdPddZZZN2at6native31launch_logcumsumexp_cuda_kernelERKNSB_10TensorBaseESF_lENKUlvE_clEvENKUlvE_clEvEUlddE_dEEDaPvRmT3_T4_T5_mT6_P12ihipStream_tbENKUlT_T0_E_clISt17integral_constantIbLb1EESW_EEDaSR_SS_EUlSR_E_NS1_11comp_targetILNS1_3genE2ELNS1_11target_archE906ELNS1_3gpuE6ELNS1_3repE0EEENS1_30default_config_static_selectorELNS0_4arch9wavefront6targetE0EEEvT1_,"axG",@progbits,_ZN7rocprim17ROCPRIM_400000_NS6detail17trampoline_kernelINS0_14default_configENS1_20scan_config_selectorIdEEZZNS1_9scan_implILNS1_25lookback_scan_determinismE0ELb0ELb0ES3_PKdPddZZZN2at6native31launch_logcumsumexp_cuda_kernelERKNSB_10TensorBaseESF_lENKUlvE_clEvENKUlvE_clEvEUlddE_dEEDaPvRmT3_T4_T5_mT6_P12ihipStream_tbENKUlT_T0_E_clISt17integral_constantIbLb1EESW_EEDaSR_SS_EUlSR_E_NS1_11comp_targetILNS1_3genE2ELNS1_11target_archE906ELNS1_3gpuE6ELNS1_3repE0EEENS1_30default_config_static_selectorELNS0_4arch9wavefront6targetE0EEEvT1_,comdat
	.globl	_ZN7rocprim17ROCPRIM_400000_NS6detail17trampoline_kernelINS0_14default_configENS1_20scan_config_selectorIdEEZZNS1_9scan_implILNS1_25lookback_scan_determinismE0ELb0ELb0ES3_PKdPddZZZN2at6native31launch_logcumsumexp_cuda_kernelERKNSB_10TensorBaseESF_lENKUlvE_clEvENKUlvE_clEvEUlddE_dEEDaPvRmT3_T4_T5_mT6_P12ihipStream_tbENKUlT_T0_E_clISt17integral_constantIbLb1EESW_EEDaSR_SS_EUlSR_E_NS1_11comp_targetILNS1_3genE2ELNS1_11target_archE906ELNS1_3gpuE6ELNS1_3repE0EEENS1_30default_config_static_selectorELNS0_4arch9wavefront6targetE0EEEvT1_ ; -- Begin function _ZN7rocprim17ROCPRIM_400000_NS6detail17trampoline_kernelINS0_14default_configENS1_20scan_config_selectorIdEEZZNS1_9scan_implILNS1_25lookback_scan_determinismE0ELb0ELb0ES3_PKdPddZZZN2at6native31launch_logcumsumexp_cuda_kernelERKNSB_10TensorBaseESF_lENKUlvE_clEvENKUlvE_clEvEUlddE_dEEDaPvRmT3_T4_T5_mT6_P12ihipStream_tbENKUlT_T0_E_clISt17integral_constantIbLb1EESW_EEDaSR_SS_EUlSR_E_NS1_11comp_targetILNS1_3genE2ELNS1_11target_archE906ELNS1_3gpuE6ELNS1_3repE0EEENS1_30default_config_static_selectorELNS0_4arch9wavefront6targetE0EEEvT1_
	.p2align	8
	.type	_ZN7rocprim17ROCPRIM_400000_NS6detail17trampoline_kernelINS0_14default_configENS1_20scan_config_selectorIdEEZZNS1_9scan_implILNS1_25lookback_scan_determinismE0ELb0ELb0ES3_PKdPddZZZN2at6native31launch_logcumsumexp_cuda_kernelERKNSB_10TensorBaseESF_lENKUlvE_clEvENKUlvE_clEvEUlddE_dEEDaPvRmT3_T4_T5_mT6_P12ihipStream_tbENKUlT_T0_E_clISt17integral_constantIbLb1EESW_EEDaSR_SS_EUlSR_E_NS1_11comp_targetILNS1_3genE2ELNS1_11target_archE906ELNS1_3gpuE6ELNS1_3repE0EEENS1_30default_config_static_selectorELNS0_4arch9wavefront6targetE0EEEvT1_,@function
_ZN7rocprim17ROCPRIM_400000_NS6detail17trampoline_kernelINS0_14default_configENS1_20scan_config_selectorIdEEZZNS1_9scan_implILNS1_25lookback_scan_determinismE0ELb0ELb0ES3_PKdPddZZZN2at6native31launch_logcumsumexp_cuda_kernelERKNSB_10TensorBaseESF_lENKUlvE_clEvENKUlvE_clEvEUlddE_dEEDaPvRmT3_T4_T5_mT6_P12ihipStream_tbENKUlT_T0_E_clISt17integral_constantIbLb1EESW_EEDaSR_SS_EUlSR_E_NS1_11comp_targetILNS1_3genE2ELNS1_11target_archE906ELNS1_3gpuE6ELNS1_3repE0EEENS1_30default_config_static_selectorELNS0_4arch9wavefront6targetE0EEEvT1_: ; @_ZN7rocprim17ROCPRIM_400000_NS6detail17trampoline_kernelINS0_14default_configENS1_20scan_config_selectorIdEEZZNS1_9scan_implILNS1_25lookback_scan_determinismE0ELb0ELb0ES3_PKdPddZZZN2at6native31launch_logcumsumexp_cuda_kernelERKNSB_10TensorBaseESF_lENKUlvE_clEvENKUlvE_clEvEUlddE_dEEDaPvRmT3_T4_T5_mT6_P12ihipStream_tbENKUlT_T0_E_clISt17integral_constantIbLb1EESW_EEDaSR_SS_EUlSR_E_NS1_11comp_targetILNS1_3genE2ELNS1_11target_archE906ELNS1_3gpuE6ELNS1_3repE0EEENS1_30default_config_static_selectorELNS0_4arch9wavefront6targetE0EEEvT1_
; %bb.0:
	.section	.rodata,"a",@progbits
	.p2align	6, 0x0
	.amdhsa_kernel _ZN7rocprim17ROCPRIM_400000_NS6detail17trampoline_kernelINS0_14default_configENS1_20scan_config_selectorIdEEZZNS1_9scan_implILNS1_25lookback_scan_determinismE0ELb0ELb0ES3_PKdPddZZZN2at6native31launch_logcumsumexp_cuda_kernelERKNSB_10TensorBaseESF_lENKUlvE_clEvENKUlvE_clEvEUlddE_dEEDaPvRmT3_T4_T5_mT6_P12ihipStream_tbENKUlT_T0_E_clISt17integral_constantIbLb1EESW_EEDaSR_SS_EUlSR_E_NS1_11comp_targetILNS1_3genE2ELNS1_11target_archE906ELNS1_3gpuE6ELNS1_3repE0EEENS1_30default_config_static_selectorELNS0_4arch9wavefront6targetE0EEEvT1_
		.amdhsa_group_segment_fixed_size 0
		.amdhsa_private_segment_fixed_size 0
		.amdhsa_kernarg_size 104
		.amdhsa_user_sgpr_count 2
		.amdhsa_user_sgpr_dispatch_ptr 0
		.amdhsa_user_sgpr_queue_ptr 0
		.amdhsa_user_sgpr_kernarg_segment_ptr 1
		.amdhsa_user_sgpr_dispatch_id 0
		.amdhsa_user_sgpr_private_segment_size 0
		.amdhsa_wavefront_size32 1
		.amdhsa_uses_dynamic_stack 0
		.amdhsa_enable_private_segment 0
		.amdhsa_system_sgpr_workgroup_id_x 1
		.amdhsa_system_sgpr_workgroup_id_y 0
		.amdhsa_system_sgpr_workgroup_id_z 0
		.amdhsa_system_sgpr_workgroup_info 0
		.amdhsa_system_vgpr_workitem_id 0
		.amdhsa_next_free_vgpr 1
		.amdhsa_next_free_sgpr 1
		.amdhsa_reserve_vcc 0
		.amdhsa_float_round_mode_32 0
		.amdhsa_float_round_mode_16_64 0
		.amdhsa_float_denorm_mode_32 3
		.amdhsa_float_denorm_mode_16_64 3
		.amdhsa_fp16_overflow 0
		.amdhsa_workgroup_processor_mode 1
		.amdhsa_memory_ordered 1
		.amdhsa_forward_progress 1
		.amdhsa_inst_pref_size 0
		.amdhsa_round_robin_scheduling 0
		.amdhsa_exception_fp_ieee_invalid_op 0
		.amdhsa_exception_fp_denorm_src 0
		.amdhsa_exception_fp_ieee_div_zero 0
		.amdhsa_exception_fp_ieee_overflow 0
		.amdhsa_exception_fp_ieee_underflow 0
		.amdhsa_exception_fp_ieee_inexact 0
		.amdhsa_exception_int_div_zero 0
	.end_amdhsa_kernel
	.section	.text._ZN7rocprim17ROCPRIM_400000_NS6detail17trampoline_kernelINS0_14default_configENS1_20scan_config_selectorIdEEZZNS1_9scan_implILNS1_25lookback_scan_determinismE0ELb0ELb0ES3_PKdPddZZZN2at6native31launch_logcumsumexp_cuda_kernelERKNSB_10TensorBaseESF_lENKUlvE_clEvENKUlvE_clEvEUlddE_dEEDaPvRmT3_T4_T5_mT6_P12ihipStream_tbENKUlT_T0_E_clISt17integral_constantIbLb1EESW_EEDaSR_SS_EUlSR_E_NS1_11comp_targetILNS1_3genE2ELNS1_11target_archE906ELNS1_3gpuE6ELNS1_3repE0EEENS1_30default_config_static_selectorELNS0_4arch9wavefront6targetE0EEEvT1_,"axG",@progbits,_ZN7rocprim17ROCPRIM_400000_NS6detail17trampoline_kernelINS0_14default_configENS1_20scan_config_selectorIdEEZZNS1_9scan_implILNS1_25lookback_scan_determinismE0ELb0ELb0ES3_PKdPddZZZN2at6native31launch_logcumsumexp_cuda_kernelERKNSB_10TensorBaseESF_lENKUlvE_clEvENKUlvE_clEvEUlddE_dEEDaPvRmT3_T4_T5_mT6_P12ihipStream_tbENKUlT_T0_E_clISt17integral_constantIbLb1EESW_EEDaSR_SS_EUlSR_E_NS1_11comp_targetILNS1_3genE2ELNS1_11target_archE906ELNS1_3gpuE6ELNS1_3repE0EEENS1_30default_config_static_selectorELNS0_4arch9wavefront6targetE0EEEvT1_,comdat
.Lfunc_end32:
	.size	_ZN7rocprim17ROCPRIM_400000_NS6detail17trampoline_kernelINS0_14default_configENS1_20scan_config_selectorIdEEZZNS1_9scan_implILNS1_25lookback_scan_determinismE0ELb0ELb0ES3_PKdPddZZZN2at6native31launch_logcumsumexp_cuda_kernelERKNSB_10TensorBaseESF_lENKUlvE_clEvENKUlvE_clEvEUlddE_dEEDaPvRmT3_T4_T5_mT6_P12ihipStream_tbENKUlT_T0_E_clISt17integral_constantIbLb1EESW_EEDaSR_SS_EUlSR_E_NS1_11comp_targetILNS1_3genE2ELNS1_11target_archE906ELNS1_3gpuE6ELNS1_3repE0EEENS1_30default_config_static_selectorELNS0_4arch9wavefront6targetE0EEEvT1_, .Lfunc_end32-_ZN7rocprim17ROCPRIM_400000_NS6detail17trampoline_kernelINS0_14default_configENS1_20scan_config_selectorIdEEZZNS1_9scan_implILNS1_25lookback_scan_determinismE0ELb0ELb0ES3_PKdPddZZZN2at6native31launch_logcumsumexp_cuda_kernelERKNSB_10TensorBaseESF_lENKUlvE_clEvENKUlvE_clEvEUlddE_dEEDaPvRmT3_T4_T5_mT6_P12ihipStream_tbENKUlT_T0_E_clISt17integral_constantIbLb1EESW_EEDaSR_SS_EUlSR_E_NS1_11comp_targetILNS1_3genE2ELNS1_11target_archE906ELNS1_3gpuE6ELNS1_3repE0EEENS1_30default_config_static_selectorELNS0_4arch9wavefront6targetE0EEEvT1_
                                        ; -- End function
	.set _ZN7rocprim17ROCPRIM_400000_NS6detail17trampoline_kernelINS0_14default_configENS1_20scan_config_selectorIdEEZZNS1_9scan_implILNS1_25lookback_scan_determinismE0ELb0ELb0ES3_PKdPddZZZN2at6native31launch_logcumsumexp_cuda_kernelERKNSB_10TensorBaseESF_lENKUlvE_clEvENKUlvE_clEvEUlddE_dEEDaPvRmT3_T4_T5_mT6_P12ihipStream_tbENKUlT_T0_E_clISt17integral_constantIbLb1EESW_EEDaSR_SS_EUlSR_E_NS1_11comp_targetILNS1_3genE2ELNS1_11target_archE906ELNS1_3gpuE6ELNS1_3repE0EEENS1_30default_config_static_selectorELNS0_4arch9wavefront6targetE0EEEvT1_.num_vgpr, 0
	.set _ZN7rocprim17ROCPRIM_400000_NS6detail17trampoline_kernelINS0_14default_configENS1_20scan_config_selectorIdEEZZNS1_9scan_implILNS1_25lookback_scan_determinismE0ELb0ELb0ES3_PKdPddZZZN2at6native31launch_logcumsumexp_cuda_kernelERKNSB_10TensorBaseESF_lENKUlvE_clEvENKUlvE_clEvEUlddE_dEEDaPvRmT3_T4_T5_mT6_P12ihipStream_tbENKUlT_T0_E_clISt17integral_constantIbLb1EESW_EEDaSR_SS_EUlSR_E_NS1_11comp_targetILNS1_3genE2ELNS1_11target_archE906ELNS1_3gpuE6ELNS1_3repE0EEENS1_30default_config_static_selectorELNS0_4arch9wavefront6targetE0EEEvT1_.num_agpr, 0
	.set _ZN7rocprim17ROCPRIM_400000_NS6detail17trampoline_kernelINS0_14default_configENS1_20scan_config_selectorIdEEZZNS1_9scan_implILNS1_25lookback_scan_determinismE0ELb0ELb0ES3_PKdPddZZZN2at6native31launch_logcumsumexp_cuda_kernelERKNSB_10TensorBaseESF_lENKUlvE_clEvENKUlvE_clEvEUlddE_dEEDaPvRmT3_T4_T5_mT6_P12ihipStream_tbENKUlT_T0_E_clISt17integral_constantIbLb1EESW_EEDaSR_SS_EUlSR_E_NS1_11comp_targetILNS1_3genE2ELNS1_11target_archE906ELNS1_3gpuE6ELNS1_3repE0EEENS1_30default_config_static_selectorELNS0_4arch9wavefront6targetE0EEEvT1_.numbered_sgpr, 0
	.set _ZN7rocprim17ROCPRIM_400000_NS6detail17trampoline_kernelINS0_14default_configENS1_20scan_config_selectorIdEEZZNS1_9scan_implILNS1_25lookback_scan_determinismE0ELb0ELb0ES3_PKdPddZZZN2at6native31launch_logcumsumexp_cuda_kernelERKNSB_10TensorBaseESF_lENKUlvE_clEvENKUlvE_clEvEUlddE_dEEDaPvRmT3_T4_T5_mT6_P12ihipStream_tbENKUlT_T0_E_clISt17integral_constantIbLb1EESW_EEDaSR_SS_EUlSR_E_NS1_11comp_targetILNS1_3genE2ELNS1_11target_archE906ELNS1_3gpuE6ELNS1_3repE0EEENS1_30default_config_static_selectorELNS0_4arch9wavefront6targetE0EEEvT1_.num_named_barrier, 0
	.set _ZN7rocprim17ROCPRIM_400000_NS6detail17trampoline_kernelINS0_14default_configENS1_20scan_config_selectorIdEEZZNS1_9scan_implILNS1_25lookback_scan_determinismE0ELb0ELb0ES3_PKdPddZZZN2at6native31launch_logcumsumexp_cuda_kernelERKNSB_10TensorBaseESF_lENKUlvE_clEvENKUlvE_clEvEUlddE_dEEDaPvRmT3_T4_T5_mT6_P12ihipStream_tbENKUlT_T0_E_clISt17integral_constantIbLb1EESW_EEDaSR_SS_EUlSR_E_NS1_11comp_targetILNS1_3genE2ELNS1_11target_archE906ELNS1_3gpuE6ELNS1_3repE0EEENS1_30default_config_static_selectorELNS0_4arch9wavefront6targetE0EEEvT1_.private_seg_size, 0
	.set _ZN7rocprim17ROCPRIM_400000_NS6detail17trampoline_kernelINS0_14default_configENS1_20scan_config_selectorIdEEZZNS1_9scan_implILNS1_25lookback_scan_determinismE0ELb0ELb0ES3_PKdPddZZZN2at6native31launch_logcumsumexp_cuda_kernelERKNSB_10TensorBaseESF_lENKUlvE_clEvENKUlvE_clEvEUlddE_dEEDaPvRmT3_T4_T5_mT6_P12ihipStream_tbENKUlT_T0_E_clISt17integral_constantIbLb1EESW_EEDaSR_SS_EUlSR_E_NS1_11comp_targetILNS1_3genE2ELNS1_11target_archE906ELNS1_3gpuE6ELNS1_3repE0EEENS1_30default_config_static_selectorELNS0_4arch9wavefront6targetE0EEEvT1_.uses_vcc, 0
	.set _ZN7rocprim17ROCPRIM_400000_NS6detail17trampoline_kernelINS0_14default_configENS1_20scan_config_selectorIdEEZZNS1_9scan_implILNS1_25lookback_scan_determinismE0ELb0ELb0ES3_PKdPddZZZN2at6native31launch_logcumsumexp_cuda_kernelERKNSB_10TensorBaseESF_lENKUlvE_clEvENKUlvE_clEvEUlddE_dEEDaPvRmT3_T4_T5_mT6_P12ihipStream_tbENKUlT_T0_E_clISt17integral_constantIbLb1EESW_EEDaSR_SS_EUlSR_E_NS1_11comp_targetILNS1_3genE2ELNS1_11target_archE906ELNS1_3gpuE6ELNS1_3repE0EEENS1_30default_config_static_selectorELNS0_4arch9wavefront6targetE0EEEvT1_.uses_flat_scratch, 0
	.set _ZN7rocprim17ROCPRIM_400000_NS6detail17trampoline_kernelINS0_14default_configENS1_20scan_config_selectorIdEEZZNS1_9scan_implILNS1_25lookback_scan_determinismE0ELb0ELb0ES3_PKdPddZZZN2at6native31launch_logcumsumexp_cuda_kernelERKNSB_10TensorBaseESF_lENKUlvE_clEvENKUlvE_clEvEUlddE_dEEDaPvRmT3_T4_T5_mT6_P12ihipStream_tbENKUlT_T0_E_clISt17integral_constantIbLb1EESW_EEDaSR_SS_EUlSR_E_NS1_11comp_targetILNS1_3genE2ELNS1_11target_archE906ELNS1_3gpuE6ELNS1_3repE0EEENS1_30default_config_static_selectorELNS0_4arch9wavefront6targetE0EEEvT1_.has_dyn_sized_stack, 0
	.set _ZN7rocprim17ROCPRIM_400000_NS6detail17trampoline_kernelINS0_14default_configENS1_20scan_config_selectorIdEEZZNS1_9scan_implILNS1_25lookback_scan_determinismE0ELb0ELb0ES3_PKdPddZZZN2at6native31launch_logcumsumexp_cuda_kernelERKNSB_10TensorBaseESF_lENKUlvE_clEvENKUlvE_clEvEUlddE_dEEDaPvRmT3_T4_T5_mT6_P12ihipStream_tbENKUlT_T0_E_clISt17integral_constantIbLb1EESW_EEDaSR_SS_EUlSR_E_NS1_11comp_targetILNS1_3genE2ELNS1_11target_archE906ELNS1_3gpuE6ELNS1_3repE0EEENS1_30default_config_static_selectorELNS0_4arch9wavefront6targetE0EEEvT1_.has_recursion, 0
	.set _ZN7rocprim17ROCPRIM_400000_NS6detail17trampoline_kernelINS0_14default_configENS1_20scan_config_selectorIdEEZZNS1_9scan_implILNS1_25lookback_scan_determinismE0ELb0ELb0ES3_PKdPddZZZN2at6native31launch_logcumsumexp_cuda_kernelERKNSB_10TensorBaseESF_lENKUlvE_clEvENKUlvE_clEvEUlddE_dEEDaPvRmT3_T4_T5_mT6_P12ihipStream_tbENKUlT_T0_E_clISt17integral_constantIbLb1EESW_EEDaSR_SS_EUlSR_E_NS1_11comp_targetILNS1_3genE2ELNS1_11target_archE906ELNS1_3gpuE6ELNS1_3repE0EEENS1_30default_config_static_selectorELNS0_4arch9wavefront6targetE0EEEvT1_.has_indirect_call, 0
	.section	.AMDGPU.csdata,"",@progbits
; Kernel info:
; codeLenInByte = 0
; TotalNumSgprs: 0
; NumVgprs: 0
; ScratchSize: 0
; MemoryBound: 0
; FloatMode: 240
; IeeeMode: 1
; LDSByteSize: 0 bytes/workgroup (compile time only)
; SGPRBlocks: 0
; VGPRBlocks: 0
; NumSGPRsForWavesPerEU: 1
; NumVGPRsForWavesPerEU: 1
; Occupancy: 16
; WaveLimiterHint : 0
; COMPUTE_PGM_RSRC2:SCRATCH_EN: 0
; COMPUTE_PGM_RSRC2:USER_SGPR: 2
; COMPUTE_PGM_RSRC2:TRAP_HANDLER: 0
; COMPUTE_PGM_RSRC2:TGID_X_EN: 1
; COMPUTE_PGM_RSRC2:TGID_Y_EN: 0
; COMPUTE_PGM_RSRC2:TGID_Z_EN: 0
; COMPUTE_PGM_RSRC2:TIDIG_COMP_CNT: 0
	.section	.text._ZN7rocprim17ROCPRIM_400000_NS6detail17trampoline_kernelINS0_14default_configENS1_20scan_config_selectorIdEEZZNS1_9scan_implILNS1_25lookback_scan_determinismE0ELb0ELb0ES3_PKdPddZZZN2at6native31launch_logcumsumexp_cuda_kernelERKNSB_10TensorBaseESF_lENKUlvE_clEvENKUlvE_clEvEUlddE_dEEDaPvRmT3_T4_T5_mT6_P12ihipStream_tbENKUlT_T0_E_clISt17integral_constantIbLb1EESW_EEDaSR_SS_EUlSR_E_NS1_11comp_targetILNS1_3genE10ELNS1_11target_archE1201ELNS1_3gpuE5ELNS1_3repE0EEENS1_30default_config_static_selectorELNS0_4arch9wavefront6targetE0EEEvT1_,"axG",@progbits,_ZN7rocprim17ROCPRIM_400000_NS6detail17trampoline_kernelINS0_14default_configENS1_20scan_config_selectorIdEEZZNS1_9scan_implILNS1_25lookback_scan_determinismE0ELb0ELb0ES3_PKdPddZZZN2at6native31launch_logcumsumexp_cuda_kernelERKNSB_10TensorBaseESF_lENKUlvE_clEvENKUlvE_clEvEUlddE_dEEDaPvRmT3_T4_T5_mT6_P12ihipStream_tbENKUlT_T0_E_clISt17integral_constantIbLb1EESW_EEDaSR_SS_EUlSR_E_NS1_11comp_targetILNS1_3genE10ELNS1_11target_archE1201ELNS1_3gpuE5ELNS1_3repE0EEENS1_30default_config_static_selectorELNS0_4arch9wavefront6targetE0EEEvT1_,comdat
	.globl	_ZN7rocprim17ROCPRIM_400000_NS6detail17trampoline_kernelINS0_14default_configENS1_20scan_config_selectorIdEEZZNS1_9scan_implILNS1_25lookback_scan_determinismE0ELb0ELb0ES3_PKdPddZZZN2at6native31launch_logcumsumexp_cuda_kernelERKNSB_10TensorBaseESF_lENKUlvE_clEvENKUlvE_clEvEUlddE_dEEDaPvRmT3_T4_T5_mT6_P12ihipStream_tbENKUlT_T0_E_clISt17integral_constantIbLb1EESW_EEDaSR_SS_EUlSR_E_NS1_11comp_targetILNS1_3genE10ELNS1_11target_archE1201ELNS1_3gpuE5ELNS1_3repE0EEENS1_30default_config_static_selectorELNS0_4arch9wavefront6targetE0EEEvT1_ ; -- Begin function _ZN7rocprim17ROCPRIM_400000_NS6detail17trampoline_kernelINS0_14default_configENS1_20scan_config_selectorIdEEZZNS1_9scan_implILNS1_25lookback_scan_determinismE0ELb0ELb0ES3_PKdPddZZZN2at6native31launch_logcumsumexp_cuda_kernelERKNSB_10TensorBaseESF_lENKUlvE_clEvENKUlvE_clEvEUlddE_dEEDaPvRmT3_T4_T5_mT6_P12ihipStream_tbENKUlT_T0_E_clISt17integral_constantIbLb1EESW_EEDaSR_SS_EUlSR_E_NS1_11comp_targetILNS1_3genE10ELNS1_11target_archE1201ELNS1_3gpuE5ELNS1_3repE0EEENS1_30default_config_static_selectorELNS0_4arch9wavefront6targetE0EEEvT1_
	.p2align	8
	.type	_ZN7rocprim17ROCPRIM_400000_NS6detail17trampoline_kernelINS0_14default_configENS1_20scan_config_selectorIdEEZZNS1_9scan_implILNS1_25lookback_scan_determinismE0ELb0ELb0ES3_PKdPddZZZN2at6native31launch_logcumsumexp_cuda_kernelERKNSB_10TensorBaseESF_lENKUlvE_clEvENKUlvE_clEvEUlddE_dEEDaPvRmT3_T4_T5_mT6_P12ihipStream_tbENKUlT_T0_E_clISt17integral_constantIbLb1EESW_EEDaSR_SS_EUlSR_E_NS1_11comp_targetILNS1_3genE10ELNS1_11target_archE1201ELNS1_3gpuE5ELNS1_3repE0EEENS1_30default_config_static_selectorELNS0_4arch9wavefront6targetE0EEEvT1_,@function
_ZN7rocprim17ROCPRIM_400000_NS6detail17trampoline_kernelINS0_14default_configENS1_20scan_config_selectorIdEEZZNS1_9scan_implILNS1_25lookback_scan_determinismE0ELb0ELb0ES3_PKdPddZZZN2at6native31launch_logcumsumexp_cuda_kernelERKNSB_10TensorBaseESF_lENKUlvE_clEvENKUlvE_clEvEUlddE_dEEDaPvRmT3_T4_T5_mT6_P12ihipStream_tbENKUlT_T0_E_clISt17integral_constantIbLb1EESW_EEDaSR_SS_EUlSR_E_NS1_11comp_targetILNS1_3genE10ELNS1_11target_archE1201ELNS1_3gpuE5ELNS1_3repE0EEENS1_30default_config_static_selectorELNS0_4arch9wavefront6targetE0EEEvT1_: ; @_ZN7rocprim17ROCPRIM_400000_NS6detail17trampoline_kernelINS0_14default_configENS1_20scan_config_selectorIdEEZZNS1_9scan_implILNS1_25lookback_scan_determinismE0ELb0ELb0ES3_PKdPddZZZN2at6native31launch_logcumsumexp_cuda_kernelERKNSB_10TensorBaseESF_lENKUlvE_clEvENKUlvE_clEvEUlddE_dEEDaPvRmT3_T4_T5_mT6_P12ihipStream_tbENKUlT_T0_E_clISt17integral_constantIbLb1EESW_EEDaSR_SS_EUlSR_E_NS1_11comp_targetILNS1_3genE10ELNS1_11target_archE1201ELNS1_3gpuE5ELNS1_3repE0EEENS1_30default_config_static_selectorELNS0_4arch9wavefront6targetE0EEEvT1_
; %bb.0:
	s_endpgm
	.section	.rodata,"a",@progbits
	.p2align	6, 0x0
	.amdhsa_kernel _ZN7rocprim17ROCPRIM_400000_NS6detail17trampoline_kernelINS0_14default_configENS1_20scan_config_selectorIdEEZZNS1_9scan_implILNS1_25lookback_scan_determinismE0ELb0ELb0ES3_PKdPddZZZN2at6native31launch_logcumsumexp_cuda_kernelERKNSB_10TensorBaseESF_lENKUlvE_clEvENKUlvE_clEvEUlddE_dEEDaPvRmT3_T4_T5_mT6_P12ihipStream_tbENKUlT_T0_E_clISt17integral_constantIbLb1EESW_EEDaSR_SS_EUlSR_E_NS1_11comp_targetILNS1_3genE10ELNS1_11target_archE1201ELNS1_3gpuE5ELNS1_3repE0EEENS1_30default_config_static_selectorELNS0_4arch9wavefront6targetE0EEEvT1_
		.amdhsa_group_segment_fixed_size 0
		.amdhsa_private_segment_fixed_size 0
		.amdhsa_kernarg_size 104
		.amdhsa_user_sgpr_count 2
		.amdhsa_user_sgpr_dispatch_ptr 0
		.amdhsa_user_sgpr_queue_ptr 0
		.amdhsa_user_sgpr_kernarg_segment_ptr 1
		.amdhsa_user_sgpr_dispatch_id 0
		.amdhsa_user_sgpr_private_segment_size 0
		.amdhsa_wavefront_size32 1
		.amdhsa_uses_dynamic_stack 0
		.amdhsa_enable_private_segment 0
		.amdhsa_system_sgpr_workgroup_id_x 1
		.amdhsa_system_sgpr_workgroup_id_y 0
		.amdhsa_system_sgpr_workgroup_id_z 0
		.amdhsa_system_sgpr_workgroup_info 0
		.amdhsa_system_vgpr_workitem_id 0
		.amdhsa_next_free_vgpr 1
		.amdhsa_next_free_sgpr 1
		.amdhsa_reserve_vcc 0
		.amdhsa_float_round_mode_32 0
		.amdhsa_float_round_mode_16_64 0
		.amdhsa_float_denorm_mode_32 3
		.amdhsa_float_denorm_mode_16_64 3
		.amdhsa_fp16_overflow 0
		.amdhsa_workgroup_processor_mode 1
		.amdhsa_memory_ordered 1
		.amdhsa_forward_progress 1
		.amdhsa_inst_pref_size 1
		.amdhsa_round_robin_scheduling 0
		.amdhsa_exception_fp_ieee_invalid_op 0
		.amdhsa_exception_fp_denorm_src 0
		.amdhsa_exception_fp_ieee_div_zero 0
		.amdhsa_exception_fp_ieee_overflow 0
		.amdhsa_exception_fp_ieee_underflow 0
		.amdhsa_exception_fp_ieee_inexact 0
		.amdhsa_exception_int_div_zero 0
	.end_amdhsa_kernel
	.section	.text._ZN7rocprim17ROCPRIM_400000_NS6detail17trampoline_kernelINS0_14default_configENS1_20scan_config_selectorIdEEZZNS1_9scan_implILNS1_25lookback_scan_determinismE0ELb0ELb0ES3_PKdPddZZZN2at6native31launch_logcumsumexp_cuda_kernelERKNSB_10TensorBaseESF_lENKUlvE_clEvENKUlvE_clEvEUlddE_dEEDaPvRmT3_T4_T5_mT6_P12ihipStream_tbENKUlT_T0_E_clISt17integral_constantIbLb1EESW_EEDaSR_SS_EUlSR_E_NS1_11comp_targetILNS1_3genE10ELNS1_11target_archE1201ELNS1_3gpuE5ELNS1_3repE0EEENS1_30default_config_static_selectorELNS0_4arch9wavefront6targetE0EEEvT1_,"axG",@progbits,_ZN7rocprim17ROCPRIM_400000_NS6detail17trampoline_kernelINS0_14default_configENS1_20scan_config_selectorIdEEZZNS1_9scan_implILNS1_25lookback_scan_determinismE0ELb0ELb0ES3_PKdPddZZZN2at6native31launch_logcumsumexp_cuda_kernelERKNSB_10TensorBaseESF_lENKUlvE_clEvENKUlvE_clEvEUlddE_dEEDaPvRmT3_T4_T5_mT6_P12ihipStream_tbENKUlT_T0_E_clISt17integral_constantIbLb1EESW_EEDaSR_SS_EUlSR_E_NS1_11comp_targetILNS1_3genE10ELNS1_11target_archE1201ELNS1_3gpuE5ELNS1_3repE0EEENS1_30default_config_static_selectorELNS0_4arch9wavefront6targetE0EEEvT1_,comdat
.Lfunc_end33:
	.size	_ZN7rocprim17ROCPRIM_400000_NS6detail17trampoline_kernelINS0_14default_configENS1_20scan_config_selectorIdEEZZNS1_9scan_implILNS1_25lookback_scan_determinismE0ELb0ELb0ES3_PKdPddZZZN2at6native31launch_logcumsumexp_cuda_kernelERKNSB_10TensorBaseESF_lENKUlvE_clEvENKUlvE_clEvEUlddE_dEEDaPvRmT3_T4_T5_mT6_P12ihipStream_tbENKUlT_T0_E_clISt17integral_constantIbLb1EESW_EEDaSR_SS_EUlSR_E_NS1_11comp_targetILNS1_3genE10ELNS1_11target_archE1201ELNS1_3gpuE5ELNS1_3repE0EEENS1_30default_config_static_selectorELNS0_4arch9wavefront6targetE0EEEvT1_, .Lfunc_end33-_ZN7rocprim17ROCPRIM_400000_NS6detail17trampoline_kernelINS0_14default_configENS1_20scan_config_selectorIdEEZZNS1_9scan_implILNS1_25lookback_scan_determinismE0ELb0ELb0ES3_PKdPddZZZN2at6native31launch_logcumsumexp_cuda_kernelERKNSB_10TensorBaseESF_lENKUlvE_clEvENKUlvE_clEvEUlddE_dEEDaPvRmT3_T4_T5_mT6_P12ihipStream_tbENKUlT_T0_E_clISt17integral_constantIbLb1EESW_EEDaSR_SS_EUlSR_E_NS1_11comp_targetILNS1_3genE10ELNS1_11target_archE1201ELNS1_3gpuE5ELNS1_3repE0EEENS1_30default_config_static_selectorELNS0_4arch9wavefront6targetE0EEEvT1_
                                        ; -- End function
	.set _ZN7rocprim17ROCPRIM_400000_NS6detail17trampoline_kernelINS0_14default_configENS1_20scan_config_selectorIdEEZZNS1_9scan_implILNS1_25lookback_scan_determinismE0ELb0ELb0ES3_PKdPddZZZN2at6native31launch_logcumsumexp_cuda_kernelERKNSB_10TensorBaseESF_lENKUlvE_clEvENKUlvE_clEvEUlddE_dEEDaPvRmT3_T4_T5_mT6_P12ihipStream_tbENKUlT_T0_E_clISt17integral_constantIbLb1EESW_EEDaSR_SS_EUlSR_E_NS1_11comp_targetILNS1_3genE10ELNS1_11target_archE1201ELNS1_3gpuE5ELNS1_3repE0EEENS1_30default_config_static_selectorELNS0_4arch9wavefront6targetE0EEEvT1_.num_vgpr, 0
	.set _ZN7rocprim17ROCPRIM_400000_NS6detail17trampoline_kernelINS0_14default_configENS1_20scan_config_selectorIdEEZZNS1_9scan_implILNS1_25lookback_scan_determinismE0ELb0ELb0ES3_PKdPddZZZN2at6native31launch_logcumsumexp_cuda_kernelERKNSB_10TensorBaseESF_lENKUlvE_clEvENKUlvE_clEvEUlddE_dEEDaPvRmT3_T4_T5_mT6_P12ihipStream_tbENKUlT_T0_E_clISt17integral_constantIbLb1EESW_EEDaSR_SS_EUlSR_E_NS1_11comp_targetILNS1_3genE10ELNS1_11target_archE1201ELNS1_3gpuE5ELNS1_3repE0EEENS1_30default_config_static_selectorELNS0_4arch9wavefront6targetE0EEEvT1_.num_agpr, 0
	.set _ZN7rocprim17ROCPRIM_400000_NS6detail17trampoline_kernelINS0_14default_configENS1_20scan_config_selectorIdEEZZNS1_9scan_implILNS1_25lookback_scan_determinismE0ELb0ELb0ES3_PKdPddZZZN2at6native31launch_logcumsumexp_cuda_kernelERKNSB_10TensorBaseESF_lENKUlvE_clEvENKUlvE_clEvEUlddE_dEEDaPvRmT3_T4_T5_mT6_P12ihipStream_tbENKUlT_T0_E_clISt17integral_constantIbLb1EESW_EEDaSR_SS_EUlSR_E_NS1_11comp_targetILNS1_3genE10ELNS1_11target_archE1201ELNS1_3gpuE5ELNS1_3repE0EEENS1_30default_config_static_selectorELNS0_4arch9wavefront6targetE0EEEvT1_.numbered_sgpr, 0
	.set _ZN7rocprim17ROCPRIM_400000_NS6detail17trampoline_kernelINS0_14default_configENS1_20scan_config_selectorIdEEZZNS1_9scan_implILNS1_25lookback_scan_determinismE0ELb0ELb0ES3_PKdPddZZZN2at6native31launch_logcumsumexp_cuda_kernelERKNSB_10TensorBaseESF_lENKUlvE_clEvENKUlvE_clEvEUlddE_dEEDaPvRmT3_T4_T5_mT6_P12ihipStream_tbENKUlT_T0_E_clISt17integral_constantIbLb1EESW_EEDaSR_SS_EUlSR_E_NS1_11comp_targetILNS1_3genE10ELNS1_11target_archE1201ELNS1_3gpuE5ELNS1_3repE0EEENS1_30default_config_static_selectorELNS0_4arch9wavefront6targetE0EEEvT1_.num_named_barrier, 0
	.set _ZN7rocprim17ROCPRIM_400000_NS6detail17trampoline_kernelINS0_14default_configENS1_20scan_config_selectorIdEEZZNS1_9scan_implILNS1_25lookback_scan_determinismE0ELb0ELb0ES3_PKdPddZZZN2at6native31launch_logcumsumexp_cuda_kernelERKNSB_10TensorBaseESF_lENKUlvE_clEvENKUlvE_clEvEUlddE_dEEDaPvRmT3_T4_T5_mT6_P12ihipStream_tbENKUlT_T0_E_clISt17integral_constantIbLb1EESW_EEDaSR_SS_EUlSR_E_NS1_11comp_targetILNS1_3genE10ELNS1_11target_archE1201ELNS1_3gpuE5ELNS1_3repE0EEENS1_30default_config_static_selectorELNS0_4arch9wavefront6targetE0EEEvT1_.private_seg_size, 0
	.set _ZN7rocprim17ROCPRIM_400000_NS6detail17trampoline_kernelINS0_14default_configENS1_20scan_config_selectorIdEEZZNS1_9scan_implILNS1_25lookback_scan_determinismE0ELb0ELb0ES3_PKdPddZZZN2at6native31launch_logcumsumexp_cuda_kernelERKNSB_10TensorBaseESF_lENKUlvE_clEvENKUlvE_clEvEUlddE_dEEDaPvRmT3_T4_T5_mT6_P12ihipStream_tbENKUlT_T0_E_clISt17integral_constantIbLb1EESW_EEDaSR_SS_EUlSR_E_NS1_11comp_targetILNS1_3genE10ELNS1_11target_archE1201ELNS1_3gpuE5ELNS1_3repE0EEENS1_30default_config_static_selectorELNS0_4arch9wavefront6targetE0EEEvT1_.uses_vcc, 0
	.set _ZN7rocprim17ROCPRIM_400000_NS6detail17trampoline_kernelINS0_14default_configENS1_20scan_config_selectorIdEEZZNS1_9scan_implILNS1_25lookback_scan_determinismE0ELb0ELb0ES3_PKdPddZZZN2at6native31launch_logcumsumexp_cuda_kernelERKNSB_10TensorBaseESF_lENKUlvE_clEvENKUlvE_clEvEUlddE_dEEDaPvRmT3_T4_T5_mT6_P12ihipStream_tbENKUlT_T0_E_clISt17integral_constantIbLb1EESW_EEDaSR_SS_EUlSR_E_NS1_11comp_targetILNS1_3genE10ELNS1_11target_archE1201ELNS1_3gpuE5ELNS1_3repE0EEENS1_30default_config_static_selectorELNS0_4arch9wavefront6targetE0EEEvT1_.uses_flat_scratch, 0
	.set _ZN7rocprim17ROCPRIM_400000_NS6detail17trampoline_kernelINS0_14default_configENS1_20scan_config_selectorIdEEZZNS1_9scan_implILNS1_25lookback_scan_determinismE0ELb0ELb0ES3_PKdPddZZZN2at6native31launch_logcumsumexp_cuda_kernelERKNSB_10TensorBaseESF_lENKUlvE_clEvENKUlvE_clEvEUlddE_dEEDaPvRmT3_T4_T5_mT6_P12ihipStream_tbENKUlT_T0_E_clISt17integral_constantIbLb1EESW_EEDaSR_SS_EUlSR_E_NS1_11comp_targetILNS1_3genE10ELNS1_11target_archE1201ELNS1_3gpuE5ELNS1_3repE0EEENS1_30default_config_static_selectorELNS0_4arch9wavefront6targetE0EEEvT1_.has_dyn_sized_stack, 0
	.set _ZN7rocprim17ROCPRIM_400000_NS6detail17trampoline_kernelINS0_14default_configENS1_20scan_config_selectorIdEEZZNS1_9scan_implILNS1_25lookback_scan_determinismE0ELb0ELb0ES3_PKdPddZZZN2at6native31launch_logcumsumexp_cuda_kernelERKNSB_10TensorBaseESF_lENKUlvE_clEvENKUlvE_clEvEUlddE_dEEDaPvRmT3_T4_T5_mT6_P12ihipStream_tbENKUlT_T0_E_clISt17integral_constantIbLb1EESW_EEDaSR_SS_EUlSR_E_NS1_11comp_targetILNS1_3genE10ELNS1_11target_archE1201ELNS1_3gpuE5ELNS1_3repE0EEENS1_30default_config_static_selectorELNS0_4arch9wavefront6targetE0EEEvT1_.has_recursion, 0
	.set _ZN7rocprim17ROCPRIM_400000_NS6detail17trampoline_kernelINS0_14default_configENS1_20scan_config_selectorIdEEZZNS1_9scan_implILNS1_25lookback_scan_determinismE0ELb0ELb0ES3_PKdPddZZZN2at6native31launch_logcumsumexp_cuda_kernelERKNSB_10TensorBaseESF_lENKUlvE_clEvENKUlvE_clEvEUlddE_dEEDaPvRmT3_T4_T5_mT6_P12ihipStream_tbENKUlT_T0_E_clISt17integral_constantIbLb1EESW_EEDaSR_SS_EUlSR_E_NS1_11comp_targetILNS1_3genE10ELNS1_11target_archE1201ELNS1_3gpuE5ELNS1_3repE0EEENS1_30default_config_static_selectorELNS0_4arch9wavefront6targetE0EEEvT1_.has_indirect_call, 0
	.section	.AMDGPU.csdata,"",@progbits
; Kernel info:
; codeLenInByte = 4
; TotalNumSgprs: 0
; NumVgprs: 0
; ScratchSize: 0
; MemoryBound: 0
; FloatMode: 240
; IeeeMode: 1
; LDSByteSize: 0 bytes/workgroup (compile time only)
; SGPRBlocks: 0
; VGPRBlocks: 0
; NumSGPRsForWavesPerEU: 1
; NumVGPRsForWavesPerEU: 1
; Occupancy: 16
; WaveLimiterHint : 0
; COMPUTE_PGM_RSRC2:SCRATCH_EN: 0
; COMPUTE_PGM_RSRC2:USER_SGPR: 2
; COMPUTE_PGM_RSRC2:TRAP_HANDLER: 0
; COMPUTE_PGM_RSRC2:TGID_X_EN: 1
; COMPUTE_PGM_RSRC2:TGID_Y_EN: 0
; COMPUTE_PGM_RSRC2:TGID_Z_EN: 0
; COMPUTE_PGM_RSRC2:TIDIG_COMP_CNT: 0
	.section	.text._ZN7rocprim17ROCPRIM_400000_NS6detail17trampoline_kernelINS0_14default_configENS1_20scan_config_selectorIdEEZZNS1_9scan_implILNS1_25lookback_scan_determinismE0ELb0ELb0ES3_PKdPddZZZN2at6native31launch_logcumsumexp_cuda_kernelERKNSB_10TensorBaseESF_lENKUlvE_clEvENKUlvE_clEvEUlddE_dEEDaPvRmT3_T4_T5_mT6_P12ihipStream_tbENKUlT_T0_E_clISt17integral_constantIbLb1EESW_EEDaSR_SS_EUlSR_E_NS1_11comp_targetILNS1_3genE10ELNS1_11target_archE1200ELNS1_3gpuE4ELNS1_3repE0EEENS1_30default_config_static_selectorELNS0_4arch9wavefront6targetE0EEEvT1_,"axG",@progbits,_ZN7rocprim17ROCPRIM_400000_NS6detail17trampoline_kernelINS0_14default_configENS1_20scan_config_selectorIdEEZZNS1_9scan_implILNS1_25lookback_scan_determinismE0ELb0ELb0ES3_PKdPddZZZN2at6native31launch_logcumsumexp_cuda_kernelERKNSB_10TensorBaseESF_lENKUlvE_clEvENKUlvE_clEvEUlddE_dEEDaPvRmT3_T4_T5_mT6_P12ihipStream_tbENKUlT_T0_E_clISt17integral_constantIbLb1EESW_EEDaSR_SS_EUlSR_E_NS1_11comp_targetILNS1_3genE10ELNS1_11target_archE1200ELNS1_3gpuE4ELNS1_3repE0EEENS1_30default_config_static_selectorELNS0_4arch9wavefront6targetE0EEEvT1_,comdat
	.globl	_ZN7rocprim17ROCPRIM_400000_NS6detail17trampoline_kernelINS0_14default_configENS1_20scan_config_selectorIdEEZZNS1_9scan_implILNS1_25lookback_scan_determinismE0ELb0ELb0ES3_PKdPddZZZN2at6native31launch_logcumsumexp_cuda_kernelERKNSB_10TensorBaseESF_lENKUlvE_clEvENKUlvE_clEvEUlddE_dEEDaPvRmT3_T4_T5_mT6_P12ihipStream_tbENKUlT_T0_E_clISt17integral_constantIbLb1EESW_EEDaSR_SS_EUlSR_E_NS1_11comp_targetILNS1_3genE10ELNS1_11target_archE1200ELNS1_3gpuE4ELNS1_3repE0EEENS1_30default_config_static_selectorELNS0_4arch9wavefront6targetE0EEEvT1_ ; -- Begin function _ZN7rocprim17ROCPRIM_400000_NS6detail17trampoline_kernelINS0_14default_configENS1_20scan_config_selectorIdEEZZNS1_9scan_implILNS1_25lookback_scan_determinismE0ELb0ELb0ES3_PKdPddZZZN2at6native31launch_logcumsumexp_cuda_kernelERKNSB_10TensorBaseESF_lENKUlvE_clEvENKUlvE_clEvEUlddE_dEEDaPvRmT3_T4_T5_mT6_P12ihipStream_tbENKUlT_T0_E_clISt17integral_constantIbLb1EESW_EEDaSR_SS_EUlSR_E_NS1_11comp_targetILNS1_3genE10ELNS1_11target_archE1200ELNS1_3gpuE4ELNS1_3repE0EEENS1_30default_config_static_selectorELNS0_4arch9wavefront6targetE0EEEvT1_
	.p2align	8
	.type	_ZN7rocprim17ROCPRIM_400000_NS6detail17trampoline_kernelINS0_14default_configENS1_20scan_config_selectorIdEEZZNS1_9scan_implILNS1_25lookback_scan_determinismE0ELb0ELb0ES3_PKdPddZZZN2at6native31launch_logcumsumexp_cuda_kernelERKNSB_10TensorBaseESF_lENKUlvE_clEvENKUlvE_clEvEUlddE_dEEDaPvRmT3_T4_T5_mT6_P12ihipStream_tbENKUlT_T0_E_clISt17integral_constantIbLb1EESW_EEDaSR_SS_EUlSR_E_NS1_11comp_targetILNS1_3genE10ELNS1_11target_archE1200ELNS1_3gpuE4ELNS1_3repE0EEENS1_30default_config_static_selectorELNS0_4arch9wavefront6targetE0EEEvT1_,@function
_ZN7rocprim17ROCPRIM_400000_NS6detail17trampoline_kernelINS0_14default_configENS1_20scan_config_selectorIdEEZZNS1_9scan_implILNS1_25lookback_scan_determinismE0ELb0ELb0ES3_PKdPddZZZN2at6native31launch_logcumsumexp_cuda_kernelERKNSB_10TensorBaseESF_lENKUlvE_clEvENKUlvE_clEvEUlddE_dEEDaPvRmT3_T4_T5_mT6_P12ihipStream_tbENKUlT_T0_E_clISt17integral_constantIbLb1EESW_EEDaSR_SS_EUlSR_E_NS1_11comp_targetILNS1_3genE10ELNS1_11target_archE1200ELNS1_3gpuE4ELNS1_3repE0EEENS1_30default_config_static_selectorELNS0_4arch9wavefront6targetE0EEEvT1_: ; @_ZN7rocprim17ROCPRIM_400000_NS6detail17trampoline_kernelINS0_14default_configENS1_20scan_config_selectorIdEEZZNS1_9scan_implILNS1_25lookback_scan_determinismE0ELb0ELb0ES3_PKdPddZZZN2at6native31launch_logcumsumexp_cuda_kernelERKNSB_10TensorBaseESF_lENKUlvE_clEvENKUlvE_clEvEUlddE_dEEDaPvRmT3_T4_T5_mT6_P12ihipStream_tbENKUlT_T0_E_clISt17integral_constantIbLb1EESW_EEDaSR_SS_EUlSR_E_NS1_11comp_targetILNS1_3genE10ELNS1_11target_archE1200ELNS1_3gpuE4ELNS1_3repE0EEENS1_30default_config_static_selectorELNS0_4arch9wavefront6targetE0EEEvT1_
; %bb.0:
	.section	.rodata,"a",@progbits
	.p2align	6, 0x0
	.amdhsa_kernel _ZN7rocprim17ROCPRIM_400000_NS6detail17trampoline_kernelINS0_14default_configENS1_20scan_config_selectorIdEEZZNS1_9scan_implILNS1_25lookback_scan_determinismE0ELb0ELb0ES3_PKdPddZZZN2at6native31launch_logcumsumexp_cuda_kernelERKNSB_10TensorBaseESF_lENKUlvE_clEvENKUlvE_clEvEUlddE_dEEDaPvRmT3_T4_T5_mT6_P12ihipStream_tbENKUlT_T0_E_clISt17integral_constantIbLb1EESW_EEDaSR_SS_EUlSR_E_NS1_11comp_targetILNS1_3genE10ELNS1_11target_archE1200ELNS1_3gpuE4ELNS1_3repE0EEENS1_30default_config_static_selectorELNS0_4arch9wavefront6targetE0EEEvT1_
		.amdhsa_group_segment_fixed_size 0
		.amdhsa_private_segment_fixed_size 0
		.amdhsa_kernarg_size 104
		.amdhsa_user_sgpr_count 2
		.amdhsa_user_sgpr_dispatch_ptr 0
		.amdhsa_user_sgpr_queue_ptr 0
		.amdhsa_user_sgpr_kernarg_segment_ptr 1
		.amdhsa_user_sgpr_dispatch_id 0
		.amdhsa_user_sgpr_private_segment_size 0
		.amdhsa_wavefront_size32 1
		.amdhsa_uses_dynamic_stack 0
		.amdhsa_enable_private_segment 0
		.amdhsa_system_sgpr_workgroup_id_x 1
		.amdhsa_system_sgpr_workgroup_id_y 0
		.amdhsa_system_sgpr_workgroup_id_z 0
		.amdhsa_system_sgpr_workgroup_info 0
		.amdhsa_system_vgpr_workitem_id 0
		.amdhsa_next_free_vgpr 1
		.amdhsa_next_free_sgpr 1
		.amdhsa_reserve_vcc 0
		.amdhsa_float_round_mode_32 0
		.amdhsa_float_round_mode_16_64 0
		.amdhsa_float_denorm_mode_32 3
		.amdhsa_float_denorm_mode_16_64 3
		.amdhsa_fp16_overflow 0
		.amdhsa_workgroup_processor_mode 1
		.amdhsa_memory_ordered 1
		.amdhsa_forward_progress 1
		.amdhsa_inst_pref_size 0
		.amdhsa_round_robin_scheduling 0
		.amdhsa_exception_fp_ieee_invalid_op 0
		.amdhsa_exception_fp_denorm_src 0
		.amdhsa_exception_fp_ieee_div_zero 0
		.amdhsa_exception_fp_ieee_overflow 0
		.amdhsa_exception_fp_ieee_underflow 0
		.amdhsa_exception_fp_ieee_inexact 0
		.amdhsa_exception_int_div_zero 0
	.end_amdhsa_kernel
	.section	.text._ZN7rocprim17ROCPRIM_400000_NS6detail17trampoline_kernelINS0_14default_configENS1_20scan_config_selectorIdEEZZNS1_9scan_implILNS1_25lookback_scan_determinismE0ELb0ELb0ES3_PKdPddZZZN2at6native31launch_logcumsumexp_cuda_kernelERKNSB_10TensorBaseESF_lENKUlvE_clEvENKUlvE_clEvEUlddE_dEEDaPvRmT3_T4_T5_mT6_P12ihipStream_tbENKUlT_T0_E_clISt17integral_constantIbLb1EESW_EEDaSR_SS_EUlSR_E_NS1_11comp_targetILNS1_3genE10ELNS1_11target_archE1200ELNS1_3gpuE4ELNS1_3repE0EEENS1_30default_config_static_selectorELNS0_4arch9wavefront6targetE0EEEvT1_,"axG",@progbits,_ZN7rocprim17ROCPRIM_400000_NS6detail17trampoline_kernelINS0_14default_configENS1_20scan_config_selectorIdEEZZNS1_9scan_implILNS1_25lookback_scan_determinismE0ELb0ELb0ES3_PKdPddZZZN2at6native31launch_logcumsumexp_cuda_kernelERKNSB_10TensorBaseESF_lENKUlvE_clEvENKUlvE_clEvEUlddE_dEEDaPvRmT3_T4_T5_mT6_P12ihipStream_tbENKUlT_T0_E_clISt17integral_constantIbLb1EESW_EEDaSR_SS_EUlSR_E_NS1_11comp_targetILNS1_3genE10ELNS1_11target_archE1200ELNS1_3gpuE4ELNS1_3repE0EEENS1_30default_config_static_selectorELNS0_4arch9wavefront6targetE0EEEvT1_,comdat
.Lfunc_end34:
	.size	_ZN7rocprim17ROCPRIM_400000_NS6detail17trampoline_kernelINS0_14default_configENS1_20scan_config_selectorIdEEZZNS1_9scan_implILNS1_25lookback_scan_determinismE0ELb0ELb0ES3_PKdPddZZZN2at6native31launch_logcumsumexp_cuda_kernelERKNSB_10TensorBaseESF_lENKUlvE_clEvENKUlvE_clEvEUlddE_dEEDaPvRmT3_T4_T5_mT6_P12ihipStream_tbENKUlT_T0_E_clISt17integral_constantIbLb1EESW_EEDaSR_SS_EUlSR_E_NS1_11comp_targetILNS1_3genE10ELNS1_11target_archE1200ELNS1_3gpuE4ELNS1_3repE0EEENS1_30default_config_static_selectorELNS0_4arch9wavefront6targetE0EEEvT1_, .Lfunc_end34-_ZN7rocprim17ROCPRIM_400000_NS6detail17trampoline_kernelINS0_14default_configENS1_20scan_config_selectorIdEEZZNS1_9scan_implILNS1_25lookback_scan_determinismE0ELb0ELb0ES3_PKdPddZZZN2at6native31launch_logcumsumexp_cuda_kernelERKNSB_10TensorBaseESF_lENKUlvE_clEvENKUlvE_clEvEUlddE_dEEDaPvRmT3_T4_T5_mT6_P12ihipStream_tbENKUlT_T0_E_clISt17integral_constantIbLb1EESW_EEDaSR_SS_EUlSR_E_NS1_11comp_targetILNS1_3genE10ELNS1_11target_archE1200ELNS1_3gpuE4ELNS1_3repE0EEENS1_30default_config_static_selectorELNS0_4arch9wavefront6targetE0EEEvT1_
                                        ; -- End function
	.set _ZN7rocprim17ROCPRIM_400000_NS6detail17trampoline_kernelINS0_14default_configENS1_20scan_config_selectorIdEEZZNS1_9scan_implILNS1_25lookback_scan_determinismE0ELb0ELb0ES3_PKdPddZZZN2at6native31launch_logcumsumexp_cuda_kernelERKNSB_10TensorBaseESF_lENKUlvE_clEvENKUlvE_clEvEUlddE_dEEDaPvRmT3_T4_T5_mT6_P12ihipStream_tbENKUlT_T0_E_clISt17integral_constantIbLb1EESW_EEDaSR_SS_EUlSR_E_NS1_11comp_targetILNS1_3genE10ELNS1_11target_archE1200ELNS1_3gpuE4ELNS1_3repE0EEENS1_30default_config_static_selectorELNS0_4arch9wavefront6targetE0EEEvT1_.num_vgpr, 0
	.set _ZN7rocprim17ROCPRIM_400000_NS6detail17trampoline_kernelINS0_14default_configENS1_20scan_config_selectorIdEEZZNS1_9scan_implILNS1_25lookback_scan_determinismE0ELb0ELb0ES3_PKdPddZZZN2at6native31launch_logcumsumexp_cuda_kernelERKNSB_10TensorBaseESF_lENKUlvE_clEvENKUlvE_clEvEUlddE_dEEDaPvRmT3_T4_T5_mT6_P12ihipStream_tbENKUlT_T0_E_clISt17integral_constantIbLb1EESW_EEDaSR_SS_EUlSR_E_NS1_11comp_targetILNS1_3genE10ELNS1_11target_archE1200ELNS1_3gpuE4ELNS1_3repE0EEENS1_30default_config_static_selectorELNS0_4arch9wavefront6targetE0EEEvT1_.num_agpr, 0
	.set _ZN7rocprim17ROCPRIM_400000_NS6detail17trampoline_kernelINS0_14default_configENS1_20scan_config_selectorIdEEZZNS1_9scan_implILNS1_25lookback_scan_determinismE0ELb0ELb0ES3_PKdPddZZZN2at6native31launch_logcumsumexp_cuda_kernelERKNSB_10TensorBaseESF_lENKUlvE_clEvENKUlvE_clEvEUlddE_dEEDaPvRmT3_T4_T5_mT6_P12ihipStream_tbENKUlT_T0_E_clISt17integral_constantIbLb1EESW_EEDaSR_SS_EUlSR_E_NS1_11comp_targetILNS1_3genE10ELNS1_11target_archE1200ELNS1_3gpuE4ELNS1_3repE0EEENS1_30default_config_static_selectorELNS0_4arch9wavefront6targetE0EEEvT1_.numbered_sgpr, 0
	.set _ZN7rocprim17ROCPRIM_400000_NS6detail17trampoline_kernelINS0_14default_configENS1_20scan_config_selectorIdEEZZNS1_9scan_implILNS1_25lookback_scan_determinismE0ELb0ELb0ES3_PKdPddZZZN2at6native31launch_logcumsumexp_cuda_kernelERKNSB_10TensorBaseESF_lENKUlvE_clEvENKUlvE_clEvEUlddE_dEEDaPvRmT3_T4_T5_mT6_P12ihipStream_tbENKUlT_T0_E_clISt17integral_constantIbLb1EESW_EEDaSR_SS_EUlSR_E_NS1_11comp_targetILNS1_3genE10ELNS1_11target_archE1200ELNS1_3gpuE4ELNS1_3repE0EEENS1_30default_config_static_selectorELNS0_4arch9wavefront6targetE0EEEvT1_.num_named_barrier, 0
	.set _ZN7rocprim17ROCPRIM_400000_NS6detail17trampoline_kernelINS0_14default_configENS1_20scan_config_selectorIdEEZZNS1_9scan_implILNS1_25lookback_scan_determinismE0ELb0ELb0ES3_PKdPddZZZN2at6native31launch_logcumsumexp_cuda_kernelERKNSB_10TensorBaseESF_lENKUlvE_clEvENKUlvE_clEvEUlddE_dEEDaPvRmT3_T4_T5_mT6_P12ihipStream_tbENKUlT_T0_E_clISt17integral_constantIbLb1EESW_EEDaSR_SS_EUlSR_E_NS1_11comp_targetILNS1_3genE10ELNS1_11target_archE1200ELNS1_3gpuE4ELNS1_3repE0EEENS1_30default_config_static_selectorELNS0_4arch9wavefront6targetE0EEEvT1_.private_seg_size, 0
	.set _ZN7rocprim17ROCPRIM_400000_NS6detail17trampoline_kernelINS0_14default_configENS1_20scan_config_selectorIdEEZZNS1_9scan_implILNS1_25lookback_scan_determinismE0ELb0ELb0ES3_PKdPddZZZN2at6native31launch_logcumsumexp_cuda_kernelERKNSB_10TensorBaseESF_lENKUlvE_clEvENKUlvE_clEvEUlddE_dEEDaPvRmT3_T4_T5_mT6_P12ihipStream_tbENKUlT_T0_E_clISt17integral_constantIbLb1EESW_EEDaSR_SS_EUlSR_E_NS1_11comp_targetILNS1_3genE10ELNS1_11target_archE1200ELNS1_3gpuE4ELNS1_3repE0EEENS1_30default_config_static_selectorELNS0_4arch9wavefront6targetE0EEEvT1_.uses_vcc, 0
	.set _ZN7rocprim17ROCPRIM_400000_NS6detail17trampoline_kernelINS0_14default_configENS1_20scan_config_selectorIdEEZZNS1_9scan_implILNS1_25lookback_scan_determinismE0ELb0ELb0ES3_PKdPddZZZN2at6native31launch_logcumsumexp_cuda_kernelERKNSB_10TensorBaseESF_lENKUlvE_clEvENKUlvE_clEvEUlddE_dEEDaPvRmT3_T4_T5_mT6_P12ihipStream_tbENKUlT_T0_E_clISt17integral_constantIbLb1EESW_EEDaSR_SS_EUlSR_E_NS1_11comp_targetILNS1_3genE10ELNS1_11target_archE1200ELNS1_3gpuE4ELNS1_3repE0EEENS1_30default_config_static_selectorELNS0_4arch9wavefront6targetE0EEEvT1_.uses_flat_scratch, 0
	.set _ZN7rocprim17ROCPRIM_400000_NS6detail17trampoline_kernelINS0_14default_configENS1_20scan_config_selectorIdEEZZNS1_9scan_implILNS1_25lookback_scan_determinismE0ELb0ELb0ES3_PKdPddZZZN2at6native31launch_logcumsumexp_cuda_kernelERKNSB_10TensorBaseESF_lENKUlvE_clEvENKUlvE_clEvEUlddE_dEEDaPvRmT3_T4_T5_mT6_P12ihipStream_tbENKUlT_T0_E_clISt17integral_constantIbLb1EESW_EEDaSR_SS_EUlSR_E_NS1_11comp_targetILNS1_3genE10ELNS1_11target_archE1200ELNS1_3gpuE4ELNS1_3repE0EEENS1_30default_config_static_selectorELNS0_4arch9wavefront6targetE0EEEvT1_.has_dyn_sized_stack, 0
	.set _ZN7rocprim17ROCPRIM_400000_NS6detail17trampoline_kernelINS0_14default_configENS1_20scan_config_selectorIdEEZZNS1_9scan_implILNS1_25lookback_scan_determinismE0ELb0ELb0ES3_PKdPddZZZN2at6native31launch_logcumsumexp_cuda_kernelERKNSB_10TensorBaseESF_lENKUlvE_clEvENKUlvE_clEvEUlddE_dEEDaPvRmT3_T4_T5_mT6_P12ihipStream_tbENKUlT_T0_E_clISt17integral_constantIbLb1EESW_EEDaSR_SS_EUlSR_E_NS1_11comp_targetILNS1_3genE10ELNS1_11target_archE1200ELNS1_3gpuE4ELNS1_3repE0EEENS1_30default_config_static_selectorELNS0_4arch9wavefront6targetE0EEEvT1_.has_recursion, 0
	.set _ZN7rocprim17ROCPRIM_400000_NS6detail17trampoline_kernelINS0_14default_configENS1_20scan_config_selectorIdEEZZNS1_9scan_implILNS1_25lookback_scan_determinismE0ELb0ELb0ES3_PKdPddZZZN2at6native31launch_logcumsumexp_cuda_kernelERKNSB_10TensorBaseESF_lENKUlvE_clEvENKUlvE_clEvEUlddE_dEEDaPvRmT3_T4_T5_mT6_P12ihipStream_tbENKUlT_T0_E_clISt17integral_constantIbLb1EESW_EEDaSR_SS_EUlSR_E_NS1_11comp_targetILNS1_3genE10ELNS1_11target_archE1200ELNS1_3gpuE4ELNS1_3repE0EEENS1_30default_config_static_selectorELNS0_4arch9wavefront6targetE0EEEvT1_.has_indirect_call, 0
	.section	.AMDGPU.csdata,"",@progbits
; Kernel info:
; codeLenInByte = 0
; TotalNumSgprs: 0
; NumVgprs: 0
; ScratchSize: 0
; MemoryBound: 0
; FloatMode: 240
; IeeeMode: 1
; LDSByteSize: 0 bytes/workgroup (compile time only)
; SGPRBlocks: 0
; VGPRBlocks: 0
; NumSGPRsForWavesPerEU: 1
; NumVGPRsForWavesPerEU: 1
; Occupancy: 16
; WaveLimiterHint : 0
; COMPUTE_PGM_RSRC2:SCRATCH_EN: 0
; COMPUTE_PGM_RSRC2:USER_SGPR: 2
; COMPUTE_PGM_RSRC2:TRAP_HANDLER: 0
; COMPUTE_PGM_RSRC2:TGID_X_EN: 1
; COMPUTE_PGM_RSRC2:TGID_Y_EN: 0
; COMPUTE_PGM_RSRC2:TGID_Z_EN: 0
; COMPUTE_PGM_RSRC2:TIDIG_COMP_CNT: 0
	.section	.text._ZN7rocprim17ROCPRIM_400000_NS6detail17trampoline_kernelINS0_14default_configENS1_20scan_config_selectorIdEEZZNS1_9scan_implILNS1_25lookback_scan_determinismE0ELb0ELb0ES3_PKdPddZZZN2at6native31launch_logcumsumexp_cuda_kernelERKNSB_10TensorBaseESF_lENKUlvE_clEvENKUlvE_clEvEUlddE_dEEDaPvRmT3_T4_T5_mT6_P12ihipStream_tbENKUlT_T0_E_clISt17integral_constantIbLb1EESW_EEDaSR_SS_EUlSR_E_NS1_11comp_targetILNS1_3genE9ELNS1_11target_archE1100ELNS1_3gpuE3ELNS1_3repE0EEENS1_30default_config_static_selectorELNS0_4arch9wavefront6targetE0EEEvT1_,"axG",@progbits,_ZN7rocprim17ROCPRIM_400000_NS6detail17trampoline_kernelINS0_14default_configENS1_20scan_config_selectorIdEEZZNS1_9scan_implILNS1_25lookback_scan_determinismE0ELb0ELb0ES3_PKdPddZZZN2at6native31launch_logcumsumexp_cuda_kernelERKNSB_10TensorBaseESF_lENKUlvE_clEvENKUlvE_clEvEUlddE_dEEDaPvRmT3_T4_T5_mT6_P12ihipStream_tbENKUlT_T0_E_clISt17integral_constantIbLb1EESW_EEDaSR_SS_EUlSR_E_NS1_11comp_targetILNS1_3genE9ELNS1_11target_archE1100ELNS1_3gpuE3ELNS1_3repE0EEENS1_30default_config_static_selectorELNS0_4arch9wavefront6targetE0EEEvT1_,comdat
	.globl	_ZN7rocprim17ROCPRIM_400000_NS6detail17trampoline_kernelINS0_14default_configENS1_20scan_config_selectorIdEEZZNS1_9scan_implILNS1_25lookback_scan_determinismE0ELb0ELb0ES3_PKdPddZZZN2at6native31launch_logcumsumexp_cuda_kernelERKNSB_10TensorBaseESF_lENKUlvE_clEvENKUlvE_clEvEUlddE_dEEDaPvRmT3_T4_T5_mT6_P12ihipStream_tbENKUlT_T0_E_clISt17integral_constantIbLb1EESW_EEDaSR_SS_EUlSR_E_NS1_11comp_targetILNS1_3genE9ELNS1_11target_archE1100ELNS1_3gpuE3ELNS1_3repE0EEENS1_30default_config_static_selectorELNS0_4arch9wavefront6targetE0EEEvT1_ ; -- Begin function _ZN7rocprim17ROCPRIM_400000_NS6detail17trampoline_kernelINS0_14default_configENS1_20scan_config_selectorIdEEZZNS1_9scan_implILNS1_25lookback_scan_determinismE0ELb0ELb0ES3_PKdPddZZZN2at6native31launch_logcumsumexp_cuda_kernelERKNSB_10TensorBaseESF_lENKUlvE_clEvENKUlvE_clEvEUlddE_dEEDaPvRmT3_T4_T5_mT6_P12ihipStream_tbENKUlT_T0_E_clISt17integral_constantIbLb1EESW_EEDaSR_SS_EUlSR_E_NS1_11comp_targetILNS1_3genE9ELNS1_11target_archE1100ELNS1_3gpuE3ELNS1_3repE0EEENS1_30default_config_static_selectorELNS0_4arch9wavefront6targetE0EEEvT1_
	.p2align	8
	.type	_ZN7rocprim17ROCPRIM_400000_NS6detail17trampoline_kernelINS0_14default_configENS1_20scan_config_selectorIdEEZZNS1_9scan_implILNS1_25lookback_scan_determinismE0ELb0ELb0ES3_PKdPddZZZN2at6native31launch_logcumsumexp_cuda_kernelERKNSB_10TensorBaseESF_lENKUlvE_clEvENKUlvE_clEvEUlddE_dEEDaPvRmT3_T4_T5_mT6_P12ihipStream_tbENKUlT_T0_E_clISt17integral_constantIbLb1EESW_EEDaSR_SS_EUlSR_E_NS1_11comp_targetILNS1_3genE9ELNS1_11target_archE1100ELNS1_3gpuE3ELNS1_3repE0EEENS1_30default_config_static_selectorELNS0_4arch9wavefront6targetE0EEEvT1_,@function
_ZN7rocprim17ROCPRIM_400000_NS6detail17trampoline_kernelINS0_14default_configENS1_20scan_config_selectorIdEEZZNS1_9scan_implILNS1_25lookback_scan_determinismE0ELb0ELb0ES3_PKdPddZZZN2at6native31launch_logcumsumexp_cuda_kernelERKNSB_10TensorBaseESF_lENKUlvE_clEvENKUlvE_clEvEUlddE_dEEDaPvRmT3_T4_T5_mT6_P12ihipStream_tbENKUlT_T0_E_clISt17integral_constantIbLb1EESW_EEDaSR_SS_EUlSR_E_NS1_11comp_targetILNS1_3genE9ELNS1_11target_archE1100ELNS1_3gpuE3ELNS1_3repE0EEENS1_30default_config_static_selectorELNS0_4arch9wavefront6targetE0EEEvT1_: ; @_ZN7rocprim17ROCPRIM_400000_NS6detail17trampoline_kernelINS0_14default_configENS1_20scan_config_selectorIdEEZZNS1_9scan_implILNS1_25lookback_scan_determinismE0ELb0ELb0ES3_PKdPddZZZN2at6native31launch_logcumsumexp_cuda_kernelERKNSB_10TensorBaseESF_lENKUlvE_clEvENKUlvE_clEvEUlddE_dEEDaPvRmT3_T4_T5_mT6_P12ihipStream_tbENKUlT_T0_E_clISt17integral_constantIbLb1EESW_EEDaSR_SS_EUlSR_E_NS1_11comp_targetILNS1_3genE9ELNS1_11target_archE1100ELNS1_3gpuE3ELNS1_3repE0EEENS1_30default_config_static_selectorELNS0_4arch9wavefront6targetE0EEEvT1_
; %bb.0:
	.section	.rodata,"a",@progbits
	.p2align	6, 0x0
	.amdhsa_kernel _ZN7rocprim17ROCPRIM_400000_NS6detail17trampoline_kernelINS0_14default_configENS1_20scan_config_selectorIdEEZZNS1_9scan_implILNS1_25lookback_scan_determinismE0ELb0ELb0ES3_PKdPddZZZN2at6native31launch_logcumsumexp_cuda_kernelERKNSB_10TensorBaseESF_lENKUlvE_clEvENKUlvE_clEvEUlddE_dEEDaPvRmT3_T4_T5_mT6_P12ihipStream_tbENKUlT_T0_E_clISt17integral_constantIbLb1EESW_EEDaSR_SS_EUlSR_E_NS1_11comp_targetILNS1_3genE9ELNS1_11target_archE1100ELNS1_3gpuE3ELNS1_3repE0EEENS1_30default_config_static_selectorELNS0_4arch9wavefront6targetE0EEEvT1_
		.amdhsa_group_segment_fixed_size 0
		.amdhsa_private_segment_fixed_size 0
		.amdhsa_kernarg_size 104
		.amdhsa_user_sgpr_count 2
		.amdhsa_user_sgpr_dispatch_ptr 0
		.amdhsa_user_sgpr_queue_ptr 0
		.amdhsa_user_sgpr_kernarg_segment_ptr 1
		.amdhsa_user_sgpr_dispatch_id 0
		.amdhsa_user_sgpr_private_segment_size 0
		.amdhsa_wavefront_size32 1
		.amdhsa_uses_dynamic_stack 0
		.amdhsa_enable_private_segment 0
		.amdhsa_system_sgpr_workgroup_id_x 1
		.amdhsa_system_sgpr_workgroup_id_y 0
		.amdhsa_system_sgpr_workgroup_id_z 0
		.amdhsa_system_sgpr_workgroup_info 0
		.amdhsa_system_vgpr_workitem_id 0
		.amdhsa_next_free_vgpr 1
		.amdhsa_next_free_sgpr 1
		.amdhsa_reserve_vcc 0
		.amdhsa_float_round_mode_32 0
		.amdhsa_float_round_mode_16_64 0
		.amdhsa_float_denorm_mode_32 3
		.amdhsa_float_denorm_mode_16_64 3
		.amdhsa_fp16_overflow 0
		.amdhsa_workgroup_processor_mode 1
		.amdhsa_memory_ordered 1
		.amdhsa_forward_progress 1
		.amdhsa_inst_pref_size 0
		.amdhsa_round_robin_scheduling 0
		.amdhsa_exception_fp_ieee_invalid_op 0
		.amdhsa_exception_fp_denorm_src 0
		.amdhsa_exception_fp_ieee_div_zero 0
		.amdhsa_exception_fp_ieee_overflow 0
		.amdhsa_exception_fp_ieee_underflow 0
		.amdhsa_exception_fp_ieee_inexact 0
		.amdhsa_exception_int_div_zero 0
	.end_amdhsa_kernel
	.section	.text._ZN7rocprim17ROCPRIM_400000_NS6detail17trampoline_kernelINS0_14default_configENS1_20scan_config_selectorIdEEZZNS1_9scan_implILNS1_25lookback_scan_determinismE0ELb0ELb0ES3_PKdPddZZZN2at6native31launch_logcumsumexp_cuda_kernelERKNSB_10TensorBaseESF_lENKUlvE_clEvENKUlvE_clEvEUlddE_dEEDaPvRmT3_T4_T5_mT6_P12ihipStream_tbENKUlT_T0_E_clISt17integral_constantIbLb1EESW_EEDaSR_SS_EUlSR_E_NS1_11comp_targetILNS1_3genE9ELNS1_11target_archE1100ELNS1_3gpuE3ELNS1_3repE0EEENS1_30default_config_static_selectorELNS0_4arch9wavefront6targetE0EEEvT1_,"axG",@progbits,_ZN7rocprim17ROCPRIM_400000_NS6detail17trampoline_kernelINS0_14default_configENS1_20scan_config_selectorIdEEZZNS1_9scan_implILNS1_25lookback_scan_determinismE0ELb0ELb0ES3_PKdPddZZZN2at6native31launch_logcumsumexp_cuda_kernelERKNSB_10TensorBaseESF_lENKUlvE_clEvENKUlvE_clEvEUlddE_dEEDaPvRmT3_T4_T5_mT6_P12ihipStream_tbENKUlT_T0_E_clISt17integral_constantIbLb1EESW_EEDaSR_SS_EUlSR_E_NS1_11comp_targetILNS1_3genE9ELNS1_11target_archE1100ELNS1_3gpuE3ELNS1_3repE0EEENS1_30default_config_static_selectorELNS0_4arch9wavefront6targetE0EEEvT1_,comdat
.Lfunc_end35:
	.size	_ZN7rocprim17ROCPRIM_400000_NS6detail17trampoline_kernelINS0_14default_configENS1_20scan_config_selectorIdEEZZNS1_9scan_implILNS1_25lookback_scan_determinismE0ELb0ELb0ES3_PKdPddZZZN2at6native31launch_logcumsumexp_cuda_kernelERKNSB_10TensorBaseESF_lENKUlvE_clEvENKUlvE_clEvEUlddE_dEEDaPvRmT3_T4_T5_mT6_P12ihipStream_tbENKUlT_T0_E_clISt17integral_constantIbLb1EESW_EEDaSR_SS_EUlSR_E_NS1_11comp_targetILNS1_3genE9ELNS1_11target_archE1100ELNS1_3gpuE3ELNS1_3repE0EEENS1_30default_config_static_selectorELNS0_4arch9wavefront6targetE0EEEvT1_, .Lfunc_end35-_ZN7rocprim17ROCPRIM_400000_NS6detail17trampoline_kernelINS0_14default_configENS1_20scan_config_selectorIdEEZZNS1_9scan_implILNS1_25lookback_scan_determinismE0ELb0ELb0ES3_PKdPddZZZN2at6native31launch_logcumsumexp_cuda_kernelERKNSB_10TensorBaseESF_lENKUlvE_clEvENKUlvE_clEvEUlddE_dEEDaPvRmT3_T4_T5_mT6_P12ihipStream_tbENKUlT_T0_E_clISt17integral_constantIbLb1EESW_EEDaSR_SS_EUlSR_E_NS1_11comp_targetILNS1_3genE9ELNS1_11target_archE1100ELNS1_3gpuE3ELNS1_3repE0EEENS1_30default_config_static_selectorELNS0_4arch9wavefront6targetE0EEEvT1_
                                        ; -- End function
	.set _ZN7rocprim17ROCPRIM_400000_NS6detail17trampoline_kernelINS0_14default_configENS1_20scan_config_selectorIdEEZZNS1_9scan_implILNS1_25lookback_scan_determinismE0ELb0ELb0ES3_PKdPddZZZN2at6native31launch_logcumsumexp_cuda_kernelERKNSB_10TensorBaseESF_lENKUlvE_clEvENKUlvE_clEvEUlddE_dEEDaPvRmT3_T4_T5_mT6_P12ihipStream_tbENKUlT_T0_E_clISt17integral_constantIbLb1EESW_EEDaSR_SS_EUlSR_E_NS1_11comp_targetILNS1_3genE9ELNS1_11target_archE1100ELNS1_3gpuE3ELNS1_3repE0EEENS1_30default_config_static_selectorELNS0_4arch9wavefront6targetE0EEEvT1_.num_vgpr, 0
	.set _ZN7rocprim17ROCPRIM_400000_NS6detail17trampoline_kernelINS0_14default_configENS1_20scan_config_selectorIdEEZZNS1_9scan_implILNS1_25lookback_scan_determinismE0ELb0ELb0ES3_PKdPddZZZN2at6native31launch_logcumsumexp_cuda_kernelERKNSB_10TensorBaseESF_lENKUlvE_clEvENKUlvE_clEvEUlddE_dEEDaPvRmT3_T4_T5_mT6_P12ihipStream_tbENKUlT_T0_E_clISt17integral_constantIbLb1EESW_EEDaSR_SS_EUlSR_E_NS1_11comp_targetILNS1_3genE9ELNS1_11target_archE1100ELNS1_3gpuE3ELNS1_3repE0EEENS1_30default_config_static_selectorELNS0_4arch9wavefront6targetE0EEEvT1_.num_agpr, 0
	.set _ZN7rocprim17ROCPRIM_400000_NS6detail17trampoline_kernelINS0_14default_configENS1_20scan_config_selectorIdEEZZNS1_9scan_implILNS1_25lookback_scan_determinismE0ELb0ELb0ES3_PKdPddZZZN2at6native31launch_logcumsumexp_cuda_kernelERKNSB_10TensorBaseESF_lENKUlvE_clEvENKUlvE_clEvEUlddE_dEEDaPvRmT3_T4_T5_mT6_P12ihipStream_tbENKUlT_T0_E_clISt17integral_constantIbLb1EESW_EEDaSR_SS_EUlSR_E_NS1_11comp_targetILNS1_3genE9ELNS1_11target_archE1100ELNS1_3gpuE3ELNS1_3repE0EEENS1_30default_config_static_selectorELNS0_4arch9wavefront6targetE0EEEvT1_.numbered_sgpr, 0
	.set _ZN7rocprim17ROCPRIM_400000_NS6detail17trampoline_kernelINS0_14default_configENS1_20scan_config_selectorIdEEZZNS1_9scan_implILNS1_25lookback_scan_determinismE0ELb0ELb0ES3_PKdPddZZZN2at6native31launch_logcumsumexp_cuda_kernelERKNSB_10TensorBaseESF_lENKUlvE_clEvENKUlvE_clEvEUlddE_dEEDaPvRmT3_T4_T5_mT6_P12ihipStream_tbENKUlT_T0_E_clISt17integral_constantIbLb1EESW_EEDaSR_SS_EUlSR_E_NS1_11comp_targetILNS1_3genE9ELNS1_11target_archE1100ELNS1_3gpuE3ELNS1_3repE0EEENS1_30default_config_static_selectorELNS0_4arch9wavefront6targetE0EEEvT1_.num_named_barrier, 0
	.set _ZN7rocprim17ROCPRIM_400000_NS6detail17trampoline_kernelINS0_14default_configENS1_20scan_config_selectorIdEEZZNS1_9scan_implILNS1_25lookback_scan_determinismE0ELb0ELb0ES3_PKdPddZZZN2at6native31launch_logcumsumexp_cuda_kernelERKNSB_10TensorBaseESF_lENKUlvE_clEvENKUlvE_clEvEUlddE_dEEDaPvRmT3_T4_T5_mT6_P12ihipStream_tbENKUlT_T0_E_clISt17integral_constantIbLb1EESW_EEDaSR_SS_EUlSR_E_NS1_11comp_targetILNS1_3genE9ELNS1_11target_archE1100ELNS1_3gpuE3ELNS1_3repE0EEENS1_30default_config_static_selectorELNS0_4arch9wavefront6targetE0EEEvT1_.private_seg_size, 0
	.set _ZN7rocprim17ROCPRIM_400000_NS6detail17trampoline_kernelINS0_14default_configENS1_20scan_config_selectorIdEEZZNS1_9scan_implILNS1_25lookback_scan_determinismE0ELb0ELb0ES3_PKdPddZZZN2at6native31launch_logcumsumexp_cuda_kernelERKNSB_10TensorBaseESF_lENKUlvE_clEvENKUlvE_clEvEUlddE_dEEDaPvRmT3_T4_T5_mT6_P12ihipStream_tbENKUlT_T0_E_clISt17integral_constantIbLb1EESW_EEDaSR_SS_EUlSR_E_NS1_11comp_targetILNS1_3genE9ELNS1_11target_archE1100ELNS1_3gpuE3ELNS1_3repE0EEENS1_30default_config_static_selectorELNS0_4arch9wavefront6targetE0EEEvT1_.uses_vcc, 0
	.set _ZN7rocprim17ROCPRIM_400000_NS6detail17trampoline_kernelINS0_14default_configENS1_20scan_config_selectorIdEEZZNS1_9scan_implILNS1_25lookback_scan_determinismE0ELb0ELb0ES3_PKdPddZZZN2at6native31launch_logcumsumexp_cuda_kernelERKNSB_10TensorBaseESF_lENKUlvE_clEvENKUlvE_clEvEUlddE_dEEDaPvRmT3_T4_T5_mT6_P12ihipStream_tbENKUlT_T0_E_clISt17integral_constantIbLb1EESW_EEDaSR_SS_EUlSR_E_NS1_11comp_targetILNS1_3genE9ELNS1_11target_archE1100ELNS1_3gpuE3ELNS1_3repE0EEENS1_30default_config_static_selectorELNS0_4arch9wavefront6targetE0EEEvT1_.uses_flat_scratch, 0
	.set _ZN7rocprim17ROCPRIM_400000_NS6detail17trampoline_kernelINS0_14default_configENS1_20scan_config_selectorIdEEZZNS1_9scan_implILNS1_25lookback_scan_determinismE0ELb0ELb0ES3_PKdPddZZZN2at6native31launch_logcumsumexp_cuda_kernelERKNSB_10TensorBaseESF_lENKUlvE_clEvENKUlvE_clEvEUlddE_dEEDaPvRmT3_T4_T5_mT6_P12ihipStream_tbENKUlT_T0_E_clISt17integral_constantIbLb1EESW_EEDaSR_SS_EUlSR_E_NS1_11comp_targetILNS1_3genE9ELNS1_11target_archE1100ELNS1_3gpuE3ELNS1_3repE0EEENS1_30default_config_static_selectorELNS0_4arch9wavefront6targetE0EEEvT1_.has_dyn_sized_stack, 0
	.set _ZN7rocprim17ROCPRIM_400000_NS6detail17trampoline_kernelINS0_14default_configENS1_20scan_config_selectorIdEEZZNS1_9scan_implILNS1_25lookback_scan_determinismE0ELb0ELb0ES3_PKdPddZZZN2at6native31launch_logcumsumexp_cuda_kernelERKNSB_10TensorBaseESF_lENKUlvE_clEvENKUlvE_clEvEUlddE_dEEDaPvRmT3_T4_T5_mT6_P12ihipStream_tbENKUlT_T0_E_clISt17integral_constantIbLb1EESW_EEDaSR_SS_EUlSR_E_NS1_11comp_targetILNS1_3genE9ELNS1_11target_archE1100ELNS1_3gpuE3ELNS1_3repE0EEENS1_30default_config_static_selectorELNS0_4arch9wavefront6targetE0EEEvT1_.has_recursion, 0
	.set _ZN7rocprim17ROCPRIM_400000_NS6detail17trampoline_kernelINS0_14default_configENS1_20scan_config_selectorIdEEZZNS1_9scan_implILNS1_25lookback_scan_determinismE0ELb0ELb0ES3_PKdPddZZZN2at6native31launch_logcumsumexp_cuda_kernelERKNSB_10TensorBaseESF_lENKUlvE_clEvENKUlvE_clEvEUlddE_dEEDaPvRmT3_T4_T5_mT6_P12ihipStream_tbENKUlT_T0_E_clISt17integral_constantIbLb1EESW_EEDaSR_SS_EUlSR_E_NS1_11comp_targetILNS1_3genE9ELNS1_11target_archE1100ELNS1_3gpuE3ELNS1_3repE0EEENS1_30default_config_static_selectorELNS0_4arch9wavefront6targetE0EEEvT1_.has_indirect_call, 0
	.section	.AMDGPU.csdata,"",@progbits
; Kernel info:
; codeLenInByte = 0
; TotalNumSgprs: 0
; NumVgprs: 0
; ScratchSize: 0
; MemoryBound: 0
; FloatMode: 240
; IeeeMode: 1
; LDSByteSize: 0 bytes/workgroup (compile time only)
; SGPRBlocks: 0
; VGPRBlocks: 0
; NumSGPRsForWavesPerEU: 1
; NumVGPRsForWavesPerEU: 1
; Occupancy: 16
; WaveLimiterHint : 0
; COMPUTE_PGM_RSRC2:SCRATCH_EN: 0
; COMPUTE_PGM_RSRC2:USER_SGPR: 2
; COMPUTE_PGM_RSRC2:TRAP_HANDLER: 0
; COMPUTE_PGM_RSRC2:TGID_X_EN: 1
; COMPUTE_PGM_RSRC2:TGID_Y_EN: 0
; COMPUTE_PGM_RSRC2:TGID_Z_EN: 0
; COMPUTE_PGM_RSRC2:TIDIG_COMP_CNT: 0
	.section	.text._ZN7rocprim17ROCPRIM_400000_NS6detail17trampoline_kernelINS0_14default_configENS1_20scan_config_selectorIdEEZZNS1_9scan_implILNS1_25lookback_scan_determinismE0ELb0ELb0ES3_PKdPddZZZN2at6native31launch_logcumsumexp_cuda_kernelERKNSB_10TensorBaseESF_lENKUlvE_clEvENKUlvE_clEvEUlddE_dEEDaPvRmT3_T4_T5_mT6_P12ihipStream_tbENKUlT_T0_E_clISt17integral_constantIbLb1EESW_EEDaSR_SS_EUlSR_E_NS1_11comp_targetILNS1_3genE8ELNS1_11target_archE1030ELNS1_3gpuE2ELNS1_3repE0EEENS1_30default_config_static_selectorELNS0_4arch9wavefront6targetE0EEEvT1_,"axG",@progbits,_ZN7rocprim17ROCPRIM_400000_NS6detail17trampoline_kernelINS0_14default_configENS1_20scan_config_selectorIdEEZZNS1_9scan_implILNS1_25lookback_scan_determinismE0ELb0ELb0ES3_PKdPddZZZN2at6native31launch_logcumsumexp_cuda_kernelERKNSB_10TensorBaseESF_lENKUlvE_clEvENKUlvE_clEvEUlddE_dEEDaPvRmT3_T4_T5_mT6_P12ihipStream_tbENKUlT_T0_E_clISt17integral_constantIbLb1EESW_EEDaSR_SS_EUlSR_E_NS1_11comp_targetILNS1_3genE8ELNS1_11target_archE1030ELNS1_3gpuE2ELNS1_3repE0EEENS1_30default_config_static_selectorELNS0_4arch9wavefront6targetE0EEEvT1_,comdat
	.globl	_ZN7rocprim17ROCPRIM_400000_NS6detail17trampoline_kernelINS0_14default_configENS1_20scan_config_selectorIdEEZZNS1_9scan_implILNS1_25lookback_scan_determinismE0ELb0ELb0ES3_PKdPddZZZN2at6native31launch_logcumsumexp_cuda_kernelERKNSB_10TensorBaseESF_lENKUlvE_clEvENKUlvE_clEvEUlddE_dEEDaPvRmT3_T4_T5_mT6_P12ihipStream_tbENKUlT_T0_E_clISt17integral_constantIbLb1EESW_EEDaSR_SS_EUlSR_E_NS1_11comp_targetILNS1_3genE8ELNS1_11target_archE1030ELNS1_3gpuE2ELNS1_3repE0EEENS1_30default_config_static_selectorELNS0_4arch9wavefront6targetE0EEEvT1_ ; -- Begin function _ZN7rocprim17ROCPRIM_400000_NS6detail17trampoline_kernelINS0_14default_configENS1_20scan_config_selectorIdEEZZNS1_9scan_implILNS1_25lookback_scan_determinismE0ELb0ELb0ES3_PKdPddZZZN2at6native31launch_logcumsumexp_cuda_kernelERKNSB_10TensorBaseESF_lENKUlvE_clEvENKUlvE_clEvEUlddE_dEEDaPvRmT3_T4_T5_mT6_P12ihipStream_tbENKUlT_T0_E_clISt17integral_constantIbLb1EESW_EEDaSR_SS_EUlSR_E_NS1_11comp_targetILNS1_3genE8ELNS1_11target_archE1030ELNS1_3gpuE2ELNS1_3repE0EEENS1_30default_config_static_selectorELNS0_4arch9wavefront6targetE0EEEvT1_
	.p2align	8
	.type	_ZN7rocprim17ROCPRIM_400000_NS6detail17trampoline_kernelINS0_14default_configENS1_20scan_config_selectorIdEEZZNS1_9scan_implILNS1_25lookback_scan_determinismE0ELb0ELb0ES3_PKdPddZZZN2at6native31launch_logcumsumexp_cuda_kernelERKNSB_10TensorBaseESF_lENKUlvE_clEvENKUlvE_clEvEUlddE_dEEDaPvRmT3_T4_T5_mT6_P12ihipStream_tbENKUlT_T0_E_clISt17integral_constantIbLb1EESW_EEDaSR_SS_EUlSR_E_NS1_11comp_targetILNS1_3genE8ELNS1_11target_archE1030ELNS1_3gpuE2ELNS1_3repE0EEENS1_30default_config_static_selectorELNS0_4arch9wavefront6targetE0EEEvT1_,@function
_ZN7rocprim17ROCPRIM_400000_NS6detail17trampoline_kernelINS0_14default_configENS1_20scan_config_selectorIdEEZZNS1_9scan_implILNS1_25lookback_scan_determinismE0ELb0ELb0ES3_PKdPddZZZN2at6native31launch_logcumsumexp_cuda_kernelERKNSB_10TensorBaseESF_lENKUlvE_clEvENKUlvE_clEvEUlddE_dEEDaPvRmT3_T4_T5_mT6_P12ihipStream_tbENKUlT_T0_E_clISt17integral_constantIbLb1EESW_EEDaSR_SS_EUlSR_E_NS1_11comp_targetILNS1_3genE8ELNS1_11target_archE1030ELNS1_3gpuE2ELNS1_3repE0EEENS1_30default_config_static_selectorELNS0_4arch9wavefront6targetE0EEEvT1_: ; @_ZN7rocprim17ROCPRIM_400000_NS6detail17trampoline_kernelINS0_14default_configENS1_20scan_config_selectorIdEEZZNS1_9scan_implILNS1_25lookback_scan_determinismE0ELb0ELb0ES3_PKdPddZZZN2at6native31launch_logcumsumexp_cuda_kernelERKNSB_10TensorBaseESF_lENKUlvE_clEvENKUlvE_clEvEUlddE_dEEDaPvRmT3_T4_T5_mT6_P12ihipStream_tbENKUlT_T0_E_clISt17integral_constantIbLb1EESW_EEDaSR_SS_EUlSR_E_NS1_11comp_targetILNS1_3genE8ELNS1_11target_archE1030ELNS1_3gpuE2ELNS1_3repE0EEENS1_30default_config_static_selectorELNS0_4arch9wavefront6targetE0EEEvT1_
; %bb.0:
	.section	.rodata,"a",@progbits
	.p2align	6, 0x0
	.amdhsa_kernel _ZN7rocprim17ROCPRIM_400000_NS6detail17trampoline_kernelINS0_14default_configENS1_20scan_config_selectorIdEEZZNS1_9scan_implILNS1_25lookback_scan_determinismE0ELb0ELb0ES3_PKdPddZZZN2at6native31launch_logcumsumexp_cuda_kernelERKNSB_10TensorBaseESF_lENKUlvE_clEvENKUlvE_clEvEUlddE_dEEDaPvRmT3_T4_T5_mT6_P12ihipStream_tbENKUlT_T0_E_clISt17integral_constantIbLb1EESW_EEDaSR_SS_EUlSR_E_NS1_11comp_targetILNS1_3genE8ELNS1_11target_archE1030ELNS1_3gpuE2ELNS1_3repE0EEENS1_30default_config_static_selectorELNS0_4arch9wavefront6targetE0EEEvT1_
		.amdhsa_group_segment_fixed_size 0
		.amdhsa_private_segment_fixed_size 0
		.amdhsa_kernarg_size 104
		.amdhsa_user_sgpr_count 2
		.amdhsa_user_sgpr_dispatch_ptr 0
		.amdhsa_user_sgpr_queue_ptr 0
		.amdhsa_user_sgpr_kernarg_segment_ptr 1
		.amdhsa_user_sgpr_dispatch_id 0
		.amdhsa_user_sgpr_private_segment_size 0
		.amdhsa_wavefront_size32 1
		.amdhsa_uses_dynamic_stack 0
		.amdhsa_enable_private_segment 0
		.amdhsa_system_sgpr_workgroup_id_x 1
		.amdhsa_system_sgpr_workgroup_id_y 0
		.amdhsa_system_sgpr_workgroup_id_z 0
		.amdhsa_system_sgpr_workgroup_info 0
		.amdhsa_system_vgpr_workitem_id 0
		.amdhsa_next_free_vgpr 1
		.amdhsa_next_free_sgpr 1
		.amdhsa_reserve_vcc 0
		.amdhsa_float_round_mode_32 0
		.amdhsa_float_round_mode_16_64 0
		.amdhsa_float_denorm_mode_32 3
		.amdhsa_float_denorm_mode_16_64 3
		.amdhsa_fp16_overflow 0
		.amdhsa_workgroup_processor_mode 1
		.amdhsa_memory_ordered 1
		.amdhsa_forward_progress 1
		.amdhsa_inst_pref_size 0
		.amdhsa_round_robin_scheduling 0
		.amdhsa_exception_fp_ieee_invalid_op 0
		.amdhsa_exception_fp_denorm_src 0
		.amdhsa_exception_fp_ieee_div_zero 0
		.amdhsa_exception_fp_ieee_overflow 0
		.amdhsa_exception_fp_ieee_underflow 0
		.amdhsa_exception_fp_ieee_inexact 0
		.amdhsa_exception_int_div_zero 0
	.end_amdhsa_kernel
	.section	.text._ZN7rocprim17ROCPRIM_400000_NS6detail17trampoline_kernelINS0_14default_configENS1_20scan_config_selectorIdEEZZNS1_9scan_implILNS1_25lookback_scan_determinismE0ELb0ELb0ES3_PKdPddZZZN2at6native31launch_logcumsumexp_cuda_kernelERKNSB_10TensorBaseESF_lENKUlvE_clEvENKUlvE_clEvEUlddE_dEEDaPvRmT3_T4_T5_mT6_P12ihipStream_tbENKUlT_T0_E_clISt17integral_constantIbLb1EESW_EEDaSR_SS_EUlSR_E_NS1_11comp_targetILNS1_3genE8ELNS1_11target_archE1030ELNS1_3gpuE2ELNS1_3repE0EEENS1_30default_config_static_selectorELNS0_4arch9wavefront6targetE0EEEvT1_,"axG",@progbits,_ZN7rocprim17ROCPRIM_400000_NS6detail17trampoline_kernelINS0_14default_configENS1_20scan_config_selectorIdEEZZNS1_9scan_implILNS1_25lookback_scan_determinismE0ELb0ELb0ES3_PKdPddZZZN2at6native31launch_logcumsumexp_cuda_kernelERKNSB_10TensorBaseESF_lENKUlvE_clEvENKUlvE_clEvEUlddE_dEEDaPvRmT3_T4_T5_mT6_P12ihipStream_tbENKUlT_T0_E_clISt17integral_constantIbLb1EESW_EEDaSR_SS_EUlSR_E_NS1_11comp_targetILNS1_3genE8ELNS1_11target_archE1030ELNS1_3gpuE2ELNS1_3repE0EEENS1_30default_config_static_selectorELNS0_4arch9wavefront6targetE0EEEvT1_,comdat
.Lfunc_end36:
	.size	_ZN7rocprim17ROCPRIM_400000_NS6detail17trampoline_kernelINS0_14default_configENS1_20scan_config_selectorIdEEZZNS1_9scan_implILNS1_25lookback_scan_determinismE0ELb0ELb0ES3_PKdPddZZZN2at6native31launch_logcumsumexp_cuda_kernelERKNSB_10TensorBaseESF_lENKUlvE_clEvENKUlvE_clEvEUlddE_dEEDaPvRmT3_T4_T5_mT6_P12ihipStream_tbENKUlT_T0_E_clISt17integral_constantIbLb1EESW_EEDaSR_SS_EUlSR_E_NS1_11comp_targetILNS1_3genE8ELNS1_11target_archE1030ELNS1_3gpuE2ELNS1_3repE0EEENS1_30default_config_static_selectorELNS0_4arch9wavefront6targetE0EEEvT1_, .Lfunc_end36-_ZN7rocprim17ROCPRIM_400000_NS6detail17trampoline_kernelINS0_14default_configENS1_20scan_config_selectorIdEEZZNS1_9scan_implILNS1_25lookback_scan_determinismE0ELb0ELb0ES3_PKdPddZZZN2at6native31launch_logcumsumexp_cuda_kernelERKNSB_10TensorBaseESF_lENKUlvE_clEvENKUlvE_clEvEUlddE_dEEDaPvRmT3_T4_T5_mT6_P12ihipStream_tbENKUlT_T0_E_clISt17integral_constantIbLb1EESW_EEDaSR_SS_EUlSR_E_NS1_11comp_targetILNS1_3genE8ELNS1_11target_archE1030ELNS1_3gpuE2ELNS1_3repE0EEENS1_30default_config_static_selectorELNS0_4arch9wavefront6targetE0EEEvT1_
                                        ; -- End function
	.set _ZN7rocprim17ROCPRIM_400000_NS6detail17trampoline_kernelINS0_14default_configENS1_20scan_config_selectorIdEEZZNS1_9scan_implILNS1_25lookback_scan_determinismE0ELb0ELb0ES3_PKdPddZZZN2at6native31launch_logcumsumexp_cuda_kernelERKNSB_10TensorBaseESF_lENKUlvE_clEvENKUlvE_clEvEUlddE_dEEDaPvRmT3_T4_T5_mT6_P12ihipStream_tbENKUlT_T0_E_clISt17integral_constantIbLb1EESW_EEDaSR_SS_EUlSR_E_NS1_11comp_targetILNS1_3genE8ELNS1_11target_archE1030ELNS1_3gpuE2ELNS1_3repE0EEENS1_30default_config_static_selectorELNS0_4arch9wavefront6targetE0EEEvT1_.num_vgpr, 0
	.set _ZN7rocprim17ROCPRIM_400000_NS6detail17trampoline_kernelINS0_14default_configENS1_20scan_config_selectorIdEEZZNS1_9scan_implILNS1_25lookback_scan_determinismE0ELb0ELb0ES3_PKdPddZZZN2at6native31launch_logcumsumexp_cuda_kernelERKNSB_10TensorBaseESF_lENKUlvE_clEvENKUlvE_clEvEUlddE_dEEDaPvRmT3_T4_T5_mT6_P12ihipStream_tbENKUlT_T0_E_clISt17integral_constantIbLb1EESW_EEDaSR_SS_EUlSR_E_NS1_11comp_targetILNS1_3genE8ELNS1_11target_archE1030ELNS1_3gpuE2ELNS1_3repE0EEENS1_30default_config_static_selectorELNS0_4arch9wavefront6targetE0EEEvT1_.num_agpr, 0
	.set _ZN7rocprim17ROCPRIM_400000_NS6detail17trampoline_kernelINS0_14default_configENS1_20scan_config_selectorIdEEZZNS1_9scan_implILNS1_25lookback_scan_determinismE0ELb0ELb0ES3_PKdPddZZZN2at6native31launch_logcumsumexp_cuda_kernelERKNSB_10TensorBaseESF_lENKUlvE_clEvENKUlvE_clEvEUlddE_dEEDaPvRmT3_T4_T5_mT6_P12ihipStream_tbENKUlT_T0_E_clISt17integral_constantIbLb1EESW_EEDaSR_SS_EUlSR_E_NS1_11comp_targetILNS1_3genE8ELNS1_11target_archE1030ELNS1_3gpuE2ELNS1_3repE0EEENS1_30default_config_static_selectorELNS0_4arch9wavefront6targetE0EEEvT1_.numbered_sgpr, 0
	.set _ZN7rocprim17ROCPRIM_400000_NS6detail17trampoline_kernelINS0_14default_configENS1_20scan_config_selectorIdEEZZNS1_9scan_implILNS1_25lookback_scan_determinismE0ELb0ELb0ES3_PKdPddZZZN2at6native31launch_logcumsumexp_cuda_kernelERKNSB_10TensorBaseESF_lENKUlvE_clEvENKUlvE_clEvEUlddE_dEEDaPvRmT3_T4_T5_mT6_P12ihipStream_tbENKUlT_T0_E_clISt17integral_constantIbLb1EESW_EEDaSR_SS_EUlSR_E_NS1_11comp_targetILNS1_3genE8ELNS1_11target_archE1030ELNS1_3gpuE2ELNS1_3repE0EEENS1_30default_config_static_selectorELNS0_4arch9wavefront6targetE0EEEvT1_.num_named_barrier, 0
	.set _ZN7rocprim17ROCPRIM_400000_NS6detail17trampoline_kernelINS0_14default_configENS1_20scan_config_selectorIdEEZZNS1_9scan_implILNS1_25lookback_scan_determinismE0ELb0ELb0ES3_PKdPddZZZN2at6native31launch_logcumsumexp_cuda_kernelERKNSB_10TensorBaseESF_lENKUlvE_clEvENKUlvE_clEvEUlddE_dEEDaPvRmT3_T4_T5_mT6_P12ihipStream_tbENKUlT_T0_E_clISt17integral_constantIbLb1EESW_EEDaSR_SS_EUlSR_E_NS1_11comp_targetILNS1_3genE8ELNS1_11target_archE1030ELNS1_3gpuE2ELNS1_3repE0EEENS1_30default_config_static_selectorELNS0_4arch9wavefront6targetE0EEEvT1_.private_seg_size, 0
	.set _ZN7rocprim17ROCPRIM_400000_NS6detail17trampoline_kernelINS0_14default_configENS1_20scan_config_selectorIdEEZZNS1_9scan_implILNS1_25lookback_scan_determinismE0ELb0ELb0ES3_PKdPddZZZN2at6native31launch_logcumsumexp_cuda_kernelERKNSB_10TensorBaseESF_lENKUlvE_clEvENKUlvE_clEvEUlddE_dEEDaPvRmT3_T4_T5_mT6_P12ihipStream_tbENKUlT_T0_E_clISt17integral_constantIbLb1EESW_EEDaSR_SS_EUlSR_E_NS1_11comp_targetILNS1_3genE8ELNS1_11target_archE1030ELNS1_3gpuE2ELNS1_3repE0EEENS1_30default_config_static_selectorELNS0_4arch9wavefront6targetE0EEEvT1_.uses_vcc, 0
	.set _ZN7rocprim17ROCPRIM_400000_NS6detail17trampoline_kernelINS0_14default_configENS1_20scan_config_selectorIdEEZZNS1_9scan_implILNS1_25lookback_scan_determinismE0ELb0ELb0ES3_PKdPddZZZN2at6native31launch_logcumsumexp_cuda_kernelERKNSB_10TensorBaseESF_lENKUlvE_clEvENKUlvE_clEvEUlddE_dEEDaPvRmT3_T4_T5_mT6_P12ihipStream_tbENKUlT_T0_E_clISt17integral_constantIbLb1EESW_EEDaSR_SS_EUlSR_E_NS1_11comp_targetILNS1_3genE8ELNS1_11target_archE1030ELNS1_3gpuE2ELNS1_3repE0EEENS1_30default_config_static_selectorELNS0_4arch9wavefront6targetE0EEEvT1_.uses_flat_scratch, 0
	.set _ZN7rocprim17ROCPRIM_400000_NS6detail17trampoline_kernelINS0_14default_configENS1_20scan_config_selectorIdEEZZNS1_9scan_implILNS1_25lookback_scan_determinismE0ELb0ELb0ES3_PKdPddZZZN2at6native31launch_logcumsumexp_cuda_kernelERKNSB_10TensorBaseESF_lENKUlvE_clEvENKUlvE_clEvEUlddE_dEEDaPvRmT3_T4_T5_mT6_P12ihipStream_tbENKUlT_T0_E_clISt17integral_constantIbLb1EESW_EEDaSR_SS_EUlSR_E_NS1_11comp_targetILNS1_3genE8ELNS1_11target_archE1030ELNS1_3gpuE2ELNS1_3repE0EEENS1_30default_config_static_selectorELNS0_4arch9wavefront6targetE0EEEvT1_.has_dyn_sized_stack, 0
	.set _ZN7rocprim17ROCPRIM_400000_NS6detail17trampoline_kernelINS0_14default_configENS1_20scan_config_selectorIdEEZZNS1_9scan_implILNS1_25lookback_scan_determinismE0ELb0ELb0ES3_PKdPddZZZN2at6native31launch_logcumsumexp_cuda_kernelERKNSB_10TensorBaseESF_lENKUlvE_clEvENKUlvE_clEvEUlddE_dEEDaPvRmT3_T4_T5_mT6_P12ihipStream_tbENKUlT_T0_E_clISt17integral_constantIbLb1EESW_EEDaSR_SS_EUlSR_E_NS1_11comp_targetILNS1_3genE8ELNS1_11target_archE1030ELNS1_3gpuE2ELNS1_3repE0EEENS1_30default_config_static_selectorELNS0_4arch9wavefront6targetE0EEEvT1_.has_recursion, 0
	.set _ZN7rocprim17ROCPRIM_400000_NS6detail17trampoline_kernelINS0_14default_configENS1_20scan_config_selectorIdEEZZNS1_9scan_implILNS1_25lookback_scan_determinismE0ELb0ELb0ES3_PKdPddZZZN2at6native31launch_logcumsumexp_cuda_kernelERKNSB_10TensorBaseESF_lENKUlvE_clEvENKUlvE_clEvEUlddE_dEEDaPvRmT3_T4_T5_mT6_P12ihipStream_tbENKUlT_T0_E_clISt17integral_constantIbLb1EESW_EEDaSR_SS_EUlSR_E_NS1_11comp_targetILNS1_3genE8ELNS1_11target_archE1030ELNS1_3gpuE2ELNS1_3repE0EEENS1_30default_config_static_selectorELNS0_4arch9wavefront6targetE0EEEvT1_.has_indirect_call, 0
	.section	.AMDGPU.csdata,"",@progbits
; Kernel info:
; codeLenInByte = 0
; TotalNumSgprs: 0
; NumVgprs: 0
; ScratchSize: 0
; MemoryBound: 0
; FloatMode: 240
; IeeeMode: 1
; LDSByteSize: 0 bytes/workgroup (compile time only)
; SGPRBlocks: 0
; VGPRBlocks: 0
; NumSGPRsForWavesPerEU: 1
; NumVGPRsForWavesPerEU: 1
; Occupancy: 16
; WaveLimiterHint : 0
; COMPUTE_PGM_RSRC2:SCRATCH_EN: 0
; COMPUTE_PGM_RSRC2:USER_SGPR: 2
; COMPUTE_PGM_RSRC2:TRAP_HANDLER: 0
; COMPUTE_PGM_RSRC2:TGID_X_EN: 1
; COMPUTE_PGM_RSRC2:TGID_Y_EN: 0
; COMPUTE_PGM_RSRC2:TGID_Z_EN: 0
; COMPUTE_PGM_RSRC2:TIDIG_COMP_CNT: 0
	.section	.text._ZN7rocprim17ROCPRIM_400000_NS6detail17trampoline_kernelINS0_14default_configENS1_20scan_config_selectorIdEEZZNS1_9scan_implILNS1_25lookback_scan_determinismE0ELb0ELb0ES3_PKdPddZZZN2at6native31launch_logcumsumexp_cuda_kernelERKNSB_10TensorBaseESF_lENKUlvE_clEvENKUlvE_clEvEUlddE_dEEDaPvRmT3_T4_T5_mT6_P12ihipStream_tbENKUlT_T0_E_clISt17integral_constantIbLb1EESW_EEDaSR_SS_EUlSR_E0_NS1_11comp_targetILNS1_3genE0ELNS1_11target_archE4294967295ELNS1_3gpuE0ELNS1_3repE0EEENS1_30default_config_static_selectorELNS0_4arch9wavefront6targetE0EEEvT1_,"axG",@progbits,_ZN7rocprim17ROCPRIM_400000_NS6detail17trampoline_kernelINS0_14default_configENS1_20scan_config_selectorIdEEZZNS1_9scan_implILNS1_25lookback_scan_determinismE0ELb0ELb0ES3_PKdPddZZZN2at6native31launch_logcumsumexp_cuda_kernelERKNSB_10TensorBaseESF_lENKUlvE_clEvENKUlvE_clEvEUlddE_dEEDaPvRmT3_T4_T5_mT6_P12ihipStream_tbENKUlT_T0_E_clISt17integral_constantIbLb1EESW_EEDaSR_SS_EUlSR_E0_NS1_11comp_targetILNS1_3genE0ELNS1_11target_archE4294967295ELNS1_3gpuE0ELNS1_3repE0EEENS1_30default_config_static_selectorELNS0_4arch9wavefront6targetE0EEEvT1_,comdat
	.globl	_ZN7rocprim17ROCPRIM_400000_NS6detail17trampoline_kernelINS0_14default_configENS1_20scan_config_selectorIdEEZZNS1_9scan_implILNS1_25lookback_scan_determinismE0ELb0ELb0ES3_PKdPddZZZN2at6native31launch_logcumsumexp_cuda_kernelERKNSB_10TensorBaseESF_lENKUlvE_clEvENKUlvE_clEvEUlddE_dEEDaPvRmT3_T4_T5_mT6_P12ihipStream_tbENKUlT_T0_E_clISt17integral_constantIbLb1EESW_EEDaSR_SS_EUlSR_E0_NS1_11comp_targetILNS1_3genE0ELNS1_11target_archE4294967295ELNS1_3gpuE0ELNS1_3repE0EEENS1_30default_config_static_selectorELNS0_4arch9wavefront6targetE0EEEvT1_ ; -- Begin function _ZN7rocprim17ROCPRIM_400000_NS6detail17trampoline_kernelINS0_14default_configENS1_20scan_config_selectorIdEEZZNS1_9scan_implILNS1_25lookback_scan_determinismE0ELb0ELb0ES3_PKdPddZZZN2at6native31launch_logcumsumexp_cuda_kernelERKNSB_10TensorBaseESF_lENKUlvE_clEvENKUlvE_clEvEUlddE_dEEDaPvRmT3_T4_T5_mT6_P12ihipStream_tbENKUlT_T0_E_clISt17integral_constantIbLb1EESW_EEDaSR_SS_EUlSR_E0_NS1_11comp_targetILNS1_3genE0ELNS1_11target_archE4294967295ELNS1_3gpuE0ELNS1_3repE0EEENS1_30default_config_static_selectorELNS0_4arch9wavefront6targetE0EEEvT1_
	.p2align	8
	.type	_ZN7rocprim17ROCPRIM_400000_NS6detail17trampoline_kernelINS0_14default_configENS1_20scan_config_selectorIdEEZZNS1_9scan_implILNS1_25lookback_scan_determinismE0ELb0ELb0ES3_PKdPddZZZN2at6native31launch_logcumsumexp_cuda_kernelERKNSB_10TensorBaseESF_lENKUlvE_clEvENKUlvE_clEvEUlddE_dEEDaPvRmT3_T4_T5_mT6_P12ihipStream_tbENKUlT_T0_E_clISt17integral_constantIbLb1EESW_EEDaSR_SS_EUlSR_E0_NS1_11comp_targetILNS1_3genE0ELNS1_11target_archE4294967295ELNS1_3gpuE0ELNS1_3repE0EEENS1_30default_config_static_selectorELNS0_4arch9wavefront6targetE0EEEvT1_,@function
_ZN7rocprim17ROCPRIM_400000_NS6detail17trampoline_kernelINS0_14default_configENS1_20scan_config_selectorIdEEZZNS1_9scan_implILNS1_25lookback_scan_determinismE0ELb0ELb0ES3_PKdPddZZZN2at6native31launch_logcumsumexp_cuda_kernelERKNSB_10TensorBaseESF_lENKUlvE_clEvENKUlvE_clEvEUlddE_dEEDaPvRmT3_T4_T5_mT6_P12ihipStream_tbENKUlT_T0_E_clISt17integral_constantIbLb1EESW_EEDaSR_SS_EUlSR_E0_NS1_11comp_targetILNS1_3genE0ELNS1_11target_archE4294967295ELNS1_3gpuE0ELNS1_3repE0EEENS1_30default_config_static_selectorELNS0_4arch9wavefront6targetE0EEEvT1_: ; @_ZN7rocprim17ROCPRIM_400000_NS6detail17trampoline_kernelINS0_14default_configENS1_20scan_config_selectorIdEEZZNS1_9scan_implILNS1_25lookback_scan_determinismE0ELb0ELb0ES3_PKdPddZZZN2at6native31launch_logcumsumexp_cuda_kernelERKNSB_10TensorBaseESF_lENKUlvE_clEvENKUlvE_clEvEUlddE_dEEDaPvRmT3_T4_T5_mT6_P12ihipStream_tbENKUlT_T0_E_clISt17integral_constantIbLb1EESW_EEDaSR_SS_EUlSR_E0_NS1_11comp_targetILNS1_3genE0ELNS1_11target_archE4294967295ELNS1_3gpuE0ELNS1_3repE0EEENS1_30default_config_static_selectorELNS0_4arch9wavefront6targetE0EEEvT1_
; %bb.0:
	.section	.rodata,"a",@progbits
	.p2align	6, 0x0
	.amdhsa_kernel _ZN7rocprim17ROCPRIM_400000_NS6detail17trampoline_kernelINS0_14default_configENS1_20scan_config_selectorIdEEZZNS1_9scan_implILNS1_25lookback_scan_determinismE0ELb0ELb0ES3_PKdPddZZZN2at6native31launch_logcumsumexp_cuda_kernelERKNSB_10TensorBaseESF_lENKUlvE_clEvENKUlvE_clEvEUlddE_dEEDaPvRmT3_T4_T5_mT6_P12ihipStream_tbENKUlT_T0_E_clISt17integral_constantIbLb1EESW_EEDaSR_SS_EUlSR_E0_NS1_11comp_targetILNS1_3genE0ELNS1_11target_archE4294967295ELNS1_3gpuE0ELNS1_3repE0EEENS1_30default_config_static_selectorELNS0_4arch9wavefront6targetE0EEEvT1_
		.amdhsa_group_segment_fixed_size 0
		.amdhsa_private_segment_fixed_size 0
		.amdhsa_kernarg_size 40
		.amdhsa_user_sgpr_count 2
		.amdhsa_user_sgpr_dispatch_ptr 0
		.amdhsa_user_sgpr_queue_ptr 0
		.amdhsa_user_sgpr_kernarg_segment_ptr 1
		.amdhsa_user_sgpr_dispatch_id 0
		.amdhsa_user_sgpr_private_segment_size 0
		.amdhsa_wavefront_size32 1
		.amdhsa_uses_dynamic_stack 0
		.amdhsa_enable_private_segment 0
		.amdhsa_system_sgpr_workgroup_id_x 1
		.amdhsa_system_sgpr_workgroup_id_y 0
		.amdhsa_system_sgpr_workgroup_id_z 0
		.amdhsa_system_sgpr_workgroup_info 0
		.amdhsa_system_vgpr_workitem_id 0
		.amdhsa_next_free_vgpr 1
		.amdhsa_next_free_sgpr 1
		.amdhsa_reserve_vcc 0
		.amdhsa_float_round_mode_32 0
		.amdhsa_float_round_mode_16_64 0
		.amdhsa_float_denorm_mode_32 3
		.amdhsa_float_denorm_mode_16_64 3
		.amdhsa_fp16_overflow 0
		.amdhsa_workgroup_processor_mode 1
		.amdhsa_memory_ordered 1
		.amdhsa_forward_progress 1
		.amdhsa_inst_pref_size 0
		.amdhsa_round_robin_scheduling 0
		.amdhsa_exception_fp_ieee_invalid_op 0
		.amdhsa_exception_fp_denorm_src 0
		.amdhsa_exception_fp_ieee_div_zero 0
		.amdhsa_exception_fp_ieee_overflow 0
		.amdhsa_exception_fp_ieee_underflow 0
		.amdhsa_exception_fp_ieee_inexact 0
		.amdhsa_exception_int_div_zero 0
	.end_amdhsa_kernel
	.section	.text._ZN7rocprim17ROCPRIM_400000_NS6detail17trampoline_kernelINS0_14default_configENS1_20scan_config_selectorIdEEZZNS1_9scan_implILNS1_25lookback_scan_determinismE0ELb0ELb0ES3_PKdPddZZZN2at6native31launch_logcumsumexp_cuda_kernelERKNSB_10TensorBaseESF_lENKUlvE_clEvENKUlvE_clEvEUlddE_dEEDaPvRmT3_T4_T5_mT6_P12ihipStream_tbENKUlT_T0_E_clISt17integral_constantIbLb1EESW_EEDaSR_SS_EUlSR_E0_NS1_11comp_targetILNS1_3genE0ELNS1_11target_archE4294967295ELNS1_3gpuE0ELNS1_3repE0EEENS1_30default_config_static_selectorELNS0_4arch9wavefront6targetE0EEEvT1_,"axG",@progbits,_ZN7rocprim17ROCPRIM_400000_NS6detail17trampoline_kernelINS0_14default_configENS1_20scan_config_selectorIdEEZZNS1_9scan_implILNS1_25lookback_scan_determinismE0ELb0ELb0ES3_PKdPddZZZN2at6native31launch_logcumsumexp_cuda_kernelERKNSB_10TensorBaseESF_lENKUlvE_clEvENKUlvE_clEvEUlddE_dEEDaPvRmT3_T4_T5_mT6_P12ihipStream_tbENKUlT_T0_E_clISt17integral_constantIbLb1EESW_EEDaSR_SS_EUlSR_E0_NS1_11comp_targetILNS1_3genE0ELNS1_11target_archE4294967295ELNS1_3gpuE0ELNS1_3repE0EEENS1_30default_config_static_selectorELNS0_4arch9wavefront6targetE0EEEvT1_,comdat
.Lfunc_end37:
	.size	_ZN7rocprim17ROCPRIM_400000_NS6detail17trampoline_kernelINS0_14default_configENS1_20scan_config_selectorIdEEZZNS1_9scan_implILNS1_25lookback_scan_determinismE0ELb0ELb0ES3_PKdPddZZZN2at6native31launch_logcumsumexp_cuda_kernelERKNSB_10TensorBaseESF_lENKUlvE_clEvENKUlvE_clEvEUlddE_dEEDaPvRmT3_T4_T5_mT6_P12ihipStream_tbENKUlT_T0_E_clISt17integral_constantIbLb1EESW_EEDaSR_SS_EUlSR_E0_NS1_11comp_targetILNS1_3genE0ELNS1_11target_archE4294967295ELNS1_3gpuE0ELNS1_3repE0EEENS1_30default_config_static_selectorELNS0_4arch9wavefront6targetE0EEEvT1_, .Lfunc_end37-_ZN7rocprim17ROCPRIM_400000_NS6detail17trampoline_kernelINS0_14default_configENS1_20scan_config_selectorIdEEZZNS1_9scan_implILNS1_25lookback_scan_determinismE0ELb0ELb0ES3_PKdPddZZZN2at6native31launch_logcumsumexp_cuda_kernelERKNSB_10TensorBaseESF_lENKUlvE_clEvENKUlvE_clEvEUlddE_dEEDaPvRmT3_T4_T5_mT6_P12ihipStream_tbENKUlT_T0_E_clISt17integral_constantIbLb1EESW_EEDaSR_SS_EUlSR_E0_NS1_11comp_targetILNS1_3genE0ELNS1_11target_archE4294967295ELNS1_3gpuE0ELNS1_3repE0EEENS1_30default_config_static_selectorELNS0_4arch9wavefront6targetE0EEEvT1_
                                        ; -- End function
	.set _ZN7rocprim17ROCPRIM_400000_NS6detail17trampoline_kernelINS0_14default_configENS1_20scan_config_selectorIdEEZZNS1_9scan_implILNS1_25lookback_scan_determinismE0ELb0ELb0ES3_PKdPddZZZN2at6native31launch_logcumsumexp_cuda_kernelERKNSB_10TensorBaseESF_lENKUlvE_clEvENKUlvE_clEvEUlddE_dEEDaPvRmT3_T4_T5_mT6_P12ihipStream_tbENKUlT_T0_E_clISt17integral_constantIbLb1EESW_EEDaSR_SS_EUlSR_E0_NS1_11comp_targetILNS1_3genE0ELNS1_11target_archE4294967295ELNS1_3gpuE0ELNS1_3repE0EEENS1_30default_config_static_selectorELNS0_4arch9wavefront6targetE0EEEvT1_.num_vgpr, 0
	.set _ZN7rocprim17ROCPRIM_400000_NS6detail17trampoline_kernelINS0_14default_configENS1_20scan_config_selectorIdEEZZNS1_9scan_implILNS1_25lookback_scan_determinismE0ELb0ELb0ES3_PKdPddZZZN2at6native31launch_logcumsumexp_cuda_kernelERKNSB_10TensorBaseESF_lENKUlvE_clEvENKUlvE_clEvEUlddE_dEEDaPvRmT3_T4_T5_mT6_P12ihipStream_tbENKUlT_T0_E_clISt17integral_constantIbLb1EESW_EEDaSR_SS_EUlSR_E0_NS1_11comp_targetILNS1_3genE0ELNS1_11target_archE4294967295ELNS1_3gpuE0ELNS1_3repE0EEENS1_30default_config_static_selectorELNS0_4arch9wavefront6targetE0EEEvT1_.num_agpr, 0
	.set _ZN7rocprim17ROCPRIM_400000_NS6detail17trampoline_kernelINS0_14default_configENS1_20scan_config_selectorIdEEZZNS1_9scan_implILNS1_25lookback_scan_determinismE0ELb0ELb0ES3_PKdPddZZZN2at6native31launch_logcumsumexp_cuda_kernelERKNSB_10TensorBaseESF_lENKUlvE_clEvENKUlvE_clEvEUlddE_dEEDaPvRmT3_T4_T5_mT6_P12ihipStream_tbENKUlT_T0_E_clISt17integral_constantIbLb1EESW_EEDaSR_SS_EUlSR_E0_NS1_11comp_targetILNS1_3genE0ELNS1_11target_archE4294967295ELNS1_3gpuE0ELNS1_3repE0EEENS1_30default_config_static_selectorELNS0_4arch9wavefront6targetE0EEEvT1_.numbered_sgpr, 0
	.set _ZN7rocprim17ROCPRIM_400000_NS6detail17trampoline_kernelINS0_14default_configENS1_20scan_config_selectorIdEEZZNS1_9scan_implILNS1_25lookback_scan_determinismE0ELb0ELb0ES3_PKdPddZZZN2at6native31launch_logcumsumexp_cuda_kernelERKNSB_10TensorBaseESF_lENKUlvE_clEvENKUlvE_clEvEUlddE_dEEDaPvRmT3_T4_T5_mT6_P12ihipStream_tbENKUlT_T0_E_clISt17integral_constantIbLb1EESW_EEDaSR_SS_EUlSR_E0_NS1_11comp_targetILNS1_3genE0ELNS1_11target_archE4294967295ELNS1_3gpuE0ELNS1_3repE0EEENS1_30default_config_static_selectorELNS0_4arch9wavefront6targetE0EEEvT1_.num_named_barrier, 0
	.set _ZN7rocprim17ROCPRIM_400000_NS6detail17trampoline_kernelINS0_14default_configENS1_20scan_config_selectorIdEEZZNS1_9scan_implILNS1_25lookback_scan_determinismE0ELb0ELb0ES3_PKdPddZZZN2at6native31launch_logcumsumexp_cuda_kernelERKNSB_10TensorBaseESF_lENKUlvE_clEvENKUlvE_clEvEUlddE_dEEDaPvRmT3_T4_T5_mT6_P12ihipStream_tbENKUlT_T0_E_clISt17integral_constantIbLb1EESW_EEDaSR_SS_EUlSR_E0_NS1_11comp_targetILNS1_3genE0ELNS1_11target_archE4294967295ELNS1_3gpuE0ELNS1_3repE0EEENS1_30default_config_static_selectorELNS0_4arch9wavefront6targetE0EEEvT1_.private_seg_size, 0
	.set _ZN7rocprim17ROCPRIM_400000_NS6detail17trampoline_kernelINS0_14default_configENS1_20scan_config_selectorIdEEZZNS1_9scan_implILNS1_25lookback_scan_determinismE0ELb0ELb0ES3_PKdPddZZZN2at6native31launch_logcumsumexp_cuda_kernelERKNSB_10TensorBaseESF_lENKUlvE_clEvENKUlvE_clEvEUlddE_dEEDaPvRmT3_T4_T5_mT6_P12ihipStream_tbENKUlT_T0_E_clISt17integral_constantIbLb1EESW_EEDaSR_SS_EUlSR_E0_NS1_11comp_targetILNS1_3genE0ELNS1_11target_archE4294967295ELNS1_3gpuE0ELNS1_3repE0EEENS1_30default_config_static_selectorELNS0_4arch9wavefront6targetE0EEEvT1_.uses_vcc, 0
	.set _ZN7rocprim17ROCPRIM_400000_NS6detail17trampoline_kernelINS0_14default_configENS1_20scan_config_selectorIdEEZZNS1_9scan_implILNS1_25lookback_scan_determinismE0ELb0ELb0ES3_PKdPddZZZN2at6native31launch_logcumsumexp_cuda_kernelERKNSB_10TensorBaseESF_lENKUlvE_clEvENKUlvE_clEvEUlddE_dEEDaPvRmT3_T4_T5_mT6_P12ihipStream_tbENKUlT_T0_E_clISt17integral_constantIbLb1EESW_EEDaSR_SS_EUlSR_E0_NS1_11comp_targetILNS1_3genE0ELNS1_11target_archE4294967295ELNS1_3gpuE0ELNS1_3repE0EEENS1_30default_config_static_selectorELNS0_4arch9wavefront6targetE0EEEvT1_.uses_flat_scratch, 0
	.set _ZN7rocprim17ROCPRIM_400000_NS6detail17trampoline_kernelINS0_14default_configENS1_20scan_config_selectorIdEEZZNS1_9scan_implILNS1_25lookback_scan_determinismE0ELb0ELb0ES3_PKdPddZZZN2at6native31launch_logcumsumexp_cuda_kernelERKNSB_10TensorBaseESF_lENKUlvE_clEvENKUlvE_clEvEUlddE_dEEDaPvRmT3_T4_T5_mT6_P12ihipStream_tbENKUlT_T0_E_clISt17integral_constantIbLb1EESW_EEDaSR_SS_EUlSR_E0_NS1_11comp_targetILNS1_3genE0ELNS1_11target_archE4294967295ELNS1_3gpuE0ELNS1_3repE0EEENS1_30default_config_static_selectorELNS0_4arch9wavefront6targetE0EEEvT1_.has_dyn_sized_stack, 0
	.set _ZN7rocprim17ROCPRIM_400000_NS6detail17trampoline_kernelINS0_14default_configENS1_20scan_config_selectorIdEEZZNS1_9scan_implILNS1_25lookback_scan_determinismE0ELb0ELb0ES3_PKdPddZZZN2at6native31launch_logcumsumexp_cuda_kernelERKNSB_10TensorBaseESF_lENKUlvE_clEvENKUlvE_clEvEUlddE_dEEDaPvRmT3_T4_T5_mT6_P12ihipStream_tbENKUlT_T0_E_clISt17integral_constantIbLb1EESW_EEDaSR_SS_EUlSR_E0_NS1_11comp_targetILNS1_3genE0ELNS1_11target_archE4294967295ELNS1_3gpuE0ELNS1_3repE0EEENS1_30default_config_static_selectorELNS0_4arch9wavefront6targetE0EEEvT1_.has_recursion, 0
	.set _ZN7rocprim17ROCPRIM_400000_NS6detail17trampoline_kernelINS0_14default_configENS1_20scan_config_selectorIdEEZZNS1_9scan_implILNS1_25lookback_scan_determinismE0ELb0ELb0ES3_PKdPddZZZN2at6native31launch_logcumsumexp_cuda_kernelERKNSB_10TensorBaseESF_lENKUlvE_clEvENKUlvE_clEvEUlddE_dEEDaPvRmT3_T4_T5_mT6_P12ihipStream_tbENKUlT_T0_E_clISt17integral_constantIbLb1EESW_EEDaSR_SS_EUlSR_E0_NS1_11comp_targetILNS1_3genE0ELNS1_11target_archE4294967295ELNS1_3gpuE0ELNS1_3repE0EEENS1_30default_config_static_selectorELNS0_4arch9wavefront6targetE0EEEvT1_.has_indirect_call, 0
	.section	.AMDGPU.csdata,"",@progbits
; Kernel info:
; codeLenInByte = 0
; TotalNumSgprs: 0
; NumVgprs: 0
; ScratchSize: 0
; MemoryBound: 0
; FloatMode: 240
; IeeeMode: 1
; LDSByteSize: 0 bytes/workgroup (compile time only)
; SGPRBlocks: 0
; VGPRBlocks: 0
; NumSGPRsForWavesPerEU: 1
; NumVGPRsForWavesPerEU: 1
; Occupancy: 16
; WaveLimiterHint : 0
; COMPUTE_PGM_RSRC2:SCRATCH_EN: 0
; COMPUTE_PGM_RSRC2:USER_SGPR: 2
; COMPUTE_PGM_RSRC2:TRAP_HANDLER: 0
; COMPUTE_PGM_RSRC2:TGID_X_EN: 1
; COMPUTE_PGM_RSRC2:TGID_Y_EN: 0
; COMPUTE_PGM_RSRC2:TGID_Z_EN: 0
; COMPUTE_PGM_RSRC2:TIDIG_COMP_CNT: 0
	.section	.text._ZN7rocprim17ROCPRIM_400000_NS6detail17trampoline_kernelINS0_14default_configENS1_20scan_config_selectorIdEEZZNS1_9scan_implILNS1_25lookback_scan_determinismE0ELb0ELb0ES3_PKdPddZZZN2at6native31launch_logcumsumexp_cuda_kernelERKNSB_10TensorBaseESF_lENKUlvE_clEvENKUlvE_clEvEUlddE_dEEDaPvRmT3_T4_T5_mT6_P12ihipStream_tbENKUlT_T0_E_clISt17integral_constantIbLb1EESW_EEDaSR_SS_EUlSR_E0_NS1_11comp_targetILNS1_3genE5ELNS1_11target_archE942ELNS1_3gpuE9ELNS1_3repE0EEENS1_30default_config_static_selectorELNS0_4arch9wavefront6targetE0EEEvT1_,"axG",@progbits,_ZN7rocprim17ROCPRIM_400000_NS6detail17trampoline_kernelINS0_14default_configENS1_20scan_config_selectorIdEEZZNS1_9scan_implILNS1_25lookback_scan_determinismE0ELb0ELb0ES3_PKdPddZZZN2at6native31launch_logcumsumexp_cuda_kernelERKNSB_10TensorBaseESF_lENKUlvE_clEvENKUlvE_clEvEUlddE_dEEDaPvRmT3_T4_T5_mT6_P12ihipStream_tbENKUlT_T0_E_clISt17integral_constantIbLb1EESW_EEDaSR_SS_EUlSR_E0_NS1_11comp_targetILNS1_3genE5ELNS1_11target_archE942ELNS1_3gpuE9ELNS1_3repE0EEENS1_30default_config_static_selectorELNS0_4arch9wavefront6targetE0EEEvT1_,comdat
	.globl	_ZN7rocprim17ROCPRIM_400000_NS6detail17trampoline_kernelINS0_14default_configENS1_20scan_config_selectorIdEEZZNS1_9scan_implILNS1_25lookback_scan_determinismE0ELb0ELb0ES3_PKdPddZZZN2at6native31launch_logcumsumexp_cuda_kernelERKNSB_10TensorBaseESF_lENKUlvE_clEvENKUlvE_clEvEUlddE_dEEDaPvRmT3_T4_T5_mT6_P12ihipStream_tbENKUlT_T0_E_clISt17integral_constantIbLb1EESW_EEDaSR_SS_EUlSR_E0_NS1_11comp_targetILNS1_3genE5ELNS1_11target_archE942ELNS1_3gpuE9ELNS1_3repE0EEENS1_30default_config_static_selectorELNS0_4arch9wavefront6targetE0EEEvT1_ ; -- Begin function _ZN7rocprim17ROCPRIM_400000_NS6detail17trampoline_kernelINS0_14default_configENS1_20scan_config_selectorIdEEZZNS1_9scan_implILNS1_25lookback_scan_determinismE0ELb0ELb0ES3_PKdPddZZZN2at6native31launch_logcumsumexp_cuda_kernelERKNSB_10TensorBaseESF_lENKUlvE_clEvENKUlvE_clEvEUlddE_dEEDaPvRmT3_T4_T5_mT6_P12ihipStream_tbENKUlT_T0_E_clISt17integral_constantIbLb1EESW_EEDaSR_SS_EUlSR_E0_NS1_11comp_targetILNS1_3genE5ELNS1_11target_archE942ELNS1_3gpuE9ELNS1_3repE0EEENS1_30default_config_static_selectorELNS0_4arch9wavefront6targetE0EEEvT1_
	.p2align	8
	.type	_ZN7rocprim17ROCPRIM_400000_NS6detail17trampoline_kernelINS0_14default_configENS1_20scan_config_selectorIdEEZZNS1_9scan_implILNS1_25lookback_scan_determinismE0ELb0ELb0ES3_PKdPddZZZN2at6native31launch_logcumsumexp_cuda_kernelERKNSB_10TensorBaseESF_lENKUlvE_clEvENKUlvE_clEvEUlddE_dEEDaPvRmT3_T4_T5_mT6_P12ihipStream_tbENKUlT_T0_E_clISt17integral_constantIbLb1EESW_EEDaSR_SS_EUlSR_E0_NS1_11comp_targetILNS1_3genE5ELNS1_11target_archE942ELNS1_3gpuE9ELNS1_3repE0EEENS1_30default_config_static_selectorELNS0_4arch9wavefront6targetE0EEEvT1_,@function
_ZN7rocprim17ROCPRIM_400000_NS6detail17trampoline_kernelINS0_14default_configENS1_20scan_config_selectorIdEEZZNS1_9scan_implILNS1_25lookback_scan_determinismE0ELb0ELb0ES3_PKdPddZZZN2at6native31launch_logcumsumexp_cuda_kernelERKNSB_10TensorBaseESF_lENKUlvE_clEvENKUlvE_clEvEUlddE_dEEDaPvRmT3_T4_T5_mT6_P12ihipStream_tbENKUlT_T0_E_clISt17integral_constantIbLb1EESW_EEDaSR_SS_EUlSR_E0_NS1_11comp_targetILNS1_3genE5ELNS1_11target_archE942ELNS1_3gpuE9ELNS1_3repE0EEENS1_30default_config_static_selectorELNS0_4arch9wavefront6targetE0EEEvT1_: ; @_ZN7rocprim17ROCPRIM_400000_NS6detail17trampoline_kernelINS0_14default_configENS1_20scan_config_selectorIdEEZZNS1_9scan_implILNS1_25lookback_scan_determinismE0ELb0ELb0ES3_PKdPddZZZN2at6native31launch_logcumsumexp_cuda_kernelERKNSB_10TensorBaseESF_lENKUlvE_clEvENKUlvE_clEvEUlddE_dEEDaPvRmT3_T4_T5_mT6_P12ihipStream_tbENKUlT_T0_E_clISt17integral_constantIbLb1EESW_EEDaSR_SS_EUlSR_E0_NS1_11comp_targetILNS1_3genE5ELNS1_11target_archE942ELNS1_3gpuE9ELNS1_3repE0EEENS1_30default_config_static_selectorELNS0_4arch9wavefront6targetE0EEEvT1_
; %bb.0:
	.section	.rodata,"a",@progbits
	.p2align	6, 0x0
	.amdhsa_kernel _ZN7rocprim17ROCPRIM_400000_NS6detail17trampoline_kernelINS0_14default_configENS1_20scan_config_selectorIdEEZZNS1_9scan_implILNS1_25lookback_scan_determinismE0ELb0ELb0ES3_PKdPddZZZN2at6native31launch_logcumsumexp_cuda_kernelERKNSB_10TensorBaseESF_lENKUlvE_clEvENKUlvE_clEvEUlddE_dEEDaPvRmT3_T4_T5_mT6_P12ihipStream_tbENKUlT_T0_E_clISt17integral_constantIbLb1EESW_EEDaSR_SS_EUlSR_E0_NS1_11comp_targetILNS1_3genE5ELNS1_11target_archE942ELNS1_3gpuE9ELNS1_3repE0EEENS1_30default_config_static_selectorELNS0_4arch9wavefront6targetE0EEEvT1_
		.amdhsa_group_segment_fixed_size 0
		.amdhsa_private_segment_fixed_size 0
		.amdhsa_kernarg_size 40
		.amdhsa_user_sgpr_count 2
		.amdhsa_user_sgpr_dispatch_ptr 0
		.amdhsa_user_sgpr_queue_ptr 0
		.amdhsa_user_sgpr_kernarg_segment_ptr 1
		.amdhsa_user_sgpr_dispatch_id 0
		.amdhsa_user_sgpr_private_segment_size 0
		.amdhsa_wavefront_size32 1
		.amdhsa_uses_dynamic_stack 0
		.amdhsa_enable_private_segment 0
		.amdhsa_system_sgpr_workgroup_id_x 1
		.amdhsa_system_sgpr_workgroup_id_y 0
		.amdhsa_system_sgpr_workgroup_id_z 0
		.amdhsa_system_sgpr_workgroup_info 0
		.amdhsa_system_vgpr_workitem_id 0
		.amdhsa_next_free_vgpr 1
		.amdhsa_next_free_sgpr 1
		.amdhsa_reserve_vcc 0
		.amdhsa_float_round_mode_32 0
		.amdhsa_float_round_mode_16_64 0
		.amdhsa_float_denorm_mode_32 3
		.amdhsa_float_denorm_mode_16_64 3
		.amdhsa_fp16_overflow 0
		.amdhsa_workgroup_processor_mode 1
		.amdhsa_memory_ordered 1
		.amdhsa_forward_progress 1
		.amdhsa_inst_pref_size 0
		.amdhsa_round_robin_scheduling 0
		.amdhsa_exception_fp_ieee_invalid_op 0
		.amdhsa_exception_fp_denorm_src 0
		.amdhsa_exception_fp_ieee_div_zero 0
		.amdhsa_exception_fp_ieee_overflow 0
		.amdhsa_exception_fp_ieee_underflow 0
		.amdhsa_exception_fp_ieee_inexact 0
		.amdhsa_exception_int_div_zero 0
	.end_amdhsa_kernel
	.section	.text._ZN7rocprim17ROCPRIM_400000_NS6detail17trampoline_kernelINS0_14default_configENS1_20scan_config_selectorIdEEZZNS1_9scan_implILNS1_25lookback_scan_determinismE0ELb0ELb0ES3_PKdPddZZZN2at6native31launch_logcumsumexp_cuda_kernelERKNSB_10TensorBaseESF_lENKUlvE_clEvENKUlvE_clEvEUlddE_dEEDaPvRmT3_T4_T5_mT6_P12ihipStream_tbENKUlT_T0_E_clISt17integral_constantIbLb1EESW_EEDaSR_SS_EUlSR_E0_NS1_11comp_targetILNS1_3genE5ELNS1_11target_archE942ELNS1_3gpuE9ELNS1_3repE0EEENS1_30default_config_static_selectorELNS0_4arch9wavefront6targetE0EEEvT1_,"axG",@progbits,_ZN7rocprim17ROCPRIM_400000_NS6detail17trampoline_kernelINS0_14default_configENS1_20scan_config_selectorIdEEZZNS1_9scan_implILNS1_25lookback_scan_determinismE0ELb0ELb0ES3_PKdPddZZZN2at6native31launch_logcumsumexp_cuda_kernelERKNSB_10TensorBaseESF_lENKUlvE_clEvENKUlvE_clEvEUlddE_dEEDaPvRmT3_T4_T5_mT6_P12ihipStream_tbENKUlT_T0_E_clISt17integral_constantIbLb1EESW_EEDaSR_SS_EUlSR_E0_NS1_11comp_targetILNS1_3genE5ELNS1_11target_archE942ELNS1_3gpuE9ELNS1_3repE0EEENS1_30default_config_static_selectorELNS0_4arch9wavefront6targetE0EEEvT1_,comdat
.Lfunc_end38:
	.size	_ZN7rocprim17ROCPRIM_400000_NS6detail17trampoline_kernelINS0_14default_configENS1_20scan_config_selectorIdEEZZNS1_9scan_implILNS1_25lookback_scan_determinismE0ELb0ELb0ES3_PKdPddZZZN2at6native31launch_logcumsumexp_cuda_kernelERKNSB_10TensorBaseESF_lENKUlvE_clEvENKUlvE_clEvEUlddE_dEEDaPvRmT3_T4_T5_mT6_P12ihipStream_tbENKUlT_T0_E_clISt17integral_constantIbLb1EESW_EEDaSR_SS_EUlSR_E0_NS1_11comp_targetILNS1_3genE5ELNS1_11target_archE942ELNS1_3gpuE9ELNS1_3repE0EEENS1_30default_config_static_selectorELNS0_4arch9wavefront6targetE0EEEvT1_, .Lfunc_end38-_ZN7rocprim17ROCPRIM_400000_NS6detail17trampoline_kernelINS0_14default_configENS1_20scan_config_selectorIdEEZZNS1_9scan_implILNS1_25lookback_scan_determinismE0ELb0ELb0ES3_PKdPddZZZN2at6native31launch_logcumsumexp_cuda_kernelERKNSB_10TensorBaseESF_lENKUlvE_clEvENKUlvE_clEvEUlddE_dEEDaPvRmT3_T4_T5_mT6_P12ihipStream_tbENKUlT_T0_E_clISt17integral_constantIbLb1EESW_EEDaSR_SS_EUlSR_E0_NS1_11comp_targetILNS1_3genE5ELNS1_11target_archE942ELNS1_3gpuE9ELNS1_3repE0EEENS1_30default_config_static_selectorELNS0_4arch9wavefront6targetE0EEEvT1_
                                        ; -- End function
	.set _ZN7rocprim17ROCPRIM_400000_NS6detail17trampoline_kernelINS0_14default_configENS1_20scan_config_selectorIdEEZZNS1_9scan_implILNS1_25lookback_scan_determinismE0ELb0ELb0ES3_PKdPddZZZN2at6native31launch_logcumsumexp_cuda_kernelERKNSB_10TensorBaseESF_lENKUlvE_clEvENKUlvE_clEvEUlddE_dEEDaPvRmT3_T4_T5_mT6_P12ihipStream_tbENKUlT_T0_E_clISt17integral_constantIbLb1EESW_EEDaSR_SS_EUlSR_E0_NS1_11comp_targetILNS1_3genE5ELNS1_11target_archE942ELNS1_3gpuE9ELNS1_3repE0EEENS1_30default_config_static_selectorELNS0_4arch9wavefront6targetE0EEEvT1_.num_vgpr, 0
	.set _ZN7rocprim17ROCPRIM_400000_NS6detail17trampoline_kernelINS0_14default_configENS1_20scan_config_selectorIdEEZZNS1_9scan_implILNS1_25lookback_scan_determinismE0ELb0ELb0ES3_PKdPddZZZN2at6native31launch_logcumsumexp_cuda_kernelERKNSB_10TensorBaseESF_lENKUlvE_clEvENKUlvE_clEvEUlddE_dEEDaPvRmT3_T4_T5_mT6_P12ihipStream_tbENKUlT_T0_E_clISt17integral_constantIbLb1EESW_EEDaSR_SS_EUlSR_E0_NS1_11comp_targetILNS1_3genE5ELNS1_11target_archE942ELNS1_3gpuE9ELNS1_3repE0EEENS1_30default_config_static_selectorELNS0_4arch9wavefront6targetE0EEEvT1_.num_agpr, 0
	.set _ZN7rocprim17ROCPRIM_400000_NS6detail17trampoline_kernelINS0_14default_configENS1_20scan_config_selectorIdEEZZNS1_9scan_implILNS1_25lookback_scan_determinismE0ELb0ELb0ES3_PKdPddZZZN2at6native31launch_logcumsumexp_cuda_kernelERKNSB_10TensorBaseESF_lENKUlvE_clEvENKUlvE_clEvEUlddE_dEEDaPvRmT3_T4_T5_mT6_P12ihipStream_tbENKUlT_T0_E_clISt17integral_constantIbLb1EESW_EEDaSR_SS_EUlSR_E0_NS1_11comp_targetILNS1_3genE5ELNS1_11target_archE942ELNS1_3gpuE9ELNS1_3repE0EEENS1_30default_config_static_selectorELNS0_4arch9wavefront6targetE0EEEvT1_.numbered_sgpr, 0
	.set _ZN7rocprim17ROCPRIM_400000_NS6detail17trampoline_kernelINS0_14default_configENS1_20scan_config_selectorIdEEZZNS1_9scan_implILNS1_25lookback_scan_determinismE0ELb0ELb0ES3_PKdPddZZZN2at6native31launch_logcumsumexp_cuda_kernelERKNSB_10TensorBaseESF_lENKUlvE_clEvENKUlvE_clEvEUlddE_dEEDaPvRmT3_T4_T5_mT6_P12ihipStream_tbENKUlT_T0_E_clISt17integral_constantIbLb1EESW_EEDaSR_SS_EUlSR_E0_NS1_11comp_targetILNS1_3genE5ELNS1_11target_archE942ELNS1_3gpuE9ELNS1_3repE0EEENS1_30default_config_static_selectorELNS0_4arch9wavefront6targetE0EEEvT1_.num_named_barrier, 0
	.set _ZN7rocprim17ROCPRIM_400000_NS6detail17trampoline_kernelINS0_14default_configENS1_20scan_config_selectorIdEEZZNS1_9scan_implILNS1_25lookback_scan_determinismE0ELb0ELb0ES3_PKdPddZZZN2at6native31launch_logcumsumexp_cuda_kernelERKNSB_10TensorBaseESF_lENKUlvE_clEvENKUlvE_clEvEUlddE_dEEDaPvRmT3_T4_T5_mT6_P12ihipStream_tbENKUlT_T0_E_clISt17integral_constantIbLb1EESW_EEDaSR_SS_EUlSR_E0_NS1_11comp_targetILNS1_3genE5ELNS1_11target_archE942ELNS1_3gpuE9ELNS1_3repE0EEENS1_30default_config_static_selectorELNS0_4arch9wavefront6targetE0EEEvT1_.private_seg_size, 0
	.set _ZN7rocprim17ROCPRIM_400000_NS6detail17trampoline_kernelINS0_14default_configENS1_20scan_config_selectorIdEEZZNS1_9scan_implILNS1_25lookback_scan_determinismE0ELb0ELb0ES3_PKdPddZZZN2at6native31launch_logcumsumexp_cuda_kernelERKNSB_10TensorBaseESF_lENKUlvE_clEvENKUlvE_clEvEUlddE_dEEDaPvRmT3_T4_T5_mT6_P12ihipStream_tbENKUlT_T0_E_clISt17integral_constantIbLb1EESW_EEDaSR_SS_EUlSR_E0_NS1_11comp_targetILNS1_3genE5ELNS1_11target_archE942ELNS1_3gpuE9ELNS1_3repE0EEENS1_30default_config_static_selectorELNS0_4arch9wavefront6targetE0EEEvT1_.uses_vcc, 0
	.set _ZN7rocprim17ROCPRIM_400000_NS6detail17trampoline_kernelINS0_14default_configENS1_20scan_config_selectorIdEEZZNS1_9scan_implILNS1_25lookback_scan_determinismE0ELb0ELb0ES3_PKdPddZZZN2at6native31launch_logcumsumexp_cuda_kernelERKNSB_10TensorBaseESF_lENKUlvE_clEvENKUlvE_clEvEUlddE_dEEDaPvRmT3_T4_T5_mT6_P12ihipStream_tbENKUlT_T0_E_clISt17integral_constantIbLb1EESW_EEDaSR_SS_EUlSR_E0_NS1_11comp_targetILNS1_3genE5ELNS1_11target_archE942ELNS1_3gpuE9ELNS1_3repE0EEENS1_30default_config_static_selectorELNS0_4arch9wavefront6targetE0EEEvT1_.uses_flat_scratch, 0
	.set _ZN7rocprim17ROCPRIM_400000_NS6detail17trampoline_kernelINS0_14default_configENS1_20scan_config_selectorIdEEZZNS1_9scan_implILNS1_25lookback_scan_determinismE0ELb0ELb0ES3_PKdPddZZZN2at6native31launch_logcumsumexp_cuda_kernelERKNSB_10TensorBaseESF_lENKUlvE_clEvENKUlvE_clEvEUlddE_dEEDaPvRmT3_T4_T5_mT6_P12ihipStream_tbENKUlT_T0_E_clISt17integral_constantIbLb1EESW_EEDaSR_SS_EUlSR_E0_NS1_11comp_targetILNS1_3genE5ELNS1_11target_archE942ELNS1_3gpuE9ELNS1_3repE0EEENS1_30default_config_static_selectorELNS0_4arch9wavefront6targetE0EEEvT1_.has_dyn_sized_stack, 0
	.set _ZN7rocprim17ROCPRIM_400000_NS6detail17trampoline_kernelINS0_14default_configENS1_20scan_config_selectorIdEEZZNS1_9scan_implILNS1_25lookback_scan_determinismE0ELb0ELb0ES3_PKdPddZZZN2at6native31launch_logcumsumexp_cuda_kernelERKNSB_10TensorBaseESF_lENKUlvE_clEvENKUlvE_clEvEUlddE_dEEDaPvRmT3_T4_T5_mT6_P12ihipStream_tbENKUlT_T0_E_clISt17integral_constantIbLb1EESW_EEDaSR_SS_EUlSR_E0_NS1_11comp_targetILNS1_3genE5ELNS1_11target_archE942ELNS1_3gpuE9ELNS1_3repE0EEENS1_30default_config_static_selectorELNS0_4arch9wavefront6targetE0EEEvT1_.has_recursion, 0
	.set _ZN7rocprim17ROCPRIM_400000_NS6detail17trampoline_kernelINS0_14default_configENS1_20scan_config_selectorIdEEZZNS1_9scan_implILNS1_25lookback_scan_determinismE0ELb0ELb0ES3_PKdPddZZZN2at6native31launch_logcumsumexp_cuda_kernelERKNSB_10TensorBaseESF_lENKUlvE_clEvENKUlvE_clEvEUlddE_dEEDaPvRmT3_T4_T5_mT6_P12ihipStream_tbENKUlT_T0_E_clISt17integral_constantIbLb1EESW_EEDaSR_SS_EUlSR_E0_NS1_11comp_targetILNS1_3genE5ELNS1_11target_archE942ELNS1_3gpuE9ELNS1_3repE0EEENS1_30default_config_static_selectorELNS0_4arch9wavefront6targetE0EEEvT1_.has_indirect_call, 0
	.section	.AMDGPU.csdata,"",@progbits
; Kernel info:
; codeLenInByte = 0
; TotalNumSgprs: 0
; NumVgprs: 0
; ScratchSize: 0
; MemoryBound: 0
; FloatMode: 240
; IeeeMode: 1
; LDSByteSize: 0 bytes/workgroup (compile time only)
; SGPRBlocks: 0
; VGPRBlocks: 0
; NumSGPRsForWavesPerEU: 1
; NumVGPRsForWavesPerEU: 1
; Occupancy: 16
; WaveLimiterHint : 0
; COMPUTE_PGM_RSRC2:SCRATCH_EN: 0
; COMPUTE_PGM_RSRC2:USER_SGPR: 2
; COMPUTE_PGM_RSRC2:TRAP_HANDLER: 0
; COMPUTE_PGM_RSRC2:TGID_X_EN: 1
; COMPUTE_PGM_RSRC2:TGID_Y_EN: 0
; COMPUTE_PGM_RSRC2:TGID_Z_EN: 0
; COMPUTE_PGM_RSRC2:TIDIG_COMP_CNT: 0
	.section	.text._ZN7rocprim17ROCPRIM_400000_NS6detail17trampoline_kernelINS0_14default_configENS1_20scan_config_selectorIdEEZZNS1_9scan_implILNS1_25lookback_scan_determinismE0ELb0ELb0ES3_PKdPddZZZN2at6native31launch_logcumsumexp_cuda_kernelERKNSB_10TensorBaseESF_lENKUlvE_clEvENKUlvE_clEvEUlddE_dEEDaPvRmT3_T4_T5_mT6_P12ihipStream_tbENKUlT_T0_E_clISt17integral_constantIbLb1EESW_EEDaSR_SS_EUlSR_E0_NS1_11comp_targetILNS1_3genE4ELNS1_11target_archE910ELNS1_3gpuE8ELNS1_3repE0EEENS1_30default_config_static_selectorELNS0_4arch9wavefront6targetE0EEEvT1_,"axG",@progbits,_ZN7rocprim17ROCPRIM_400000_NS6detail17trampoline_kernelINS0_14default_configENS1_20scan_config_selectorIdEEZZNS1_9scan_implILNS1_25lookback_scan_determinismE0ELb0ELb0ES3_PKdPddZZZN2at6native31launch_logcumsumexp_cuda_kernelERKNSB_10TensorBaseESF_lENKUlvE_clEvENKUlvE_clEvEUlddE_dEEDaPvRmT3_T4_T5_mT6_P12ihipStream_tbENKUlT_T0_E_clISt17integral_constantIbLb1EESW_EEDaSR_SS_EUlSR_E0_NS1_11comp_targetILNS1_3genE4ELNS1_11target_archE910ELNS1_3gpuE8ELNS1_3repE0EEENS1_30default_config_static_selectorELNS0_4arch9wavefront6targetE0EEEvT1_,comdat
	.globl	_ZN7rocprim17ROCPRIM_400000_NS6detail17trampoline_kernelINS0_14default_configENS1_20scan_config_selectorIdEEZZNS1_9scan_implILNS1_25lookback_scan_determinismE0ELb0ELb0ES3_PKdPddZZZN2at6native31launch_logcumsumexp_cuda_kernelERKNSB_10TensorBaseESF_lENKUlvE_clEvENKUlvE_clEvEUlddE_dEEDaPvRmT3_T4_T5_mT6_P12ihipStream_tbENKUlT_T0_E_clISt17integral_constantIbLb1EESW_EEDaSR_SS_EUlSR_E0_NS1_11comp_targetILNS1_3genE4ELNS1_11target_archE910ELNS1_3gpuE8ELNS1_3repE0EEENS1_30default_config_static_selectorELNS0_4arch9wavefront6targetE0EEEvT1_ ; -- Begin function _ZN7rocprim17ROCPRIM_400000_NS6detail17trampoline_kernelINS0_14default_configENS1_20scan_config_selectorIdEEZZNS1_9scan_implILNS1_25lookback_scan_determinismE0ELb0ELb0ES3_PKdPddZZZN2at6native31launch_logcumsumexp_cuda_kernelERKNSB_10TensorBaseESF_lENKUlvE_clEvENKUlvE_clEvEUlddE_dEEDaPvRmT3_T4_T5_mT6_P12ihipStream_tbENKUlT_T0_E_clISt17integral_constantIbLb1EESW_EEDaSR_SS_EUlSR_E0_NS1_11comp_targetILNS1_3genE4ELNS1_11target_archE910ELNS1_3gpuE8ELNS1_3repE0EEENS1_30default_config_static_selectorELNS0_4arch9wavefront6targetE0EEEvT1_
	.p2align	8
	.type	_ZN7rocprim17ROCPRIM_400000_NS6detail17trampoline_kernelINS0_14default_configENS1_20scan_config_selectorIdEEZZNS1_9scan_implILNS1_25lookback_scan_determinismE0ELb0ELb0ES3_PKdPddZZZN2at6native31launch_logcumsumexp_cuda_kernelERKNSB_10TensorBaseESF_lENKUlvE_clEvENKUlvE_clEvEUlddE_dEEDaPvRmT3_T4_T5_mT6_P12ihipStream_tbENKUlT_T0_E_clISt17integral_constantIbLb1EESW_EEDaSR_SS_EUlSR_E0_NS1_11comp_targetILNS1_3genE4ELNS1_11target_archE910ELNS1_3gpuE8ELNS1_3repE0EEENS1_30default_config_static_selectorELNS0_4arch9wavefront6targetE0EEEvT1_,@function
_ZN7rocprim17ROCPRIM_400000_NS6detail17trampoline_kernelINS0_14default_configENS1_20scan_config_selectorIdEEZZNS1_9scan_implILNS1_25lookback_scan_determinismE0ELb0ELb0ES3_PKdPddZZZN2at6native31launch_logcumsumexp_cuda_kernelERKNSB_10TensorBaseESF_lENKUlvE_clEvENKUlvE_clEvEUlddE_dEEDaPvRmT3_T4_T5_mT6_P12ihipStream_tbENKUlT_T0_E_clISt17integral_constantIbLb1EESW_EEDaSR_SS_EUlSR_E0_NS1_11comp_targetILNS1_3genE4ELNS1_11target_archE910ELNS1_3gpuE8ELNS1_3repE0EEENS1_30default_config_static_selectorELNS0_4arch9wavefront6targetE0EEEvT1_: ; @_ZN7rocprim17ROCPRIM_400000_NS6detail17trampoline_kernelINS0_14default_configENS1_20scan_config_selectorIdEEZZNS1_9scan_implILNS1_25lookback_scan_determinismE0ELb0ELb0ES3_PKdPddZZZN2at6native31launch_logcumsumexp_cuda_kernelERKNSB_10TensorBaseESF_lENKUlvE_clEvENKUlvE_clEvEUlddE_dEEDaPvRmT3_T4_T5_mT6_P12ihipStream_tbENKUlT_T0_E_clISt17integral_constantIbLb1EESW_EEDaSR_SS_EUlSR_E0_NS1_11comp_targetILNS1_3genE4ELNS1_11target_archE910ELNS1_3gpuE8ELNS1_3repE0EEENS1_30default_config_static_selectorELNS0_4arch9wavefront6targetE0EEEvT1_
; %bb.0:
	.section	.rodata,"a",@progbits
	.p2align	6, 0x0
	.amdhsa_kernel _ZN7rocprim17ROCPRIM_400000_NS6detail17trampoline_kernelINS0_14default_configENS1_20scan_config_selectorIdEEZZNS1_9scan_implILNS1_25lookback_scan_determinismE0ELb0ELb0ES3_PKdPddZZZN2at6native31launch_logcumsumexp_cuda_kernelERKNSB_10TensorBaseESF_lENKUlvE_clEvENKUlvE_clEvEUlddE_dEEDaPvRmT3_T4_T5_mT6_P12ihipStream_tbENKUlT_T0_E_clISt17integral_constantIbLb1EESW_EEDaSR_SS_EUlSR_E0_NS1_11comp_targetILNS1_3genE4ELNS1_11target_archE910ELNS1_3gpuE8ELNS1_3repE0EEENS1_30default_config_static_selectorELNS0_4arch9wavefront6targetE0EEEvT1_
		.amdhsa_group_segment_fixed_size 0
		.amdhsa_private_segment_fixed_size 0
		.amdhsa_kernarg_size 40
		.amdhsa_user_sgpr_count 2
		.amdhsa_user_sgpr_dispatch_ptr 0
		.amdhsa_user_sgpr_queue_ptr 0
		.amdhsa_user_sgpr_kernarg_segment_ptr 1
		.amdhsa_user_sgpr_dispatch_id 0
		.amdhsa_user_sgpr_private_segment_size 0
		.amdhsa_wavefront_size32 1
		.amdhsa_uses_dynamic_stack 0
		.amdhsa_enable_private_segment 0
		.amdhsa_system_sgpr_workgroup_id_x 1
		.amdhsa_system_sgpr_workgroup_id_y 0
		.amdhsa_system_sgpr_workgroup_id_z 0
		.amdhsa_system_sgpr_workgroup_info 0
		.amdhsa_system_vgpr_workitem_id 0
		.amdhsa_next_free_vgpr 1
		.amdhsa_next_free_sgpr 1
		.amdhsa_reserve_vcc 0
		.amdhsa_float_round_mode_32 0
		.amdhsa_float_round_mode_16_64 0
		.amdhsa_float_denorm_mode_32 3
		.amdhsa_float_denorm_mode_16_64 3
		.amdhsa_fp16_overflow 0
		.amdhsa_workgroup_processor_mode 1
		.amdhsa_memory_ordered 1
		.amdhsa_forward_progress 1
		.amdhsa_inst_pref_size 0
		.amdhsa_round_robin_scheduling 0
		.amdhsa_exception_fp_ieee_invalid_op 0
		.amdhsa_exception_fp_denorm_src 0
		.amdhsa_exception_fp_ieee_div_zero 0
		.amdhsa_exception_fp_ieee_overflow 0
		.amdhsa_exception_fp_ieee_underflow 0
		.amdhsa_exception_fp_ieee_inexact 0
		.amdhsa_exception_int_div_zero 0
	.end_amdhsa_kernel
	.section	.text._ZN7rocprim17ROCPRIM_400000_NS6detail17trampoline_kernelINS0_14default_configENS1_20scan_config_selectorIdEEZZNS1_9scan_implILNS1_25lookback_scan_determinismE0ELb0ELb0ES3_PKdPddZZZN2at6native31launch_logcumsumexp_cuda_kernelERKNSB_10TensorBaseESF_lENKUlvE_clEvENKUlvE_clEvEUlddE_dEEDaPvRmT3_T4_T5_mT6_P12ihipStream_tbENKUlT_T0_E_clISt17integral_constantIbLb1EESW_EEDaSR_SS_EUlSR_E0_NS1_11comp_targetILNS1_3genE4ELNS1_11target_archE910ELNS1_3gpuE8ELNS1_3repE0EEENS1_30default_config_static_selectorELNS0_4arch9wavefront6targetE0EEEvT1_,"axG",@progbits,_ZN7rocprim17ROCPRIM_400000_NS6detail17trampoline_kernelINS0_14default_configENS1_20scan_config_selectorIdEEZZNS1_9scan_implILNS1_25lookback_scan_determinismE0ELb0ELb0ES3_PKdPddZZZN2at6native31launch_logcumsumexp_cuda_kernelERKNSB_10TensorBaseESF_lENKUlvE_clEvENKUlvE_clEvEUlddE_dEEDaPvRmT3_T4_T5_mT6_P12ihipStream_tbENKUlT_T0_E_clISt17integral_constantIbLb1EESW_EEDaSR_SS_EUlSR_E0_NS1_11comp_targetILNS1_3genE4ELNS1_11target_archE910ELNS1_3gpuE8ELNS1_3repE0EEENS1_30default_config_static_selectorELNS0_4arch9wavefront6targetE0EEEvT1_,comdat
.Lfunc_end39:
	.size	_ZN7rocprim17ROCPRIM_400000_NS6detail17trampoline_kernelINS0_14default_configENS1_20scan_config_selectorIdEEZZNS1_9scan_implILNS1_25lookback_scan_determinismE0ELb0ELb0ES3_PKdPddZZZN2at6native31launch_logcumsumexp_cuda_kernelERKNSB_10TensorBaseESF_lENKUlvE_clEvENKUlvE_clEvEUlddE_dEEDaPvRmT3_T4_T5_mT6_P12ihipStream_tbENKUlT_T0_E_clISt17integral_constantIbLb1EESW_EEDaSR_SS_EUlSR_E0_NS1_11comp_targetILNS1_3genE4ELNS1_11target_archE910ELNS1_3gpuE8ELNS1_3repE0EEENS1_30default_config_static_selectorELNS0_4arch9wavefront6targetE0EEEvT1_, .Lfunc_end39-_ZN7rocprim17ROCPRIM_400000_NS6detail17trampoline_kernelINS0_14default_configENS1_20scan_config_selectorIdEEZZNS1_9scan_implILNS1_25lookback_scan_determinismE0ELb0ELb0ES3_PKdPddZZZN2at6native31launch_logcumsumexp_cuda_kernelERKNSB_10TensorBaseESF_lENKUlvE_clEvENKUlvE_clEvEUlddE_dEEDaPvRmT3_T4_T5_mT6_P12ihipStream_tbENKUlT_T0_E_clISt17integral_constantIbLb1EESW_EEDaSR_SS_EUlSR_E0_NS1_11comp_targetILNS1_3genE4ELNS1_11target_archE910ELNS1_3gpuE8ELNS1_3repE0EEENS1_30default_config_static_selectorELNS0_4arch9wavefront6targetE0EEEvT1_
                                        ; -- End function
	.set _ZN7rocprim17ROCPRIM_400000_NS6detail17trampoline_kernelINS0_14default_configENS1_20scan_config_selectorIdEEZZNS1_9scan_implILNS1_25lookback_scan_determinismE0ELb0ELb0ES3_PKdPddZZZN2at6native31launch_logcumsumexp_cuda_kernelERKNSB_10TensorBaseESF_lENKUlvE_clEvENKUlvE_clEvEUlddE_dEEDaPvRmT3_T4_T5_mT6_P12ihipStream_tbENKUlT_T0_E_clISt17integral_constantIbLb1EESW_EEDaSR_SS_EUlSR_E0_NS1_11comp_targetILNS1_3genE4ELNS1_11target_archE910ELNS1_3gpuE8ELNS1_3repE0EEENS1_30default_config_static_selectorELNS0_4arch9wavefront6targetE0EEEvT1_.num_vgpr, 0
	.set _ZN7rocprim17ROCPRIM_400000_NS6detail17trampoline_kernelINS0_14default_configENS1_20scan_config_selectorIdEEZZNS1_9scan_implILNS1_25lookback_scan_determinismE0ELb0ELb0ES3_PKdPddZZZN2at6native31launch_logcumsumexp_cuda_kernelERKNSB_10TensorBaseESF_lENKUlvE_clEvENKUlvE_clEvEUlddE_dEEDaPvRmT3_T4_T5_mT6_P12ihipStream_tbENKUlT_T0_E_clISt17integral_constantIbLb1EESW_EEDaSR_SS_EUlSR_E0_NS1_11comp_targetILNS1_3genE4ELNS1_11target_archE910ELNS1_3gpuE8ELNS1_3repE0EEENS1_30default_config_static_selectorELNS0_4arch9wavefront6targetE0EEEvT1_.num_agpr, 0
	.set _ZN7rocprim17ROCPRIM_400000_NS6detail17trampoline_kernelINS0_14default_configENS1_20scan_config_selectorIdEEZZNS1_9scan_implILNS1_25lookback_scan_determinismE0ELb0ELb0ES3_PKdPddZZZN2at6native31launch_logcumsumexp_cuda_kernelERKNSB_10TensorBaseESF_lENKUlvE_clEvENKUlvE_clEvEUlddE_dEEDaPvRmT3_T4_T5_mT6_P12ihipStream_tbENKUlT_T0_E_clISt17integral_constantIbLb1EESW_EEDaSR_SS_EUlSR_E0_NS1_11comp_targetILNS1_3genE4ELNS1_11target_archE910ELNS1_3gpuE8ELNS1_3repE0EEENS1_30default_config_static_selectorELNS0_4arch9wavefront6targetE0EEEvT1_.numbered_sgpr, 0
	.set _ZN7rocprim17ROCPRIM_400000_NS6detail17trampoline_kernelINS0_14default_configENS1_20scan_config_selectorIdEEZZNS1_9scan_implILNS1_25lookback_scan_determinismE0ELb0ELb0ES3_PKdPddZZZN2at6native31launch_logcumsumexp_cuda_kernelERKNSB_10TensorBaseESF_lENKUlvE_clEvENKUlvE_clEvEUlddE_dEEDaPvRmT3_T4_T5_mT6_P12ihipStream_tbENKUlT_T0_E_clISt17integral_constantIbLb1EESW_EEDaSR_SS_EUlSR_E0_NS1_11comp_targetILNS1_3genE4ELNS1_11target_archE910ELNS1_3gpuE8ELNS1_3repE0EEENS1_30default_config_static_selectorELNS0_4arch9wavefront6targetE0EEEvT1_.num_named_barrier, 0
	.set _ZN7rocprim17ROCPRIM_400000_NS6detail17trampoline_kernelINS0_14default_configENS1_20scan_config_selectorIdEEZZNS1_9scan_implILNS1_25lookback_scan_determinismE0ELb0ELb0ES3_PKdPddZZZN2at6native31launch_logcumsumexp_cuda_kernelERKNSB_10TensorBaseESF_lENKUlvE_clEvENKUlvE_clEvEUlddE_dEEDaPvRmT3_T4_T5_mT6_P12ihipStream_tbENKUlT_T0_E_clISt17integral_constantIbLb1EESW_EEDaSR_SS_EUlSR_E0_NS1_11comp_targetILNS1_3genE4ELNS1_11target_archE910ELNS1_3gpuE8ELNS1_3repE0EEENS1_30default_config_static_selectorELNS0_4arch9wavefront6targetE0EEEvT1_.private_seg_size, 0
	.set _ZN7rocprim17ROCPRIM_400000_NS6detail17trampoline_kernelINS0_14default_configENS1_20scan_config_selectorIdEEZZNS1_9scan_implILNS1_25lookback_scan_determinismE0ELb0ELb0ES3_PKdPddZZZN2at6native31launch_logcumsumexp_cuda_kernelERKNSB_10TensorBaseESF_lENKUlvE_clEvENKUlvE_clEvEUlddE_dEEDaPvRmT3_T4_T5_mT6_P12ihipStream_tbENKUlT_T0_E_clISt17integral_constantIbLb1EESW_EEDaSR_SS_EUlSR_E0_NS1_11comp_targetILNS1_3genE4ELNS1_11target_archE910ELNS1_3gpuE8ELNS1_3repE0EEENS1_30default_config_static_selectorELNS0_4arch9wavefront6targetE0EEEvT1_.uses_vcc, 0
	.set _ZN7rocprim17ROCPRIM_400000_NS6detail17trampoline_kernelINS0_14default_configENS1_20scan_config_selectorIdEEZZNS1_9scan_implILNS1_25lookback_scan_determinismE0ELb0ELb0ES3_PKdPddZZZN2at6native31launch_logcumsumexp_cuda_kernelERKNSB_10TensorBaseESF_lENKUlvE_clEvENKUlvE_clEvEUlddE_dEEDaPvRmT3_T4_T5_mT6_P12ihipStream_tbENKUlT_T0_E_clISt17integral_constantIbLb1EESW_EEDaSR_SS_EUlSR_E0_NS1_11comp_targetILNS1_3genE4ELNS1_11target_archE910ELNS1_3gpuE8ELNS1_3repE0EEENS1_30default_config_static_selectorELNS0_4arch9wavefront6targetE0EEEvT1_.uses_flat_scratch, 0
	.set _ZN7rocprim17ROCPRIM_400000_NS6detail17trampoline_kernelINS0_14default_configENS1_20scan_config_selectorIdEEZZNS1_9scan_implILNS1_25lookback_scan_determinismE0ELb0ELb0ES3_PKdPddZZZN2at6native31launch_logcumsumexp_cuda_kernelERKNSB_10TensorBaseESF_lENKUlvE_clEvENKUlvE_clEvEUlddE_dEEDaPvRmT3_T4_T5_mT6_P12ihipStream_tbENKUlT_T0_E_clISt17integral_constantIbLb1EESW_EEDaSR_SS_EUlSR_E0_NS1_11comp_targetILNS1_3genE4ELNS1_11target_archE910ELNS1_3gpuE8ELNS1_3repE0EEENS1_30default_config_static_selectorELNS0_4arch9wavefront6targetE0EEEvT1_.has_dyn_sized_stack, 0
	.set _ZN7rocprim17ROCPRIM_400000_NS6detail17trampoline_kernelINS0_14default_configENS1_20scan_config_selectorIdEEZZNS1_9scan_implILNS1_25lookback_scan_determinismE0ELb0ELb0ES3_PKdPddZZZN2at6native31launch_logcumsumexp_cuda_kernelERKNSB_10TensorBaseESF_lENKUlvE_clEvENKUlvE_clEvEUlddE_dEEDaPvRmT3_T4_T5_mT6_P12ihipStream_tbENKUlT_T0_E_clISt17integral_constantIbLb1EESW_EEDaSR_SS_EUlSR_E0_NS1_11comp_targetILNS1_3genE4ELNS1_11target_archE910ELNS1_3gpuE8ELNS1_3repE0EEENS1_30default_config_static_selectorELNS0_4arch9wavefront6targetE0EEEvT1_.has_recursion, 0
	.set _ZN7rocprim17ROCPRIM_400000_NS6detail17trampoline_kernelINS0_14default_configENS1_20scan_config_selectorIdEEZZNS1_9scan_implILNS1_25lookback_scan_determinismE0ELb0ELb0ES3_PKdPddZZZN2at6native31launch_logcumsumexp_cuda_kernelERKNSB_10TensorBaseESF_lENKUlvE_clEvENKUlvE_clEvEUlddE_dEEDaPvRmT3_T4_T5_mT6_P12ihipStream_tbENKUlT_T0_E_clISt17integral_constantIbLb1EESW_EEDaSR_SS_EUlSR_E0_NS1_11comp_targetILNS1_3genE4ELNS1_11target_archE910ELNS1_3gpuE8ELNS1_3repE0EEENS1_30default_config_static_selectorELNS0_4arch9wavefront6targetE0EEEvT1_.has_indirect_call, 0
	.section	.AMDGPU.csdata,"",@progbits
; Kernel info:
; codeLenInByte = 0
; TotalNumSgprs: 0
; NumVgprs: 0
; ScratchSize: 0
; MemoryBound: 0
; FloatMode: 240
; IeeeMode: 1
; LDSByteSize: 0 bytes/workgroup (compile time only)
; SGPRBlocks: 0
; VGPRBlocks: 0
; NumSGPRsForWavesPerEU: 1
; NumVGPRsForWavesPerEU: 1
; Occupancy: 16
; WaveLimiterHint : 0
; COMPUTE_PGM_RSRC2:SCRATCH_EN: 0
; COMPUTE_PGM_RSRC2:USER_SGPR: 2
; COMPUTE_PGM_RSRC2:TRAP_HANDLER: 0
; COMPUTE_PGM_RSRC2:TGID_X_EN: 1
; COMPUTE_PGM_RSRC2:TGID_Y_EN: 0
; COMPUTE_PGM_RSRC2:TGID_Z_EN: 0
; COMPUTE_PGM_RSRC2:TIDIG_COMP_CNT: 0
	.section	.text._ZN7rocprim17ROCPRIM_400000_NS6detail17trampoline_kernelINS0_14default_configENS1_20scan_config_selectorIdEEZZNS1_9scan_implILNS1_25lookback_scan_determinismE0ELb0ELb0ES3_PKdPddZZZN2at6native31launch_logcumsumexp_cuda_kernelERKNSB_10TensorBaseESF_lENKUlvE_clEvENKUlvE_clEvEUlddE_dEEDaPvRmT3_T4_T5_mT6_P12ihipStream_tbENKUlT_T0_E_clISt17integral_constantIbLb1EESW_EEDaSR_SS_EUlSR_E0_NS1_11comp_targetILNS1_3genE3ELNS1_11target_archE908ELNS1_3gpuE7ELNS1_3repE0EEENS1_30default_config_static_selectorELNS0_4arch9wavefront6targetE0EEEvT1_,"axG",@progbits,_ZN7rocprim17ROCPRIM_400000_NS6detail17trampoline_kernelINS0_14default_configENS1_20scan_config_selectorIdEEZZNS1_9scan_implILNS1_25lookback_scan_determinismE0ELb0ELb0ES3_PKdPddZZZN2at6native31launch_logcumsumexp_cuda_kernelERKNSB_10TensorBaseESF_lENKUlvE_clEvENKUlvE_clEvEUlddE_dEEDaPvRmT3_T4_T5_mT6_P12ihipStream_tbENKUlT_T0_E_clISt17integral_constantIbLb1EESW_EEDaSR_SS_EUlSR_E0_NS1_11comp_targetILNS1_3genE3ELNS1_11target_archE908ELNS1_3gpuE7ELNS1_3repE0EEENS1_30default_config_static_selectorELNS0_4arch9wavefront6targetE0EEEvT1_,comdat
	.globl	_ZN7rocprim17ROCPRIM_400000_NS6detail17trampoline_kernelINS0_14default_configENS1_20scan_config_selectorIdEEZZNS1_9scan_implILNS1_25lookback_scan_determinismE0ELb0ELb0ES3_PKdPddZZZN2at6native31launch_logcumsumexp_cuda_kernelERKNSB_10TensorBaseESF_lENKUlvE_clEvENKUlvE_clEvEUlddE_dEEDaPvRmT3_T4_T5_mT6_P12ihipStream_tbENKUlT_T0_E_clISt17integral_constantIbLb1EESW_EEDaSR_SS_EUlSR_E0_NS1_11comp_targetILNS1_3genE3ELNS1_11target_archE908ELNS1_3gpuE7ELNS1_3repE0EEENS1_30default_config_static_selectorELNS0_4arch9wavefront6targetE0EEEvT1_ ; -- Begin function _ZN7rocprim17ROCPRIM_400000_NS6detail17trampoline_kernelINS0_14default_configENS1_20scan_config_selectorIdEEZZNS1_9scan_implILNS1_25lookback_scan_determinismE0ELb0ELb0ES3_PKdPddZZZN2at6native31launch_logcumsumexp_cuda_kernelERKNSB_10TensorBaseESF_lENKUlvE_clEvENKUlvE_clEvEUlddE_dEEDaPvRmT3_T4_T5_mT6_P12ihipStream_tbENKUlT_T0_E_clISt17integral_constantIbLb1EESW_EEDaSR_SS_EUlSR_E0_NS1_11comp_targetILNS1_3genE3ELNS1_11target_archE908ELNS1_3gpuE7ELNS1_3repE0EEENS1_30default_config_static_selectorELNS0_4arch9wavefront6targetE0EEEvT1_
	.p2align	8
	.type	_ZN7rocprim17ROCPRIM_400000_NS6detail17trampoline_kernelINS0_14default_configENS1_20scan_config_selectorIdEEZZNS1_9scan_implILNS1_25lookback_scan_determinismE0ELb0ELb0ES3_PKdPddZZZN2at6native31launch_logcumsumexp_cuda_kernelERKNSB_10TensorBaseESF_lENKUlvE_clEvENKUlvE_clEvEUlddE_dEEDaPvRmT3_T4_T5_mT6_P12ihipStream_tbENKUlT_T0_E_clISt17integral_constantIbLb1EESW_EEDaSR_SS_EUlSR_E0_NS1_11comp_targetILNS1_3genE3ELNS1_11target_archE908ELNS1_3gpuE7ELNS1_3repE0EEENS1_30default_config_static_selectorELNS0_4arch9wavefront6targetE0EEEvT1_,@function
_ZN7rocprim17ROCPRIM_400000_NS6detail17trampoline_kernelINS0_14default_configENS1_20scan_config_selectorIdEEZZNS1_9scan_implILNS1_25lookback_scan_determinismE0ELb0ELb0ES3_PKdPddZZZN2at6native31launch_logcumsumexp_cuda_kernelERKNSB_10TensorBaseESF_lENKUlvE_clEvENKUlvE_clEvEUlddE_dEEDaPvRmT3_T4_T5_mT6_P12ihipStream_tbENKUlT_T0_E_clISt17integral_constantIbLb1EESW_EEDaSR_SS_EUlSR_E0_NS1_11comp_targetILNS1_3genE3ELNS1_11target_archE908ELNS1_3gpuE7ELNS1_3repE0EEENS1_30default_config_static_selectorELNS0_4arch9wavefront6targetE0EEEvT1_: ; @_ZN7rocprim17ROCPRIM_400000_NS6detail17trampoline_kernelINS0_14default_configENS1_20scan_config_selectorIdEEZZNS1_9scan_implILNS1_25lookback_scan_determinismE0ELb0ELb0ES3_PKdPddZZZN2at6native31launch_logcumsumexp_cuda_kernelERKNSB_10TensorBaseESF_lENKUlvE_clEvENKUlvE_clEvEUlddE_dEEDaPvRmT3_T4_T5_mT6_P12ihipStream_tbENKUlT_T0_E_clISt17integral_constantIbLb1EESW_EEDaSR_SS_EUlSR_E0_NS1_11comp_targetILNS1_3genE3ELNS1_11target_archE908ELNS1_3gpuE7ELNS1_3repE0EEENS1_30default_config_static_selectorELNS0_4arch9wavefront6targetE0EEEvT1_
; %bb.0:
	.section	.rodata,"a",@progbits
	.p2align	6, 0x0
	.amdhsa_kernel _ZN7rocprim17ROCPRIM_400000_NS6detail17trampoline_kernelINS0_14default_configENS1_20scan_config_selectorIdEEZZNS1_9scan_implILNS1_25lookback_scan_determinismE0ELb0ELb0ES3_PKdPddZZZN2at6native31launch_logcumsumexp_cuda_kernelERKNSB_10TensorBaseESF_lENKUlvE_clEvENKUlvE_clEvEUlddE_dEEDaPvRmT3_T4_T5_mT6_P12ihipStream_tbENKUlT_T0_E_clISt17integral_constantIbLb1EESW_EEDaSR_SS_EUlSR_E0_NS1_11comp_targetILNS1_3genE3ELNS1_11target_archE908ELNS1_3gpuE7ELNS1_3repE0EEENS1_30default_config_static_selectorELNS0_4arch9wavefront6targetE0EEEvT1_
		.amdhsa_group_segment_fixed_size 0
		.amdhsa_private_segment_fixed_size 0
		.amdhsa_kernarg_size 40
		.amdhsa_user_sgpr_count 2
		.amdhsa_user_sgpr_dispatch_ptr 0
		.amdhsa_user_sgpr_queue_ptr 0
		.amdhsa_user_sgpr_kernarg_segment_ptr 1
		.amdhsa_user_sgpr_dispatch_id 0
		.amdhsa_user_sgpr_private_segment_size 0
		.amdhsa_wavefront_size32 1
		.amdhsa_uses_dynamic_stack 0
		.amdhsa_enable_private_segment 0
		.amdhsa_system_sgpr_workgroup_id_x 1
		.amdhsa_system_sgpr_workgroup_id_y 0
		.amdhsa_system_sgpr_workgroup_id_z 0
		.amdhsa_system_sgpr_workgroup_info 0
		.amdhsa_system_vgpr_workitem_id 0
		.amdhsa_next_free_vgpr 1
		.amdhsa_next_free_sgpr 1
		.amdhsa_reserve_vcc 0
		.amdhsa_float_round_mode_32 0
		.amdhsa_float_round_mode_16_64 0
		.amdhsa_float_denorm_mode_32 3
		.amdhsa_float_denorm_mode_16_64 3
		.amdhsa_fp16_overflow 0
		.amdhsa_workgroup_processor_mode 1
		.amdhsa_memory_ordered 1
		.amdhsa_forward_progress 1
		.amdhsa_inst_pref_size 0
		.amdhsa_round_robin_scheduling 0
		.amdhsa_exception_fp_ieee_invalid_op 0
		.amdhsa_exception_fp_denorm_src 0
		.amdhsa_exception_fp_ieee_div_zero 0
		.amdhsa_exception_fp_ieee_overflow 0
		.amdhsa_exception_fp_ieee_underflow 0
		.amdhsa_exception_fp_ieee_inexact 0
		.amdhsa_exception_int_div_zero 0
	.end_amdhsa_kernel
	.section	.text._ZN7rocprim17ROCPRIM_400000_NS6detail17trampoline_kernelINS0_14default_configENS1_20scan_config_selectorIdEEZZNS1_9scan_implILNS1_25lookback_scan_determinismE0ELb0ELb0ES3_PKdPddZZZN2at6native31launch_logcumsumexp_cuda_kernelERKNSB_10TensorBaseESF_lENKUlvE_clEvENKUlvE_clEvEUlddE_dEEDaPvRmT3_T4_T5_mT6_P12ihipStream_tbENKUlT_T0_E_clISt17integral_constantIbLb1EESW_EEDaSR_SS_EUlSR_E0_NS1_11comp_targetILNS1_3genE3ELNS1_11target_archE908ELNS1_3gpuE7ELNS1_3repE0EEENS1_30default_config_static_selectorELNS0_4arch9wavefront6targetE0EEEvT1_,"axG",@progbits,_ZN7rocprim17ROCPRIM_400000_NS6detail17trampoline_kernelINS0_14default_configENS1_20scan_config_selectorIdEEZZNS1_9scan_implILNS1_25lookback_scan_determinismE0ELb0ELb0ES3_PKdPddZZZN2at6native31launch_logcumsumexp_cuda_kernelERKNSB_10TensorBaseESF_lENKUlvE_clEvENKUlvE_clEvEUlddE_dEEDaPvRmT3_T4_T5_mT6_P12ihipStream_tbENKUlT_T0_E_clISt17integral_constantIbLb1EESW_EEDaSR_SS_EUlSR_E0_NS1_11comp_targetILNS1_3genE3ELNS1_11target_archE908ELNS1_3gpuE7ELNS1_3repE0EEENS1_30default_config_static_selectorELNS0_4arch9wavefront6targetE0EEEvT1_,comdat
.Lfunc_end40:
	.size	_ZN7rocprim17ROCPRIM_400000_NS6detail17trampoline_kernelINS0_14default_configENS1_20scan_config_selectorIdEEZZNS1_9scan_implILNS1_25lookback_scan_determinismE0ELb0ELb0ES3_PKdPddZZZN2at6native31launch_logcumsumexp_cuda_kernelERKNSB_10TensorBaseESF_lENKUlvE_clEvENKUlvE_clEvEUlddE_dEEDaPvRmT3_T4_T5_mT6_P12ihipStream_tbENKUlT_T0_E_clISt17integral_constantIbLb1EESW_EEDaSR_SS_EUlSR_E0_NS1_11comp_targetILNS1_3genE3ELNS1_11target_archE908ELNS1_3gpuE7ELNS1_3repE0EEENS1_30default_config_static_selectorELNS0_4arch9wavefront6targetE0EEEvT1_, .Lfunc_end40-_ZN7rocprim17ROCPRIM_400000_NS6detail17trampoline_kernelINS0_14default_configENS1_20scan_config_selectorIdEEZZNS1_9scan_implILNS1_25lookback_scan_determinismE0ELb0ELb0ES3_PKdPddZZZN2at6native31launch_logcumsumexp_cuda_kernelERKNSB_10TensorBaseESF_lENKUlvE_clEvENKUlvE_clEvEUlddE_dEEDaPvRmT3_T4_T5_mT6_P12ihipStream_tbENKUlT_T0_E_clISt17integral_constantIbLb1EESW_EEDaSR_SS_EUlSR_E0_NS1_11comp_targetILNS1_3genE3ELNS1_11target_archE908ELNS1_3gpuE7ELNS1_3repE0EEENS1_30default_config_static_selectorELNS0_4arch9wavefront6targetE0EEEvT1_
                                        ; -- End function
	.set _ZN7rocprim17ROCPRIM_400000_NS6detail17trampoline_kernelINS0_14default_configENS1_20scan_config_selectorIdEEZZNS1_9scan_implILNS1_25lookback_scan_determinismE0ELb0ELb0ES3_PKdPddZZZN2at6native31launch_logcumsumexp_cuda_kernelERKNSB_10TensorBaseESF_lENKUlvE_clEvENKUlvE_clEvEUlddE_dEEDaPvRmT3_T4_T5_mT6_P12ihipStream_tbENKUlT_T0_E_clISt17integral_constantIbLb1EESW_EEDaSR_SS_EUlSR_E0_NS1_11comp_targetILNS1_3genE3ELNS1_11target_archE908ELNS1_3gpuE7ELNS1_3repE0EEENS1_30default_config_static_selectorELNS0_4arch9wavefront6targetE0EEEvT1_.num_vgpr, 0
	.set _ZN7rocprim17ROCPRIM_400000_NS6detail17trampoline_kernelINS0_14default_configENS1_20scan_config_selectorIdEEZZNS1_9scan_implILNS1_25lookback_scan_determinismE0ELb0ELb0ES3_PKdPddZZZN2at6native31launch_logcumsumexp_cuda_kernelERKNSB_10TensorBaseESF_lENKUlvE_clEvENKUlvE_clEvEUlddE_dEEDaPvRmT3_T4_T5_mT6_P12ihipStream_tbENKUlT_T0_E_clISt17integral_constantIbLb1EESW_EEDaSR_SS_EUlSR_E0_NS1_11comp_targetILNS1_3genE3ELNS1_11target_archE908ELNS1_3gpuE7ELNS1_3repE0EEENS1_30default_config_static_selectorELNS0_4arch9wavefront6targetE0EEEvT1_.num_agpr, 0
	.set _ZN7rocprim17ROCPRIM_400000_NS6detail17trampoline_kernelINS0_14default_configENS1_20scan_config_selectorIdEEZZNS1_9scan_implILNS1_25lookback_scan_determinismE0ELb0ELb0ES3_PKdPddZZZN2at6native31launch_logcumsumexp_cuda_kernelERKNSB_10TensorBaseESF_lENKUlvE_clEvENKUlvE_clEvEUlddE_dEEDaPvRmT3_T4_T5_mT6_P12ihipStream_tbENKUlT_T0_E_clISt17integral_constantIbLb1EESW_EEDaSR_SS_EUlSR_E0_NS1_11comp_targetILNS1_3genE3ELNS1_11target_archE908ELNS1_3gpuE7ELNS1_3repE0EEENS1_30default_config_static_selectorELNS0_4arch9wavefront6targetE0EEEvT1_.numbered_sgpr, 0
	.set _ZN7rocprim17ROCPRIM_400000_NS6detail17trampoline_kernelINS0_14default_configENS1_20scan_config_selectorIdEEZZNS1_9scan_implILNS1_25lookback_scan_determinismE0ELb0ELb0ES3_PKdPddZZZN2at6native31launch_logcumsumexp_cuda_kernelERKNSB_10TensorBaseESF_lENKUlvE_clEvENKUlvE_clEvEUlddE_dEEDaPvRmT3_T4_T5_mT6_P12ihipStream_tbENKUlT_T0_E_clISt17integral_constantIbLb1EESW_EEDaSR_SS_EUlSR_E0_NS1_11comp_targetILNS1_3genE3ELNS1_11target_archE908ELNS1_3gpuE7ELNS1_3repE0EEENS1_30default_config_static_selectorELNS0_4arch9wavefront6targetE0EEEvT1_.num_named_barrier, 0
	.set _ZN7rocprim17ROCPRIM_400000_NS6detail17trampoline_kernelINS0_14default_configENS1_20scan_config_selectorIdEEZZNS1_9scan_implILNS1_25lookback_scan_determinismE0ELb0ELb0ES3_PKdPddZZZN2at6native31launch_logcumsumexp_cuda_kernelERKNSB_10TensorBaseESF_lENKUlvE_clEvENKUlvE_clEvEUlddE_dEEDaPvRmT3_T4_T5_mT6_P12ihipStream_tbENKUlT_T0_E_clISt17integral_constantIbLb1EESW_EEDaSR_SS_EUlSR_E0_NS1_11comp_targetILNS1_3genE3ELNS1_11target_archE908ELNS1_3gpuE7ELNS1_3repE0EEENS1_30default_config_static_selectorELNS0_4arch9wavefront6targetE0EEEvT1_.private_seg_size, 0
	.set _ZN7rocprim17ROCPRIM_400000_NS6detail17trampoline_kernelINS0_14default_configENS1_20scan_config_selectorIdEEZZNS1_9scan_implILNS1_25lookback_scan_determinismE0ELb0ELb0ES3_PKdPddZZZN2at6native31launch_logcumsumexp_cuda_kernelERKNSB_10TensorBaseESF_lENKUlvE_clEvENKUlvE_clEvEUlddE_dEEDaPvRmT3_T4_T5_mT6_P12ihipStream_tbENKUlT_T0_E_clISt17integral_constantIbLb1EESW_EEDaSR_SS_EUlSR_E0_NS1_11comp_targetILNS1_3genE3ELNS1_11target_archE908ELNS1_3gpuE7ELNS1_3repE0EEENS1_30default_config_static_selectorELNS0_4arch9wavefront6targetE0EEEvT1_.uses_vcc, 0
	.set _ZN7rocprim17ROCPRIM_400000_NS6detail17trampoline_kernelINS0_14default_configENS1_20scan_config_selectorIdEEZZNS1_9scan_implILNS1_25lookback_scan_determinismE0ELb0ELb0ES3_PKdPddZZZN2at6native31launch_logcumsumexp_cuda_kernelERKNSB_10TensorBaseESF_lENKUlvE_clEvENKUlvE_clEvEUlddE_dEEDaPvRmT3_T4_T5_mT6_P12ihipStream_tbENKUlT_T0_E_clISt17integral_constantIbLb1EESW_EEDaSR_SS_EUlSR_E0_NS1_11comp_targetILNS1_3genE3ELNS1_11target_archE908ELNS1_3gpuE7ELNS1_3repE0EEENS1_30default_config_static_selectorELNS0_4arch9wavefront6targetE0EEEvT1_.uses_flat_scratch, 0
	.set _ZN7rocprim17ROCPRIM_400000_NS6detail17trampoline_kernelINS0_14default_configENS1_20scan_config_selectorIdEEZZNS1_9scan_implILNS1_25lookback_scan_determinismE0ELb0ELb0ES3_PKdPddZZZN2at6native31launch_logcumsumexp_cuda_kernelERKNSB_10TensorBaseESF_lENKUlvE_clEvENKUlvE_clEvEUlddE_dEEDaPvRmT3_T4_T5_mT6_P12ihipStream_tbENKUlT_T0_E_clISt17integral_constantIbLb1EESW_EEDaSR_SS_EUlSR_E0_NS1_11comp_targetILNS1_3genE3ELNS1_11target_archE908ELNS1_3gpuE7ELNS1_3repE0EEENS1_30default_config_static_selectorELNS0_4arch9wavefront6targetE0EEEvT1_.has_dyn_sized_stack, 0
	.set _ZN7rocprim17ROCPRIM_400000_NS6detail17trampoline_kernelINS0_14default_configENS1_20scan_config_selectorIdEEZZNS1_9scan_implILNS1_25lookback_scan_determinismE0ELb0ELb0ES3_PKdPddZZZN2at6native31launch_logcumsumexp_cuda_kernelERKNSB_10TensorBaseESF_lENKUlvE_clEvENKUlvE_clEvEUlddE_dEEDaPvRmT3_T4_T5_mT6_P12ihipStream_tbENKUlT_T0_E_clISt17integral_constantIbLb1EESW_EEDaSR_SS_EUlSR_E0_NS1_11comp_targetILNS1_3genE3ELNS1_11target_archE908ELNS1_3gpuE7ELNS1_3repE0EEENS1_30default_config_static_selectorELNS0_4arch9wavefront6targetE0EEEvT1_.has_recursion, 0
	.set _ZN7rocprim17ROCPRIM_400000_NS6detail17trampoline_kernelINS0_14default_configENS1_20scan_config_selectorIdEEZZNS1_9scan_implILNS1_25lookback_scan_determinismE0ELb0ELb0ES3_PKdPddZZZN2at6native31launch_logcumsumexp_cuda_kernelERKNSB_10TensorBaseESF_lENKUlvE_clEvENKUlvE_clEvEUlddE_dEEDaPvRmT3_T4_T5_mT6_P12ihipStream_tbENKUlT_T0_E_clISt17integral_constantIbLb1EESW_EEDaSR_SS_EUlSR_E0_NS1_11comp_targetILNS1_3genE3ELNS1_11target_archE908ELNS1_3gpuE7ELNS1_3repE0EEENS1_30default_config_static_selectorELNS0_4arch9wavefront6targetE0EEEvT1_.has_indirect_call, 0
	.section	.AMDGPU.csdata,"",@progbits
; Kernel info:
; codeLenInByte = 0
; TotalNumSgprs: 0
; NumVgprs: 0
; ScratchSize: 0
; MemoryBound: 0
; FloatMode: 240
; IeeeMode: 1
; LDSByteSize: 0 bytes/workgroup (compile time only)
; SGPRBlocks: 0
; VGPRBlocks: 0
; NumSGPRsForWavesPerEU: 1
; NumVGPRsForWavesPerEU: 1
; Occupancy: 16
; WaveLimiterHint : 0
; COMPUTE_PGM_RSRC2:SCRATCH_EN: 0
; COMPUTE_PGM_RSRC2:USER_SGPR: 2
; COMPUTE_PGM_RSRC2:TRAP_HANDLER: 0
; COMPUTE_PGM_RSRC2:TGID_X_EN: 1
; COMPUTE_PGM_RSRC2:TGID_Y_EN: 0
; COMPUTE_PGM_RSRC2:TGID_Z_EN: 0
; COMPUTE_PGM_RSRC2:TIDIG_COMP_CNT: 0
	.section	.text._ZN7rocprim17ROCPRIM_400000_NS6detail17trampoline_kernelINS0_14default_configENS1_20scan_config_selectorIdEEZZNS1_9scan_implILNS1_25lookback_scan_determinismE0ELb0ELb0ES3_PKdPddZZZN2at6native31launch_logcumsumexp_cuda_kernelERKNSB_10TensorBaseESF_lENKUlvE_clEvENKUlvE_clEvEUlddE_dEEDaPvRmT3_T4_T5_mT6_P12ihipStream_tbENKUlT_T0_E_clISt17integral_constantIbLb1EESW_EEDaSR_SS_EUlSR_E0_NS1_11comp_targetILNS1_3genE2ELNS1_11target_archE906ELNS1_3gpuE6ELNS1_3repE0EEENS1_30default_config_static_selectorELNS0_4arch9wavefront6targetE0EEEvT1_,"axG",@progbits,_ZN7rocprim17ROCPRIM_400000_NS6detail17trampoline_kernelINS0_14default_configENS1_20scan_config_selectorIdEEZZNS1_9scan_implILNS1_25lookback_scan_determinismE0ELb0ELb0ES3_PKdPddZZZN2at6native31launch_logcumsumexp_cuda_kernelERKNSB_10TensorBaseESF_lENKUlvE_clEvENKUlvE_clEvEUlddE_dEEDaPvRmT3_T4_T5_mT6_P12ihipStream_tbENKUlT_T0_E_clISt17integral_constantIbLb1EESW_EEDaSR_SS_EUlSR_E0_NS1_11comp_targetILNS1_3genE2ELNS1_11target_archE906ELNS1_3gpuE6ELNS1_3repE0EEENS1_30default_config_static_selectorELNS0_4arch9wavefront6targetE0EEEvT1_,comdat
	.globl	_ZN7rocprim17ROCPRIM_400000_NS6detail17trampoline_kernelINS0_14default_configENS1_20scan_config_selectorIdEEZZNS1_9scan_implILNS1_25lookback_scan_determinismE0ELb0ELb0ES3_PKdPddZZZN2at6native31launch_logcumsumexp_cuda_kernelERKNSB_10TensorBaseESF_lENKUlvE_clEvENKUlvE_clEvEUlddE_dEEDaPvRmT3_T4_T5_mT6_P12ihipStream_tbENKUlT_T0_E_clISt17integral_constantIbLb1EESW_EEDaSR_SS_EUlSR_E0_NS1_11comp_targetILNS1_3genE2ELNS1_11target_archE906ELNS1_3gpuE6ELNS1_3repE0EEENS1_30default_config_static_selectorELNS0_4arch9wavefront6targetE0EEEvT1_ ; -- Begin function _ZN7rocprim17ROCPRIM_400000_NS6detail17trampoline_kernelINS0_14default_configENS1_20scan_config_selectorIdEEZZNS1_9scan_implILNS1_25lookback_scan_determinismE0ELb0ELb0ES3_PKdPddZZZN2at6native31launch_logcumsumexp_cuda_kernelERKNSB_10TensorBaseESF_lENKUlvE_clEvENKUlvE_clEvEUlddE_dEEDaPvRmT3_T4_T5_mT6_P12ihipStream_tbENKUlT_T0_E_clISt17integral_constantIbLb1EESW_EEDaSR_SS_EUlSR_E0_NS1_11comp_targetILNS1_3genE2ELNS1_11target_archE906ELNS1_3gpuE6ELNS1_3repE0EEENS1_30default_config_static_selectorELNS0_4arch9wavefront6targetE0EEEvT1_
	.p2align	8
	.type	_ZN7rocprim17ROCPRIM_400000_NS6detail17trampoline_kernelINS0_14default_configENS1_20scan_config_selectorIdEEZZNS1_9scan_implILNS1_25lookback_scan_determinismE0ELb0ELb0ES3_PKdPddZZZN2at6native31launch_logcumsumexp_cuda_kernelERKNSB_10TensorBaseESF_lENKUlvE_clEvENKUlvE_clEvEUlddE_dEEDaPvRmT3_T4_T5_mT6_P12ihipStream_tbENKUlT_T0_E_clISt17integral_constantIbLb1EESW_EEDaSR_SS_EUlSR_E0_NS1_11comp_targetILNS1_3genE2ELNS1_11target_archE906ELNS1_3gpuE6ELNS1_3repE0EEENS1_30default_config_static_selectorELNS0_4arch9wavefront6targetE0EEEvT1_,@function
_ZN7rocprim17ROCPRIM_400000_NS6detail17trampoline_kernelINS0_14default_configENS1_20scan_config_selectorIdEEZZNS1_9scan_implILNS1_25lookback_scan_determinismE0ELb0ELb0ES3_PKdPddZZZN2at6native31launch_logcumsumexp_cuda_kernelERKNSB_10TensorBaseESF_lENKUlvE_clEvENKUlvE_clEvEUlddE_dEEDaPvRmT3_T4_T5_mT6_P12ihipStream_tbENKUlT_T0_E_clISt17integral_constantIbLb1EESW_EEDaSR_SS_EUlSR_E0_NS1_11comp_targetILNS1_3genE2ELNS1_11target_archE906ELNS1_3gpuE6ELNS1_3repE0EEENS1_30default_config_static_selectorELNS0_4arch9wavefront6targetE0EEEvT1_: ; @_ZN7rocprim17ROCPRIM_400000_NS6detail17trampoline_kernelINS0_14default_configENS1_20scan_config_selectorIdEEZZNS1_9scan_implILNS1_25lookback_scan_determinismE0ELb0ELb0ES3_PKdPddZZZN2at6native31launch_logcumsumexp_cuda_kernelERKNSB_10TensorBaseESF_lENKUlvE_clEvENKUlvE_clEvEUlddE_dEEDaPvRmT3_T4_T5_mT6_P12ihipStream_tbENKUlT_T0_E_clISt17integral_constantIbLb1EESW_EEDaSR_SS_EUlSR_E0_NS1_11comp_targetILNS1_3genE2ELNS1_11target_archE906ELNS1_3gpuE6ELNS1_3repE0EEENS1_30default_config_static_selectorELNS0_4arch9wavefront6targetE0EEEvT1_
; %bb.0:
	.section	.rodata,"a",@progbits
	.p2align	6, 0x0
	.amdhsa_kernel _ZN7rocprim17ROCPRIM_400000_NS6detail17trampoline_kernelINS0_14default_configENS1_20scan_config_selectorIdEEZZNS1_9scan_implILNS1_25lookback_scan_determinismE0ELb0ELb0ES3_PKdPddZZZN2at6native31launch_logcumsumexp_cuda_kernelERKNSB_10TensorBaseESF_lENKUlvE_clEvENKUlvE_clEvEUlddE_dEEDaPvRmT3_T4_T5_mT6_P12ihipStream_tbENKUlT_T0_E_clISt17integral_constantIbLb1EESW_EEDaSR_SS_EUlSR_E0_NS1_11comp_targetILNS1_3genE2ELNS1_11target_archE906ELNS1_3gpuE6ELNS1_3repE0EEENS1_30default_config_static_selectorELNS0_4arch9wavefront6targetE0EEEvT1_
		.amdhsa_group_segment_fixed_size 0
		.amdhsa_private_segment_fixed_size 0
		.amdhsa_kernarg_size 40
		.amdhsa_user_sgpr_count 2
		.amdhsa_user_sgpr_dispatch_ptr 0
		.amdhsa_user_sgpr_queue_ptr 0
		.amdhsa_user_sgpr_kernarg_segment_ptr 1
		.amdhsa_user_sgpr_dispatch_id 0
		.amdhsa_user_sgpr_private_segment_size 0
		.amdhsa_wavefront_size32 1
		.amdhsa_uses_dynamic_stack 0
		.amdhsa_enable_private_segment 0
		.amdhsa_system_sgpr_workgroup_id_x 1
		.amdhsa_system_sgpr_workgroup_id_y 0
		.amdhsa_system_sgpr_workgroup_id_z 0
		.amdhsa_system_sgpr_workgroup_info 0
		.amdhsa_system_vgpr_workitem_id 0
		.amdhsa_next_free_vgpr 1
		.amdhsa_next_free_sgpr 1
		.amdhsa_reserve_vcc 0
		.amdhsa_float_round_mode_32 0
		.amdhsa_float_round_mode_16_64 0
		.amdhsa_float_denorm_mode_32 3
		.amdhsa_float_denorm_mode_16_64 3
		.amdhsa_fp16_overflow 0
		.amdhsa_workgroup_processor_mode 1
		.amdhsa_memory_ordered 1
		.amdhsa_forward_progress 1
		.amdhsa_inst_pref_size 0
		.amdhsa_round_robin_scheduling 0
		.amdhsa_exception_fp_ieee_invalid_op 0
		.amdhsa_exception_fp_denorm_src 0
		.amdhsa_exception_fp_ieee_div_zero 0
		.amdhsa_exception_fp_ieee_overflow 0
		.amdhsa_exception_fp_ieee_underflow 0
		.amdhsa_exception_fp_ieee_inexact 0
		.amdhsa_exception_int_div_zero 0
	.end_amdhsa_kernel
	.section	.text._ZN7rocprim17ROCPRIM_400000_NS6detail17trampoline_kernelINS0_14default_configENS1_20scan_config_selectorIdEEZZNS1_9scan_implILNS1_25lookback_scan_determinismE0ELb0ELb0ES3_PKdPddZZZN2at6native31launch_logcumsumexp_cuda_kernelERKNSB_10TensorBaseESF_lENKUlvE_clEvENKUlvE_clEvEUlddE_dEEDaPvRmT3_T4_T5_mT6_P12ihipStream_tbENKUlT_T0_E_clISt17integral_constantIbLb1EESW_EEDaSR_SS_EUlSR_E0_NS1_11comp_targetILNS1_3genE2ELNS1_11target_archE906ELNS1_3gpuE6ELNS1_3repE0EEENS1_30default_config_static_selectorELNS0_4arch9wavefront6targetE0EEEvT1_,"axG",@progbits,_ZN7rocprim17ROCPRIM_400000_NS6detail17trampoline_kernelINS0_14default_configENS1_20scan_config_selectorIdEEZZNS1_9scan_implILNS1_25lookback_scan_determinismE0ELb0ELb0ES3_PKdPddZZZN2at6native31launch_logcumsumexp_cuda_kernelERKNSB_10TensorBaseESF_lENKUlvE_clEvENKUlvE_clEvEUlddE_dEEDaPvRmT3_T4_T5_mT6_P12ihipStream_tbENKUlT_T0_E_clISt17integral_constantIbLb1EESW_EEDaSR_SS_EUlSR_E0_NS1_11comp_targetILNS1_3genE2ELNS1_11target_archE906ELNS1_3gpuE6ELNS1_3repE0EEENS1_30default_config_static_selectorELNS0_4arch9wavefront6targetE0EEEvT1_,comdat
.Lfunc_end41:
	.size	_ZN7rocprim17ROCPRIM_400000_NS6detail17trampoline_kernelINS0_14default_configENS1_20scan_config_selectorIdEEZZNS1_9scan_implILNS1_25lookback_scan_determinismE0ELb0ELb0ES3_PKdPddZZZN2at6native31launch_logcumsumexp_cuda_kernelERKNSB_10TensorBaseESF_lENKUlvE_clEvENKUlvE_clEvEUlddE_dEEDaPvRmT3_T4_T5_mT6_P12ihipStream_tbENKUlT_T0_E_clISt17integral_constantIbLb1EESW_EEDaSR_SS_EUlSR_E0_NS1_11comp_targetILNS1_3genE2ELNS1_11target_archE906ELNS1_3gpuE6ELNS1_3repE0EEENS1_30default_config_static_selectorELNS0_4arch9wavefront6targetE0EEEvT1_, .Lfunc_end41-_ZN7rocprim17ROCPRIM_400000_NS6detail17trampoline_kernelINS0_14default_configENS1_20scan_config_selectorIdEEZZNS1_9scan_implILNS1_25lookback_scan_determinismE0ELb0ELb0ES3_PKdPddZZZN2at6native31launch_logcumsumexp_cuda_kernelERKNSB_10TensorBaseESF_lENKUlvE_clEvENKUlvE_clEvEUlddE_dEEDaPvRmT3_T4_T5_mT6_P12ihipStream_tbENKUlT_T0_E_clISt17integral_constantIbLb1EESW_EEDaSR_SS_EUlSR_E0_NS1_11comp_targetILNS1_3genE2ELNS1_11target_archE906ELNS1_3gpuE6ELNS1_3repE0EEENS1_30default_config_static_selectorELNS0_4arch9wavefront6targetE0EEEvT1_
                                        ; -- End function
	.set _ZN7rocprim17ROCPRIM_400000_NS6detail17trampoline_kernelINS0_14default_configENS1_20scan_config_selectorIdEEZZNS1_9scan_implILNS1_25lookback_scan_determinismE0ELb0ELb0ES3_PKdPddZZZN2at6native31launch_logcumsumexp_cuda_kernelERKNSB_10TensorBaseESF_lENKUlvE_clEvENKUlvE_clEvEUlddE_dEEDaPvRmT3_T4_T5_mT6_P12ihipStream_tbENKUlT_T0_E_clISt17integral_constantIbLb1EESW_EEDaSR_SS_EUlSR_E0_NS1_11comp_targetILNS1_3genE2ELNS1_11target_archE906ELNS1_3gpuE6ELNS1_3repE0EEENS1_30default_config_static_selectorELNS0_4arch9wavefront6targetE0EEEvT1_.num_vgpr, 0
	.set _ZN7rocprim17ROCPRIM_400000_NS6detail17trampoline_kernelINS0_14default_configENS1_20scan_config_selectorIdEEZZNS1_9scan_implILNS1_25lookback_scan_determinismE0ELb0ELb0ES3_PKdPddZZZN2at6native31launch_logcumsumexp_cuda_kernelERKNSB_10TensorBaseESF_lENKUlvE_clEvENKUlvE_clEvEUlddE_dEEDaPvRmT3_T4_T5_mT6_P12ihipStream_tbENKUlT_T0_E_clISt17integral_constantIbLb1EESW_EEDaSR_SS_EUlSR_E0_NS1_11comp_targetILNS1_3genE2ELNS1_11target_archE906ELNS1_3gpuE6ELNS1_3repE0EEENS1_30default_config_static_selectorELNS0_4arch9wavefront6targetE0EEEvT1_.num_agpr, 0
	.set _ZN7rocprim17ROCPRIM_400000_NS6detail17trampoline_kernelINS0_14default_configENS1_20scan_config_selectorIdEEZZNS1_9scan_implILNS1_25lookback_scan_determinismE0ELb0ELb0ES3_PKdPddZZZN2at6native31launch_logcumsumexp_cuda_kernelERKNSB_10TensorBaseESF_lENKUlvE_clEvENKUlvE_clEvEUlddE_dEEDaPvRmT3_T4_T5_mT6_P12ihipStream_tbENKUlT_T0_E_clISt17integral_constantIbLb1EESW_EEDaSR_SS_EUlSR_E0_NS1_11comp_targetILNS1_3genE2ELNS1_11target_archE906ELNS1_3gpuE6ELNS1_3repE0EEENS1_30default_config_static_selectorELNS0_4arch9wavefront6targetE0EEEvT1_.numbered_sgpr, 0
	.set _ZN7rocprim17ROCPRIM_400000_NS6detail17trampoline_kernelINS0_14default_configENS1_20scan_config_selectorIdEEZZNS1_9scan_implILNS1_25lookback_scan_determinismE0ELb0ELb0ES3_PKdPddZZZN2at6native31launch_logcumsumexp_cuda_kernelERKNSB_10TensorBaseESF_lENKUlvE_clEvENKUlvE_clEvEUlddE_dEEDaPvRmT3_T4_T5_mT6_P12ihipStream_tbENKUlT_T0_E_clISt17integral_constantIbLb1EESW_EEDaSR_SS_EUlSR_E0_NS1_11comp_targetILNS1_3genE2ELNS1_11target_archE906ELNS1_3gpuE6ELNS1_3repE0EEENS1_30default_config_static_selectorELNS0_4arch9wavefront6targetE0EEEvT1_.num_named_barrier, 0
	.set _ZN7rocprim17ROCPRIM_400000_NS6detail17trampoline_kernelINS0_14default_configENS1_20scan_config_selectorIdEEZZNS1_9scan_implILNS1_25lookback_scan_determinismE0ELb0ELb0ES3_PKdPddZZZN2at6native31launch_logcumsumexp_cuda_kernelERKNSB_10TensorBaseESF_lENKUlvE_clEvENKUlvE_clEvEUlddE_dEEDaPvRmT3_T4_T5_mT6_P12ihipStream_tbENKUlT_T0_E_clISt17integral_constantIbLb1EESW_EEDaSR_SS_EUlSR_E0_NS1_11comp_targetILNS1_3genE2ELNS1_11target_archE906ELNS1_3gpuE6ELNS1_3repE0EEENS1_30default_config_static_selectorELNS0_4arch9wavefront6targetE0EEEvT1_.private_seg_size, 0
	.set _ZN7rocprim17ROCPRIM_400000_NS6detail17trampoline_kernelINS0_14default_configENS1_20scan_config_selectorIdEEZZNS1_9scan_implILNS1_25lookback_scan_determinismE0ELb0ELb0ES3_PKdPddZZZN2at6native31launch_logcumsumexp_cuda_kernelERKNSB_10TensorBaseESF_lENKUlvE_clEvENKUlvE_clEvEUlddE_dEEDaPvRmT3_T4_T5_mT6_P12ihipStream_tbENKUlT_T0_E_clISt17integral_constantIbLb1EESW_EEDaSR_SS_EUlSR_E0_NS1_11comp_targetILNS1_3genE2ELNS1_11target_archE906ELNS1_3gpuE6ELNS1_3repE0EEENS1_30default_config_static_selectorELNS0_4arch9wavefront6targetE0EEEvT1_.uses_vcc, 0
	.set _ZN7rocprim17ROCPRIM_400000_NS6detail17trampoline_kernelINS0_14default_configENS1_20scan_config_selectorIdEEZZNS1_9scan_implILNS1_25lookback_scan_determinismE0ELb0ELb0ES3_PKdPddZZZN2at6native31launch_logcumsumexp_cuda_kernelERKNSB_10TensorBaseESF_lENKUlvE_clEvENKUlvE_clEvEUlddE_dEEDaPvRmT3_T4_T5_mT6_P12ihipStream_tbENKUlT_T0_E_clISt17integral_constantIbLb1EESW_EEDaSR_SS_EUlSR_E0_NS1_11comp_targetILNS1_3genE2ELNS1_11target_archE906ELNS1_3gpuE6ELNS1_3repE0EEENS1_30default_config_static_selectorELNS0_4arch9wavefront6targetE0EEEvT1_.uses_flat_scratch, 0
	.set _ZN7rocprim17ROCPRIM_400000_NS6detail17trampoline_kernelINS0_14default_configENS1_20scan_config_selectorIdEEZZNS1_9scan_implILNS1_25lookback_scan_determinismE0ELb0ELb0ES3_PKdPddZZZN2at6native31launch_logcumsumexp_cuda_kernelERKNSB_10TensorBaseESF_lENKUlvE_clEvENKUlvE_clEvEUlddE_dEEDaPvRmT3_T4_T5_mT6_P12ihipStream_tbENKUlT_T0_E_clISt17integral_constantIbLb1EESW_EEDaSR_SS_EUlSR_E0_NS1_11comp_targetILNS1_3genE2ELNS1_11target_archE906ELNS1_3gpuE6ELNS1_3repE0EEENS1_30default_config_static_selectorELNS0_4arch9wavefront6targetE0EEEvT1_.has_dyn_sized_stack, 0
	.set _ZN7rocprim17ROCPRIM_400000_NS6detail17trampoline_kernelINS0_14default_configENS1_20scan_config_selectorIdEEZZNS1_9scan_implILNS1_25lookback_scan_determinismE0ELb0ELb0ES3_PKdPddZZZN2at6native31launch_logcumsumexp_cuda_kernelERKNSB_10TensorBaseESF_lENKUlvE_clEvENKUlvE_clEvEUlddE_dEEDaPvRmT3_T4_T5_mT6_P12ihipStream_tbENKUlT_T0_E_clISt17integral_constantIbLb1EESW_EEDaSR_SS_EUlSR_E0_NS1_11comp_targetILNS1_3genE2ELNS1_11target_archE906ELNS1_3gpuE6ELNS1_3repE0EEENS1_30default_config_static_selectorELNS0_4arch9wavefront6targetE0EEEvT1_.has_recursion, 0
	.set _ZN7rocprim17ROCPRIM_400000_NS6detail17trampoline_kernelINS0_14default_configENS1_20scan_config_selectorIdEEZZNS1_9scan_implILNS1_25lookback_scan_determinismE0ELb0ELb0ES3_PKdPddZZZN2at6native31launch_logcumsumexp_cuda_kernelERKNSB_10TensorBaseESF_lENKUlvE_clEvENKUlvE_clEvEUlddE_dEEDaPvRmT3_T4_T5_mT6_P12ihipStream_tbENKUlT_T0_E_clISt17integral_constantIbLb1EESW_EEDaSR_SS_EUlSR_E0_NS1_11comp_targetILNS1_3genE2ELNS1_11target_archE906ELNS1_3gpuE6ELNS1_3repE0EEENS1_30default_config_static_selectorELNS0_4arch9wavefront6targetE0EEEvT1_.has_indirect_call, 0
	.section	.AMDGPU.csdata,"",@progbits
; Kernel info:
; codeLenInByte = 0
; TotalNumSgprs: 0
; NumVgprs: 0
; ScratchSize: 0
; MemoryBound: 0
; FloatMode: 240
; IeeeMode: 1
; LDSByteSize: 0 bytes/workgroup (compile time only)
; SGPRBlocks: 0
; VGPRBlocks: 0
; NumSGPRsForWavesPerEU: 1
; NumVGPRsForWavesPerEU: 1
; Occupancy: 16
; WaveLimiterHint : 0
; COMPUTE_PGM_RSRC2:SCRATCH_EN: 0
; COMPUTE_PGM_RSRC2:USER_SGPR: 2
; COMPUTE_PGM_RSRC2:TRAP_HANDLER: 0
; COMPUTE_PGM_RSRC2:TGID_X_EN: 1
; COMPUTE_PGM_RSRC2:TGID_Y_EN: 0
; COMPUTE_PGM_RSRC2:TGID_Z_EN: 0
; COMPUTE_PGM_RSRC2:TIDIG_COMP_CNT: 0
	.section	.text._ZN7rocprim17ROCPRIM_400000_NS6detail17trampoline_kernelINS0_14default_configENS1_20scan_config_selectorIdEEZZNS1_9scan_implILNS1_25lookback_scan_determinismE0ELb0ELb0ES3_PKdPddZZZN2at6native31launch_logcumsumexp_cuda_kernelERKNSB_10TensorBaseESF_lENKUlvE_clEvENKUlvE_clEvEUlddE_dEEDaPvRmT3_T4_T5_mT6_P12ihipStream_tbENKUlT_T0_E_clISt17integral_constantIbLb1EESW_EEDaSR_SS_EUlSR_E0_NS1_11comp_targetILNS1_3genE10ELNS1_11target_archE1201ELNS1_3gpuE5ELNS1_3repE0EEENS1_30default_config_static_selectorELNS0_4arch9wavefront6targetE0EEEvT1_,"axG",@progbits,_ZN7rocprim17ROCPRIM_400000_NS6detail17trampoline_kernelINS0_14default_configENS1_20scan_config_selectorIdEEZZNS1_9scan_implILNS1_25lookback_scan_determinismE0ELb0ELb0ES3_PKdPddZZZN2at6native31launch_logcumsumexp_cuda_kernelERKNSB_10TensorBaseESF_lENKUlvE_clEvENKUlvE_clEvEUlddE_dEEDaPvRmT3_T4_T5_mT6_P12ihipStream_tbENKUlT_T0_E_clISt17integral_constantIbLb1EESW_EEDaSR_SS_EUlSR_E0_NS1_11comp_targetILNS1_3genE10ELNS1_11target_archE1201ELNS1_3gpuE5ELNS1_3repE0EEENS1_30default_config_static_selectorELNS0_4arch9wavefront6targetE0EEEvT1_,comdat
	.globl	_ZN7rocprim17ROCPRIM_400000_NS6detail17trampoline_kernelINS0_14default_configENS1_20scan_config_selectorIdEEZZNS1_9scan_implILNS1_25lookback_scan_determinismE0ELb0ELb0ES3_PKdPddZZZN2at6native31launch_logcumsumexp_cuda_kernelERKNSB_10TensorBaseESF_lENKUlvE_clEvENKUlvE_clEvEUlddE_dEEDaPvRmT3_T4_T5_mT6_P12ihipStream_tbENKUlT_T0_E_clISt17integral_constantIbLb1EESW_EEDaSR_SS_EUlSR_E0_NS1_11comp_targetILNS1_3genE10ELNS1_11target_archE1201ELNS1_3gpuE5ELNS1_3repE0EEENS1_30default_config_static_selectorELNS0_4arch9wavefront6targetE0EEEvT1_ ; -- Begin function _ZN7rocprim17ROCPRIM_400000_NS6detail17trampoline_kernelINS0_14default_configENS1_20scan_config_selectorIdEEZZNS1_9scan_implILNS1_25lookback_scan_determinismE0ELb0ELb0ES3_PKdPddZZZN2at6native31launch_logcumsumexp_cuda_kernelERKNSB_10TensorBaseESF_lENKUlvE_clEvENKUlvE_clEvEUlddE_dEEDaPvRmT3_T4_T5_mT6_P12ihipStream_tbENKUlT_T0_E_clISt17integral_constantIbLb1EESW_EEDaSR_SS_EUlSR_E0_NS1_11comp_targetILNS1_3genE10ELNS1_11target_archE1201ELNS1_3gpuE5ELNS1_3repE0EEENS1_30default_config_static_selectorELNS0_4arch9wavefront6targetE0EEEvT1_
	.p2align	8
	.type	_ZN7rocprim17ROCPRIM_400000_NS6detail17trampoline_kernelINS0_14default_configENS1_20scan_config_selectorIdEEZZNS1_9scan_implILNS1_25lookback_scan_determinismE0ELb0ELb0ES3_PKdPddZZZN2at6native31launch_logcumsumexp_cuda_kernelERKNSB_10TensorBaseESF_lENKUlvE_clEvENKUlvE_clEvEUlddE_dEEDaPvRmT3_T4_T5_mT6_P12ihipStream_tbENKUlT_T0_E_clISt17integral_constantIbLb1EESW_EEDaSR_SS_EUlSR_E0_NS1_11comp_targetILNS1_3genE10ELNS1_11target_archE1201ELNS1_3gpuE5ELNS1_3repE0EEENS1_30default_config_static_selectorELNS0_4arch9wavefront6targetE0EEEvT1_,@function
_ZN7rocprim17ROCPRIM_400000_NS6detail17trampoline_kernelINS0_14default_configENS1_20scan_config_selectorIdEEZZNS1_9scan_implILNS1_25lookback_scan_determinismE0ELb0ELb0ES3_PKdPddZZZN2at6native31launch_logcumsumexp_cuda_kernelERKNSB_10TensorBaseESF_lENKUlvE_clEvENKUlvE_clEvEUlddE_dEEDaPvRmT3_T4_T5_mT6_P12ihipStream_tbENKUlT_T0_E_clISt17integral_constantIbLb1EESW_EEDaSR_SS_EUlSR_E0_NS1_11comp_targetILNS1_3genE10ELNS1_11target_archE1201ELNS1_3gpuE5ELNS1_3repE0EEENS1_30default_config_static_selectorELNS0_4arch9wavefront6targetE0EEEvT1_: ; @_ZN7rocprim17ROCPRIM_400000_NS6detail17trampoline_kernelINS0_14default_configENS1_20scan_config_selectorIdEEZZNS1_9scan_implILNS1_25lookback_scan_determinismE0ELb0ELb0ES3_PKdPddZZZN2at6native31launch_logcumsumexp_cuda_kernelERKNSB_10TensorBaseESF_lENKUlvE_clEvENKUlvE_clEvEUlddE_dEEDaPvRmT3_T4_T5_mT6_P12ihipStream_tbENKUlT_T0_E_clISt17integral_constantIbLb1EESW_EEDaSR_SS_EUlSR_E0_NS1_11comp_targetILNS1_3genE10ELNS1_11target_archE1201ELNS1_3gpuE5ELNS1_3repE0EEENS1_30default_config_static_selectorELNS0_4arch9wavefront6targetE0EEEvT1_
; %bb.0:
	s_load_b128 s[20:23], s[0:1], 0x0
	v_lshlrev_b32_e32 v77, 3, v0
	s_wait_kmcnt 0x0
	s_load_b64 s[18:19], s[20:21], 0x0
	v_cmp_gt_u32_e32 vcc_lo, s22, v0
	s_wait_kmcnt 0x0
	v_dual_mov_b32 v1, s18 :: v_dual_mov_b32 v2, s19
	s_and_saveexec_b32 s2, vcc_lo
	s_cbranch_execz .LBB42_2
; %bb.1:
	global_load_b64 v[1:2], v77, s[20:21]
.LBB42_2:
	s_or_b32 exec_lo, exec_lo, s2
	v_or_b32_e32 v33, 0x100, v0
	v_dual_mov_b32 v3, s18 :: v_dual_mov_b32 v4, s19
	s_delay_alu instid0(VALU_DEP_2)
	v_cmp_gt_u32_e64 s2, s22, v33
	s_and_saveexec_b32 s3, s2
	s_cbranch_execz .LBB42_4
; %bb.3:
	global_load_b64 v[3:4], v77, s[20:21] offset:2048
.LBB42_4:
	s_or_b32 exec_lo, exec_lo, s3
	v_or_b32_e32 v34, 0x200, v0
	v_dual_mov_b32 v5, s18 :: v_dual_mov_b32 v6, s19
	s_delay_alu instid0(VALU_DEP_2)
	v_cmp_gt_u32_e64 s3, s22, v34
	s_and_saveexec_b32 s4, s3
	s_cbranch_execz .LBB42_6
; %bb.5:
	global_load_b64 v[5:6], v77, s[20:21] offset:4096
.LBB42_6:
	s_or_b32 exec_lo, exec_lo, s4
	v_or_b32_e32 v35, 0x300, v0
	v_dual_mov_b32 v9, s18 :: v_dual_mov_b32 v10, s19
	s_delay_alu instid0(VALU_DEP_2)
	v_cmp_gt_u32_e64 s4, s22, v35
	s_and_saveexec_b32 s5, s4
	s_cbranch_execz .LBB42_8
; %bb.7:
	global_load_b64 v[9:10], v77, s[20:21] offset:6144
.LBB42_8:
	s_or_b32 exec_lo, exec_lo, s5
	v_or_b32_e32 v36, 0x400, v0
	v_dual_mov_b32 v7, s18 :: v_dual_mov_b32 v8, s19
	s_delay_alu instid0(VALU_DEP_2)
	v_cmp_gt_u32_e64 s5, s22, v36
	s_and_saveexec_b32 s6, s5
	s_cbranch_execz .LBB42_10
; %bb.9:
	global_load_b64 v[7:8], v77, s[20:21] offset:8192
.LBB42_10:
	s_or_b32 exec_lo, exec_lo, s6
	v_or_b32_e32 v37, 0x500, v0
	v_dual_mov_b32 v11, s18 :: v_dual_mov_b32 v12, s19
	s_delay_alu instid0(VALU_DEP_2)
	v_cmp_gt_u32_e64 s6, s22, v37
	s_and_saveexec_b32 s7, s6
	s_cbranch_execz .LBB42_12
; %bb.11:
	global_load_b64 v[11:12], v77, s[20:21] offset:10240
.LBB42_12:
	s_or_b32 exec_lo, exec_lo, s7
	v_or_b32_e32 v38, 0x600, v0
	v_dual_mov_b32 v13, s18 :: v_dual_mov_b32 v14, s19
	s_delay_alu instid0(VALU_DEP_2)
	v_cmp_gt_u32_e64 s7, s22, v38
	s_and_saveexec_b32 s8, s7
	s_cbranch_execz .LBB42_14
; %bb.13:
	global_load_b64 v[13:14], v77, s[20:21] offset:12288
.LBB42_14:
	s_or_b32 exec_lo, exec_lo, s8
	v_or_b32_e32 v39, 0x700, v0
	v_dual_mov_b32 v17, s18 :: v_dual_mov_b32 v18, s19
	s_delay_alu instid0(VALU_DEP_2)
	v_cmp_gt_u32_e64 s8, s22, v39
	s_and_saveexec_b32 s9, s8
	s_cbranch_execz .LBB42_16
; %bb.15:
	global_load_b64 v[17:18], v77, s[20:21] offset:14336
.LBB42_16:
	s_or_b32 exec_lo, exec_lo, s9
	v_or_b32_e32 v40, 0x800, v0
	v_dual_mov_b32 v15, s18 :: v_dual_mov_b32 v16, s19
	s_delay_alu instid0(VALU_DEP_2)
	v_cmp_gt_u32_e64 s9, s22, v40
	s_and_saveexec_b32 s10, s9
	s_cbranch_execz .LBB42_18
; %bb.17:
	global_load_b64 v[15:16], v77, s[20:21] offset:16384
.LBB42_18:
	s_or_b32 exec_lo, exec_lo, s10
	v_or_b32_e32 v41, 0x900, v0
	v_dual_mov_b32 v20, s19 :: v_dual_mov_b32 v19, s18
	s_delay_alu instid0(VALU_DEP_2)
	v_cmp_gt_u32_e64 s10, s22, v41
	s_and_saveexec_b32 s11, s10
	s_cbranch_execz .LBB42_20
; %bb.19:
	global_load_b64 v[19:20], v77, s[20:21] offset:18432
.LBB42_20:
	s_or_b32 exec_lo, exec_lo, s11
	v_or_b32_e32 v42, 0xa00, v0
	v_dual_mov_b32 v22, s19 :: v_dual_mov_b32 v21, s18
	s_delay_alu instid0(VALU_DEP_2)
	v_cmp_gt_u32_e64 s11, s22, v42
	s_and_saveexec_b32 s12, s11
	s_cbranch_execz .LBB42_22
; %bb.21:
	global_load_b64 v[21:22], v77, s[20:21] offset:20480
.LBB42_22:
	s_or_b32 exec_lo, exec_lo, s12
	v_or_b32_e32 v43, 0xb00, v0
	v_dual_mov_b32 v26, s19 :: v_dual_mov_b32 v25, s18
	s_delay_alu instid0(VALU_DEP_2)
	v_cmp_gt_u32_e64 s12, s22, v43
	s_and_saveexec_b32 s13, s12
	s_cbranch_execz .LBB42_24
; %bb.23:
	global_load_b64 v[25:26], v77, s[20:21] offset:22528
.LBB42_24:
	s_or_b32 exec_lo, exec_lo, s13
	v_or_b32_e32 v44, 0xc00, v0
	v_dual_mov_b32 v24, s19 :: v_dual_mov_b32 v23, s18
	s_delay_alu instid0(VALU_DEP_2)
	v_cmp_gt_u32_e64 s13, s22, v44
	s_and_saveexec_b32 s14, s13
	s_cbranch_execz .LBB42_26
; %bb.25:
	global_load_b64 v[23:24], v77, s[20:21] offset:24576
.LBB42_26:
	s_or_b32 exec_lo, exec_lo, s14
	v_or_b32_e32 v45, 0xd00, v0
	v_dual_mov_b32 v28, s19 :: v_dual_mov_b32 v27, s18
	s_delay_alu instid0(VALU_DEP_2)
	v_cmp_gt_u32_e64 s14, s22, v45
	s_and_saveexec_b32 s15, s14
	s_cbranch_execz .LBB42_28
; %bb.27:
	global_load_b64 v[27:28], v77, s[20:21] offset:26624
.LBB42_28:
	s_or_b32 exec_lo, exec_lo, s15
	v_or_b32_e32 v46, 0xe00, v0
	v_dual_mov_b32 v30, s19 :: v_dual_mov_b32 v29, s18
	s_delay_alu instid0(VALU_DEP_2)
	v_cmp_gt_u32_e64 s15, s22, v46
	s_and_saveexec_b32 s16, s15
	s_cbranch_execz .LBB42_30
; %bb.29:
	global_load_b64 v[29:30], v77, s[20:21] offset:28672
.LBB42_30:
	s_or_b32 exec_lo, exec_lo, s16
	v_or_b32_e32 v47, 0xf00, v0
	v_dual_mov_b32 v32, s19 :: v_dual_mov_b32 v31, s18
	s_delay_alu instid0(VALU_DEP_2)
	v_cmp_gt_u32_e64 s16, s22, v47
	s_and_saveexec_b32 s17, s16
	s_cbranch_execz .LBB42_32
; %bb.31:
	global_load_b64 v[31:32], v77, s[20:21] offset:30720
.LBB42_32:
	s_or_b32 exec_lo, exec_lo, s17
	v_lshrrev_b32_e32 v48, 2, v0
	v_lshrrev_b32_e32 v34, 2, v34
	v_lshrrev_b32_e32 v33, 2, v33
	v_lshrrev_b32_e32 v35, 2, v35
	v_lshrrev_b32_e32 v36, 2, v36
	v_and_b32_e32 v95, 56, v48
	v_and_b32_e32 v34, 0xf8, v34
	;; [unrolled: 1-line block ×4, first 2 shown]
	s_delay_alu instid0(VALU_DEP_4) | instskip(NEXT) | instid1(VALU_DEP_4)
	v_add_nc_u32_e32 v78, v95, v77
	v_add_nc_u32_e32 v80, v34, v77
	v_and_b32_e32 v34, 0x1f8, v36
	v_lshrrev_b32_e32 v36, 2, v39
	v_add_nc_u32_e32 v79, v33, v77
	v_add_nc_u32_e32 v81, v35, v77
	s_wait_loadcnt 0x0
	ds_store_b64 v78, v[1:2]
	ds_store_b64 v79, v[3:4] offset:2048
	ds_store_b64 v80, v[5:6] offset:4096
	;; [unrolled: 1-line block ×3, first 2 shown]
	v_and_b32_e32 v1, 0x1f8, v36
	v_lshrrev_b32_e32 v2, 2, v40
	v_lshrrev_b32_e32 v3, 2, v41
	;; [unrolled: 1-line block ×4, first 2 shown]
	v_add_nc_u32_e32 v85, v1, v77
	v_and_b32_e32 v1, 0x3f8, v2
	v_and_b32_e32 v2, 0x3f8, v3
	;; [unrolled: 1-line block ×4, first 2 shown]
	v_lshlrev_b32_e32 v5, 2, v0
	v_add_nc_u32_e32 v86, v1, v77
	v_add_nc_u32_e32 v87, v2, v77
	v_lshrrev_b32_e32 v1, 2, v44
	v_lshrrev_b32_e32 v2, 2, v45
	;; [unrolled: 1-line block ×4, first 2 shown]
	v_add_nc_u32_e32 v88, v3, v77
	v_and_b32_e32 v1, 0x3f8, v1
	v_and_b32_e32 v2, 0x3f8, v2
	v_lshrrev_b32_e32 v3, 2, v46
	v_add_nc_u32_e32 v89, v4, v77
	v_lshrrev_b32_e32 v4, 2, v47
	v_add_nc_u32_e32 v90, v1, v77
	v_add_nc_u32_e32 v91, v2, v77
	v_and_b32_e32 v1, 0x3f8, v5
	v_lshlrev_b32_e32 v2, 7, v0
	v_and_b32_e32 v33, 0x1f8, v33
	v_and_b32_e32 v35, 0x1f8, v37
	;; [unrolled: 1-line block ×4, first 2 shown]
	v_add_nc_u32_e32 v82, v34, v77
	v_add_nc_u32_e32 v94, v1, v2
	;; [unrolled: 1-line block ×6, first 2 shown]
	ds_store_b64 v82, v[7:8] offset:8192
	ds_store_b64 v83, v[11:12] offset:10240
	;; [unrolled: 1-line block ×12, first 2 shown]
	s_wait_dscnt 0x0
	s_barrier_signal -1
	s_barrier_wait -1
	global_inv scope:SCOPE_SE
	ds_load_2addr_b64 v[1:4], v94 offset1:1
	ds_load_2addr_b64 v[29:32], v94 offset0:2 offset1:3
	s_wait_dscnt 0x1
	v_max_num_f64_e32 v[35:36], v[3:4], v[3:4]
	v_max_num_f64_e32 v[63:64], v[1:2], v[1:2]
	v_cmp_u_f64_e64 s33, v[1:2], v[1:2]
	v_cmp_u_f64_e64 s17, v[3:4], v[3:4]
	v_dual_mov_b32 v70, v2 :: v_dual_mov_b32 v69, v1
	s_delay_alu instid0(VALU_DEP_4) | instskip(SKIP_1) | instid1(VALU_DEP_2)
	v_min_num_f64_e32 v[65:66], v[63:64], v[35:36]
	v_max_num_f64_e32 v[67:68], v[63:64], v[35:36]
	v_cndmask_b32_e64 v5, v65, v1, s33
	s_delay_alu instid0(VALU_DEP_3) | instskip(NEXT) | instid1(VALU_DEP_3)
	v_cndmask_b32_e64 v6, v66, v2, s33
	v_cndmask_b32_e64 v7, v68, v2, s33
	s_delay_alu instid0(VALU_DEP_4) | instskip(NEXT) | instid1(VALU_DEP_4)
	v_cndmask_b32_e64 v8, v67, v1, s33
	v_cndmask_b32_e64 v37, v5, v3, s17
	s_delay_alu instid0(VALU_DEP_4) | instskip(NEXT) | instid1(VALU_DEP_4)
	v_cndmask_b32_e64 v38, v6, v4, s17
	v_cndmask_b32_e64 v34, v7, v4, s17
	s_delay_alu instid0(VALU_DEP_4)
	v_cndmask_b32_e64 v33, v8, v3, s17
	ds_load_2addr_b64 v[25:28], v94 offset0:4 offset1:5
	ds_load_2addr_b64 v[21:24], v94 offset0:6 offset1:7
	;; [unrolled: 1-line block ×6, first 2 shown]
	s_wait_loadcnt_dscnt 0x0
	v_cmp_class_f64_e64 s19, v[37:38], 0x1f8
	s_barrier_signal -1
	v_cmp_neq_f64_e64 s18, v[37:38], v[33:34]
	s_barrier_wait -1
	global_inv scope:SCOPE_SE
	s_or_b32 s18, s18, s19
	s_wait_alu 0xfffe
	s_and_saveexec_b32 s24, s18
	s_cbranch_execz .LBB42_34
; %bb.33:
	v_add_f64_e64 v[37:38], v[37:38], -v[33:34]
	s_mov_b32 s18, 0x652b82fe
	s_mov_b32 s19, 0x3ff71547
	s_mov_b32 s21, 0xbfe62e42
	s_mov_b32 s20, 0xfefa39ef
	s_mov_b32 s23, 0xbc7abc9e
	s_mov_b32 s22, 0x3b39803f
	s_mov_b32 s26, 0x6a5dcb37
	s_mov_b32 s27, 0x3e5ade15
	s_mov_b32 s28, 0xbf559e2b
	s_mov_b32 s29, 0x3fc3ab76
	s_wait_alu 0xfffe
	s_delay_alu instid0(VALU_DEP_1) | instskip(SKIP_2) | instid1(VALU_DEP_1)
	v_mul_f64_e32 v[39:40], s[18:19], v[37:38]
	s_mov_b32 s18, 0xfca7ab0c
	s_mov_b32 s19, 0x3e928af3
	v_rndne_f64_e32 v[39:40], v[39:40]
	s_delay_alu instid0(VALU_DEP_1) | instskip(SKIP_2) | instid1(VALU_DEP_2)
	v_fma_f64 v[41:42], v[39:40], s[20:21], v[37:38]
	v_cvt_i32_f64_e32 v45, v[39:40]
	s_mov_b32 s21, 0x3fe62e42
	v_fma_f64 v[41:42], v[39:40], s[22:23], v[41:42]
	s_mov_b32 s23, 0x3c7abc9e
	s_wait_alu 0xfffe
	s_delay_alu instid0(VALU_DEP_1)
	v_fma_f64 v[43:44], v[41:42], s[26:27], s[18:19]
	s_mov_b32 s18, 0x623fde64
	s_mov_b32 s19, 0x3ec71dee
	;; [unrolled: 1-line block ×4, first 2 shown]
	s_wait_alu 0xfffe
	s_delay_alu instid0(VALU_DEP_1) | instskip(SKIP_3) | instid1(VALU_DEP_1)
	v_fma_f64 v[43:44], v[41:42], v[43:44], s[18:19]
	s_mov_b32 s18, 0x7c89e6b0
	s_mov_b32 s19, 0x3efa0199
	s_wait_alu 0xfffe
	v_fma_f64 v[43:44], v[41:42], v[43:44], s[18:19]
	s_mov_b32 s18, 0x14761f6e
	s_mov_b32 s19, 0x3f2a01a0
	s_wait_alu 0xfffe
	s_delay_alu instid0(VALU_DEP_1) | instskip(SKIP_3) | instid1(VALU_DEP_1)
	v_fma_f64 v[43:44], v[41:42], v[43:44], s[18:19]
	s_mov_b32 s18, 0x1852b7b0
	s_mov_b32 s19, 0x3f56c16c
	s_wait_alu 0xfffe
	v_fma_f64 v[43:44], v[41:42], v[43:44], s[18:19]
	s_mov_b32 s18, 0x11122322
	s_mov_b32 s19, 0x3f811111
	;; [unrolled: 9-line block ×3, first 2 shown]
	s_wait_alu 0xfffe
	s_delay_alu instid0(VALU_DEP_1) | instskip(SKIP_3) | instid1(VALU_DEP_1)
	v_fma_f64 v[43:44], v[41:42], v[43:44], s[18:19]
	s_mov_b32 s18, 11
	s_mov_b32 s19, 0x3fe00000
	s_wait_alu 0xfffe
	v_fma_f64 v[43:44], v[41:42], v[43:44], s[18:19]
	v_cmp_nlt_f64_e64 s18, 0x40900000, v[37:38]
	v_cmp_ngt_f64_e64 s19, 0xc090cc00, v[37:38]
	s_delay_alu instid0(VALU_DEP_3) | instskip(NEXT) | instid1(VALU_DEP_1)
	v_fma_f64 v[43:44], v[41:42], v[43:44], 1.0
	v_fma_f64 v[39:40], v[41:42], v[43:44], 1.0
	s_delay_alu instid0(VALU_DEP_1) | instskip(SKIP_1) | instid1(VALU_DEP_1)
	v_ldexp_f64 v[39:40], v[39:40], v45
	s_wait_alu 0xf1ff
	v_cndmask_b32_e64 v40, 0x7ff00000, v40, s18
	s_and_b32 s18, s19, s18
	s_wait_alu 0xfffe
	s_delay_alu instid0(VALU_DEP_2) | instskip(SKIP_3) | instid1(VALU_DEP_1)
	v_cndmask_b32_e64 v37, 0, v39, s18
	s_mov_b32 s18, 0x55555555
	v_cndmask_b32_e64 v38, 0, v40, s19
	s_mov_b32 s19, 0x3fe55555
	v_add_f64_e32 v[39:40], 1.0, v[37:38]
	s_delay_alu instid0(VALU_DEP_1) | instskip(SKIP_3) | instid1(VALU_DEP_3)
	v_frexp_mant_f64_e32 v[41:42], v[39:40]
	v_frexp_exp_i32_f64_e32 v45, v[39:40]
	v_add_f64_e32 v[43:44], -1.0, v[39:40]
	s_wait_alu 0xfffe
	v_cmp_gt_f64_e64 s18, s[18:19], v[41:42]
	s_delay_alu instid0(VALU_DEP_2) | instskip(SKIP_2) | instid1(VALU_DEP_3)
	v_add_f64_e64 v[41:42], v[43:44], -v[39:40]
	v_add_f64_e64 v[43:44], v[37:38], -v[43:44]
	s_wait_alu 0xf1ff
	v_subrev_co_ci_u32_e64 v61, null, 0, v45, s18
	s_delay_alu instid0(VALU_DEP_3) | instskip(SKIP_1) | instid1(VALU_DEP_2)
	v_add_f64_e32 v[41:42], 1.0, v[41:42]
	s_mov_b32 s18, 0x55555780
	v_sub_nc_u32_e32 v47, 0, v61
	s_delay_alu instid0(VALU_DEP_1) | instskip(NEXT) | instid1(VALU_DEP_3)
	v_ldexp_f64 v[39:40], v[39:40], v47
	v_add_f64_e32 v[41:42], v[43:44], v[41:42]
	s_delay_alu instid0(VALU_DEP_2) | instskip(SKIP_1) | instid1(VALU_DEP_3)
	v_add_f64_e32 v[45:46], 1.0, v[39:40]
	v_add_f64_e32 v[51:52], -1.0, v[39:40]
	v_ldexp_f64 v[41:42], v[41:42], v47
	s_delay_alu instid0(VALU_DEP_3) | instskip(NEXT) | instid1(VALU_DEP_3)
	v_add_f64_e32 v[43:44], -1.0, v[45:46]
	v_add_f64_e32 v[53:54], 1.0, v[51:52]
	s_delay_alu instid0(VALU_DEP_2) | instskip(NEXT) | instid1(VALU_DEP_2)
	v_add_f64_e64 v[43:44], v[39:40], -v[43:44]
	v_add_f64_e64 v[39:40], v[39:40], -v[53:54]
	s_delay_alu instid0(VALU_DEP_2) | instskip(NEXT) | instid1(VALU_DEP_2)
	v_add_f64_e32 v[43:44], v[41:42], v[43:44]
	v_add_f64_e32 v[39:40], v[41:42], v[39:40]
	s_delay_alu instid0(VALU_DEP_2) | instskip(NEXT) | instid1(VALU_DEP_2)
	v_add_f64_e32 v[47:48], v[45:46], v[43:44]
	v_add_f64_e32 v[53:54], v[51:52], v[39:40]
	s_delay_alu instid0(VALU_DEP_2) | instskip(SKIP_1) | instid1(VALU_DEP_2)
	v_rcp_f64_e32 v[49:50], v[47:48]
	v_add_f64_e64 v[45:46], v[47:48], -v[45:46]
	v_add_f64_e64 v[51:52], v[53:54], -v[51:52]
	s_delay_alu instid0(VALU_DEP_2) | instskip(NEXT) | instid1(TRANS32_DEP_1)
	v_add_f64_e64 v[43:44], v[43:44], -v[45:46]
	v_fma_f64 v[55:56], -v[47:48], v[49:50], 1.0
	s_delay_alu instid0(VALU_DEP_3) | instskip(NEXT) | instid1(VALU_DEP_2)
	v_add_f64_e64 v[39:40], v[39:40], -v[51:52]
	v_fma_f64 v[49:50], v[55:56], v[49:50], v[49:50]
	s_delay_alu instid0(VALU_DEP_1) | instskip(NEXT) | instid1(VALU_DEP_1)
	v_fma_f64 v[41:42], -v[47:48], v[49:50], 1.0
	v_fma_f64 v[41:42], v[41:42], v[49:50], v[49:50]
	s_delay_alu instid0(VALU_DEP_1) | instskip(NEXT) | instid1(VALU_DEP_1)
	v_mul_f64_e32 v[49:50], v[53:54], v[41:42]
	v_mul_f64_e32 v[55:56], v[47:48], v[49:50]
	s_delay_alu instid0(VALU_DEP_1) | instskip(NEXT) | instid1(VALU_DEP_1)
	v_fma_f64 v[45:46], v[49:50], v[47:48], -v[55:56]
	v_fma_f64 v[45:46], v[49:50], v[43:44], v[45:46]
	s_delay_alu instid0(VALU_DEP_1) | instskip(NEXT) | instid1(VALU_DEP_1)
	v_add_f64_e32 v[57:58], v[55:56], v[45:46]
	v_add_f64_e64 v[59:60], v[53:54], -v[57:58]
	v_add_f64_e64 v[51:52], v[57:58], -v[55:56]
	s_delay_alu instid0(VALU_DEP_2) | instskip(NEXT) | instid1(VALU_DEP_2)
	v_add_f64_e64 v[53:54], v[53:54], -v[59:60]
	v_add_f64_e64 v[45:46], v[51:52], -v[45:46]
	s_delay_alu instid0(VALU_DEP_2) | instskip(NEXT) | instid1(VALU_DEP_1)
	v_add_f64_e64 v[53:54], v[53:54], -v[57:58]
	v_add_f64_e32 v[39:40], v[39:40], v[53:54]
	s_delay_alu instid0(VALU_DEP_1) | instskip(NEXT) | instid1(VALU_DEP_1)
	v_add_f64_e32 v[39:40], v[45:46], v[39:40]
	v_add_f64_e32 v[45:46], v[59:60], v[39:40]
	s_delay_alu instid0(VALU_DEP_1) | instskip(SKIP_1) | instid1(VALU_DEP_2)
	v_mul_f64_e32 v[51:52], v[41:42], v[45:46]
	v_add_f64_e64 v[57:58], v[59:60], -v[45:46]
	v_mul_f64_e32 v[53:54], v[47:48], v[51:52]
	s_delay_alu instid0(VALU_DEP_2) | instskip(NEXT) | instid1(VALU_DEP_2)
	v_add_f64_e32 v[39:40], v[39:40], v[57:58]
	v_fma_f64 v[47:48], v[51:52], v[47:48], -v[53:54]
	s_delay_alu instid0(VALU_DEP_1) | instskip(NEXT) | instid1(VALU_DEP_1)
	v_fma_f64 v[43:44], v[51:52], v[43:44], v[47:48]
	v_add_f64_e32 v[47:48], v[53:54], v[43:44]
	s_delay_alu instid0(VALU_DEP_1) | instskip(SKIP_1) | instid1(VALU_DEP_2)
	v_add_f64_e64 v[55:56], v[45:46], -v[47:48]
	v_add_f64_e64 v[53:54], v[47:48], -v[53:54]
	;; [unrolled: 1-line block ×3, first 2 shown]
	s_delay_alu instid0(VALU_DEP_2) | instskip(NEXT) | instid1(VALU_DEP_2)
	v_add_f64_e64 v[43:44], v[53:54], -v[43:44]
	v_add_f64_e64 v[45:46], v[45:46], -v[47:48]
	s_delay_alu instid0(VALU_DEP_1) | instskip(SKIP_1) | instid1(VALU_DEP_2)
	v_add_f64_e32 v[39:40], v[39:40], v[45:46]
	v_add_f64_e32 v[45:46], v[49:50], v[51:52]
	v_add_f64_e32 v[39:40], v[43:44], v[39:40]
	s_delay_alu instid0(VALU_DEP_2) | instskip(NEXT) | instid1(VALU_DEP_2)
	v_add_f64_e64 v[43:44], v[45:46], -v[49:50]
	v_add_f64_e32 v[39:40], v[55:56], v[39:40]
	s_delay_alu instid0(VALU_DEP_2) | instskip(NEXT) | instid1(VALU_DEP_2)
	v_add_f64_e64 v[43:44], v[51:52], -v[43:44]
	v_mul_f64_e32 v[39:40], v[41:42], v[39:40]
	s_delay_alu instid0(VALU_DEP_1) | instskip(NEXT) | instid1(VALU_DEP_1)
	v_add_f64_e32 v[39:40], v[43:44], v[39:40]
	v_add_f64_e32 v[41:42], v[45:46], v[39:40]
	s_delay_alu instid0(VALU_DEP_1) | instskip(NEXT) | instid1(VALU_DEP_1)
	v_mul_f64_e32 v[43:44], v[41:42], v[41:42]
	v_fma_f64 v[47:48], v[43:44], s[28:29], s[26:27]
	s_mov_b32 s26, 0xd7f4df2e
	s_mov_b32 s27, 0x3fc7474d
	v_mul_f64_e32 v[49:50], v[41:42], v[43:44]
	s_wait_alu 0xfffe
	s_delay_alu instid0(VALU_DEP_2) | instskip(SKIP_3) | instid1(VALU_DEP_1)
	v_fma_f64 v[47:48], v[43:44], v[47:48], s[26:27]
	s_mov_b32 s26, 0x16291751
	s_mov_b32 s27, 0x3fcc71c0
	s_wait_alu 0xfffe
	v_fma_f64 v[47:48], v[43:44], v[47:48], s[26:27]
	s_mov_b32 s26, 0x9b27acf1
	s_mov_b32 s27, 0x3fd24924
	s_wait_alu 0xfffe
	s_delay_alu instid0(VALU_DEP_1) | instskip(SKIP_3) | instid1(VALU_DEP_1)
	v_fma_f64 v[47:48], v[43:44], v[47:48], s[26:27]
	s_mov_b32 s26, 0x998ef7b6
	s_mov_b32 s27, 0x3fd99999
	s_wait_alu 0xfffe
	v_fma_f64 v[47:48], v[43:44], v[47:48], s[26:27]
	s_delay_alu instid0(VALU_DEP_1)
	v_fma_f64 v[43:44], v[43:44], v[47:48], s[18:19]
	v_ldexp_f64 v[47:48], v[41:42], 1
	v_add_f64_e64 v[41:42], v[41:42], -v[45:46]
	v_cmp_nge_f64_e64 s18, -1.0, v[37:38]
	v_cmp_neq_f64_e64 s19, 0x7ff00000, v[37:38]
	v_mul_f64_e32 v[43:44], v[49:50], v[43:44]
	v_cvt_f64_i32_e32 v[49:50], v61
	v_add_f64_e64 v[39:40], v[39:40], -v[41:42]
	s_and_b32 s18, s18, s19
	s_delay_alu instid0(VALU_DEP_3) | instskip(NEXT) | instid1(VALU_DEP_3)
	v_add_f64_e32 v[45:46], v[47:48], v[43:44]
	v_mul_f64_e32 v[51:52], s[20:21], v[49:50]
	s_delay_alu instid0(VALU_DEP_3) | instskip(NEXT) | instid1(VALU_DEP_3)
	v_ldexp_f64 v[39:40], v[39:40], 1
	v_add_f64_e64 v[41:42], v[45:46], -v[47:48]
	s_delay_alu instid0(VALU_DEP_3) | instskip(SKIP_1) | instid1(VALU_DEP_3)
	v_fma_f64 v[47:48], v[49:50], s[20:21], -v[51:52]
	v_cmp_ngt_f64_e64 s20, -1.0, v[37:38]
	v_add_f64_e64 v[41:42], v[43:44], -v[41:42]
	s_delay_alu instid0(VALU_DEP_3) | instskip(NEXT) | instid1(VALU_DEP_2)
	v_fma_f64 v[43:44], v[49:50], s[22:23], v[47:48]
	v_add_f64_e32 v[39:40], v[39:40], v[41:42]
	s_delay_alu instid0(VALU_DEP_2) | instskip(NEXT) | instid1(VALU_DEP_2)
	v_add_f64_e32 v[41:42], v[51:52], v[43:44]
	v_add_f64_e32 v[47:48], v[45:46], v[39:40]
	s_delay_alu instid0(VALU_DEP_2) | instskip(NEXT) | instid1(VALU_DEP_2)
	v_add_f64_e64 v[51:52], v[41:42], -v[51:52]
	v_add_f64_e32 v[49:50], v[41:42], v[47:48]
	v_add_f64_e64 v[45:46], v[47:48], -v[45:46]
	s_delay_alu instid0(VALU_DEP_3) | instskip(NEXT) | instid1(VALU_DEP_3)
	v_add_f64_e64 v[43:44], v[43:44], -v[51:52]
	v_add_f64_e64 v[53:54], v[49:50], -v[41:42]
	s_delay_alu instid0(VALU_DEP_3) | instskip(NEXT) | instid1(VALU_DEP_2)
	v_add_f64_e64 v[39:40], v[39:40], -v[45:46]
	v_add_f64_e64 v[55:56], v[49:50], -v[53:54]
	;; [unrolled: 1-line block ×3, first 2 shown]
	s_delay_alu instid0(VALU_DEP_3) | instskip(NEXT) | instid1(VALU_DEP_3)
	v_add_f64_e32 v[47:48], v[43:44], v[39:40]
	v_add_f64_e64 v[41:42], v[41:42], -v[55:56]
	s_delay_alu instid0(VALU_DEP_1) | instskip(NEXT) | instid1(VALU_DEP_3)
	v_add_f64_e32 v[41:42], v[45:46], v[41:42]
	v_add_f64_e64 v[45:46], v[47:48], -v[43:44]
	s_delay_alu instid0(VALU_DEP_2) | instskip(NEXT) | instid1(VALU_DEP_2)
	v_add_f64_e32 v[41:42], v[47:48], v[41:42]
	v_add_f64_e64 v[47:48], v[47:48], -v[45:46]
	v_add_f64_e64 v[39:40], v[39:40], -v[45:46]
	s_delay_alu instid0(VALU_DEP_3) | instskip(NEXT) | instid1(VALU_DEP_3)
	v_add_f64_e32 v[51:52], v[49:50], v[41:42]
	v_add_f64_e64 v[43:44], v[43:44], -v[47:48]
	s_delay_alu instid0(VALU_DEP_2) | instskip(NEXT) | instid1(VALU_DEP_2)
	v_add_f64_e64 v[45:46], v[51:52], -v[49:50]
	v_add_f64_e32 v[39:40], v[39:40], v[43:44]
	s_delay_alu instid0(VALU_DEP_2) | instskip(NEXT) | instid1(VALU_DEP_1)
	v_add_f64_e64 v[41:42], v[41:42], -v[45:46]
	v_add_f64_e32 v[39:40], v[39:40], v[41:42]
	s_delay_alu instid0(VALU_DEP_1) | instskip(SKIP_1) | instid1(VALU_DEP_1)
	v_add_f64_e32 v[39:40], v[51:52], v[39:40]
	s_wait_alu 0xfffe
	v_cndmask_b32_e64 v39, 0, v39, s18
	v_cmp_neq_f64_e64 s18, -1.0, v[37:38]
	s_delay_alu instid0(VALU_DEP_3) | instskip(SKIP_1) | instid1(VALU_DEP_1)
	v_cndmask_b32_e64 v40, 0x7ff00000, v40, s19
	s_wait_alu 0xf1ff
	v_cndmask_b32_e64 v40, 0x7ff80000, v40, s20
	s_delay_alu instid0(VALU_DEP_1) | instskip(NEXT) | instid1(VALU_DEP_1)
	v_cndmask_b32_e64 v40, 0xfff00000, v40, s18
	v_add_f64_e32 v[69:70], v[33:34], v[39:40]
.LBB42_34:
	s_or_b32 exec_lo, exec_lo, s24
	v_max_num_f64_e32 v[33:34], v[29:30], v[29:30]
	s_delay_alu instid0(VALU_DEP_2) | instskip(SKIP_2) | instid1(VALU_DEP_3)
	v_max_num_f64_e32 v[37:38], v[69:70], v[69:70]
	v_cmp_u_f64_e64 s19, v[69:70], v[69:70]
	v_cmp_u_f64_e64 s18, v[29:30], v[29:30]
	v_min_num_f64_e32 v[39:40], v[37:38], v[33:34]
	v_max_num_f64_e32 v[37:38], v[37:38], v[33:34]
	s_wait_alu 0xf1ff
	s_delay_alu instid0(VALU_DEP_2) | instskip(NEXT) | instid1(VALU_DEP_3)
	v_cndmask_b32_e64 v39, v39, v69, s19
	v_cndmask_b32_e64 v40, v40, v70, s19
	s_delay_alu instid0(VALU_DEP_3) | instskip(NEXT) | instid1(VALU_DEP_4)
	v_cndmask_b32_e64 v38, v38, v70, s19
	v_cndmask_b32_e64 v37, v37, v69, s19
	s_delay_alu instid0(VALU_DEP_4) | instskip(NEXT) | instid1(VALU_DEP_4)
	v_cndmask_b32_e64 v39, v39, v29, s18
	v_cndmask_b32_e64 v40, v40, v30, s18
	s_delay_alu instid0(VALU_DEP_4) | instskip(NEXT) | instid1(VALU_DEP_4)
	v_cndmask_b32_e64 v38, v38, v30, s18
	v_cndmask_b32_e64 v37, v37, v29, s18
	s_delay_alu instid0(VALU_DEP_3) | instskip(NEXT) | instid1(VALU_DEP_2)
	v_cmp_class_f64_e64 s20, v[39:40], 0x1f8
	v_cmp_neq_f64_e64 s19, v[39:40], v[37:38]
	s_or_b32 s19, s19, s20
	s_wait_alu 0xfffe
	s_and_saveexec_b32 s26, s19
	s_cbranch_execz .LBB42_36
; %bb.35:
	v_add_f64_e64 v[39:40], v[39:40], -v[37:38]
	s_mov_b32 s20, 0x652b82fe
	s_mov_b32 s21, 0x3ff71547
	;; [unrolled: 1-line block ×10, first 2 shown]
	s_wait_alu 0xfffe
	s_delay_alu instid0(VALU_DEP_1) | instskip(SKIP_3) | instid1(VALU_DEP_2)
	v_mul_f64_e32 v[41:42], s[20:21], v[39:40]
	s_mov_b32 s20, 0xfca7ab0c
	s_mov_b32 s21, 0x3e928af3
	v_cmp_nlt_f64_e64 s19, 0x40900000, v[39:40]
	v_rndne_f64_e32 v[41:42], v[41:42]
	s_delay_alu instid0(VALU_DEP_1) | instskip(SKIP_2) | instid1(VALU_DEP_2)
	v_fma_f64 v[43:44], v[41:42], s[22:23], v[39:40]
	v_cvt_i32_f64_e32 v47, v[41:42]
	s_mov_b32 s23, 0x3fe62e42
	v_fma_f64 v[43:44], v[41:42], s[24:25], v[43:44]
	s_mov_b32 s25, 0x3c7abc9e
	s_wait_alu 0xfffe
	s_delay_alu instid0(VALU_DEP_1)
	v_fma_f64 v[45:46], v[43:44], s[28:29], s[20:21]
	s_mov_b32 s20, 0x623fde64
	s_mov_b32 s21, 0x3ec71dee
	;; [unrolled: 1-line block ×4, first 2 shown]
	s_wait_alu 0xfffe
	s_delay_alu instid0(VALU_DEP_1) | instskip(SKIP_3) | instid1(VALU_DEP_1)
	v_fma_f64 v[45:46], v[43:44], v[45:46], s[20:21]
	s_mov_b32 s20, 0x7c89e6b0
	s_mov_b32 s21, 0x3efa0199
	s_wait_alu 0xfffe
	v_fma_f64 v[45:46], v[43:44], v[45:46], s[20:21]
	s_mov_b32 s20, 0x14761f6e
	s_mov_b32 s21, 0x3f2a01a0
	s_wait_alu 0xfffe
	s_delay_alu instid0(VALU_DEP_1) | instskip(SKIP_3) | instid1(VALU_DEP_1)
	v_fma_f64 v[45:46], v[43:44], v[45:46], s[20:21]
	s_mov_b32 s20, 0x1852b7b0
	s_mov_b32 s21, 0x3f56c16c
	s_wait_alu 0xfffe
	v_fma_f64 v[45:46], v[43:44], v[45:46], s[20:21]
	s_mov_b32 s20, 0x11122322
	s_mov_b32 s21, 0x3f811111
	;; [unrolled: 9-line block ×3, first 2 shown]
	s_wait_alu 0xfffe
	s_delay_alu instid0(VALU_DEP_1) | instskip(SKIP_3) | instid1(VALU_DEP_1)
	v_fma_f64 v[45:46], v[43:44], v[45:46], s[20:21]
	s_mov_b32 s20, 11
	s_mov_b32 s21, 0x3fe00000
	s_wait_alu 0xfffe
	v_fma_f64 v[45:46], v[43:44], v[45:46], s[20:21]
	v_cmp_ngt_f64_e64 s20, 0xc090cc00, v[39:40]
	s_mov_b32 s21, 0x3fe55555
	v_fma_f64 v[45:46], v[43:44], v[45:46], 1.0
	s_delay_alu instid0(VALU_DEP_1) | instskip(NEXT) | instid1(VALU_DEP_1)
	v_fma_f64 v[41:42], v[43:44], v[45:46], 1.0
	v_ldexp_f64 v[41:42], v[41:42], v47
	s_wait_alu 0xf1ff
	s_delay_alu instid0(VALU_DEP_1) | instskip(SKIP_2) | instid1(VALU_DEP_2)
	v_cndmask_b32_e64 v42, 0x7ff00000, v42, s19
	s_and_b32 s19, s20, s19
	s_wait_alu 0xfffe
	v_cndmask_b32_e64 v39, 0, v41, s19
	s_delay_alu instid0(VALU_DEP_2) | instskip(SKIP_1) | instid1(VALU_DEP_1)
	v_cndmask_b32_e64 v40, 0, v42, s20
	s_mov_b32 s20, 0x55555555
	v_add_f64_e32 v[41:42], 1.0, v[39:40]
	s_delay_alu instid0(VALU_DEP_1) | instskip(SKIP_3) | instid1(VALU_DEP_3)
	v_frexp_mant_f64_e32 v[43:44], v[41:42]
	v_frexp_exp_i32_f64_e32 v47, v[41:42]
	v_add_f64_e32 v[45:46], -1.0, v[41:42]
	s_wait_alu 0xfffe
	v_cmp_gt_f64_e64 s19, s[20:21], v[43:44]
	s_mov_b32 s20, 0x55555780
	v_add_f64_e64 v[43:44], v[45:46], -v[41:42]
	v_add_f64_e64 v[45:46], v[39:40], -v[45:46]
	s_wait_alu 0xf1ff
	v_subrev_co_ci_u32_e64 v69, null, 0, v47, s19
	s_delay_alu instid0(VALU_DEP_3) | instskip(SKIP_1) | instid1(VALU_DEP_3)
	v_add_f64_e32 v[43:44], 1.0, v[43:44]
	v_cmp_nge_f64_e64 s19, -1.0, v[39:40]
	v_sub_nc_u32_e32 v49, 0, v69
	s_delay_alu instid0(VALU_DEP_1) | instskip(NEXT) | instid1(VALU_DEP_4)
	v_ldexp_f64 v[41:42], v[41:42], v49
	v_add_f64_e32 v[43:44], v[45:46], v[43:44]
	s_delay_alu instid0(VALU_DEP_2) | instskip(SKIP_1) | instid1(VALU_DEP_3)
	v_add_f64_e32 v[47:48], 1.0, v[41:42]
	v_add_f64_e32 v[53:54], -1.0, v[41:42]
	v_ldexp_f64 v[43:44], v[43:44], v49
	s_delay_alu instid0(VALU_DEP_3) | instskip(NEXT) | instid1(VALU_DEP_3)
	v_add_f64_e32 v[45:46], -1.0, v[47:48]
	v_add_f64_e32 v[55:56], 1.0, v[53:54]
	s_delay_alu instid0(VALU_DEP_2) | instskip(NEXT) | instid1(VALU_DEP_2)
	v_add_f64_e64 v[45:46], v[41:42], -v[45:46]
	v_add_f64_e64 v[41:42], v[41:42], -v[55:56]
	s_delay_alu instid0(VALU_DEP_2) | instskip(NEXT) | instid1(VALU_DEP_2)
	v_add_f64_e32 v[45:46], v[43:44], v[45:46]
	v_add_f64_e32 v[41:42], v[43:44], v[41:42]
	s_delay_alu instid0(VALU_DEP_2) | instskip(NEXT) | instid1(VALU_DEP_2)
	v_add_f64_e32 v[49:50], v[47:48], v[45:46]
	v_add_f64_e32 v[55:56], v[53:54], v[41:42]
	s_delay_alu instid0(VALU_DEP_2) | instskip(SKIP_1) | instid1(VALU_DEP_2)
	v_rcp_f64_e32 v[51:52], v[49:50]
	v_add_f64_e64 v[47:48], v[49:50], -v[47:48]
	v_add_f64_e64 v[53:54], v[55:56], -v[53:54]
	s_delay_alu instid0(VALU_DEP_2) | instskip(NEXT) | instid1(TRANS32_DEP_1)
	v_add_f64_e64 v[45:46], v[45:46], -v[47:48]
	v_fma_f64 v[57:58], -v[49:50], v[51:52], 1.0
	s_delay_alu instid0(VALU_DEP_3) | instskip(NEXT) | instid1(VALU_DEP_2)
	v_add_f64_e64 v[41:42], v[41:42], -v[53:54]
	v_fma_f64 v[51:52], v[57:58], v[51:52], v[51:52]
	s_delay_alu instid0(VALU_DEP_1) | instskip(NEXT) | instid1(VALU_DEP_1)
	v_fma_f64 v[43:44], -v[49:50], v[51:52], 1.0
	v_fma_f64 v[43:44], v[43:44], v[51:52], v[51:52]
	s_delay_alu instid0(VALU_DEP_1) | instskip(NEXT) | instid1(VALU_DEP_1)
	v_mul_f64_e32 v[51:52], v[55:56], v[43:44]
	v_mul_f64_e32 v[57:58], v[49:50], v[51:52]
	s_delay_alu instid0(VALU_DEP_1) | instskip(NEXT) | instid1(VALU_DEP_1)
	v_fma_f64 v[47:48], v[51:52], v[49:50], -v[57:58]
	v_fma_f64 v[47:48], v[51:52], v[45:46], v[47:48]
	s_delay_alu instid0(VALU_DEP_1) | instskip(NEXT) | instid1(VALU_DEP_1)
	v_add_f64_e32 v[59:60], v[57:58], v[47:48]
	v_add_f64_e64 v[61:62], v[55:56], -v[59:60]
	v_add_f64_e64 v[53:54], v[59:60], -v[57:58]
	s_delay_alu instid0(VALU_DEP_2) | instskip(NEXT) | instid1(VALU_DEP_2)
	v_add_f64_e64 v[55:56], v[55:56], -v[61:62]
	v_add_f64_e64 v[47:48], v[53:54], -v[47:48]
	s_delay_alu instid0(VALU_DEP_2) | instskip(NEXT) | instid1(VALU_DEP_1)
	v_add_f64_e64 v[55:56], v[55:56], -v[59:60]
	v_add_f64_e32 v[41:42], v[41:42], v[55:56]
	s_delay_alu instid0(VALU_DEP_1) | instskip(NEXT) | instid1(VALU_DEP_1)
	v_add_f64_e32 v[41:42], v[47:48], v[41:42]
	v_add_f64_e32 v[47:48], v[61:62], v[41:42]
	s_delay_alu instid0(VALU_DEP_1) | instskip(SKIP_1) | instid1(VALU_DEP_2)
	v_mul_f64_e32 v[53:54], v[43:44], v[47:48]
	v_add_f64_e64 v[59:60], v[61:62], -v[47:48]
	v_mul_f64_e32 v[55:56], v[49:50], v[53:54]
	s_delay_alu instid0(VALU_DEP_2) | instskip(NEXT) | instid1(VALU_DEP_2)
	v_add_f64_e32 v[41:42], v[41:42], v[59:60]
	v_fma_f64 v[49:50], v[53:54], v[49:50], -v[55:56]
	s_delay_alu instid0(VALU_DEP_1) | instskip(NEXT) | instid1(VALU_DEP_1)
	v_fma_f64 v[45:46], v[53:54], v[45:46], v[49:50]
	v_add_f64_e32 v[49:50], v[55:56], v[45:46]
	s_delay_alu instid0(VALU_DEP_1) | instskip(SKIP_1) | instid1(VALU_DEP_2)
	v_add_f64_e64 v[57:58], v[47:48], -v[49:50]
	v_add_f64_e64 v[55:56], v[49:50], -v[55:56]
	;; [unrolled: 1-line block ×3, first 2 shown]
	s_delay_alu instid0(VALU_DEP_2) | instskip(NEXT) | instid1(VALU_DEP_2)
	v_add_f64_e64 v[45:46], v[55:56], -v[45:46]
	v_add_f64_e64 v[47:48], v[47:48], -v[49:50]
	s_delay_alu instid0(VALU_DEP_1) | instskip(SKIP_1) | instid1(VALU_DEP_2)
	v_add_f64_e32 v[41:42], v[41:42], v[47:48]
	v_add_f64_e32 v[47:48], v[51:52], v[53:54]
	;; [unrolled: 1-line block ×3, first 2 shown]
	s_delay_alu instid0(VALU_DEP_2) | instskip(NEXT) | instid1(VALU_DEP_2)
	v_add_f64_e64 v[45:46], v[47:48], -v[51:52]
	v_add_f64_e32 v[41:42], v[57:58], v[41:42]
	s_delay_alu instid0(VALU_DEP_2) | instskip(NEXT) | instid1(VALU_DEP_2)
	v_add_f64_e64 v[45:46], v[53:54], -v[45:46]
	v_mul_f64_e32 v[41:42], v[43:44], v[41:42]
	s_delay_alu instid0(VALU_DEP_1) | instskip(NEXT) | instid1(VALU_DEP_1)
	v_add_f64_e32 v[41:42], v[45:46], v[41:42]
	v_add_f64_e32 v[43:44], v[47:48], v[41:42]
	s_delay_alu instid0(VALU_DEP_1) | instskip(NEXT) | instid1(VALU_DEP_1)
	v_mul_f64_e32 v[45:46], v[43:44], v[43:44]
	v_fma_f64 v[49:50], v[45:46], s[30:31], s[28:29]
	s_mov_b32 s28, 0xd7f4df2e
	s_mov_b32 s29, 0x3fc7474d
	v_mul_f64_e32 v[51:52], v[43:44], v[45:46]
	s_wait_alu 0xfffe
	s_delay_alu instid0(VALU_DEP_2) | instskip(SKIP_3) | instid1(VALU_DEP_1)
	v_fma_f64 v[49:50], v[45:46], v[49:50], s[28:29]
	s_mov_b32 s28, 0x16291751
	s_mov_b32 s29, 0x3fcc71c0
	s_wait_alu 0xfffe
	v_fma_f64 v[49:50], v[45:46], v[49:50], s[28:29]
	s_mov_b32 s28, 0x9b27acf1
	s_mov_b32 s29, 0x3fd24924
	s_wait_alu 0xfffe
	s_delay_alu instid0(VALU_DEP_1) | instskip(SKIP_3) | instid1(VALU_DEP_1)
	v_fma_f64 v[49:50], v[45:46], v[49:50], s[28:29]
	s_mov_b32 s28, 0x998ef7b6
	s_mov_b32 s29, 0x3fd99999
	s_wait_alu 0xfffe
	v_fma_f64 v[49:50], v[45:46], v[49:50], s[28:29]
	s_delay_alu instid0(VALU_DEP_1)
	v_fma_f64 v[45:46], v[45:46], v[49:50], s[20:21]
	v_ldexp_f64 v[49:50], v[43:44], 1
	v_add_f64_e64 v[43:44], v[43:44], -v[47:48]
	v_cmp_neq_f64_e64 s20, 0x7ff00000, v[39:40]
	v_cmp_ngt_f64_e64 s21, -1.0, v[39:40]
	v_mul_f64_e32 v[45:46], v[51:52], v[45:46]
	v_cvt_f64_i32_e32 v[51:52], v69
	v_add_f64_e64 v[41:42], v[41:42], -v[43:44]
	s_and_b32 s19, s19, s20
	s_delay_alu instid0(VALU_DEP_3) | instskip(NEXT) | instid1(VALU_DEP_3)
	v_add_f64_e32 v[47:48], v[49:50], v[45:46]
	v_mul_f64_e32 v[53:54], s[22:23], v[51:52]
	s_delay_alu instid0(VALU_DEP_3) | instskip(NEXT) | instid1(VALU_DEP_3)
	v_ldexp_f64 v[41:42], v[41:42], 1
	v_add_f64_e64 v[43:44], v[47:48], -v[49:50]
	s_delay_alu instid0(VALU_DEP_3) | instskip(NEXT) | instid1(VALU_DEP_2)
	v_fma_f64 v[49:50], v[51:52], s[22:23], -v[53:54]
	v_add_f64_e64 v[43:44], v[45:46], -v[43:44]
	s_delay_alu instid0(VALU_DEP_2) | instskip(NEXT) | instid1(VALU_DEP_2)
	v_fma_f64 v[45:46], v[51:52], s[24:25], v[49:50]
	v_add_f64_e32 v[41:42], v[41:42], v[43:44]
	s_delay_alu instid0(VALU_DEP_2) | instskip(NEXT) | instid1(VALU_DEP_2)
	v_add_f64_e32 v[43:44], v[53:54], v[45:46]
	v_add_f64_e32 v[49:50], v[47:48], v[41:42]
	s_delay_alu instid0(VALU_DEP_2) | instskip(NEXT) | instid1(VALU_DEP_2)
	v_add_f64_e64 v[53:54], v[43:44], -v[53:54]
	v_add_f64_e32 v[51:52], v[43:44], v[49:50]
	v_add_f64_e64 v[47:48], v[49:50], -v[47:48]
	s_delay_alu instid0(VALU_DEP_3) | instskip(NEXT) | instid1(VALU_DEP_3)
	v_add_f64_e64 v[45:46], v[45:46], -v[53:54]
	v_add_f64_e64 v[55:56], v[51:52], -v[43:44]
	s_delay_alu instid0(VALU_DEP_3) | instskip(NEXT) | instid1(VALU_DEP_2)
	v_add_f64_e64 v[41:42], v[41:42], -v[47:48]
	v_add_f64_e64 v[57:58], v[51:52], -v[55:56]
	;; [unrolled: 1-line block ×3, first 2 shown]
	s_delay_alu instid0(VALU_DEP_3) | instskip(NEXT) | instid1(VALU_DEP_3)
	v_add_f64_e32 v[49:50], v[45:46], v[41:42]
	v_add_f64_e64 v[43:44], v[43:44], -v[57:58]
	s_delay_alu instid0(VALU_DEP_1) | instskip(NEXT) | instid1(VALU_DEP_3)
	v_add_f64_e32 v[43:44], v[47:48], v[43:44]
	v_add_f64_e64 v[47:48], v[49:50], -v[45:46]
	s_delay_alu instid0(VALU_DEP_2) | instskip(NEXT) | instid1(VALU_DEP_2)
	v_add_f64_e32 v[43:44], v[49:50], v[43:44]
	v_add_f64_e64 v[49:50], v[49:50], -v[47:48]
	v_add_f64_e64 v[41:42], v[41:42], -v[47:48]
	s_delay_alu instid0(VALU_DEP_3) | instskip(NEXT) | instid1(VALU_DEP_3)
	v_add_f64_e32 v[53:54], v[51:52], v[43:44]
	v_add_f64_e64 v[45:46], v[45:46], -v[49:50]
	s_delay_alu instid0(VALU_DEP_2) | instskip(NEXT) | instid1(VALU_DEP_2)
	v_add_f64_e64 v[47:48], v[53:54], -v[51:52]
	v_add_f64_e32 v[41:42], v[41:42], v[45:46]
	s_delay_alu instid0(VALU_DEP_2) | instskip(NEXT) | instid1(VALU_DEP_1)
	v_add_f64_e64 v[43:44], v[43:44], -v[47:48]
	v_add_f64_e32 v[41:42], v[41:42], v[43:44]
	s_delay_alu instid0(VALU_DEP_1) | instskip(SKIP_1) | instid1(VALU_DEP_1)
	v_add_f64_e32 v[41:42], v[53:54], v[41:42]
	s_wait_alu 0xfffe
	v_cndmask_b32_e64 v41, 0, v41, s19
	v_cmp_neq_f64_e64 s19, -1.0, v[39:40]
	s_delay_alu instid0(VALU_DEP_3) | instskip(NEXT) | instid1(VALU_DEP_1)
	v_cndmask_b32_e64 v42, 0x7ff00000, v42, s20
	v_cndmask_b32_e64 v42, 0x7ff80000, v42, s21
	s_wait_alu 0xf1ff
	s_delay_alu instid0(VALU_DEP_1) | instskip(NEXT) | instid1(VALU_DEP_1)
	v_cndmask_b32_e64 v42, 0xfff00000, v42, s19
	v_add_f64_e32 v[69:70], v[37:38], v[41:42]
.LBB42_36:
	s_wait_alu 0xfffe
	s_or_b32 exec_lo, exec_lo, s26
	v_max_num_f64_e32 v[37:38], v[31:32], v[31:32]
	s_delay_alu instid0(VALU_DEP_2) | instskip(SKIP_2) | instid1(VALU_DEP_3)
	v_max_num_f64_e32 v[39:40], v[69:70], v[69:70]
	v_cmp_u_f64_e64 s20, v[69:70], v[69:70]
	v_cmp_u_f64_e64 s19, v[31:32], v[31:32]
	v_min_num_f64_e32 v[41:42], v[39:40], v[37:38]
	v_max_num_f64_e32 v[39:40], v[39:40], v[37:38]
	s_wait_alu 0xf1ff
	s_delay_alu instid0(VALU_DEP_2) | instskip(NEXT) | instid1(VALU_DEP_3)
	v_cndmask_b32_e64 v41, v41, v69, s20
	v_cndmask_b32_e64 v42, v42, v70, s20
	s_delay_alu instid0(VALU_DEP_3) | instskip(NEXT) | instid1(VALU_DEP_4)
	v_cndmask_b32_e64 v40, v40, v70, s20
	v_cndmask_b32_e64 v39, v39, v69, s20
	s_delay_alu instid0(VALU_DEP_4) | instskip(NEXT) | instid1(VALU_DEP_4)
	v_cndmask_b32_e64 v41, v41, v31, s19
	v_cndmask_b32_e64 v42, v42, v32, s19
	s_delay_alu instid0(VALU_DEP_4) | instskip(NEXT) | instid1(VALU_DEP_4)
	v_cndmask_b32_e64 v40, v40, v32, s19
	v_cndmask_b32_e64 v39, v39, v31, s19
	s_delay_alu instid0(VALU_DEP_3) | instskip(NEXT) | instid1(VALU_DEP_2)
	v_cmp_class_f64_e64 s21, v[41:42], 0x1f8
	v_cmp_neq_f64_e64 s20, v[41:42], v[39:40]
	s_or_b32 s20, s20, s21
	s_wait_alu 0xfffe
	s_and_saveexec_b32 s26, s20
	s_cbranch_execz .LBB42_38
; %bb.37:
	v_add_f64_e64 v[41:42], v[41:42], -v[39:40]
	s_mov_b32 s20, 0x652b82fe
	s_mov_b32 s21, 0x3ff71547
	;; [unrolled: 1-line block ×10, first 2 shown]
	s_wait_alu 0xfffe
	s_delay_alu instid0(VALU_DEP_1) | instskip(SKIP_2) | instid1(VALU_DEP_1)
	v_mul_f64_e32 v[43:44], s[20:21], v[41:42]
	s_mov_b32 s20, 0xfca7ab0c
	s_mov_b32 s21, 0x3e928af3
	v_rndne_f64_e32 v[43:44], v[43:44]
	s_delay_alu instid0(VALU_DEP_1) | instskip(SKIP_2) | instid1(VALU_DEP_2)
	v_fma_f64 v[45:46], v[43:44], s[22:23], v[41:42]
	v_cvt_i32_f64_e32 v49, v[43:44]
	s_mov_b32 s23, 0x3fe62e42
	v_fma_f64 v[45:46], v[43:44], s[24:25], v[45:46]
	s_mov_b32 s25, 0x3c7abc9e
	s_wait_alu 0xfffe
	s_delay_alu instid0(VALU_DEP_1)
	v_fma_f64 v[47:48], v[45:46], s[28:29], s[20:21]
	s_mov_b32 s20, 0x623fde64
	s_mov_b32 s21, 0x3ec71dee
	;; [unrolled: 1-line block ×4, first 2 shown]
	s_wait_alu 0xfffe
	s_delay_alu instid0(VALU_DEP_1) | instskip(SKIP_3) | instid1(VALU_DEP_1)
	v_fma_f64 v[47:48], v[45:46], v[47:48], s[20:21]
	s_mov_b32 s20, 0x7c89e6b0
	s_mov_b32 s21, 0x3efa0199
	s_wait_alu 0xfffe
	v_fma_f64 v[47:48], v[45:46], v[47:48], s[20:21]
	s_mov_b32 s20, 0x14761f6e
	s_mov_b32 s21, 0x3f2a01a0
	s_wait_alu 0xfffe
	s_delay_alu instid0(VALU_DEP_1) | instskip(SKIP_3) | instid1(VALU_DEP_1)
	v_fma_f64 v[47:48], v[45:46], v[47:48], s[20:21]
	s_mov_b32 s20, 0x1852b7b0
	s_mov_b32 s21, 0x3f56c16c
	s_wait_alu 0xfffe
	v_fma_f64 v[47:48], v[45:46], v[47:48], s[20:21]
	s_mov_b32 s20, 0x11122322
	s_mov_b32 s21, 0x3f811111
	;; [unrolled: 9-line block ×3, first 2 shown]
	s_wait_alu 0xfffe
	s_delay_alu instid0(VALU_DEP_1) | instskip(SKIP_3) | instid1(VALU_DEP_1)
	v_fma_f64 v[47:48], v[45:46], v[47:48], s[20:21]
	s_mov_b32 s20, 11
	s_mov_b32 s21, 0x3fe00000
	s_wait_alu 0xfffe
	v_fma_f64 v[47:48], v[45:46], v[47:48], s[20:21]
	v_cmp_nlt_f64_e64 s20, 0x40900000, v[41:42]
	v_cmp_ngt_f64_e64 s21, 0xc090cc00, v[41:42]
	s_delay_alu instid0(VALU_DEP_3) | instskip(NEXT) | instid1(VALU_DEP_1)
	v_fma_f64 v[47:48], v[45:46], v[47:48], 1.0
	v_fma_f64 v[43:44], v[45:46], v[47:48], 1.0
	s_delay_alu instid0(VALU_DEP_1) | instskip(SKIP_1) | instid1(VALU_DEP_1)
	v_ldexp_f64 v[43:44], v[43:44], v49
	s_wait_alu 0xf1ff
	v_cndmask_b32_e64 v44, 0x7ff00000, v44, s20
	s_and_b32 s20, s21, s20
	s_wait_alu 0xfffe
	s_delay_alu instid0(VALU_DEP_2) | instskip(SKIP_3) | instid1(VALU_DEP_1)
	v_cndmask_b32_e64 v41, 0, v43, s20
	s_mov_b32 s20, 0x55555555
	v_cndmask_b32_e64 v42, 0, v44, s21
	s_mov_b32 s21, 0x3fe55555
	v_add_f64_e32 v[43:44], 1.0, v[41:42]
	s_delay_alu instid0(VALU_DEP_1) | instskip(SKIP_3) | instid1(VALU_DEP_3)
	v_frexp_mant_f64_e32 v[45:46], v[43:44]
	v_frexp_exp_i32_f64_e32 v49, v[43:44]
	v_add_f64_e32 v[47:48], -1.0, v[43:44]
	s_wait_alu 0xfffe
	v_cmp_gt_f64_e64 s20, s[20:21], v[45:46]
	s_delay_alu instid0(VALU_DEP_2) | instskip(SKIP_2) | instid1(VALU_DEP_3)
	v_add_f64_e64 v[45:46], v[47:48], -v[43:44]
	v_add_f64_e64 v[47:48], v[41:42], -v[47:48]
	s_wait_alu 0xf1ff
	v_subrev_co_ci_u32_e64 v71, null, 0, v49, s20
	s_delay_alu instid0(VALU_DEP_3) | instskip(SKIP_1) | instid1(VALU_DEP_2)
	v_add_f64_e32 v[45:46], 1.0, v[45:46]
	s_mov_b32 s20, 0x55555780
	v_sub_nc_u32_e32 v51, 0, v71
	s_delay_alu instid0(VALU_DEP_1) | instskip(NEXT) | instid1(VALU_DEP_3)
	v_ldexp_f64 v[43:44], v[43:44], v51
	v_add_f64_e32 v[45:46], v[47:48], v[45:46]
	s_delay_alu instid0(VALU_DEP_2) | instskip(SKIP_1) | instid1(VALU_DEP_3)
	v_add_f64_e32 v[49:50], 1.0, v[43:44]
	v_add_f64_e32 v[55:56], -1.0, v[43:44]
	v_ldexp_f64 v[45:46], v[45:46], v51
	s_delay_alu instid0(VALU_DEP_3) | instskip(NEXT) | instid1(VALU_DEP_3)
	v_add_f64_e32 v[47:48], -1.0, v[49:50]
	v_add_f64_e32 v[57:58], 1.0, v[55:56]
	s_delay_alu instid0(VALU_DEP_2) | instskip(NEXT) | instid1(VALU_DEP_2)
	v_add_f64_e64 v[47:48], v[43:44], -v[47:48]
	v_add_f64_e64 v[43:44], v[43:44], -v[57:58]
	s_delay_alu instid0(VALU_DEP_2) | instskip(NEXT) | instid1(VALU_DEP_2)
	v_add_f64_e32 v[47:48], v[45:46], v[47:48]
	v_add_f64_e32 v[43:44], v[45:46], v[43:44]
	s_delay_alu instid0(VALU_DEP_2) | instskip(NEXT) | instid1(VALU_DEP_2)
	v_add_f64_e32 v[51:52], v[49:50], v[47:48]
	v_add_f64_e32 v[57:58], v[55:56], v[43:44]
	s_delay_alu instid0(VALU_DEP_2) | instskip(SKIP_1) | instid1(VALU_DEP_2)
	v_rcp_f64_e32 v[53:54], v[51:52]
	v_add_f64_e64 v[49:50], v[51:52], -v[49:50]
	v_add_f64_e64 v[55:56], v[57:58], -v[55:56]
	s_delay_alu instid0(VALU_DEP_2) | instskip(NEXT) | instid1(TRANS32_DEP_1)
	v_add_f64_e64 v[47:48], v[47:48], -v[49:50]
	v_fma_f64 v[59:60], -v[51:52], v[53:54], 1.0
	s_delay_alu instid0(VALU_DEP_3) | instskip(NEXT) | instid1(VALU_DEP_2)
	v_add_f64_e64 v[43:44], v[43:44], -v[55:56]
	v_fma_f64 v[53:54], v[59:60], v[53:54], v[53:54]
	s_delay_alu instid0(VALU_DEP_1) | instskip(NEXT) | instid1(VALU_DEP_1)
	v_fma_f64 v[45:46], -v[51:52], v[53:54], 1.0
	v_fma_f64 v[45:46], v[45:46], v[53:54], v[53:54]
	s_delay_alu instid0(VALU_DEP_1) | instskip(NEXT) | instid1(VALU_DEP_1)
	v_mul_f64_e32 v[53:54], v[57:58], v[45:46]
	v_mul_f64_e32 v[59:60], v[51:52], v[53:54]
	s_delay_alu instid0(VALU_DEP_1) | instskip(NEXT) | instid1(VALU_DEP_1)
	v_fma_f64 v[49:50], v[53:54], v[51:52], -v[59:60]
	v_fma_f64 v[49:50], v[53:54], v[47:48], v[49:50]
	s_delay_alu instid0(VALU_DEP_1) | instskip(NEXT) | instid1(VALU_DEP_1)
	v_add_f64_e32 v[61:62], v[59:60], v[49:50]
	v_add_f64_e64 v[69:70], v[57:58], -v[61:62]
	v_add_f64_e64 v[55:56], v[61:62], -v[59:60]
	s_delay_alu instid0(VALU_DEP_2) | instskip(NEXT) | instid1(VALU_DEP_2)
	v_add_f64_e64 v[57:58], v[57:58], -v[69:70]
	v_add_f64_e64 v[49:50], v[55:56], -v[49:50]
	s_delay_alu instid0(VALU_DEP_2) | instskip(NEXT) | instid1(VALU_DEP_1)
	v_add_f64_e64 v[57:58], v[57:58], -v[61:62]
	v_add_f64_e32 v[43:44], v[43:44], v[57:58]
	s_delay_alu instid0(VALU_DEP_1) | instskip(NEXT) | instid1(VALU_DEP_1)
	v_add_f64_e32 v[43:44], v[49:50], v[43:44]
	v_add_f64_e32 v[49:50], v[69:70], v[43:44]
	s_delay_alu instid0(VALU_DEP_1) | instskip(SKIP_1) | instid1(VALU_DEP_2)
	v_mul_f64_e32 v[55:56], v[45:46], v[49:50]
	v_add_f64_e64 v[61:62], v[69:70], -v[49:50]
	v_mul_f64_e32 v[57:58], v[51:52], v[55:56]
	s_delay_alu instid0(VALU_DEP_2) | instskip(NEXT) | instid1(VALU_DEP_2)
	v_add_f64_e32 v[43:44], v[43:44], v[61:62]
	v_fma_f64 v[51:52], v[55:56], v[51:52], -v[57:58]
	s_delay_alu instid0(VALU_DEP_1) | instskip(NEXT) | instid1(VALU_DEP_1)
	v_fma_f64 v[47:48], v[55:56], v[47:48], v[51:52]
	v_add_f64_e32 v[51:52], v[57:58], v[47:48]
	s_delay_alu instid0(VALU_DEP_1) | instskip(SKIP_1) | instid1(VALU_DEP_2)
	v_add_f64_e64 v[59:60], v[49:50], -v[51:52]
	v_add_f64_e64 v[57:58], v[51:52], -v[57:58]
	;; [unrolled: 1-line block ×3, first 2 shown]
	s_delay_alu instid0(VALU_DEP_2) | instskip(NEXT) | instid1(VALU_DEP_2)
	v_add_f64_e64 v[47:48], v[57:58], -v[47:48]
	v_add_f64_e64 v[49:50], v[49:50], -v[51:52]
	s_delay_alu instid0(VALU_DEP_1) | instskip(SKIP_1) | instid1(VALU_DEP_2)
	v_add_f64_e32 v[43:44], v[43:44], v[49:50]
	v_add_f64_e32 v[49:50], v[53:54], v[55:56]
	;; [unrolled: 1-line block ×3, first 2 shown]
	s_delay_alu instid0(VALU_DEP_2) | instskip(NEXT) | instid1(VALU_DEP_2)
	v_add_f64_e64 v[47:48], v[49:50], -v[53:54]
	v_add_f64_e32 v[43:44], v[59:60], v[43:44]
	s_delay_alu instid0(VALU_DEP_2) | instskip(NEXT) | instid1(VALU_DEP_2)
	v_add_f64_e64 v[47:48], v[55:56], -v[47:48]
	v_mul_f64_e32 v[43:44], v[45:46], v[43:44]
	s_delay_alu instid0(VALU_DEP_1) | instskip(NEXT) | instid1(VALU_DEP_1)
	v_add_f64_e32 v[43:44], v[47:48], v[43:44]
	v_add_f64_e32 v[45:46], v[49:50], v[43:44]
	s_delay_alu instid0(VALU_DEP_1) | instskip(NEXT) | instid1(VALU_DEP_1)
	v_mul_f64_e32 v[47:48], v[45:46], v[45:46]
	v_fma_f64 v[51:52], v[47:48], s[30:31], s[28:29]
	s_mov_b32 s28, 0xd7f4df2e
	s_mov_b32 s29, 0x3fc7474d
	v_mul_f64_e32 v[53:54], v[45:46], v[47:48]
	s_wait_alu 0xfffe
	s_delay_alu instid0(VALU_DEP_2) | instskip(SKIP_3) | instid1(VALU_DEP_1)
	v_fma_f64 v[51:52], v[47:48], v[51:52], s[28:29]
	s_mov_b32 s28, 0x16291751
	s_mov_b32 s29, 0x3fcc71c0
	s_wait_alu 0xfffe
	v_fma_f64 v[51:52], v[47:48], v[51:52], s[28:29]
	s_mov_b32 s28, 0x9b27acf1
	s_mov_b32 s29, 0x3fd24924
	s_wait_alu 0xfffe
	s_delay_alu instid0(VALU_DEP_1) | instskip(SKIP_3) | instid1(VALU_DEP_1)
	v_fma_f64 v[51:52], v[47:48], v[51:52], s[28:29]
	s_mov_b32 s28, 0x998ef7b6
	s_mov_b32 s29, 0x3fd99999
	s_wait_alu 0xfffe
	v_fma_f64 v[51:52], v[47:48], v[51:52], s[28:29]
	s_delay_alu instid0(VALU_DEP_1)
	v_fma_f64 v[47:48], v[47:48], v[51:52], s[20:21]
	v_ldexp_f64 v[51:52], v[45:46], 1
	v_add_f64_e64 v[45:46], v[45:46], -v[49:50]
	v_cmp_nge_f64_e64 s20, -1.0, v[41:42]
	v_cmp_neq_f64_e64 s21, 0x7ff00000, v[41:42]
	v_mul_f64_e32 v[47:48], v[53:54], v[47:48]
	v_cvt_f64_i32_e32 v[53:54], v71
	v_add_f64_e64 v[43:44], v[43:44], -v[45:46]
	s_and_b32 s20, s20, s21
	s_delay_alu instid0(VALU_DEP_3) | instskip(NEXT) | instid1(VALU_DEP_3)
	v_add_f64_e32 v[49:50], v[51:52], v[47:48]
	v_mul_f64_e32 v[55:56], s[22:23], v[53:54]
	s_delay_alu instid0(VALU_DEP_3) | instskip(NEXT) | instid1(VALU_DEP_3)
	v_ldexp_f64 v[43:44], v[43:44], 1
	v_add_f64_e64 v[45:46], v[49:50], -v[51:52]
	s_delay_alu instid0(VALU_DEP_3) | instskip(SKIP_1) | instid1(VALU_DEP_3)
	v_fma_f64 v[51:52], v[53:54], s[22:23], -v[55:56]
	v_cmp_ngt_f64_e64 s22, -1.0, v[41:42]
	v_add_f64_e64 v[45:46], v[47:48], -v[45:46]
	s_delay_alu instid0(VALU_DEP_3) | instskip(NEXT) | instid1(VALU_DEP_2)
	v_fma_f64 v[47:48], v[53:54], s[24:25], v[51:52]
	v_add_f64_e32 v[43:44], v[43:44], v[45:46]
	s_delay_alu instid0(VALU_DEP_2) | instskip(NEXT) | instid1(VALU_DEP_2)
	v_add_f64_e32 v[45:46], v[55:56], v[47:48]
	v_add_f64_e32 v[51:52], v[49:50], v[43:44]
	s_delay_alu instid0(VALU_DEP_2) | instskip(NEXT) | instid1(VALU_DEP_2)
	v_add_f64_e64 v[55:56], v[45:46], -v[55:56]
	v_add_f64_e32 v[53:54], v[45:46], v[51:52]
	v_add_f64_e64 v[49:50], v[51:52], -v[49:50]
	s_delay_alu instid0(VALU_DEP_3) | instskip(NEXT) | instid1(VALU_DEP_3)
	v_add_f64_e64 v[47:48], v[47:48], -v[55:56]
	v_add_f64_e64 v[57:58], v[53:54], -v[45:46]
	s_delay_alu instid0(VALU_DEP_3) | instskip(NEXT) | instid1(VALU_DEP_2)
	v_add_f64_e64 v[43:44], v[43:44], -v[49:50]
	v_add_f64_e64 v[59:60], v[53:54], -v[57:58]
	;; [unrolled: 1-line block ×3, first 2 shown]
	s_delay_alu instid0(VALU_DEP_3) | instskip(NEXT) | instid1(VALU_DEP_3)
	v_add_f64_e32 v[51:52], v[47:48], v[43:44]
	v_add_f64_e64 v[45:46], v[45:46], -v[59:60]
	s_delay_alu instid0(VALU_DEP_1) | instskip(NEXT) | instid1(VALU_DEP_3)
	v_add_f64_e32 v[45:46], v[49:50], v[45:46]
	v_add_f64_e64 v[49:50], v[51:52], -v[47:48]
	s_delay_alu instid0(VALU_DEP_2) | instskip(NEXT) | instid1(VALU_DEP_2)
	v_add_f64_e32 v[45:46], v[51:52], v[45:46]
	v_add_f64_e64 v[51:52], v[51:52], -v[49:50]
	v_add_f64_e64 v[43:44], v[43:44], -v[49:50]
	s_delay_alu instid0(VALU_DEP_3) | instskip(NEXT) | instid1(VALU_DEP_3)
	v_add_f64_e32 v[55:56], v[53:54], v[45:46]
	v_add_f64_e64 v[47:48], v[47:48], -v[51:52]
	s_delay_alu instid0(VALU_DEP_2) | instskip(NEXT) | instid1(VALU_DEP_2)
	v_add_f64_e64 v[49:50], v[55:56], -v[53:54]
	v_add_f64_e32 v[43:44], v[43:44], v[47:48]
	s_delay_alu instid0(VALU_DEP_2) | instskip(NEXT) | instid1(VALU_DEP_1)
	v_add_f64_e64 v[45:46], v[45:46], -v[49:50]
	v_add_f64_e32 v[43:44], v[43:44], v[45:46]
	s_delay_alu instid0(VALU_DEP_1) | instskip(SKIP_1) | instid1(VALU_DEP_1)
	v_add_f64_e32 v[43:44], v[55:56], v[43:44]
	s_wait_alu 0xfffe
	v_cndmask_b32_e64 v43, 0, v43, s20
	v_cmp_neq_f64_e64 s20, -1.0, v[41:42]
	s_delay_alu instid0(VALU_DEP_3) | instskip(SKIP_1) | instid1(VALU_DEP_1)
	v_cndmask_b32_e64 v44, 0x7ff00000, v44, s21
	s_wait_alu 0xf1ff
	v_cndmask_b32_e64 v44, 0x7ff80000, v44, s22
	s_delay_alu instid0(VALU_DEP_1) | instskip(NEXT) | instid1(VALU_DEP_1)
	v_cndmask_b32_e64 v44, 0xfff00000, v44, s20
	v_add_f64_e32 v[69:70], v[39:40], v[43:44]
.LBB42_38:
	s_wait_alu 0xfffe
	s_or_b32 exec_lo, exec_lo, s26
	v_max_num_f64_e32 v[39:40], v[25:26], v[25:26]
	s_delay_alu instid0(VALU_DEP_2) | instskip(SKIP_2) | instid1(VALU_DEP_3)
	v_max_num_f64_e32 v[41:42], v[69:70], v[69:70]
	v_cmp_u_f64_e64 s21, v[69:70], v[69:70]
	v_cmp_u_f64_e64 s20, v[25:26], v[25:26]
	v_min_num_f64_e32 v[43:44], v[41:42], v[39:40]
	v_max_num_f64_e32 v[41:42], v[41:42], v[39:40]
	s_wait_alu 0xf1ff
	s_delay_alu instid0(VALU_DEP_2) | instskip(NEXT) | instid1(VALU_DEP_3)
	v_cndmask_b32_e64 v43, v43, v69, s21
	v_cndmask_b32_e64 v44, v44, v70, s21
	s_delay_alu instid0(VALU_DEP_3) | instskip(NEXT) | instid1(VALU_DEP_4)
	v_cndmask_b32_e64 v42, v42, v70, s21
	v_cndmask_b32_e64 v41, v41, v69, s21
	s_delay_alu instid0(VALU_DEP_4) | instskip(NEXT) | instid1(VALU_DEP_4)
	v_cndmask_b32_e64 v43, v43, v25, s20
	v_cndmask_b32_e64 v44, v44, v26, s20
	s_delay_alu instid0(VALU_DEP_4) | instskip(NEXT) | instid1(VALU_DEP_4)
	v_cndmask_b32_e64 v42, v42, v26, s20
	v_cndmask_b32_e64 v41, v41, v25, s20
	s_delay_alu instid0(VALU_DEP_3) | instskip(NEXT) | instid1(VALU_DEP_2)
	v_cmp_class_f64_e64 s22, v[43:44], 0x1f8
	v_cmp_neq_f64_e64 s21, v[43:44], v[41:42]
	s_or_b32 s21, s21, s22
	s_wait_alu 0xfffe
	s_and_saveexec_b32 s28, s21
	s_cbranch_execz .LBB42_40
; %bb.39:
	v_add_f64_e64 v[43:44], v[43:44], -v[41:42]
	s_mov_b32 s22, 0x652b82fe
	s_mov_b32 s23, 0x3ff71547
	;; [unrolled: 1-line block ×10, first 2 shown]
	s_wait_alu 0xfffe
	s_delay_alu instid0(VALU_DEP_1) | instskip(SKIP_3) | instid1(VALU_DEP_2)
	v_mul_f64_e32 v[45:46], s[22:23], v[43:44]
	s_mov_b32 s22, 0xfca7ab0c
	s_mov_b32 s23, 0x3e928af3
	v_cmp_nlt_f64_e64 s21, 0x40900000, v[43:44]
	v_rndne_f64_e32 v[45:46], v[45:46]
	s_delay_alu instid0(VALU_DEP_1) | instskip(SKIP_2) | instid1(VALU_DEP_2)
	v_fma_f64 v[47:48], v[45:46], s[24:25], v[43:44]
	v_cvt_i32_f64_e32 v51, v[45:46]
	s_mov_b32 s25, 0x3fe62e42
	v_fma_f64 v[47:48], v[45:46], s[26:27], v[47:48]
	s_mov_b32 s27, 0x3c7abc9e
	s_wait_alu 0xfffe
	s_delay_alu instid0(VALU_DEP_1)
	v_fma_f64 v[49:50], v[47:48], s[30:31], s[22:23]
	s_mov_b32 s22, 0x623fde64
	s_mov_b32 s23, 0x3ec71dee
	;; [unrolled: 1-line block ×4, first 2 shown]
	s_wait_alu 0xfffe
	s_delay_alu instid0(VALU_DEP_1) | instskip(SKIP_3) | instid1(VALU_DEP_1)
	v_fma_f64 v[49:50], v[47:48], v[49:50], s[22:23]
	s_mov_b32 s22, 0x7c89e6b0
	s_mov_b32 s23, 0x3efa0199
	s_wait_alu 0xfffe
	v_fma_f64 v[49:50], v[47:48], v[49:50], s[22:23]
	s_mov_b32 s22, 0x14761f6e
	s_mov_b32 s23, 0x3f2a01a0
	s_wait_alu 0xfffe
	s_delay_alu instid0(VALU_DEP_1) | instskip(SKIP_3) | instid1(VALU_DEP_1)
	v_fma_f64 v[49:50], v[47:48], v[49:50], s[22:23]
	s_mov_b32 s22, 0x1852b7b0
	s_mov_b32 s23, 0x3f56c16c
	s_wait_alu 0xfffe
	v_fma_f64 v[49:50], v[47:48], v[49:50], s[22:23]
	s_mov_b32 s22, 0x11122322
	s_mov_b32 s23, 0x3f811111
	;; [unrolled: 9-line block ×3, first 2 shown]
	s_wait_alu 0xfffe
	s_delay_alu instid0(VALU_DEP_1) | instskip(SKIP_3) | instid1(VALU_DEP_1)
	v_fma_f64 v[49:50], v[47:48], v[49:50], s[22:23]
	s_mov_b32 s22, 11
	s_mov_b32 s23, 0x3fe00000
	s_wait_alu 0xfffe
	v_fma_f64 v[49:50], v[47:48], v[49:50], s[22:23]
	v_cmp_ngt_f64_e64 s22, 0xc090cc00, v[43:44]
	s_mov_b32 s23, 0x3fe55555
	v_fma_f64 v[49:50], v[47:48], v[49:50], 1.0
	s_delay_alu instid0(VALU_DEP_1) | instskip(NEXT) | instid1(VALU_DEP_1)
	v_fma_f64 v[45:46], v[47:48], v[49:50], 1.0
	v_ldexp_f64 v[45:46], v[45:46], v51
	s_wait_alu 0xf1ff
	s_delay_alu instid0(VALU_DEP_1) | instskip(SKIP_2) | instid1(VALU_DEP_2)
	v_cndmask_b32_e64 v46, 0x7ff00000, v46, s21
	s_and_b32 s21, s22, s21
	s_wait_alu 0xfffe
	v_cndmask_b32_e64 v43, 0, v45, s21
	s_delay_alu instid0(VALU_DEP_2) | instskip(SKIP_1) | instid1(VALU_DEP_1)
	v_cndmask_b32_e64 v44, 0, v46, s22
	s_mov_b32 s22, 0x55555555
	v_add_f64_e32 v[45:46], 1.0, v[43:44]
	s_delay_alu instid0(VALU_DEP_1) | instskip(SKIP_3) | instid1(VALU_DEP_3)
	v_frexp_mant_f64_e32 v[47:48], v[45:46]
	v_frexp_exp_i32_f64_e32 v51, v[45:46]
	v_add_f64_e32 v[49:50], -1.0, v[45:46]
	s_wait_alu 0xfffe
	v_cmp_gt_f64_e64 s21, s[22:23], v[47:48]
	s_mov_b32 s22, 0x55555780
	v_add_f64_e64 v[47:48], v[49:50], -v[45:46]
	v_add_f64_e64 v[49:50], v[43:44], -v[49:50]
	s_wait_alu 0xf1ff
	v_subrev_co_ci_u32_e64 v73, null, 0, v51, s21
	s_delay_alu instid0(VALU_DEP_3) | instskip(SKIP_1) | instid1(VALU_DEP_3)
	v_add_f64_e32 v[47:48], 1.0, v[47:48]
	v_cmp_nge_f64_e64 s21, -1.0, v[43:44]
	v_sub_nc_u32_e32 v53, 0, v73
	s_delay_alu instid0(VALU_DEP_1) | instskip(NEXT) | instid1(VALU_DEP_4)
	v_ldexp_f64 v[45:46], v[45:46], v53
	v_add_f64_e32 v[47:48], v[49:50], v[47:48]
	s_delay_alu instid0(VALU_DEP_2) | instskip(SKIP_1) | instid1(VALU_DEP_3)
	v_add_f64_e32 v[51:52], 1.0, v[45:46]
	v_add_f64_e32 v[57:58], -1.0, v[45:46]
	v_ldexp_f64 v[47:48], v[47:48], v53
	s_delay_alu instid0(VALU_DEP_3) | instskip(NEXT) | instid1(VALU_DEP_3)
	v_add_f64_e32 v[49:50], -1.0, v[51:52]
	v_add_f64_e32 v[59:60], 1.0, v[57:58]
	s_delay_alu instid0(VALU_DEP_2) | instskip(NEXT) | instid1(VALU_DEP_2)
	v_add_f64_e64 v[49:50], v[45:46], -v[49:50]
	v_add_f64_e64 v[45:46], v[45:46], -v[59:60]
	s_delay_alu instid0(VALU_DEP_2) | instskip(NEXT) | instid1(VALU_DEP_2)
	v_add_f64_e32 v[49:50], v[47:48], v[49:50]
	v_add_f64_e32 v[45:46], v[47:48], v[45:46]
	s_delay_alu instid0(VALU_DEP_2) | instskip(NEXT) | instid1(VALU_DEP_2)
	v_add_f64_e32 v[53:54], v[51:52], v[49:50]
	v_add_f64_e32 v[59:60], v[57:58], v[45:46]
	s_delay_alu instid0(VALU_DEP_2) | instskip(SKIP_1) | instid1(VALU_DEP_2)
	v_rcp_f64_e32 v[55:56], v[53:54]
	v_add_f64_e64 v[51:52], v[53:54], -v[51:52]
	v_add_f64_e64 v[57:58], v[59:60], -v[57:58]
	s_delay_alu instid0(VALU_DEP_2) | instskip(NEXT) | instid1(TRANS32_DEP_1)
	v_add_f64_e64 v[49:50], v[49:50], -v[51:52]
	v_fma_f64 v[61:62], -v[53:54], v[55:56], 1.0
	s_delay_alu instid0(VALU_DEP_3) | instskip(NEXT) | instid1(VALU_DEP_2)
	v_add_f64_e64 v[45:46], v[45:46], -v[57:58]
	v_fma_f64 v[55:56], v[61:62], v[55:56], v[55:56]
	s_delay_alu instid0(VALU_DEP_1) | instskip(NEXT) | instid1(VALU_DEP_1)
	v_fma_f64 v[47:48], -v[53:54], v[55:56], 1.0
	v_fma_f64 v[47:48], v[47:48], v[55:56], v[55:56]
	s_delay_alu instid0(VALU_DEP_1) | instskip(NEXT) | instid1(VALU_DEP_1)
	v_mul_f64_e32 v[55:56], v[59:60], v[47:48]
	v_mul_f64_e32 v[61:62], v[53:54], v[55:56]
	s_delay_alu instid0(VALU_DEP_1) | instskip(NEXT) | instid1(VALU_DEP_1)
	v_fma_f64 v[51:52], v[55:56], v[53:54], -v[61:62]
	v_fma_f64 v[51:52], v[55:56], v[49:50], v[51:52]
	s_delay_alu instid0(VALU_DEP_1) | instskip(NEXT) | instid1(VALU_DEP_1)
	v_add_f64_e32 v[69:70], v[61:62], v[51:52]
	v_add_f64_e64 v[71:72], v[59:60], -v[69:70]
	v_add_f64_e64 v[57:58], v[69:70], -v[61:62]
	s_delay_alu instid0(VALU_DEP_2) | instskip(NEXT) | instid1(VALU_DEP_2)
	v_add_f64_e64 v[59:60], v[59:60], -v[71:72]
	v_add_f64_e64 v[51:52], v[57:58], -v[51:52]
	s_delay_alu instid0(VALU_DEP_2) | instskip(NEXT) | instid1(VALU_DEP_1)
	v_add_f64_e64 v[59:60], v[59:60], -v[69:70]
	v_add_f64_e32 v[45:46], v[45:46], v[59:60]
	s_delay_alu instid0(VALU_DEP_1) | instskip(NEXT) | instid1(VALU_DEP_1)
	v_add_f64_e32 v[45:46], v[51:52], v[45:46]
	v_add_f64_e32 v[51:52], v[71:72], v[45:46]
	s_delay_alu instid0(VALU_DEP_1) | instskip(SKIP_1) | instid1(VALU_DEP_2)
	v_mul_f64_e32 v[57:58], v[47:48], v[51:52]
	v_add_f64_e64 v[69:70], v[71:72], -v[51:52]
	v_mul_f64_e32 v[59:60], v[53:54], v[57:58]
	s_delay_alu instid0(VALU_DEP_2) | instskip(NEXT) | instid1(VALU_DEP_2)
	v_add_f64_e32 v[45:46], v[45:46], v[69:70]
	v_fma_f64 v[53:54], v[57:58], v[53:54], -v[59:60]
	s_delay_alu instid0(VALU_DEP_1) | instskip(NEXT) | instid1(VALU_DEP_1)
	v_fma_f64 v[49:50], v[57:58], v[49:50], v[53:54]
	v_add_f64_e32 v[53:54], v[59:60], v[49:50]
	s_delay_alu instid0(VALU_DEP_1) | instskip(SKIP_1) | instid1(VALU_DEP_2)
	v_add_f64_e64 v[61:62], v[51:52], -v[53:54]
	v_add_f64_e64 v[59:60], v[53:54], -v[59:60]
	;; [unrolled: 1-line block ×3, first 2 shown]
	s_delay_alu instid0(VALU_DEP_2) | instskip(NEXT) | instid1(VALU_DEP_2)
	v_add_f64_e64 v[49:50], v[59:60], -v[49:50]
	v_add_f64_e64 v[51:52], v[51:52], -v[53:54]
	s_delay_alu instid0(VALU_DEP_1) | instskip(SKIP_1) | instid1(VALU_DEP_2)
	v_add_f64_e32 v[45:46], v[45:46], v[51:52]
	v_add_f64_e32 v[51:52], v[55:56], v[57:58]
	;; [unrolled: 1-line block ×3, first 2 shown]
	s_delay_alu instid0(VALU_DEP_2) | instskip(NEXT) | instid1(VALU_DEP_2)
	v_add_f64_e64 v[49:50], v[51:52], -v[55:56]
	v_add_f64_e32 v[45:46], v[61:62], v[45:46]
	s_delay_alu instid0(VALU_DEP_2) | instskip(NEXT) | instid1(VALU_DEP_2)
	v_add_f64_e64 v[49:50], v[57:58], -v[49:50]
	v_mul_f64_e32 v[45:46], v[47:48], v[45:46]
	s_delay_alu instid0(VALU_DEP_1) | instskip(NEXT) | instid1(VALU_DEP_1)
	v_add_f64_e32 v[45:46], v[49:50], v[45:46]
	v_add_f64_e32 v[47:48], v[51:52], v[45:46]
	s_delay_alu instid0(VALU_DEP_1) | instskip(NEXT) | instid1(VALU_DEP_1)
	v_mul_f64_e32 v[49:50], v[47:48], v[47:48]
	v_fma_f64 v[53:54], v[49:50], s[34:35], s[30:31]
	s_mov_b32 s30, 0xd7f4df2e
	s_mov_b32 s31, 0x3fc7474d
	v_mul_f64_e32 v[55:56], v[47:48], v[49:50]
	s_wait_alu 0xfffe
	s_delay_alu instid0(VALU_DEP_2) | instskip(SKIP_3) | instid1(VALU_DEP_1)
	v_fma_f64 v[53:54], v[49:50], v[53:54], s[30:31]
	s_mov_b32 s30, 0x16291751
	s_mov_b32 s31, 0x3fcc71c0
	s_wait_alu 0xfffe
	v_fma_f64 v[53:54], v[49:50], v[53:54], s[30:31]
	s_mov_b32 s30, 0x9b27acf1
	s_mov_b32 s31, 0x3fd24924
	s_wait_alu 0xfffe
	s_delay_alu instid0(VALU_DEP_1) | instskip(SKIP_3) | instid1(VALU_DEP_1)
	v_fma_f64 v[53:54], v[49:50], v[53:54], s[30:31]
	s_mov_b32 s30, 0x998ef7b6
	s_mov_b32 s31, 0x3fd99999
	s_wait_alu 0xfffe
	v_fma_f64 v[53:54], v[49:50], v[53:54], s[30:31]
	s_delay_alu instid0(VALU_DEP_1)
	v_fma_f64 v[49:50], v[49:50], v[53:54], s[22:23]
	v_ldexp_f64 v[53:54], v[47:48], 1
	v_add_f64_e64 v[47:48], v[47:48], -v[51:52]
	v_cmp_neq_f64_e64 s22, 0x7ff00000, v[43:44]
	v_cmp_ngt_f64_e64 s23, -1.0, v[43:44]
	v_mul_f64_e32 v[49:50], v[55:56], v[49:50]
	v_cvt_f64_i32_e32 v[55:56], v73
	v_add_f64_e64 v[45:46], v[45:46], -v[47:48]
	s_and_b32 s21, s21, s22
	s_delay_alu instid0(VALU_DEP_3) | instskip(NEXT) | instid1(VALU_DEP_3)
	v_add_f64_e32 v[51:52], v[53:54], v[49:50]
	v_mul_f64_e32 v[57:58], s[24:25], v[55:56]
	s_delay_alu instid0(VALU_DEP_3) | instskip(NEXT) | instid1(VALU_DEP_3)
	v_ldexp_f64 v[45:46], v[45:46], 1
	v_add_f64_e64 v[47:48], v[51:52], -v[53:54]
	s_delay_alu instid0(VALU_DEP_3) | instskip(NEXT) | instid1(VALU_DEP_2)
	v_fma_f64 v[53:54], v[55:56], s[24:25], -v[57:58]
	v_add_f64_e64 v[47:48], v[49:50], -v[47:48]
	s_delay_alu instid0(VALU_DEP_2) | instskip(NEXT) | instid1(VALU_DEP_2)
	v_fma_f64 v[49:50], v[55:56], s[26:27], v[53:54]
	v_add_f64_e32 v[45:46], v[45:46], v[47:48]
	s_delay_alu instid0(VALU_DEP_2) | instskip(NEXT) | instid1(VALU_DEP_2)
	v_add_f64_e32 v[47:48], v[57:58], v[49:50]
	v_add_f64_e32 v[53:54], v[51:52], v[45:46]
	s_delay_alu instid0(VALU_DEP_2) | instskip(NEXT) | instid1(VALU_DEP_2)
	v_add_f64_e64 v[57:58], v[47:48], -v[57:58]
	v_add_f64_e32 v[55:56], v[47:48], v[53:54]
	v_add_f64_e64 v[51:52], v[53:54], -v[51:52]
	s_delay_alu instid0(VALU_DEP_3) | instskip(NEXT) | instid1(VALU_DEP_3)
	v_add_f64_e64 v[49:50], v[49:50], -v[57:58]
	v_add_f64_e64 v[59:60], v[55:56], -v[47:48]
	s_delay_alu instid0(VALU_DEP_3) | instskip(NEXT) | instid1(VALU_DEP_2)
	v_add_f64_e64 v[45:46], v[45:46], -v[51:52]
	v_add_f64_e64 v[61:62], v[55:56], -v[59:60]
	;; [unrolled: 1-line block ×3, first 2 shown]
	s_delay_alu instid0(VALU_DEP_3) | instskip(NEXT) | instid1(VALU_DEP_3)
	v_add_f64_e32 v[53:54], v[49:50], v[45:46]
	v_add_f64_e64 v[47:48], v[47:48], -v[61:62]
	s_delay_alu instid0(VALU_DEP_1) | instskip(NEXT) | instid1(VALU_DEP_3)
	v_add_f64_e32 v[47:48], v[51:52], v[47:48]
	v_add_f64_e64 v[51:52], v[53:54], -v[49:50]
	s_delay_alu instid0(VALU_DEP_2) | instskip(NEXT) | instid1(VALU_DEP_2)
	v_add_f64_e32 v[47:48], v[53:54], v[47:48]
	v_add_f64_e64 v[53:54], v[53:54], -v[51:52]
	v_add_f64_e64 v[45:46], v[45:46], -v[51:52]
	s_delay_alu instid0(VALU_DEP_3) | instskip(NEXT) | instid1(VALU_DEP_3)
	v_add_f64_e32 v[57:58], v[55:56], v[47:48]
	v_add_f64_e64 v[49:50], v[49:50], -v[53:54]
	s_delay_alu instid0(VALU_DEP_2) | instskip(NEXT) | instid1(VALU_DEP_2)
	v_add_f64_e64 v[51:52], v[57:58], -v[55:56]
	v_add_f64_e32 v[45:46], v[45:46], v[49:50]
	s_delay_alu instid0(VALU_DEP_2) | instskip(NEXT) | instid1(VALU_DEP_1)
	v_add_f64_e64 v[47:48], v[47:48], -v[51:52]
	v_add_f64_e32 v[45:46], v[45:46], v[47:48]
	s_delay_alu instid0(VALU_DEP_1) | instskip(SKIP_1) | instid1(VALU_DEP_1)
	v_add_f64_e32 v[45:46], v[57:58], v[45:46]
	s_wait_alu 0xfffe
	v_cndmask_b32_e64 v45, 0, v45, s21
	v_cmp_neq_f64_e64 s21, -1.0, v[43:44]
	s_delay_alu instid0(VALU_DEP_3) | instskip(NEXT) | instid1(VALU_DEP_1)
	v_cndmask_b32_e64 v46, 0x7ff00000, v46, s22
	v_cndmask_b32_e64 v46, 0x7ff80000, v46, s23
	s_wait_alu 0xf1ff
	s_delay_alu instid0(VALU_DEP_1) | instskip(NEXT) | instid1(VALU_DEP_1)
	v_cndmask_b32_e64 v46, 0xfff00000, v46, s21
	v_add_f64_e32 v[69:70], v[41:42], v[45:46]
.LBB42_40:
	s_wait_alu 0xfffe
	s_or_b32 exec_lo, exec_lo, s28
	v_max_num_f64_e32 v[41:42], v[27:28], v[27:28]
	s_delay_alu instid0(VALU_DEP_2) | instskip(SKIP_2) | instid1(VALU_DEP_3)
	v_max_num_f64_e32 v[43:44], v[69:70], v[69:70]
	v_cmp_u_f64_e64 s22, v[69:70], v[69:70]
	v_cmp_u_f64_e64 s21, v[27:28], v[27:28]
	v_min_num_f64_e32 v[45:46], v[43:44], v[41:42]
	v_max_num_f64_e32 v[43:44], v[43:44], v[41:42]
	s_wait_alu 0xf1ff
	s_delay_alu instid0(VALU_DEP_2) | instskip(NEXT) | instid1(VALU_DEP_3)
	v_cndmask_b32_e64 v45, v45, v69, s22
	v_cndmask_b32_e64 v46, v46, v70, s22
	s_delay_alu instid0(VALU_DEP_3) | instskip(NEXT) | instid1(VALU_DEP_4)
	v_cndmask_b32_e64 v44, v44, v70, s22
	v_cndmask_b32_e64 v43, v43, v69, s22
	s_delay_alu instid0(VALU_DEP_4) | instskip(NEXT) | instid1(VALU_DEP_4)
	v_cndmask_b32_e64 v45, v45, v27, s21
	v_cndmask_b32_e64 v46, v46, v28, s21
	s_delay_alu instid0(VALU_DEP_4) | instskip(NEXT) | instid1(VALU_DEP_4)
	v_cndmask_b32_e64 v44, v44, v28, s21
	v_cndmask_b32_e64 v43, v43, v27, s21
	s_delay_alu instid0(VALU_DEP_3) | instskip(NEXT) | instid1(VALU_DEP_2)
	v_cmp_class_f64_e64 s23, v[45:46], 0x1f8
	v_cmp_neq_f64_e64 s22, v[45:46], v[43:44]
	s_or_b32 s22, s22, s23
	s_wait_alu 0xfffe
	s_and_saveexec_b32 s28, s22
	s_cbranch_execz .LBB42_42
; %bb.41:
	v_add_f64_e64 v[45:46], v[45:46], -v[43:44]
	s_mov_b32 s22, 0x652b82fe
	s_mov_b32 s23, 0x3ff71547
	;; [unrolled: 1-line block ×10, first 2 shown]
	s_wait_alu 0xfffe
	s_delay_alu instid0(VALU_DEP_1) | instskip(SKIP_2) | instid1(VALU_DEP_1)
	v_mul_f64_e32 v[47:48], s[22:23], v[45:46]
	s_mov_b32 s22, 0xfca7ab0c
	s_mov_b32 s23, 0x3e928af3
	v_rndne_f64_e32 v[47:48], v[47:48]
	s_delay_alu instid0(VALU_DEP_1) | instskip(SKIP_2) | instid1(VALU_DEP_2)
	v_fma_f64 v[49:50], v[47:48], s[24:25], v[45:46]
	v_cvt_i32_f64_e32 v53, v[47:48]
	s_mov_b32 s25, 0x3fe62e42
	v_fma_f64 v[49:50], v[47:48], s[26:27], v[49:50]
	s_mov_b32 s27, 0x3c7abc9e
	s_wait_alu 0xfffe
	s_delay_alu instid0(VALU_DEP_1)
	v_fma_f64 v[51:52], v[49:50], s[30:31], s[22:23]
	s_mov_b32 s22, 0x623fde64
	s_mov_b32 s23, 0x3ec71dee
	;; [unrolled: 1-line block ×4, first 2 shown]
	s_wait_alu 0xfffe
	s_delay_alu instid0(VALU_DEP_1) | instskip(SKIP_3) | instid1(VALU_DEP_1)
	v_fma_f64 v[51:52], v[49:50], v[51:52], s[22:23]
	s_mov_b32 s22, 0x7c89e6b0
	s_mov_b32 s23, 0x3efa0199
	s_wait_alu 0xfffe
	v_fma_f64 v[51:52], v[49:50], v[51:52], s[22:23]
	s_mov_b32 s22, 0x14761f6e
	s_mov_b32 s23, 0x3f2a01a0
	s_wait_alu 0xfffe
	s_delay_alu instid0(VALU_DEP_1) | instskip(SKIP_3) | instid1(VALU_DEP_1)
	v_fma_f64 v[51:52], v[49:50], v[51:52], s[22:23]
	s_mov_b32 s22, 0x1852b7b0
	s_mov_b32 s23, 0x3f56c16c
	s_wait_alu 0xfffe
	v_fma_f64 v[51:52], v[49:50], v[51:52], s[22:23]
	s_mov_b32 s22, 0x11122322
	s_mov_b32 s23, 0x3f811111
	;; [unrolled: 9-line block ×3, first 2 shown]
	s_wait_alu 0xfffe
	s_delay_alu instid0(VALU_DEP_1) | instskip(SKIP_3) | instid1(VALU_DEP_1)
	v_fma_f64 v[51:52], v[49:50], v[51:52], s[22:23]
	s_mov_b32 s22, 11
	s_mov_b32 s23, 0x3fe00000
	s_wait_alu 0xfffe
	v_fma_f64 v[51:52], v[49:50], v[51:52], s[22:23]
	v_cmp_nlt_f64_e64 s22, 0x40900000, v[45:46]
	v_cmp_ngt_f64_e64 s23, 0xc090cc00, v[45:46]
	s_delay_alu instid0(VALU_DEP_3) | instskip(NEXT) | instid1(VALU_DEP_1)
	v_fma_f64 v[51:52], v[49:50], v[51:52], 1.0
	v_fma_f64 v[47:48], v[49:50], v[51:52], 1.0
	s_delay_alu instid0(VALU_DEP_1) | instskip(SKIP_1) | instid1(VALU_DEP_1)
	v_ldexp_f64 v[47:48], v[47:48], v53
	s_wait_alu 0xf1ff
	v_cndmask_b32_e64 v48, 0x7ff00000, v48, s22
	s_and_b32 s22, s23, s22
	s_wait_alu 0xfffe
	s_delay_alu instid0(VALU_DEP_2) | instskip(SKIP_3) | instid1(VALU_DEP_1)
	v_cndmask_b32_e64 v45, 0, v47, s22
	s_mov_b32 s22, 0x55555555
	v_cndmask_b32_e64 v46, 0, v48, s23
	s_mov_b32 s23, 0x3fe55555
	v_add_f64_e32 v[47:48], 1.0, v[45:46]
	s_delay_alu instid0(VALU_DEP_1) | instskip(SKIP_3) | instid1(VALU_DEP_3)
	v_frexp_mant_f64_e32 v[49:50], v[47:48]
	v_frexp_exp_i32_f64_e32 v53, v[47:48]
	v_add_f64_e32 v[51:52], -1.0, v[47:48]
	s_wait_alu 0xfffe
	v_cmp_gt_f64_e64 s22, s[22:23], v[49:50]
	s_delay_alu instid0(VALU_DEP_2) | instskip(SKIP_2) | instid1(VALU_DEP_3)
	v_add_f64_e64 v[49:50], v[51:52], -v[47:48]
	v_add_f64_e64 v[51:52], v[45:46], -v[51:52]
	s_wait_alu 0xf1ff
	v_subrev_co_ci_u32_e64 v75, null, 0, v53, s22
	s_delay_alu instid0(VALU_DEP_3) | instskip(SKIP_1) | instid1(VALU_DEP_2)
	v_add_f64_e32 v[49:50], 1.0, v[49:50]
	s_mov_b32 s22, 0x55555780
	v_sub_nc_u32_e32 v55, 0, v75
	s_delay_alu instid0(VALU_DEP_1) | instskip(NEXT) | instid1(VALU_DEP_3)
	v_ldexp_f64 v[47:48], v[47:48], v55
	v_add_f64_e32 v[49:50], v[51:52], v[49:50]
	s_delay_alu instid0(VALU_DEP_2) | instskip(SKIP_1) | instid1(VALU_DEP_3)
	v_add_f64_e32 v[53:54], 1.0, v[47:48]
	v_add_f64_e32 v[59:60], -1.0, v[47:48]
	v_ldexp_f64 v[49:50], v[49:50], v55
	s_delay_alu instid0(VALU_DEP_3) | instskip(NEXT) | instid1(VALU_DEP_3)
	v_add_f64_e32 v[51:52], -1.0, v[53:54]
	v_add_f64_e32 v[61:62], 1.0, v[59:60]
	s_delay_alu instid0(VALU_DEP_2) | instskip(NEXT) | instid1(VALU_DEP_2)
	v_add_f64_e64 v[51:52], v[47:48], -v[51:52]
	v_add_f64_e64 v[47:48], v[47:48], -v[61:62]
	s_delay_alu instid0(VALU_DEP_2) | instskip(NEXT) | instid1(VALU_DEP_2)
	v_add_f64_e32 v[51:52], v[49:50], v[51:52]
	v_add_f64_e32 v[47:48], v[49:50], v[47:48]
	s_delay_alu instid0(VALU_DEP_2) | instskip(NEXT) | instid1(VALU_DEP_2)
	v_add_f64_e32 v[55:56], v[53:54], v[51:52]
	v_add_f64_e32 v[61:62], v[59:60], v[47:48]
	s_delay_alu instid0(VALU_DEP_2) | instskip(SKIP_1) | instid1(VALU_DEP_2)
	v_rcp_f64_e32 v[57:58], v[55:56]
	v_add_f64_e64 v[53:54], v[55:56], -v[53:54]
	v_add_f64_e64 v[59:60], v[61:62], -v[59:60]
	s_delay_alu instid0(VALU_DEP_2) | instskip(NEXT) | instid1(TRANS32_DEP_1)
	v_add_f64_e64 v[51:52], v[51:52], -v[53:54]
	v_fma_f64 v[69:70], -v[55:56], v[57:58], 1.0
	s_delay_alu instid0(VALU_DEP_3) | instskip(NEXT) | instid1(VALU_DEP_2)
	v_add_f64_e64 v[47:48], v[47:48], -v[59:60]
	v_fma_f64 v[57:58], v[69:70], v[57:58], v[57:58]
	s_delay_alu instid0(VALU_DEP_1) | instskip(NEXT) | instid1(VALU_DEP_1)
	v_fma_f64 v[49:50], -v[55:56], v[57:58], 1.0
	v_fma_f64 v[49:50], v[49:50], v[57:58], v[57:58]
	s_delay_alu instid0(VALU_DEP_1) | instskip(NEXT) | instid1(VALU_DEP_1)
	v_mul_f64_e32 v[57:58], v[61:62], v[49:50]
	v_mul_f64_e32 v[69:70], v[55:56], v[57:58]
	s_delay_alu instid0(VALU_DEP_1) | instskip(NEXT) | instid1(VALU_DEP_1)
	v_fma_f64 v[53:54], v[57:58], v[55:56], -v[69:70]
	v_fma_f64 v[53:54], v[57:58], v[51:52], v[53:54]
	s_delay_alu instid0(VALU_DEP_1) | instskip(NEXT) | instid1(VALU_DEP_1)
	v_add_f64_e32 v[71:72], v[69:70], v[53:54]
	v_add_f64_e64 v[73:74], v[61:62], -v[71:72]
	v_add_f64_e64 v[59:60], v[71:72], -v[69:70]
	s_delay_alu instid0(VALU_DEP_2) | instskip(NEXT) | instid1(VALU_DEP_2)
	v_add_f64_e64 v[61:62], v[61:62], -v[73:74]
	v_add_f64_e64 v[53:54], v[59:60], -v[53:54]
	s_delay_alu instid0(VALU_DEP_2) | instskip(NEXT) | instid1(VALU_DEP_1)
	v_add_f64_e64 v[61:62], v[61:62], -v[71:72]
	v_add_f64_e32 v[47:48], v[47:48], v[61:62]
	s_delay_alu instid0(VALU_DEP_1) | instskip(NEXT) | instid1(VALU_DEP_1)
	v_add_f64_e32 v[47:48], v[53:54], v[47:48]
	v_add_f64_e32 v[53:54], v[73:74], v[47:48]
	s_delay_alu instid0(VALU_DEP_1) | instskip(SKIP_1) | instid1(VALU_DEP_2)
	v_mul_f64_e32 v[59:60], v[49:50], v[53:54]
	v_add_f64_e64 v[71:72], v[73:74], -v[53:54]
	v_mul_f64_e32 v[61:62], v[55:56], v[59:60]
	s_delay_alu instid0(VALU_DEP_2) | instskip(NEXT) | instid1(VALU_DEP_2)
	v_add_f64_e32 v[47:48], v[47:48], v[71:72]
	v_fma_f64 v[55:56], v[59:60], v[55:56], -v[61:62]
	s_delay_alu instid0(VALU_DEP_1) | instskip(NEXT) | instid1(VALU_DEP_1)
	v_fma_f64 v[51:52], v[59:60], v[51:52], v[55:56]
	v_add_f64_e32 v[55:56], v[61:62], v[51:52]
	s_delay_alu instid0(VALU_DEP_1) | instskip(SKIP_1) | instid1(VALU_DEP_2)
	v_add_f64_e64 v[69:70], v[53:54], -v[55:56]
	v_add_f64_e64 v[61:62], v[55:56], -v[61:62]
	;; [unrolled: 1-line block ×3, first 2 shown]
	s_delay_alu instid0(VALU_DEP_2) | instskip(NEXT) | instid1(VALU_DEP_2)
	v_add_f64_e64 v[51:52], v[61:62], -v[51:52]
	v_add_f64_e64 v[53:54], v[53:54], -v[55:56]
	s_delay_alu instid0(VALU_DEP_1) | instskip(SKIP_1) | instid1(VALU_DEP_2)
	v_add_f64_e32 v[47:48], v[47:48], v[53:54]
	v_add_f64_e32 v[53:54], v[57:58], v[59:60]
	;; [unrolled: 1-line block ×3, first 2 shown]
	s_delay_alu instid0(VALU_DEP_2) | instskip(NEXT) | instid1(VALU_DEP_2)
	v_add_f64_e64 v[51:52], v[53:54], -v[57:58]
	v_add_f64_e32 v[47:48], v[69:70], v[47:48]
	s_delay_alu instid0(VALU_DEP_2) | instskip(NEXT) | instid1(VALU_DEP_2)
	v_add_f64_e64 v[51:52], v[59:60], -v[51:52]
	v_mul_f64_e32 v[47:48], v[49:50], v[47:48]
	s_delay_alu instid0(VALU_DEP_1) | instskip(NEXT) | instid1(VALU_DEP_1)
	v_add_f64_e32 v[47:48], v[51:52], v[47:48]
	v_add_f64_e32 v[49:50], v[53:54], v[47:48]
	s_delay_alu instid0(VALU_DEP_1) | instskip(NEXT) | instid1(VALU_DEP_1)
	v_mul_f64_e32 v[51:52], v[49:50], v[49:50]
	v_fma_f64 v[55:56], v[51:52], s[34:35], s[30:31]
	s_mov_b32 s30, 0xd7f4df2e
	s_mov_b32 s31, 0x3fc7474d
	v_mul_f64_e32 v[57:58], v[49:50], v[51:52]
	s_wait_alu 0xfffe
	s_delay_alu instid0(VALU_DEP_2) | instskip(SKIP_3) | instid1(VALU_DEP_1)
	v_fma_f64 v[55:56], v[51:52], v[55:56], s[30:31]
	s_mov_b32 s30, 0x16291751
	s_mov_b32 s31, 0x3fcc71c0
	s_wait_alu 0xfffe
	v_fma_f64 v[55:56], v[51:52], v[55:56], s[30:31]
	s_mov_b32 s30, 0x9b27acf1
	s_mov_b32 s31, 0x3fd24924
	s_wait_alu 0xfffe
	s_delay_alu instid0(VALU_DEP_1) | instskip(SKIP_3) | instid1(VALU_DEP_1)
	v_fma_f64 v[55:56], v[51:52], v[55:56], s[30:31]
	s_mov_b32 s30, 0x998ef7b6
	s_mov_b32 s31, 0x3fd99999
	s_wait_alu 0xfffe
	v_fma_f64 v[55:56], v[51:52], v[55:56], s[30:31]
	s_delay_alu instid0(VALU_DEP_1)
	v_fma_f64 v[51:52], v[51:52], v[55:56], s[22:23]
	v_ldexp_f64 v[55:56], v[49:50], 1
	v_add_f64_e64 v[49:50], v[49:50], -v[53:54]
	v_cmp_nge_f64_e64 s22, -1.0, v[45:46]
	v_cmp_neq_f64_e64 s23, 0x7ff00000, v[45:46]
	v_mul_f64_e32 v[51:52], v[57:58], v[51:52]
	v_cvt_f64_i32_e32 v[57:58], v75
	v_add_f64_e64 v[47:48], v[47:48], -v[49:50]
	s_and_b32 s22, s22, s23
	s_delay_alu instid0(VALU_DEP_3) | instskip(NEXT) | instid1(VALU_DEP_3)
	v_add_f64_e32 v[53:54], v[55:56], v[51:52]
	v_mul_f64_e32 v[59:60], s[24:25], v[57:58]
	s_delay_alu instid0(VALU_DEP_3) | instskip(NEXT) | instid1(VALU_DEP_3)
	v_ldexp_f64 v[47:48], v[47:48], 1
	v_add_f64_e64 v[49:50], v[53:54], -v[55:56]
	s_delay_alu instid0(VALU_DEP_3) | instskip(SKIP_1) | instid1(VALU_DEP_3)
	v_fma_f64 v[55:56], v[57:58], s[24:25], -v[59:60]
	v_cmp_ngt_f64_e64 s24, -1.0, v[45:46]
	v_add_f64_e64 v[49:50], v[51:52], -v[49:50]
	s_delay_alu instid0(VALU_DEP_3) | instskip(NEXT) | instid1(VALU_DEP_2)
	v_fma_f64 v[51:52], v[57:58], s[26:27], v[55:56]
	v_add_f64_e32 v[47:48], v[47:48], v[49:50]
	s_delay_alu instid0(VALU_DEP_2) | instskip(NEXT) | instid1(VALU_DEP_2)
	v_add_f64_e32 v[49:50], v[59:60], v[51:52]
	v_add_f64_e32 v[55:56], v[53:54], v[47:48]
	s_delay_alu instid0(VALU_DEP_2) | instskip(NEXT) | instid1(VALU_DEP_2)
	v_add_f64_e64 v[59:60], v[49:50], -v[59:60]
	v_add_f64_e32 v[57:58], v[49:50], v[55:56]
	v_add_f64_e64 v[53:54], v[55:56], -v[53:54]
	s_delay_alu instid0(VALU_DEP_3) | instskip(NEXT) | instid1(VALU_DEP_3)
	v_add_f64_e64 v[51:52], v[51:52], -v[59:60]
	v_add_f64_e64 v[61:62], v[57:58], -v[49:50]
	s_delay_alu instid0(VALU_DEP_3) | instskip(NEXT) | instid1(VALU_DEP_2)
	v_add_f64_e64 v[47:48], v[47:48], -v[53:54]
	v_add_f64_e64 v[69:70], v[57:58], -v[61:62]
	;; [unrolled: 1-line block ×3, first 2 shown]
	s_delay_alu instid0(VALU_DEP_3) | instskip(NEXT) | instid1(VALU_DEP_3)
	v_add_f64_e32 v[55:56], v[51:52], v[47:48]
	v_add_f64_e64 v[49:50], v[49:50], -v[69:70]
	s_delay_alu instid0(VALU_DEP_1) | instskip(NEXT) | instid1(VALU_DEP_3)
	v_add_f64_e32 v[49:50], v[53:54], v[49:50]
	v_add_f64_e64 v[53:54], v[55:56], -v[51:52]
	s_delay_alu instid0(VALU_DEP_2) | instskip(NEXT) | instid1(VALU_DEP_2)
	v_add_f64_e32 v[49:50], v[55:56], v[49:50]
	v_add_f64_e64 v[55:56], v[55:56], -v[53:54]
	v_add_f64_e64 v[47:48], v[47:48], -v[53:54]
	s_delay_alu instid0(VALU_DEP_3) | instskip(NEXT) | instid1(VALU_DEP_3)
	v_add_f64_e32 v[59:60], v[57:58], v[49:50]
	v_add_f64_e64 v[51:52], v[51:52], -v[55:56]
	s_delay_alu instid0(VALU_DEP_2) | instskip(NEXT) | instid1(VALU_DEP_2)
	v_add_f64_e64 v[53:54], v[59:60], -v[57:58]
	v_add_f64_e32 v[47:48], v[47:48], v[51:52]
	s_delay_alu instid0(VALU_DEP_2) | instskip(NEXT) | instid1(VALU_DEP_1)
	v_add_f64_e64 v[49:50], v[49:50], -v[53:54]
	v_add_f64_e32 v[47:48], v[47:48], v[49:50]
	s_delay_alu instid0(VALU_DEP_1) | instskip(SKIP_1) | instid1(VALU_DEP_1)
	v_add_f64_e32 v[47:48], v[59:60], v[47:48]
	s_wait_alu 0xfffe
	v_cndmask_b32_e64 v47, 0, v47, s22
	v_cmp_neq_f64_e64 s22, -1.0, v[45:46]
	s_delay_alu instid0(VALU_DEP_3) | instskip(SKIP_1) | instid1(VALU_DEP_1)
	v_cndmask_b32_e64 v48, 0x7ff00000, v48, s23
	s_wait_alu 0xf1ff
	v_cndmask_b32_e64 v48, 0x7ff80000, v48, s24
	s_delay_alu instid0(VALU_DEP_1) | instskip(NEXT) | instid1(VALU_DEP_1)
	v_cndmask_b32_e64 v48, 0xfff00000, v48, s22
	v_add_f64_e32 v[69:70], v[43:44], v[47:48]
.LBB42_42:
	s_wait_alu 0xfffe
	s_or_b32 exec_lo, exec_lo, s28
	v_max_num_f64_e32 v[43:44], v[21:22], v[21:22]
	s_delay_alu instid0(VALU_DEP_2) | instskip(SKIP_2) | instid1(VALU_DEP_3)
	v_max_num_f64_e32 v[45:46], v[69:70], v[69:70]
	v_cmp_u_f64_e64 s23, v[69:70], v[69:70]
	v_cmp_u_f64_e64 s22, v[21:22], v[21:22]
	v_min_num_f64_e32 v[47:48], v[45:46], v[43:44]
	v_max_num_f64_e32 v[45:46], v[45:46], v[43:44]
	s_wait_alu 0xf1ff
	s_delay_alu instid0(VALU_DEP_2) | instskip(NEXT) | instid1(VALU_DEP_3)
	v_cndmask_b32_e64 v47, v47, v69, s23
	v_cndmask_b32_e64 v48, v48, v70, s23
	s_delay_alu instid0(VALU_DEP_3) | instskip(NEXT) | instid1(VALU_DEP_4)
	v_cndmask_b32_e64 v46, v46, v70, s23
	v_cndmask_b32_e64 v45, v45, v69, s23
	s_delay_alu instid0(VALU_DEP_4) | instskip(NEXT) | instid1(VALU_DEP_4)
	v_cndmask_b32_e64 v47, v47, v21, s22
	v_cndmask_b32_e64 v48, v48, v22, s22
	s_delay_alu instid0(VALU_DEP_4) | instskip(NEXT) | instid1(VALU_DEP_4)
	v_cndmask_b32_e64 v46, v46, v22, s22
	v_cndmask_b32_e64 v45, v45, v21, s22
	s_delay_alu instid0(VALU_DEP_3) | instskip(NEXT) | instid1(VALU_DEP_2)
	v_cmp_class_f64_e64 s24, v[47:48], 0x1f8
	v_cmp_neq_f64_e64 s23, v[47:48], v[45:46]
	s_or_b32 s23, s23, s24
	s_wait_alu 0xfffe
	s_and_saveexec_b32 s30, s23
	s_cbranch_execz .LBB42_44
; %bb.43:
	v_add_f64_e64 v[47:48], v[47:48], -v[45:46]
	s_mov_b32 s24, 0x652b82fe
	s_mov_b32 s25, 0x3ff71547
	;; [unrolled: 1-line block ×10, first 2 shown]
	s_wait_alu 0xfffe
	s_delay_alu instid0(VALU_DEP_1) | instskip(SKIP_3) | instid1(VALU_DEP_2)
	v_mul_f64_e32 v[49:50], s[24:25], v[47:48]
	s_mov_b32 s24, 0xfca7ab0c
	s_mov_b32 s25, 0x3e928af3
	v_cmp_nlt_f64_e64 s23, 0x40900000, v[47:48]
	v_rndne_f64_e32 v[49:50], v[49:50]
	s_delay_alu instid0(VALU_DEP_1) | instskip(SKIP_2) | instid1(VALU_DEP_2)
	v_fma_f64 v[51:52], v[49:50], s[26:27], v[47:48]
	v_cvt_i32_f64_e32 v55, v[49:50]
	s_mov_b32 s27, 0x3fe62e42
	v_fma_f64 v[51:52], v[49:50], s[28:29], v[51:52]
	s_mov_b32 s29, 0x3c7abc9e
	s_wait_alu 0xfffe
	s_delay_alu instid0(VALU_DEP_1)
	v_fma_f64 v[53:54], v[51:52], s[34:35], s[24:25]
	s_mov_b32 s24, 0x623fde64
	s_mov_b32 s25, 0x3ec71dee
	;; [unrolled: 1-line block ×4, first 2 shown]
	s_wait_alu 0xfffe
	s_delay_alu instid0(VALU_DEP_1) | instskip(SKIP_3) | instid1(VALU_DEP_1)
	v_fma_f64 v[53:54], v[51:52], v[53:54], s[24:25]
	s_mov_b32 s24, 0x7c89e6b0
	s_mov_b32 s25, 0x3efa0199
	s_wait_alu 0xfffe
	v_fma_f64 v[53:54], v[51:52], v[53:54], s[24:25]
	s_mov_b32 s24, 0x14761f6e
	s_mov_b32 s25, 0x3f2a01a0
	s_wait_alu 0xfffe
	s_delay_alu instid0(VALU_DEP_1) | instskip(SKIP_3) | instid1(VALU_DEP_1)
	v_fma_f64 v[53:54], v[51:52], v[53:54], s[24:25]
	s_mov_b32 s24, 0x1852b7b0
	s_mov_b32 s25, 0x3f56c16c
	s_wait_alu 0xfffe
	v_fma_f64 v[53:54], v[51:52], v[53:54], s[24:25]
	s_mov_b32 s24, 0x11122322
	s_mov_b32 s25, 0x3f811111
	;; [unrolled: 9-line block ×3, first 2 shown]
	s_wait_alu 0xfffe
	s_delay_alu instid0(VALU_DEP_1) | instskip(SKIP_3) | instid1(VALU_DEP_1)
	v_fma_f64 v[53:54], v[51:52], v[53:54], s[24:25]
	s_mov_b32 s24, 11
	s_mov_b32 s25, 0x3fe00000
	s_wait_alu 0xfffe
	v_fma_f64 v[53:54], v[51:52], v[53:54], s[24:25]
	v_cmp_ngt_f64_e64 s24, 0xc090cc00, v[47:48]
	s_mov_b32 s25, 0x3fe55555
	v_fma_f64 v[53:54], v[51:52], v[53:54], 1.0
	s_delay_alu instid0(VALU_DEP_1) | instskip(NEXT) | instid1(VALU_DEP_1)
	v_fma_f64 v[49:50], v[51:52], v[53:54], 1.0
	v_ldexp_f64 v[49:50], v[49:50], v55
	s_wait_alu 0xf1ff
	s_delay_alu instid0(VALU_DEP_1) | instskip(SKIP_2) | instid1(VALU_DEP_2)
	v_cndmask_b32_e64 v50, 0x7ff00000, v50, s23
	s_and_b32 s23, s24, s23
	s_wait_alu 0xfffe
	v_cndmask_b32_e64 v47, 0, v49, s23
	s_delay_alu instid0(VALU_DEP_2) | instskip(SKIP_1) | instid1(VALU_DEP_1)
	v_cndmask_b32_e64 v48, 0, v50, s24
	s_mov_b32 s24, 0x55555555
	v_add_f64_e32 v[49:50], 1.0, v[47:48]
	s_delay_alu instid0(VALU_DEP_1) | instskip(SKIP_3) | instid1(VALU_DEP_3)
	v_frexp_mant_f64_e32 v[51:52], v[49:50]
	v_frexp_exp_i32_f64_e32 v55, v[49:50]
	v_add_f64_e32 v[53:54], -1.0, v[49:50]
	s_wait_alu 0xfffe
	v_cmp_gt_f64_e64 s23, s[24:25], v[51:52]
	s_mov_b32 s24, 0x55555780
	v_add_f64_e64 v[51:52], v[53:54], -v[49:50]
	v_add_f64_e64 v[53:54], v[47:48], -v[53:54]
	s_wait_alu 0xf1ff
	v_subrev_co_ci_u32_e64 v96, null, 0, v55, s23
	s_delay_alu instid0(VALU_DEP_3) | instskip(SKIP_1) | instid1(VALU_DEP_3)
	v_add_f64_e32 v[51:52], 1.0, v[51:52]
	v_cmp_nge_f64_e64 s23, -1.0, v[47:48]
	v_sub_nc_u32_e32 v57, 0, v96
	s_delay_alu instid0(VALU_DEP_1) | instskip(NEXT) | instid1(VALU_DEP_4)
	v_ldexp_f64 v[49:50], v[49:50], v57
	v_add_f64_e32 v[51:52], v[53:54], v[51:52]
	s_delay_alu instid0(VALU_DEP_2) | instskip(SKIP_1) | instid1(VALU_DEP_3)
	v_add_f64_e32 v[55:56], 1.0, v[49:50]
	v_add_f64_e32 v[61:62], -1.0, v[49:50]
	v_ldexp_f64 v[51:52], v[51:52], v57
	s_delay_alu instid0(VALU_DEP_3) | instskip(NEXT) | instid1(VALU_DEP_3)
	v_add_f64_e32 v[53:54], -1.0, v[55:56]
	v_add_f64_e32 v[69:70], 1.0, v[61:62]
	s_delay_alu instid0(VALU_DEP_2) | instskip(NEXT) | instid1(VALU_DEP_2)
	v_add_f64_e64 v[53:54], v[49:50], -v[53:54]
	v_add_f64_e64 v[49:50], v[49:50], -v[69:70]
	s_delay_alu instid0(VALU_DEP_2) | instskip(NEXT) | instid1(VALU_DEP_2)
	v_add_f64_e32 v[53:54], v[51:52], v[53:54]
	v_add_f64_e32 v[49:50], v[51:52], v[49:50]
	s_delay_alu instid0(VALU_DEP_2) | instskip(NEXT) | instid1(VALU_DEP_2)
	v_add_f64_e32 v[57:58], v[55:56], v[53:54]
	v_add_f64_e32 v[69:70], v[61:62], v[49:50]
	s_delay_alu instid0(VALU_DEP_2) | instskip(SKIP_1) | instid1(VALU_DEP_2)
	v_rcp_f64_e32 v[59:60], v[57:58]
	v_add_f64_e64 v[55:56], v[57:58], -v[55:56]
	v_add_f64_e64 v[61:62], v[69:70], -v[61:62]
	s_delay_alu instid0(VALU_DEP_2) | instskip(NEXT) | instid1(TRANS32_DEP_1)
	v_add_f64_e64 v[53:54], v[53:54], -v[55:56]
	v_fma_f64 v[71:72], -v[57:58], v[59:60], 1.0
	s_delay_alu instid0(VALU_DEP_3) | instskip(NEXT) | instid1(VALU_DEP_2)
	v_add_f64_e64 v[49:50], v[49:50], -v[61:62]
	v_fma_f64 v[59:60], v[71:72], v[59:60], v[59:60]
	s_delay_alu instid0(VALU_DEP_1) | instskip(NEXT) | instid1(VALU_DEP_1)
	v_fma_f64 v[51:52], -v[57:58], v[59:60], 1.0
	v_fma_f64 v[51:52], v[51:52], v[59:60], v[59:60]
	s_delay_alu instid0(VALU_DEP_1) | instskip(NEXT) | instid1(VALU_DEP_1)
	v_mul_f64_e32 v[59:60], v[69:70], v[51:52]
	v_mul_f64_e32 v[71:72], v[57:58], v[59:60]
	s_delay_alu instid0(VALU_DEP_1) | instskip(NEXT) | instid1(VALU_DEP_1)
	v_fma_f64 v[55:56], v[59:60], v[57:58], -v[71:72]
	v_fma_f64 v[55:56], v[59:60], v[53:54], v[55:56]
	s_delay_alu instid0(VALU_DEP_1) | instskip(NEXT) | instid1(VALU_DEP_1)
	v_add_f64_e32 v[73:74], v[71:72], v[55:56]
	v_add_f64_e64 v[75:76], v[69:70], -v[73:74]
	v_add_f64_e64 v[61:62], v[73:74], -v[71:72]
	s_delay_alu instid0(VALU_DEP_2) | instskip(NEXT) | instid1(VALU_DEP_2)
	v_add_f64_e64 v[69:70], v[69:70], -v[75:76]
	v_add_f64_e64 v[55:56], v[61:62], -v[55:56]
	s_delay_alu instid0(VALU_DEP_2) | instskip(NEXT) | instid1(VALU_DEP_1)
	v_add_f64_e64 v[69:70], v[69:70], -v[73:74]
	v_add_f64_e32 v[49:50], v[49:50], v[69:70]
	s_delay_alu instid0(VALU_DEP_1) | instskip(NEXT) | instid1(VALU_DEP_1)
	v_add_f64_e32 v[49:50], v[55:56], v[49:50]
	v_add_f64_e32 v[55:56], v[75:76], v[49:50]
	s_delay_alu instid0(VALU_DEP_1) | instskip(SKIP_1) | instid1(VALU_DEP_2)
	v_mul_f64_e32 v[61:62], v[51:52], v[55:56]
	v_add_f64_e64 v[73:74], v[75:76], -v[55:56]
	v_mul_f64_e32 v[69:70], v[57:58], v[61:62]
	s_delay_alu instid0(VALU_DEP_2) | instskip(NEXT) | instid1(VALU_DEP_2)
	v_add_f64_e32 v[49:50], v[49:50], v[73:74]
	v_fma_f64 v[57:58], v[61:62], v[57:58], -v[69:70]
	s_delay_alu instid0(VALU_DEP_1) | instskip(NEXT) | instid1(VALU_DEP_1)
	v_fma_f64 v[53:54], v[61:62], v[53:54], v[57:58]
	v_add_f64_e32 v[57:58], v[69:70], v[53:54]
	s_delay_alu instid0(VALU_DEP_1) | instskip(SKIP_1) | instid1(VALU_DEP_2)
	v_add_f64_e64 v[71:72], v[55:56], -v[57:58]
	v_add_f64_e64 v[69:70], v[57:58], -v[69:70]
	;; [unrolled: 1-line block ×3, first 2 shown]
	s_delay_alu instid0(VALU_DEP_2) | instskip(NEXT) | instid1(VALU_DEP_2)
	v_add_f64_e64 v[53:54], v[69:70], -v[53:54]
	v_add_f64_e64 v[55:56], v[55:56], -v[57:58]
	s_delay_alu instid0(VALU_DEP_1) | instskip(SKIP_1) | instid1(VALU_DEP_2)
	v_add_f64_e32 v[49:50], v[49:50], v[55:56]
	v_add_f64_e32 v[55:56], v[59:60], v[61:62]
	;; [unrolled: 1-line block ×3, first 2 shown]
	s_delay_alu instid0(VALU_DEP_2) | instskip(NEXT) | instid1(VALU_DEP_2)
	v_add_f64_e64 v[53:54], v[55:56], -v[59:60]
	v_add_f64_e32 v[49:50], v[71:72], v[49:50]
	s_delay_alu instid0(VALU_DEP_2) | instskip(NEXT) | instid1(VALU_DEP_2)
	v_add_f64_e64 v[53:54], v[61:62], -v[53:54]
	v_mul_f64_e32 v[49:50], v[51:52], v[49:50]
	s_delay_alu instid0(VALU_DEP_1) | instskip(NEXT) | instid1(VALU_DEP_1)
	v_add_f64_e32 v[49:50], v[53:54], v[49:50]
	v_add_f64_e32 v[51:52], v[55:56], v[49:50]
	s_delay_alu instid0(VALU_DEP_1) | instskip(NEXT) | instid1(VALU_DEP_1)
	v_mul_f64_e32 v[53:54], v[51:52], v[51:52]
	v_fma_f64 v[57:58], v[53:54], s[36:37], s[34:35]
	s_mov_b32 s34, 0xd7f4df2e
	s_mov_b32 s35, 0x3fc7474d
	v_mul_f64_e32 v[59:60], v[51:52], v[53:54]
	s_wait_alu 0xfffe
	s_delay_alu instid0(VALU_DEP_2) | instskip(SKIP_3) | instid1(VALU_DEP_1)
	v_fma_f64 v[57:58], v[53:54], v[57:58], s[34:35]
	s_mov_b32 s34, 0x16291751
	s_mov_b32 s35, 0x3fcc71c0
	s_wait_alu 0xfffe
	v_fma_f64 v[57:58], v[53:54], v[57:58], s[34:35]
	s_mov_b32 s34, 0x9b27acf1
	s_mov_b32 s35, 0x3fd24924
	s_wait_alu 0xfffe
	s_delay_alu instid0(VALU_DEP_1) | instskip(SKIP_3) | instid1(VALU_DEP_1)
	v_fma_f64 v[57:58], v[53:54], v[57:58], s[34:35]
	s_mov_b32 s34, 0x998ef7b6
	s_mov_b32 s35, 0x3fd99999
	s_wait_alu 0xfffe
	v_fma_f64 v[57:58], v[53:54], v[57:58], s[34:35]
	s_delay_alu instid0(VALU_DEP_1)
	v_fma_f64 v[53:54], v[53:54], v[57:58], s[24:25]
	v_ldexp_f64 v[57:58], v[51:52], 1
	v_add_f64_e64 v[51:52], v[51:52], -v[55:56]
	v_cmp_neq_f64_e64 s24, 0x7ff00000, v[47:48]
	v_cmp_ngt_f64_e64 s25, -1.0, v[47:48]
	v_mul_f64_e32 v[53:54], v[59:60], v[53:54]
	v_cvt_f64_i32_e32 v[59:60], v96
	v_add_f64_e64 v[49:50], v[49:50], -v[51:52]
	s_and_b32 s23, s23, s24
	s_delay_alu instid0(VALU_DEP_3) | instskip(NEXT) | instid1(VALU_DEP_3)
	v_add_f64_e32 v[55:56], v[57:58], v[53:54]
	v_mul_f64_e32 v[61:62], s[26:27], v[59:60]
	s_delay_alu instid0(VALU_DEP_3) | instskip(NEXT) | instid1(VALU_DEP_3)
	v_ldexp_f64 v[49:50], v[49:50], 1
	v_add_f64_e64 v[51:52], v[55:56], -v[57:58]
	s_delay_alu instid0(VALU_DEP_3) | instskip(NEXT) | instid1(VALU_DEP_2)
	v_fma_f64 v[57:58], v[59:60], s[26:27], -v[61:62]
	v_add_f64_e64 v[51:52], v[53:54], -v[51:52]
	s_delay_alu instid0(VALU_DEP_2) | instskip(NEXT) | instid1(VALU_DEP_2)
	v_fma_f64 v[53:54], v[59:60], s[28:29], v[57:58]
	v_add_f64_e32 v[49:50], v[49:50], v[51:52]
	s_delay_alu instid0(VALU_DEP_2) | instskip(NEXT) | instid1(VALU_DEP_2)
	v_add_f64_e32 v[51:52], v[61:62], v[53:54]
	v_add_f64_e32 v[57:58], v[55:56], v[49:50]
	s_delay_alu instid0(VALU_DEP_2) | instskip(NEXT) | instid1(VALU_DEP_2)
	v_add_f64_e64 v[61:62], v[51:52], -v[61:62]
	v_add_f64_e32 v[59:60], v[51:52], v[57:58]
	v_add_f64_e64 v[55:56], v[57:58], -v[55:56]
	s_delay_alu instid0(VALU_DEP_3) | instskip(NEXT) | instid1(VALU_DEP_3)
	v_add_f64_e64 v[53:54], v[53:54], -v[61:62]
	v_add_f64_e64 v[69:70], v[59:60], -v[51:52]
	s_delay_alu instid0(VALU_DEP_3) | instskip(NEXT) | instid1(VALU_DEP_2)
	v_add_f64_e64 v[49:50], v[49:50], -v[55:56]
	v_add_f64_e64 v[71:72], v[59:60], -v[69:70]
	;; [unrolled: 1-line block ×3, first 2 shown]
	s_delay_alu instid0(VALU_DEP_3) | instskip(NEXT) | instid1(VALU_DEP_3)
	v_add_f64_e32 v[57:58], v[53:54], v[49:50]
	v_add_f64_e64 v[51:52], v[51:52], -v[71:72]
	s_delay_alu instid0(VALU_DEP_1) | instskip(NEXT) | instid1(VALU_DEP_3)
	v_add_f64_e32 v[51:52], v[55:56], v[51:52]
	v_add_f64_e64 v[55:56], v[57:58], -v[53:54]
	s_delay_alu instid0(VALU_DEP_2) | instskip(NEXT) | instid1(VALU_DEP_2)
	v_add_f64_e32 v[51:52], v[57:58], v[51:52]
	v_add_f64_e64 v[57:58], v[57:58], -v[55:56]
	v_add_f64_e64 v[49:50], v[49:50], -v[55:56]
	s_delay_alu instid0(VALU_DEP_3) | instskip(NEXT) | instid1(VALU_DEP_3)
	v_add_f64_e32 v[61:62], v[59:60], v[51:52]
	v_add_f64_e64 v[53:54], v[53:54], -v[57:58]
	s_delay_alu instid0(VALU_DEP_2) | instskip(NEXT) | instid1(VALU_DEP_2)
	v_add_f64_e64 v[55:56], v[61:62], -v[59:60]
	v_add_f64_e32 v[49:50], v[49:50], v[53:54]
	s_delay_alu instid0(VALU_DEP_2) | instskip(NEXT) | instid1(VALU_DEP_1)
	v_add_f64_e64 v[51:52], v[51:52], -v[55:56]
	v_add_f64_e32 v[49:50], v[49:50], v[51:52]
	s_delay_alu instid0(VALU_DEP_1) | instskip(SKIP_1) | instid1(VALU_DEP_1)
	v_add_f64_e32 v[49:50], v[61:62], v[49:50]
	s_wait_alu 0xfffe
	v_cndmask_b32_e64 v49, 0, v49, s23
	v_cmp_neq_f64_e64 s23, -1.0, v[47:48]
	s_delay_alu instid0(VALU_DEP_3) | instskip(NEXT) | instid1(VALU_DEP_1)
	v_cndmask_b32_e64 v50, 0x7ff00000, v50, s24
	v_cndmask_b32_e64 v50, 0x7ff80000, v50, s25
	s_wait_alu 0xf1ff
	s_delay_alu instid0(VALU_DEP_1) | instskip(NEXT) | instid1(VALU_DEP_1)
	v_cndmask_b32_e64 v50, 0xfff00000, v50, s23
	v_add_f64_e32 v[69:70], v[45:46], v[49:50]
.LBB42_44:
	s_wait_alu 0xfffe
	s_or_b32 exec_lo, exec_lo, s30
	v_max_num_f64_e32 v[45:46], v[23:24], v[23:24]
	s_delay_alu instid0(VALU_DEP_2) | instskip(SKIP_2) | instid1(VALU_DEP_3)
	v_max_num_f64_e32 v[47:48], v[69:70], v[69:70]
	v_cmp_u_f64_e64 s24, v[69:70], v[69:70]
	v_cmp_u_f64_e64 s23, v[23:24], v[23:24]
	v_min_num_f64_e32 v[49:50], v[47:48], v[45:46]
	v_max_num_f64_e32 v[47:48], v[47:48], v[45:46]
	s_wait_alu 0xf1ff
	s_delay_alu instid0(VALU_DEP_2) | instskip(NEXT) | instid1(VALU_DEP_3)
	v_cndmask_b32_e64 v49, v49, v69, s24
	v_cndmask_b32_e64 v50, v50, v70, s24
	s_delay_alu instid0(VALU_DEP_3) | instskip(NEXT) | instid1(VALU_DEP_4)
	v_cndmask_b32_e64 v48, v48, v70, s24
	v_cndmask_b32_e64 v47, v47, v69, s24
	s_delay_alu instid0(VALU_DEP_4) | instskip(NEXT) | instid1(VALU_DEP_4)
	v_cndmask_b32_e64 v49, v49, v23, s23
	v_cndmask_b32_e64 v50, v50, v24, s23
	s_delay_alu instid0(VALU_DEP_4) | instskip(NEXT) | instid1(VALU_DEP_4)
	v_cndmask_b32_e64 v48, v48, v24, s23
	v_cndmask_b32_e64 v47, v47, v23, s23
	s_delay_alu instid0(VALU_DEP_3) | instskip(NEXT) | instid1(VALU_DEP_2)
	v_cmp_class_f64_e64 s25, v[49:50], 0x1f8
	v_cmp_neq_f64_e64 s24, v[49:50], v[47:48]
	s_or_b32 s24, s24, s25
	s_wait_alu 0xfffe
	s_and_saveexec_b32 s30, s24
	s_cbranch_execz .LBB42_46
; %bb.45:
	v_add_f64_e64 v[49:50], v[49:50], -v[47:48]
	s_mov_b32 s24, 0x652b82fe
	s_mov_b32 s25, 0x3ff71547
	s_mov_b32 s27, 0xbfe62e42
	s_mov_b32 s26, 0xfefa39ef
	s_mov_b32 s29, 0xbc7abc9e
	s_mov_b32 s28, 0x3b39803f
	s_mov_b32 s34, 0x6a5dcb37
	s_mov_b32 s35, 0x3e5ade15
	s_mov_b32 s36, 0xbf559e2b
	s_mov_b32 s37, 0x3fc3ab76
	s_wait_alu 0xfffe
	s_delay_alu instid0(VALU_DEP_1) | instskip(SKIP_2) | instid1(VALU_DEP_1)
	v_mul_f64_e32 v[51:52], s[24:25], v[49:50]
	s_mov_b32 s24, 0xfca7ab0c
	s_mov_b32 s25, 0x3e928af3
	v_rndne_f64_e32 v[51:52], v[51:52]
	s_delay_alu instid0(VALU_DEP_1) | instskip(SKIP_2) | instid1(VALU_DEP_2)
	v_fma_f64 v[53:54], v[51:52], s[26:27], v[49:50]
	v_cvt_i32_f64_e32 v57, v[51:52]
	s_mov_b32 s27, 0x3fe62e42
	v_fma_f64 v[53:54], v[51:52], s[28:29], v[53:54]
	s_mov_b32 s29, 0x3c7abc9e
	s_wait_alu 0xfffe
	s_delay_alu instid0(VALU_DEP_1)
	v_fma_f64 v[55:56], v[53:54], s[34:35], s[24:25]
	s_mov_b32 s24, 0x623fde64
	s_mov_b32 s25, 0x3ec71dee
	;; [unrolled: 1-line block ×4, first 2 shown]
	s_wait_alu 0xfffe
	s_delay_alu instid0(VALU_DEP_1) | instskip(SKIP_3) | instid1(VALU_DEP_1)
	v_fma_f64 v[55:56], v[53:54], v[55:56], s[24:25]
	s_mov_b32 s24, 0x7c89e6b0
	s_mov_b32 s25, 0x3efa0199
	s_wait_alu 0xfffe
	v_fma_f64 v[55:56], v[53:54], v[55:56], s[24:25]
	s_mov_b32 s24, 0x14761f6e
	s_mov_b32 s25, 0x3f2a01a0
	s_wait_alu 0xfffe
	s_delay_alu instid0(VALU_DEP_1) | instskip(SKIP_3) | instid1(VALU_DEP_1)
	v_fma_f64 v[55:56], v[53:54], v[55:56], s[24:25]
	s_mov_b32 s24, 0x1852b7b0
	s_mov_b32 s25, 0x3f56c16c
	s_wait_alu 0xfffe
	v_fma_f64 v[55:56], v[53:54], v[55:56], s[24:25]
	s_mov_b32 s24, 0x11122322
	s_mov_b32 s25, 0x3f811111
	;; [unrolled: 9-line block ×3, first 2 shown]
	s_wait_alu 0xfffe
	s_delay_alu instid0(VALU_DEP_1) | instskip(SKIP_3) | instid1(VALU_DEP_1)
	v_fma_f64 v[55:56], v[53:54], v[55:56], s[24:25]
	s_mov_b32 s24, 11
	s_mov_b32 s25, 0x3fe00000
	s_wait_alu 0xfffe
	v_fma_f64 v[55:56], v[53:54], v[55:56], s[24:25]
	v_cmp_nlt_f64_e64 s24, 0x40900000, v[49:50]
	v_cmp_ngt_f64_e64 s25, 0xc090cc00, v[49:50]
	s_delay_alu instid0(VALU_DEP_3) | instskip(NEXT) | instid1(VALU_DEP_1)
	v_fma_f64 v[55:56], v[53:54], v[55:56], 1.0
	v_fma_f64 v[51:52], v[53:54], v[55:56], 1.0
	s_delay_alu instid0(VALU_DEP_1) | instskip(SKIP_1) | instid1(VALU_DEP_1)
	v_ldexp_f64 v[51:52], v[51:52], v57
	s_wait_alu 0xf1ff
	v_cndmask_b32_e64 v52, 0x7ff00000, v52, s24
	s_and_b32 s24, s25, s24
	s_wait_alu 0xfffe
	s_delay_alu instid0(VALU_DEP_2) | instskip(SKIP_3) | instid1(VALU_DEP_1)
	v_cndmask_b32_e64 v49, 0, v51, s24
	s_mov_b32 s24, 0x55555555
	v_cndmask_b32_e64 v50, 0, v52, s25
	s_mov_b32 s25, 0x3fe55555
	v_add_f64_e32 v[51:52], 1.0, v[49:50]
	s_delay_alu instid0(VALU_DEP_1) | instskip(SKIP_3) | instid1(VALU_DEP_3)
	v_frexp_mant_f64_e32 v[53:54], v[51:52]
	v_frexp_exp_i32_f64_e32 v57, v[51:52]
	v_add_f64_e32 v[55:56], -1.0, v[51:52]
	s_wait_alu 0xfffe
	v_cmp_gt_f64_e64 s24, s[24:25], v[53:54]
	s_delay_alu instid0(VALU_DEP_2) | instskip(SKIP_2) | instid1(VALU_DEP_3)
	v_add_f64_e64 v[53:54], v[55:56], -v[51:52]
	v_add_f64_e64 v[55:56], v[49:50], -v[55:56]
	s_wait_alu 0xf1ff
	v_subrev_co_ci_u32_e64 v98, null, 0, v57, s24
	s_delay_alu instid0(VALU_DEP_3) | instskip(SKIP_1) | instid1(VALU_DEP_2)
	v_add_f64_e32 v[53:54], 1.0, v[53:54]
	s_mov_b32 s24, 0x55555780
	v_sub_nc_u32_e32 v59, 0, v98
	s_delay_alu instid0(VALU_DEP_1) | instskip(NEXT) | instid1(VALU_DEP_3)
	v_ldexp_f64 v[51:52], v[51:52], v59
	v_add_f64_e32 v[53:54], v[55:56], v[53:54]
	s_delay_alu instid0(VALU_DEP_2) | instskip(SKIP_1) | instid1(VALU_DEP_3)
	v_add_f64_e32 v[57:58], 1.0, v[51:52]
	v_add_f64_e32 v[69:70], -1.0, v[51:52]
	v_ldexp_f64 v[53:54], v[53:54], v59
	s_delay_alu instid0(VALU_DEP_3) | instskip(NEXT) | instid1(VALU_DEP_3)
	v_add_f64_e32 v[55:56], -1.0, v[57:58]
	v_add_f64_e32 v[71:72], 1.0, v[69:70]
	s_delay_alu instid0(VALU_DEP_2) | instskip(NEXT) | instid1(VALU_DEP_2)
	v_add_f64_e64 v[55:56], v[51:52], -v[55:56]
	v_add_f64_e64 v[51:52], v[51:52], -v[71:72]
	s_delay_alu instid0(VALU_DEP_2) | instskip(NEXT) | instid1(VALU_DEP_2)
	v_add_f64_e32 v[55:56], v[53:54], v[55:56]
	v_add_f64_e32 v[51:52], v[53:54], v[51:52]
	s_delay_alu instid0(VALU_DEP_2) | instskip(NEXT) | instid1(VALU_DEP_2)
	v_add_f64_e32 v[59:60], v[57:58], v[55:56]
	v_add_f64_e32 v[71:72], v[69:70], v[51:52]
	s_delay_alu instid0(VALU_DEP_2) | instskip(SKIP_1) | instid1(VALU_DEP_2)
	v_rcp_f64_e32 v[61:62], v[59:60]
	v_add_f64_e64 v[57:58], v[59:60], -v[57:58]
	v_add_f64_e64 v[69:70], v[71:72], -v[69:70]
	s_delay_alu instid0(VALU_DEP_2) | instskip(NEXT) | instid1(TRANS32_DEP_1)
	v_add_f64_e64 v[55:56], v[55:56], -v[57:58]
	v_fma_f64 v[73:74], -v[59:60], v[61:62], 1.0
	s_delay_alu instid0(VALU_DEP_3) | instskip(NEXT) | instid1(VALU_DEP_2)
	v_add_f64_e64 v[51:52], v[51:52], -v[69:70]
	v_fma_f64 v[61:62], v[73:74], v[61:62], v[61:62]
	s_delay_alu instid0(VALU_DEP_1) | instskip(NEXT) | instid1(VALU_DEP_1)
	v_fma_f64 v[53:54], -v[59:60], v[61:62], 1.0
	v_fma_f64 v[53:54], v[53:54], v[61:62], v[61:62]
	s_delay_alu instid0(VALU_DEP_1) | instskip(NEXT) | instid1(VALU_DEP_1)
	v_mul_f64_e32 v[61:62], v[71:72], v[53:54]
	v_mul_f64_e32 v[73:74], v[59:60], v[61:62]
	s_delay_alu instid0(VALU_DEP_1) | instskip(NEXT) | instid1(VALU_DEP_1)
	v_fma_f64 v[57:58], v[61:62], v[59:60], -v[73:74]
	v_fma_f64 v[57:58], v[61:62], v[55:56], v[57:58]
	s_delay_alu instid0(VALU_DEP_1) | instskip(NEXT) | instid1(VALU_DEP_1)
	v_add_f64_e32 v[75:76], v[73:74], v[57:58]
	v_add_f64_e64 v[96:97], v[71:72], -v[75:76]
	v_add_f64_e64 v[69:70], v[75:76], -v[73:74]
	s_delay_alu instid0(VALU_DEP_2) | instskip(NEXT) | instid1(VALU_DEP_2)
	v_add_f64_e64 v[71:72], v[71:72], -v[96:97]
	v_add_f64_e64 v[57:58], v[69:70], -v[57:58]
	s_delay_alu instid0(VALU_DEP_2) | instskip(NEXT) | instid1(VALU_DEP_1)
	v_add_f64_e64 v[71:72], v[71:72], -v[75:76]
	v_add_f64_e32 v[51:52], v[51:52], v[71:72]
	s_delay_alu instid0(VALU_DEP_1) | instskip(NEXT) | instid1(VALU_DEP_1)
	v_add_f64_e32 v[51:52], v[57:58], v[51:52]
	v_add_f64_e32 v[57:58], v[96:97], v[51:52]
	s_delay_alu instid0(VALU_DEP_1) | instskip(SKIP_1) | instid1(VALU_DEP_2)
	v_mul_f64_e32 v[69:70], v[53:54], v[57:58]
	v_add_f64_e64 v[75:76], v[96:97], -v[57:58]
	v_mul_f64_e32 v[71:72], v[59:60], v[69:70]
	s_delay_alu instid0(VALU_DEP_2) | instskip(NEXT) | instid1(VALU_DEP_2)
	v_add_f64_e32 v[51:52], v[51:52], v[75:76]
	v_fma_f64 v[59:60], v[69:70], v[59:60], -v[71:72]
	s_delay_alu instid0(VALU_DEP_1) | instskip(NEXT) | instid1(VALU_DEP_1)
	v_fma_f64 v[55:56], v[69:70], v[55:56], v[59:60]
	v_add_f64_e32 v[59:60], v[71:72], v[55:56]
	s_delay_alu instid0(VALU_DEP_1) | instskip(SKIP_1) | instid1(VALU_DEP_2)
	v_add_f64_e64 v[73:74], v[57:58], -v[59:60]
	v_add_f64_e64 v[71:72], v[59:60], -v[71:72]
	;; [unrolled: 1-line block ×3, first 2 shown]
	s_delay_alu instid0(VALU_DEP_2) | instskip(NEXT) | instid1(VALU_DEP_2)
	v_add_f64_e64 v[55:56], v[71:72], -v[55:56]
	v_add_f64_e64 v[57:58], v[57:58], -v[59:60]
	s_delay_alu instid0(VALU_DEP_1) | instskip(SKIP_1) | instid1(VALU_DEP_2)
	v_add_f64_e32 v[51:52], v[51:52], v[57:58]
	v_add_f64_e32 v[57:58], v[61:62], v[69:70]
	;; [unrolled: 1-line block ×3, first 2 shown]
	s_delay_alu instid0(VALU_DEP_2) | instskip(NEXT) | instid1(VALU_DEP_2)
	v_add_f64_e64 v[55:56], v[57:58], -v[61:62]
	v_add_f64_e32 v[51:52], v[73:74], v[51:52]
	s_delay_alu instid0(VALU_DEP_2) | instskip(NEXT) | instid1(VALU_DEP_2)
	v_add_f64_e64 v[55:56], v[69:70], -v[55:56]
	v_mul_f64_e32 v[51:52], v[53:54], v[51:52]
	s_delay_alu instid0(VALU_DEP_1) | instskip(NEXT) | instid1(VALU_DEP_1)
	v_add_f64_e32 v[51:52], v[55:56], v[51:52]
	v_add_f64_e32 v[53:54], v[57:58], v[51:52]
	s_delay_alu instid0(VALU_DEP_1) | instskip(NEXT) | instid1(VALU_DEP_1)
	v_mul_f64_e32 v[55:56], v[53:54], v[53:54]
	v_fma_f64 v[59:60], v[55:56], s[36:37], s[34:35]
	s_mov_b32 s34, 0xd7f4df2e
	s_mov_b32 s35, 0x3fc7474d
	v_mul_f64_e32 v[61:62], v[53:54], v[55:56]
	s_wait_alu 0xfffe
	s_delay_alu instid0(VALU_DEP_2) | instskip(SKIP_3) | instid1(VALU_DEP_1)
	v_fma_f64 v[59:60], v[55:56], v[59:60], s[34:35]
	s_mov_b32 s34, 0x16291751
	s_mov_b32 s35, 0x3fcc71c0
	s_wait_alu 0xfffe
	v_fma_f64 v[59:60], v[55:56], v[59:60], s[34:35]
	s_mov_b32 s34, 0x9b27acf1
	s_mov_b32 s35, 0x3fd24924
	s_wait_alu 0xfffe
	s_delay_alu instid0(VALU_DEP_1) | instskip(SKIP_3) | instid1(VALU_DEP_1)
	v_fma_f64 v[59:60], v[55:56], v[59:60], s[34:35]
	s_mov_b32 s34, 0x998ef7b6
	s_mov_b32 s35, 0x3fd99999
	s_wait_alu 0xfffe
	v_fma_f64 v[59:60], v[55:56], v[59:60], s[34:35]
	s_delay_alu instid0(VALU_DEP_1)
	v_fma_f64 v[55:56], v[55:56], v[59:60], s[24:25]
	v_ldexp_f64 v[59:60], v[53:54], 1
	v_add_f64_e64 v[53:54], v[53:54], -v[57:58]
	v_cmp_nge_f64_e64 s24, -1.0, v[49:50]
	v_cmp_neq_f64_e64 s25, 0x7ff00000, v[49:50]
	v_mul_f64_e32 v[55:56], v[61:62], v[55:56]
	v_cvt_f64_i32_e32 v[61:62], v98
	v_add_f64_e64 v[51:52], v[51:52], -v[53:54]
	s_and_b32 s24, s24, s25
	s_delay_alu instid0(VALU_DEP_3) | instskip(NEXT) | instid1(VALU_DEP_3)
	v_add_f64_e32 v[57:58], v[59:60], v[55:56]
	v_mul_f64_e32 v[69:70], s[26:27], v[61:62]
	s_delay_alu instid0(VALU_DEP_3) | instskip(NEXT) | instid1(VALU_DEP_3)
	v_ldexp_f64 v[51:52], v[51:52], 1
	v_add_f64_e64 v[53:54], v[57:58], -v[59:60]
	s_delay_alu instid0(VALU_DEP_3) | instskip(SKIP_1) | instid1(VALU_DEP_3)
	v_fma_f64 v[59:60], v[61:62], s[26:27], -v[69:70]
	v_cmp_ngt_f64_e64 s26, -1.0, v[49:50]
	v_add_f64_e64 v[53:54], v[55:56], -v[53:54]
	s_delay_alu instid0(VALU_DEP_3) | instskip(NEXT) | instid1(VALU_DEP_2)
	v_fma_f64 v[55:56], v[61:62], s[28:29], v[59:60]
	v_add_f64_e32 v[51:52], v[51:52], v[53:54]
	s_delay_alu instid0(VALU_DEP_2) | instskip(NEXT) | instid1(VALU_DEP_2)
	v_add_f64_e32 v[53:54], v[69:70], v[55:56]
	v_add_f64_e32 v[59:60], v[57:58], v[51:52]
	s_delay_alu instid0(VALU_DEP_2) | instskip(NEXT) | instid1(VALU_DEP_2)
	v_add_f64_e64 v[69:70], v[53:54], -v[69:70]
	v_add_f64_e32 v[61:62], v[53:54], v[59:60]
	v_add_f64_e64 v[57:58], v[59:60], -v[57:58]
	s_delay_alu instid0(VALU_DEP_3) | instskip(NEXT) | instid1(VALU_DEP_3)
	v_add_f64_e64 v[55:56], v[55:56], -v[69:70]
	v_add_f64_e64 v[71:72], v[61:62], -v[53:54]
	s_delay_alu instid0(VALU_DEP_3) | instskip(NEXT) | instid1(VALU_DEP_2)
	v_add_f64_e64 v[51:52], v[51:52], -v[57:58]
	v_add_f64_e64 v[73:74], v[61:62], -v[71:72]
	;; [unrolled: 1-line block ×3, first 2 shown]
	s_delay_alu instid0(VALU_DEP_3) | instskip(NEXT) | instid1(VALU_DEP_3)
	v_add_f64_e32 v[59:60], v[55:56], v[51:52]
	v_add_f64_e64 v[53:54], v[53:54], -v[73:74]
	s_delay_alu instid0(VALU_DEP_1) | instskip(NEXT) | instid1(VALU_DEP_3)
	v_add_f64_e32 v[53:54], v[57:58], v[53:54]
	v_add_f64_e64 v[57:58], v[59:60], -v[55:56]
	s_delay_alu instid0(VALU_DEP_2) | instskip(NEXT) | instid1(VALU_DEP_2)
	v_add_f64_e32 v[53:54], v[59:60], v[53:54]
	v_add_f64_e64 v[59:60], v[59:60], -v[57:58]
	v_add_f64_e64 v[51:52], v[51:52], -v[57:58]
	s_delay_alu instid0(VALU_DEP_3) | instskip(NEXT) | instid1(VALU_DEP_3)
	v_add_f64_e32 v[69:70], v[61:62], v[53:54]
	v_add_f64_e64 v[55:56], v[55:56], -v[59:60]
	s_delay_alu instid0(VALU_DEP_2) | instskip(NEXT) | instid1(VALU_DEP_2)
	v_add_f64_e64 v[57:58], v[69:70], -v[61:62]
	v_add_f64_e32 v[51:52], v[51:52], v[55:56]
	s_delay_alu instid0(VALU_DEP_2) | instskip(NEXT) | instid1(VALU_DEP_1)
	v_add_f64_e64 v[53:54], v[53:54], -v[57:58]
	v_add_f64_e32 v[51:52], v[51:52], v[53:54]
	s_delay_alu instid0(VALU_DEP_1) | instskip(SKIP_1) | instid1(VALU_DEP_1)
	v_add_f64_e32 v[51:52], v[69:70], v[51:52]
	s_wait_alu 0xfffe
	v_cndmask_b32_e64 v51, 0, v51, s24
	v_cmp_neq_f64_e64 s24, -1.0, v[49:50]
	s_delay_alu instid0(VALU_DEP_3) | instskip(SKIP_1) | instid1(VALU_DEP_1)
	v_cndmask_b32_e64 v52, 0x7ff00000, v52, s25
	s_wait_alu 0xf1ff
	v_cndmask_b32_e64 v52, 0x7ff80000, v52, s26
	s_delay_alu instid0(VALU_DEP_1) | instskip(NEXT) | instid1(VALU_DEP_1)
	v_cndmask_b32_e64 v52, 0xfff00000, v52, s24
	v_add_f64_e32 v[69:70], v[47:48], v[51:52]
.LBB42_46:
	s_wait_alu 0xfffe
	s_or_b32 exec_lo, exec_lo, s30
	v_max_num_f64_e32 v[47:48], v[17:18], v[17:18]
	s_delay_alu instid0(VALU_DEP_2) | instskip(SKIP_2) | instid1(VALU_DEP_3)
	v_max_num_f64_e32 v[49:50], v[69:70], v[69:70]
	v_cmp_u_f64_e64 s25, v[69:70], v[69:70]
	v_cmp_u_f64_e64 s24, v[17:18], v[17:18]
	v_min_num_f64_e32 v[51:52], v[49:50], v[47:48]
	v_max_num_f64_e32 v[49:50], v[49:50], v[47:48]
	s_wait_alu 0xf1ff
	s_delay_alu instid0(VALU_DEP_2) | instskip(NEXT) | instid1(VALU_DEP_3)
	v_cndmask_b32_e64 v51, v51, v69, s25
	v_cndmask_b32_e64 v52, v52, v70, s25
	s_delay_alu instid0(VALU_DEP_3) | instskip(NEXT) | instid1(VALU_DEP_4)
	v_cndmask_b32_e64 v50, v50, v70, s25
	v_cndmask_b32_e64 v49, v49, v69, s25
	s_delay_alu instid0(VALU_DEP_4) | instskip(NEXT) | instid1(VALU_DEP_4)
	v_cndmask_b32_e64 v51, v51, v17, s24
	v_cndmask_b32_e64 v52, v52, v18, s24
	s_delay_alu instid0(VALU_DEP_4) | instskip(NEXT) | instid1(VALU_DEP_4)
	v_cndmask_b32_e64 v50, v50, v18, s24
	v_cndmask_b32_e64 v49, v49, v17, s24
	s_delay_alu instid0(VALU_DEP_3) | instskip(NEXT) | instid1(VALU_DEP_2)
	v_cmp_class_f64_e64 s26, v[51:52], 0x1f8
	v_cmp_neq_f64_e64 s25, v[51:52], v[49:50]
	s_or_b32 s25, s25, s26
	s_wait_alu 0xfffe
	s_and_saveexec_b32 s34, s25
	s_cbranch_execz .LBB42_48
; %bb.47:
	v_add_f64_e64 v[51:52], v[51:52], -v[49:50]
	s_mov_b32 s26, 0x652b82fe
	s_mov_b32 s27, 0x3ff71547
	;; [unrolled: 1-line block ×10, first 2 shown]
	s_wait_alu 0xfffe
	s_delay_alu instid0(VALU_DEP_1) | instskip(SKIP_3) | instid1(VALU_DEP_2)
	v_mul_f64_e32 v[53:54], s[26:27], v[51:52]
	s_mov_b32 s26, 0xfca7ab0c
	s_mov_b32 s27, 0x3e928af3
	v_cmp_nlt_f64_e64 s25, 0x40900000, v[51:52]
	v_rndne_f64_e32 v[53:54], v[53:54]
	s_delay_alu instid0(VALU_DEP_1) | instskip(SKIP_2) | instid1(VALU_DEP_2)
	v_fma_f64 v[55:56], v[53:54], s[28:29], v[51:52]
	v_cvt_i32_f64_e32 v59, v[53:54]
	s_mov_b32 s29, 0x3fe62e42
	v_fma_f64 v[55:56], v[53:54], s[30:31], v[55:56]
	s_mov_b32 s31, 0x3c7abc9e
	s_wait_alu 0xfffe
	s_delay_alu instid0(VALU_DEP_1)
	v_fma_f64 v[57:58], v[55:56], s[36:37], s[26:27]
	s_mov_b32 s26, 0x623fde64
	s_mov_b32 s27, 0x3ec71dee
	;; [unrolled: 1-line block ×4, first 2 shown]
	s_wait_alu 0xfffe
	s_delay_alu instid0(VALU_DEP_1) | instskip(SKIP_3) | instid1(VALU_DEP_1)
	v_fma_f64 v[57:58], v[55:56], v[57:58], s[26:27]
	s_mov_b32 s26, 0x7c89e6b0
	s_mov_b32 s27, 0x3efa0199
	s_wait_alu 0xfffe
	v_fma_f64 v[57:58], v[55:56], v[57:58], s[26:27]
	s_mov_b32 s26, 0x14761f6e
	s_mov_b32 s27, 0x3f2a01a0
	s_wait_alu 0xfffe
	s_delay_alu instid0(VALU_DEP_1) | instskip(SKIP_3) | instid1(VALU_DEP_1)
	v_fma_f64 v[57:58], v[55:56], v[57:58], s[26:27]
	s_mov_b32 s26, 0x1852b7b0
	s_mov_b32 s27, 0x3f56c16c
	s_wait_alu 0xfffe
	v_fma_f64 v[57:58], v[55:56], v[57:58], s[26:27]
	s_mov_b32 s26, 0x11122322
	s_mov_b32 s27, 0x3f811111
	;; [unrolled: 9-line block ×3, first 2 shown]
	s_wait_alu 0xfffe
	s_delay_alu instid0(VALU_DEP_1) | instskip(SKIP_3) | instid1(VALU_DEP_1)
	v_fma_f64 v[57:58], v[55:56], v[57:58], s[26:27]
	s_mov_b32 s26, 11
	s_mov_b32 s27, 0x3fe00000
	s_wait_alu 0xfffe
	v_fma_f64 v[57:58], v[55:56], v[57:58], s[26:27]
	v_cmp_ngt_f64_e64 s26, 0xc090cc00, v[51:52]
	s_mov_b32 s27, 0x3fe55555
	v_fma_f64 v[57:58], v[55:56], v[57:58], 1.0
	s_delay_alu instid0(VALU_DEP_1) | instskip(NEXT) | instid1(VALU_DEP_1)
	v_fma_f64 v[53:54], v[55:56], v[57:58], 1.0
	v_ldexp_f64 v[53:54], v[53:54], v59
	s_wait_alu 0xf1ff
	s_delay_alu instid0(VALU_DEP_1) | instskip(SKIP_2) | instid1(VALU_DEP_2)
	v_cndmask_b32_e64 v54, 0x7ff00000, v54, s25
	s_and_b32 s25, s26, s25
	s_wait_alu 0xfffe
	v_cndmask_b32_e64 v51, 0, v53, s25
	s_delay_alu instid0(VALU_DEP_2) | instskip(SKIP_1) | instid1(VALU_DEP_1)
	v_cndmask_b32_e64 v52, 0, v54, s26
	s_mov_b32 s26, 0x55555555
	v_add_f64_e32 v[53:54], 1.0, v[51:52]
	s_delay_alu instid0(VALU_DEP_1) | instskip(SKIP_3) | instid1(VALU_DEP_3)
	v_frexp_mant_f64_e32 v[55:56], v[53:54]
	v_frexp_exp_i32_f64_e32 v59, v[53:54]
	v_add_f64_e32 v[57:58], -1.0, v[53:54]
	s_wait_alu 0xfffe
	v_cmp_gt_f64_e64 s25, s[26:27], v[55:56]
	s_mov_b32 s26, 0x55555780
	v_add_f64_e64 v[55:56], v[57:58], -v[53:54]
	v_add_f64_e64 v[57:58], v[51:52], -v[57:58]
	s_wait_alu 0xf1ff
	v_subrev_co_ci_u32_e64 v100, null, 0, v59, s25
	s_delay_alu instid0(VALU_DEP_3) | instskip(SKIP_1) | instid1(VALU_DEP_3)
	v_add_f64_e32 v[55:56], 1.0, v[55:56]
	v_cmp_nge_f64_e64 s25, -1.0, v[51:52]
	v_sub_nc_u32_e32 v61, 0, v100
	s_delay_alu instid0(VALU_DEP_1) | instskip(NEXT) | instid1(VALU_DEP_4)
	v_ldexp_f64 v[53:54], v[53:54], v61
	v_add_f64_e32 v[55:56], v[57:58], v[55:56]
	s_delay_alu instid0(VALU_DEP_2) | instskip(SKIP_1) | instid1(VALU_DEP_3)
	v_add_f64_e32 v[59:60], 1.0, v[53:54]
	v_add_f64_e32 v[71:72], -1.0, v[53:54]
	v_ldexp_f64 v[55:56], v[55:56], v61
	s_delay_alu instid0(VALU_DEP_3) | instskip(NEXT) | instid1(VALU_DEP_3)
	v_add_f64_e32 v[57:58], -1.0, v[59:60]
	v_add_f64_e32 v[73:74], 1.0, v[71:72]
	s_delay_alu instid0(VALU_DEP_2) | instskip(NEXT) | instid1(VALU_DEP_2)
	v_add_f64_e64 v[57:58], v[53:54], -v[57:58]
	v_add_f64_e64 v[53:54], v[53:54], -v[73:74]
	s_delay_alu instid0(VALU_DEP_2) | instskip(NEXT) | instid1(VALU_DEP_2)
	v_add_f64_e32 v[57:58], v[55:56], v[57:58]
	v_add_f64_e32 v[53:54], v[55:56], v[53:54]
	s_delay_alu instid0(VALU_DEP_2) | instskip(NEXT) | instid1(VALU_DEP_2)
	v_add_f64_e32 v[61:62], v[59:60], v[57:58]
	v_add_f64_e32 v[73:74], v[71:72], v[53:54]
	s_delay_alu instid0(VALU_DEP_2) | instskip(SKIP_1) | instid1(VALU_DEP_2)
	v_rcp_f64_e32 v[69:70], v[61:62]
	v_add_f64_e64 v[59:60], v[61:62], -v[59:60]
	v_add_f64_e64 v[71:72], v[73:74], -v[71:72]
	s_delay_alu instid0(VALU_DEP_2) | instskip(NEXT) | instid1(TRANS32_DEP_1)
	v_add_f64_e64 v[57:58], v[57:58], -v[59:60]
	v_fma_f64 v[75:76], -v[61:62], v[69:70], 1.0
	s_delay_alu instid0(VALU_DEP_3) | instskip(NEXT) | instid1(VALU_DEP_2)
	v_add_f64_e64 v[53:54], v[53:54], -v[71:72]
	v_fma_f64 v[69:70], v[75:76], v[69:70], v[69:70]
	s_delay_alu instid0(VALU_DEP_1) | instskip(NEXT) | instid1(VALU_DEP_1)
	v_fma_f64 v[55:56], -v[61:62], v[69:70], 1.0
	v_fma_f64 v[55:56], v[55:56], v[69:70], v[69:70]
	s_delay_alu instid0(VALU_DEP_1) | instskip(NEXT) | instid1(VALU_DEP_1)
	v_mul_f64_e32 v[69:70], v[73:74], v[55:56]
	v_mul_f64_e32 v[75:76], v[61:62], v[69:70]
	s_delay_alu instid0(VALU_DEP_1) | instskip(NEXT) | instid1(VALU_DEP_1)
	v_fma_f64 v[59:60], v[69:70], v[61:62], -v[75:76]
	v_fma_f64 v[59:60], v[69:70], v[57:58], v[59:60]
	s_delay_alu instid0(VALU_DEP_1) | instskip(NEXT) | instid1(VALU_DEP_1)
	v_add_f64_e32 v[96:97], v[75:76], v[59:60]
	v_add_f64_e64 v[98:99], v[73:74], -v[96:97]
	v_add_f64_e64 v[71:72], v[96:97], -v[75:76]
	s_delay_alu instid0(VALU_DEP_2) | instskip(NEXT) | instid1(VALU_DEP_2)
	v_add_f64_e64 v[73:74], v[73:74], -v[98:99]
	v_add_f64_e64 v[59:60], v[71:72], -v[59:60]
	s_delay_alu instid0(VALU_DEP_2) | instskip(NEXT) | instid1(VALU_DEP_1)
	v_add_f64_e64 v[73:74], v[73:74], -v[96:97]
	v_add_f64_e32 v[53:54], v[53:54], v[73:74]
	s_delay_alu instid0(VALU_DEP_1) | instskip(NEXT) | instid1(VALU_DEP_1)
	v_add_f64_e32 v[53:54], v[59:60], v[53:54]
	v_add_f64_e32 v[59:60], v[98:99], v[53:54]
	s_delay_alu instid0(VALU_DEP_1) | instskip(SKIP_1) | instid1(VALU_DEP_2)
	v_mul_f64_e32 v[71:72], v[55:56], v[59:60]
	v_add_f64_e64 v[96:97], v[98:99], -v[59:60]
	v_mul_f64_e32 v[73:74], v[61:62], v[71:72]
	s_delay_alu instid0(VALU_DEP_2) | instskip(NEXT) | instid1(VALU_DEP_2)
	v_add_f64_e32 v[53:54], v[53:54], v[96:97]
	v_fma_f64 v[61:62], v[71:72], v[61:62], -v[73:74]
	s_delay_alu instid0(VALU_DEP_1) | instskip(NEXT) | instid1(VALU_DEP_1)
	v_fma_f64 v[57:58], v[71:72], v[57:58], v[61:62]
	v_add_f64_e32 v[61:62], v[73:74], v[57:58]
	s_delay_alu instid0(VALU_DEP_1) | instskip(SKIP_1) | instid1(VALU_DEP_2)
	v_add_f64_e64 v[75:76], v[59:60], -v[61:62]
	v_add_f64_e64 v[73:74], v[61:62], -v[73:74]
	;; [unrolled: 1-line block ×3, first 2 shown]
	s_delay_alu instid0(VALU_DEP_2) | instskip(NEXT) | instid1(VALU_DEP_2)
	v_add_f64_e64 v[57:58], v[73:74], -v[57:58]
	v_add_f64_e64 v[59:60], v[59:60], -v[61:62]
	s_delay_alu instid0(VALU_DEP_1) | instskip(SKIP_1) | instid1(VALU_DEP_2)
	v_add_f64_e32 v[53:54], v[53:54], v[59:60]
	v_add_f64_e32 v[59:60], v[69:70], v[71:72]
	;; [unrolled: 1-line block ×3, first 2 shown]
	s_delay_alu instid0(VALU_DEP_2) | instskip(NEXT) | instid1(VALU_DEP_2)
	v_add_f64_e64 v[57:58], v[59:60], -v[69:70]
	v_add_f64_e32 v[53:54], v[75:76], v[53:54]
	s_delay_alu instid0(VALU_DEP_2) | instskip(NEXT) | instid1(VALU_DEP_2)
	v_add_f64_e64 v[57:58], v[71:72], -v[57:58]
	v_mul_f64_e32 v[53:54], v[55:56], v[53:54]
	s_delay_alu instid0(VALU_DEP_1) | instskip(NEXT) | instid1(VALU_DEP_1)
	v_add_f64_e32 v[53:54], v[57:58], v[53:54]
	v_add_f64_e32 v[55:56], v[59:60], v[53:54]
	s_delay_alu instid0(VALU_DEP_1) | instskip(NEXT) | instid1(VALU_DEP_1)
	v_mul_f64_e32 v[57:58], v[55:56], v[55:56]
	v_fma_f64 v[61:62], v[57:58], s[38:39], s[36:37]
	s_mov_b32 s36, 0xd7f4df2e
	s_mov_b32 s37, 0x3fc7474d
	v_mul_f64_e32 v[69:70], v[55:56], v[57:58]
	s_wait_alu 0xfffe
	s_delay_alu instid0(VALU_DEP_2) | instskip(SKIP_3) | instid1(VALU_DEP_1)
	v_fma_f64 v[61:62], v[57:58], v[61:62], s[36:37]
	s_mov_b32 s36, 0x16291751
	s_mov_b32 s37, 0x3fcc71c0
	s_wait_alu 0xfffe
	v_fma_f64 v[61:62], v[57:58], v[61:62], s[36:37]
	s_mov_b32 s36, 0x9b27acf1
	s_mov_b32 s37, 0x3fd24924
	s_wait_alu 0xfffe
	s_delay_alu instid0(VALU_DEP_1) | instskip(SKIP_3) | instid1(VALU_DEP_1)
	v_fma_f64 v[61:62], v[57:58], v[61:62], s[36:37]
	s_mov_b32 s36, 0x998ef7b6
	s_mov_b32 s37, 0x3fd99999
	s_wait_alu 0xfffe
	v_fma_f64 v[61:62], v[57:58], v[61:62], s[36:37]
	s_delay_alu instid0(VALU_DEP_1)
	v_fma_f64 v[57:58], v[57:58], v[61:62], s[26:27]
	v_ldexp_f64 v[61:62], v[55:56], 1
	v_add_f64_e64 v[55:56], v[55:56], -v[59:60]
	v_cmp_neq_f64_e64 s26, 0x7ff00000, v[51:52]
	v_cmp_ngt_f64_e64 s27, -1.0, v[51:52]
	v_mul_f64_e32 v[57:58], v[69:70], v[57:58]
	v_cvt_f64_i32_e32 v[69:70], v100
	v_add_f64_e64 v[53:54], v[53:54], -v[55:56]
	s_and_b32 s25, s25, s26
	s_delay_alu instid0(VALU_DEP_3) | instskip(NEXT) | instid1(VALU_DEP_3)
	v_add_f64_e32 v[59:60], v[61:62], v[57:58]
	v_mul_f64_e32 v[71:72], s[28:29], v[69:70]
	s_delay_alu instid0(VALU_DEP_3) | instskip(NEXT) | instid1(VALU_DEP_3)
	v_ldexp_f64 v[53:54], v[53:54], 1
	v_add_f64_e64 v[55:56], v[59:60], -v[61:62]
	s_delay_alu instid0(VALU_DEP_3) | instskip(NEXT) | instid1(VALU_DEP_2)
	v_fma_f64 v[61:62], v[69:70], s[28:29], -v[71:72]
	v_add_f64_e64 v[55:56], v[57:58], -v[55:56]
	s_delay_alu instid0(VALU_DEP_2) | instskip(NEXT) | instid1(VALU_DEP_2)
	v_fma_f64 v[57:58], v[69:70], s[30:31], v[61:62]
	v_add_f64_e32 v[53:54], v[53:54], v[55:56]
	s_delay_alu instid0(VALU_DEP_2) | instskip(NEXT) | instid1(VALU_DEP_2)
	v_add_f64_e32 v[55:56], v[71:72], v[57:58]
	v_add_f64_e32 v[61:62], v[59:60], v[53:54]
	s_delay_alu instid0(VALU_DEP_2) | instskip(NEXT) | instid1(VALU_DEP_2)
	v_add_f64_e64 v[71:72], v[55:56], -v[71:72]
	v_add_f64_e32 v[69:70], v[55:56], v[61:62]
	v_add_f64_e64 v[59:60], v[61:62], -v[59:60]
	s_delay_alu instid0(VALU_DEP_3) | instskip(NEXT) | instid1(VALU_DEP_3)
	v_add_f64_e64 v[57:58], v[57:58], -v[71:72]
	v_add_f64_e64 v[73:74], v[69:70], -v[55:56]
	s_delay_alu instid0(VALU_DEP_3) | instskip(NEXT) | instid1(VALU_DEP_2)
	v_add_f64_e64 v[53:54], v[53:54], -v[59:60]
	v_add_f64_e64 v[75:76], v[69:70], -v[73:74]
	;; [unrolled: 1-line block ×3, first 2 shown]
	s_delay_alu instid0(VALU_DEP_3) | instskip(NEXT) | instid1(VALU_DEP_3)
	v_add_f64_e32 v[61:62], v[57:58], v[53:54]
	v_add_f64_e64 v[55:56], v[55:56], -v[75:76]
	s_delay_alu instid0(VALU_DEP_1) | instskip(NEXT) | instid1(VALU_DEP_3)
	v_add_f64_e32 v[55:56], v[59:60], v[55:56]
	v_add_f64_e64 v[59:60], v[61:62], -v[57:58]
	s_delay_alu instid0(VALU_DEP_2) | instskip(NEXT) | instid1(VALU_DEP_2)
	v_add_f64_e32 v[55:56], v[61:62], v[55:56]
	v_add_f64_e64 v[61:62], v[61:62], -v[59:60]
	v_add_f64_e64 v[53:54], v[53:54], -v[59:60]
	s_delay_alu instid0(VALU_DEP_3) | instskip(NEXT) | instid1(VALU_DEP_3)
	v_add_f64_e32 v[71:72], v[69:70], v[55:56]
	v_add_f64_e64 v[57:58], v[57:58], -v[61:62]
	s_delay_alu instid0(VALU_DEP_2) | instskip(NEXT) | instid1(VALU_DEP_2)
	v_add_f64_e64 v[59:60], v[71:72], -v[69:70]
	v_add_f64_e32 v[53:54], v[53:54], v[57:58]
	s_delay_alu instid0(VALU_DEP_2) | instskip(NEXT) | instid1(VALU_DEP_1)
	v_add_f64_e64 v[55:56], v[55:56], -v[59:60]
	v_add_f64_e32 v[53:54], v[53:54], v[55:56]
	s_delay_alu instid0(VALU_DEP_1) | instskip(SKIP_1) | instid1(VALU_DEP_1)
	v_add_f64_e32 v[53:54], v[71:72], v[53:54]
	s_wait_alu 0xfffe
	v_cndmask_b32_e64 v53, 0, v53, s25
	v_cmp_neq_f64_e64 s25, -1.0, v[51:52]
	s_delay_alu instid0(VALU_DEP_3) | instskip(NEXT) | instid1(VALU_DEP_1)
	v_cndmask_b32_e64 v54, 0x7ff00000, v54, s26
	v_cndmask_b32_e64 v54, 0x7ff80000, v54, s27
	s_wait_alu 0xf1ff
	s_delay_alu instid0(VALU_DEP_1) | instskip(NEXT) | instid1(VALU_DEP_1)
	v_cndmask_b32_e64 v54, 0xfff00000, v54, s25
	v_add_f64_e32 v[69:70], v[49:50], v[53:54]
.LBB42_48:
	s_wait_alu 0xfffe
	s_or_b32 exec_lo, exec_lo, s34
	v_max_num_f64_e32 v[49:50], v[19:20], v[19:20]
	s_delay_alu instid0(VALU_DEP_2) | instskip(SKIP_2) | instid1(VALU_DEP_3)
	v_max_num_f64_e32 v[51:52], v[69:70], v[69:70]
	v_cmp_u_f64_e64 s26, v[69:70], v[69:70]
	v_cmp_u_f64_e64 s25, v[19:20], v[19:20]
	v_min_num_f64_e32 v[53:54], v[51:52], v[49:50]
	v_max_num_f64_e32 v[51:52], v[51:52], v[49:50]
	s_wait_alu 0xf1ff
	s_delay_alu instid0(VALU_DEP_2) | instskip(NEXT) | instid1(VALU_DEP_3)
	v_cndmask_b32_e64 v53, v53, v69, s26
	v_cndmask_b32_e64 v54, v54, v70, s26
	s_delay_alu instid0(VALU_DEP_3) | instskip(NEXT) | instid1(VALU_DEP_4)
	v_cndmask_b32_e64 v52, v52, v70, s26
	v_cndmask_b32_e64 v51, v51, v69, s26
	s_delay_alu instid0(VALU_DEP_4) | instskip(NEXT) | instid1(VALU_DEP_4)
	v_cndmask_b32_e64 v53, v53, v19, s25
	v_cndmask_b32_e64 v54, v54, v20, s25
	s_delay_alu instid0(VALU_DEP_4) | instskip(NEXT) | instid1(VALU_DEP_4)
	v_cndmask_b32_e64 v52, v52, v20, s25
	v_cndmask_b32_e64 v51, v51, v19, s25
	s_delay_alu instid0(VALU_DEP_3) | instskip(NEXT) | instid1(VALU_DEP_2)
	v_cmp_class_f64_e64 s27, v[53:54], 0x1f8
	v_cmp_neq_f64_e64 s26, v[53:54], v[51:52]
	s_or_b32 s26, s26, s27
	s_wait_alu 0xfffe
	s_and_saveexec_b32 s34, s26
	s_cbranch_execz .LBB42_50
; %bb.49:
	v_add_f64_e64 v[53:54], v[53:54], -v[51:52]
	s_mov_b32 s26, 0x652b82fe
	s_mov_b32 s27, 0x3ff71547
	;; [unrolled: 1-line block ×10, first 2 shown]
	s_wait_alu 0xfffe
	s_delay_alu instid0(VALU_DEP_1) | instskip(SKIP_2) | instid1(VALU_DEP_1)
	v_mul_f64_e32 v[55:56], s[26:27], v[53:54]
	s_mov_b32 s26, 0xfca7ab0c
	s_mov_b32 s27, 0x3e928af3
	v_rndne_f64_e32 v[55:56], v[55:56]
	s_delay_alu instid0(VALU_DEP_1) | instskip(SKIP_2) | instid1(VALU_DEP_2)
	v_fma_f64 v[57:58], v[55:56], s[28:29], v[53:54]
	v_cvt_i32_f64_e32 v61, v[55:56]
	s_mov_b32 s29, 0x3fe62e42
	v_fma_f64 v[57:58], v[55:56], s[30:31], v[57:58]
	s_mov_b32 s31, 0x3c7abc9e
	s_wait_alu 0xfffe
	s_delay_alu instid0(VALU_DEP_1)
	v_fma_f64 v[59:60], v[57:58], s[36:37], s[26:27]
	s_mov_b32 s26, 0x623fde64
	s_mov_b32 s27, 0x3ec71dee
	;; [unrolled: 1-line block ×4, first 2 shown]
	s_wait_alu 0xfffe
	s_delay_alu instid0(VALU_DEP_1) | instskip(SKIP_3) | instid1(VALU_DEP_1)
	v_fma_f64 v[59:60], v[57:58], v[59:60], s[26:27]
	s_mov_b32 s26, 0x7c89e6b0
	s_mov_b32 s27, 0x3efa0199
	s_wait_alu 0xfffe
	v_fma_f64 v[59:60], v[57:58], v[59:60], s[26:27]
	s_mov_b32 s26, 0x14761f6e
	s_mov_b32 s27, 0x3f2a01a0
	s_wait_alu 0xfffe
	s_delay_alu instid0(VALU_DEP_1) | instskip(SKIP_3) | instid1(VALU_DEP_1)
	v_fma_f64 v[59:60], v[57:58], v[59:60], s[26:27]
	s_mov_b32 s26, 0x1852b7b0
	s_mov_b32 s27, 0x3f56c16c
	s_wait_alu 0xfffe
	v_fma_f64 v[59:60], v[57:58], v[59:60], s[26:27]
	s_mov_b32 s26, 0x11122322
	s_mov_b32 s27, 0x3f811111
	;; [unrolled: 9-line block ×3, first 2 shown]
	s_wait_alu 0xfffe
	s_delay_alu instid0(VALU_DEP_1) | instskip(SKIP_3) | instid1(VALU_DEP_1)
	v_fma_f64 v[59:60], v[57:58], v[59:60], s[26:27]
	s_mov_b32 s26, 11
	s_mov_b32 s27, 0x3fe00000
	s_wait_alu 0xfffe
	v_fma_f64 v[59:60], v[57:58], v[59:60], s[26:27]
	v_cmp_nlt_f64_e64 s26, 0x40900000, v[53:54]
	v_cmp_ngt_f64_e64 s27, 0xc090cc00, v[53:54]
	s_delay_alu instid0(VALU_DEP_3) | instskip(NEXT) | instid1(VALU_DEP_1)
	v_fma_f64 v[59:60], v[57:58], v[59:60], 1.0
	v_fma_f64 v[55:56], v[57:58], v[59:60], 1.0
	s_delay_alu instid0(VALU_DEP_1) | instskip(SKIP_1) | instid1(VALU_DEP_1)
	v_ldexp_f64 v[55:56], v[55:56], v61
	s_wait_alu 0xf1ff
	v_cndmask_b32_e64 v56, 0x7ff00000, v56, s26
	s_and_b32 s26, s27, s26
	s_wait_alu 0xfffe
	s_delay_alu instid0(VALU_DEP_2) | instskip(SKIP_3) | instid1(VALU_DEP_1)
	v_cndmask_b32_e64 v53, 0, v55, s26
	s_mov_b32 s26, 0x55555555
	v_cndmask_b32_e64 v54, 0, v56, s27
	s_mov_b32 s27, 0x3fe55555
	v_add_f64_e32 v[55:56], 1.0, v[53:54]
	s_delay_alu instid0(VALU_DEP_1) | instskip(SKIP_3) | instid1(VALU_DEP_3)
	v_frexp_mant_f64_e32 v[57:58], v[55:56]
	v_frexp_exp_i32_f64_e32 v61, v[55:56]
	v_add_f64_e32 v[59:60], -1.0, v[55:56]
	s_wait_alu 0xfffe
	v_cmp_gt_f64_e64 s26, s[26:27], v[57:58]
	s_delay_alu instid0(VALU_DEP_2) | instskip(SKIP_2) | instid1(VALU_DEP_3)
	v_add_f64_e64 v[57:58], v[59:60], -v[55:56]
	v_add_f64_e64 v[59:60], v[53:54], -v[59:60]
	s_wait_alu 0xf1ff
	v_subrev_co_ci_u32_e64 v102, null, 0, v61, s26
	s_delay_alu instid0(VALU_DEP_3) | instskip(SKIP_1) | instid1(VALU_DEP_2)
	v_add_f64_e32 v[57:58], 1.0, v[57:58]
	s_mov_b32 s26, 0x55555780
	v_sub_nc_u32_e32 v69, 0, v102
	s_delay_alu instid0(VALU_DEP_1) | instskip(NEXT) | instid1(VALU_DEP_3)
	v_ldexp_f64 v[55:56], v[55:56], v69
	v_add_f64_e32 v[57:58], v[59:60], v[57:58]
	s_delay_alu instid0(VALU_DEP_2) | instskip(SKIP_1) | instid1(VALU_DEP_3)
	v_add_f64_e32 v[61:62], 1.0, v[55:56]
	v_add_f64_e32 v[73:74], -1.0, v[55:56]
	v_ldexp_f64 v[57:58], v[57:58], v69
	s_delay_alu instid0(VALU_DEP_3) | instskip(NEXT) | instid1(VALU_DEP_3)
	v_add_f64_e32 v[59:60], -1.0, v[61:62]
	v_add_f64_e32 v[75:76], 1.0, v[73:74]
	s_delay_alu instid0(VALU_DEP_2) | instskip(NEXT) | instid1(VALU_DEP_2)
	v_add_f64_e64 v[59:60], v[55:56], -v[59:60]
	v_add_f64_e64 v[55:56], v[55:56], -v[75:76]
	s_delay_alu instid0(VALU_DEP_2) | instskip(NEXT) | instid1(VALU_DEP_2)
	v_add_f64_e32 v[59:60], v[57:58], v[59:60]
	v_add_f64_e32 v[55:56], v[57:58], v[55:56]
	s_delay_alu instid0(VALU_DEP_2) | instskip(NEXT) | instid1(VALU_DEP_2)
	v_add_f64_e32 v[69:70], v[61:62], v[59:60]
	v_add_f64_e32 v[75:76], v[73:74], v[55:56]
	s_delay_alu instid0(VALU_DEP_2) | instskip(SKIP_1) | instid1(VALU_DEP_2)
	v_rcp_f64_e32 v[71:72], v[69:70]
	v_add_f64_e64 v[61:62], v[69:70], -v[61:62]
	v_add_f64_e64 v[73:74], v[75:76], -v[73:74]
	s_delay_alu instid0(VALU_DEP_2) | instskip(NEXT) | instid1(TRANS32_DEP_1)
	v_add_f64_e64 v[59:60], v[59:60], -v[61:62]
	v_fma_f64 v[96:97], -v[69:70], v[71:72], 1.0
	s_delay_alu instid0(VALU_DEP_3) | instskip(NEXT) | instid1(VALU_DEP_2)
	v_add_f64_e64 v[55:56], v[55:56], -v[73:74]
	v_fma_f64 v[71:72], v[96:97], v[71:72], v[71:72]
	s_delay_alu instid0(VALU_DEP_1) | instskip(NEXT) | instid1(VALU_DEP_1)
	v_fma_f64 v[57:58], -v[69:70], v[71:72], 1.0
	v_fma_f64 v[57:58], v[57:58], v[71:72], v[71:72]
	s_delay_alu instid0(VALU_DEP_1) | instskip(NEXT) | instid1(VALU_DEP_1)
	v_mul_f64_e32 v[71:72], v[75:76], v[57:58]
	v_mul_f64_e32 v[96:97], v[69:70], v[71:72]
	s_delay_alu instid0(VALU_DEP_1) | instskip(NEXT) | instid1(VALU_DEP_1)
	v_fma_f64 v[61:62], v[71:72], v[69:70], -v[96:97]
	v_fma_f64 v[61:62], v[71:72], v[59:60], v[61:62]
	s_delay_alu instid0(VALU_DEP_1) | instskip(NEXT) | instid1(VALU_DEP_1)
	v_add_f64_e32 v[98:99], v[96:97], v[61:62]
	v_add_f64_e64 v[100:101], v[75:76], -v[98:99]
	v_add_f64_e64 v[73:74], v[98:99], -v[96:97]
	s_delay_alu instid0(VALU_DEP_2) | instskip(NEXT) | instid1(VALU_DEP_2)
	v_add_f64_e64 v[75:76], v[75:76], -v[100:101]
	v_add_f64_e64 v[61:62], v[73:74], -v[61:62]
	s_delay_alu instid0(VALU_DEP_2) | instskip(NEXT) | instid1(VALU_DEP_1)
	v_add_f64_e64 v[75:76], v[75:76], -v[98:99]
	v_add_f64_e32 v[55:56], v[55:56], v[75:76]
	s_delay_alu instid0(VALU_DEP_1) | instskip(NEXT) | instid1(VALU_DEP_1)
	v_add_f64_e32 v[55:56], v[61:62], v[55:56]
	v_add_f64_e32 v[61:62], v[100:101], v[55:56]
	s_delay_alu instid0(VALU_DEP_1) | instskip(SKIP_1) | instid1(VALU_DEP_2)
	v_mul_f64_e32 v[73:74], v[57:58], v[61:62]
	v_add_f64_e64 v[98:99], v[100:101], -v[61:62]
	v_mul_f64_e32 v[75:76], v[69:70], v[73:74]
	s_delay_alu instid0(VALU_DEP_2) | instskip(NEXT) | instid1(VALU_DEP_2)
	v_add_f64_e32 v[55:56], v[55:56], v[98:99]
	v_fma_f64 v[69:70], v[73:74], v[69:70], -v[75:76]
	s_delay_alu instid0(VALU_DEP_1) | instskip(NEXT) | instid1(VALU_DEP_1)
	v_fma_f64 v[59:60], v[73:74], v[59:60], v[69:70]
	v_add_f64_e32 v[69:70], v[75:76], v[59:60]
	s_delay_alu instid0(VALU_DEP_1) | instskip(SKIP_1) | instid1(VALU_DEP_2)
	v_add_f64_e64 v[96:97], v[61:62], -v[69:70]
	v_add_f64_e64 v[75:76], v[69:70], -v[75:76]
	;; [unrolled: 1-line block ×3, first 2 shown]
	s_delay_alu instid0(VALU_DEP_2) | instskip(NEXT) | instid1(VALU_DEP_2)
	v_add_f64_e64 v[59:60], v[75:76], -v[59:60]
	v_add_f64_e64 v[61:62], v[61:62], -v[69:70]
	s_delay_alu instid0(VALU_DEP_1) | instskip(SKIP_1) | instid1(VALU_DEP_2)
	v_add_f64_e32 v[55:56], v[55:56], v[61:62]
	v_add_f64_e32 v[61:62], v[71:72], v[73:74]
	;; [unrolled: 1-line block ×3, first 2 shown]
	s_delay_alu instid0(VALU_DEP_2) | instskip(NEXT) | instid1(VALU_DEP_2)
	v_add_f64_e64 v[59:60], v[61:62], -v[71:72]
	v_add_f64_e32 v[55:56], v[96:97], v[55:56]
	s_delay_alu instid0(VALU_DEP_2) | instskip(NEXT) | instid1(VALU_DEP_2)
	v_add_f64_e64 v[59:60], v[73:74], -v[59:60]
	v_mul_f64_e32 v[55:56], v[57:58], v[55:56]
	s_delay_alu instid0(VALU_DEP_1) | instskip(NEXT) | instid1(VALU_DEP_1)
	v_add_f64_e32 v[55:56], v[59:60], v[55:56]
	v_add_f64_e32 v[57:58], v[61:62], v[55:56]
	s_delay_alu instid0(VALU_DEP_1) | instskip(NEXT) | instid1(VALU_DEP_1)
	v_mul_f64_e32 v[59:60], v[57:58], v[57:58]
	v_fma_f64 v[69:70], v[59:60], s[38:39], s[36:37]
	s_mov_b32 s36, 0xd7f4df2e
	s_mov_b32 s37, 0x3fc7474d
	v_mul_f64_e32 v[71:72], v[57:58], v[59:60]
	s_wait_alu 0xfffe
	s_delay_alu instid0(VALU_DEP_2) | instskip(SKIP_3) | instid1(VALU_DEP_1)
	v_fma_f64 v[69:70], v[59:60], v[69:70], s[36:37]
	s_mov_b32 s36, 0x16291751
	s_mov_b32 s37, 0x3fcc71c0
	s_wait_alu 0xfffe
	v_fma_f64 v[69:70], v[59:60], v[69:70], s[36:37]
	s_mov_b32 s36, 0x9b27acf1
	s_mov_b32 s37, 0x3fd24924
	s_wait_alu 0xfffe
	s_delay_alu instid0(VALU_DEP_1) | instskip(SKIP_3) | instid1(VALU_DEP_1)
	v_fma_f64 v[69:70], v[59:60], v[69:70], s[36:37]
	s_mov_b32 s36, 0x998ef7b6
	s_mov_b32 s37, 0x3fd99999
	s_wait_alu 0xfffe
	v_fma_f64 v[69:70], v[59:60], v[69:70], s[36:37]
	s_delay_alu instid0(VALU_DEP_1)
	v_fma_f64 v[59:60], v[59:60], v[69:70], s[26:27]
	v_ldexp_f64 v[69:70], v[57:58], 1
	v_add_f64_e64 v[57:58], v[57:58], -v[61:62]
	v_cmp_nge_f64_e64 s26, -1.0, v[53:54]
	v_cmp_neq_f64_e64 s27, 0x7ff00000, v[53:54]
	v_mul_f64_e32 v[59:60], v[71:72], v[59:60]
	v_cvt_f64_i32_e32 v[71:72], v102
	v_add_f64_e64 v[55:56], v[55:56], -v[57:58]
	s_and_b32 s26, s26, s27
	s_delay_alu instid0(VALU_DEP_3) | instskip(NEXT) | instid1(VALU_DEP_3)
	v_add_f64_e32 v[61:62], v[69:70], v[59:60]
	v_mul_f64_e32 v[73:74], s[28:29], v[71:72]
	s_delay_alu instid0(VALU_DEP_3) | instskip(NEXT) | instid1(VALU_DEP_3)
	v_ldexp_f64 v[55:56], v[55:56], 1
	v_add_f64_e64 v[57:58], v[61:62], -v[69:70]
	s_delay_alu instid0(VALU_DEP_3) | instskip(SKIP_1) | instid1(VALU_DEP_3)
	v_fma_f64 v[69:70], v[71:72], s[28:29], -v[73:74]
	v_cmp_ngt_f64_e64 s28, -1.0, v[53:54]
	v_add_f64_e64 v[57:58], v[59:60], -v[57:58]
	s_delay_alu instid0(VALU_DEP_3) | instskip(NEXT) | instid1(VALU_DEP_2)
	v_fma_f64 v[59:60], v[71:72], s[30:31], v[69:70]
	v_add_f64_e32 v[55:56], v[55:56], v[57:58]
	s_delay_alu instid0(VALU_DEP_2) | instskip(NEXT) | instid1(VALU_DEP_2)
	v_add_f64_e32 v[57:58], v[73:74], v[59:60]
	v_add_f64_e32 v[69:70], v[61:62], v[55:56]
	s_delay_alu instid0(VALU_DEP_2) | instskip(NEXT) | instid1(VALU_DEP_2)
	v_add_f64_e64 v[73:74], v[57:58], -v[73:74]
	v_add_f64_e32 v[71:72], v[57:58], v[69:70]
	v_add_f64_e64 v[61:62], v[69:70], -v[61:62]
	s_delay_alu instid0(VALU_DEP_3) | instskip(NEXT) | instid1(VALU_DEP_3)
	v_add_f64_e64 v[59:60], v[59:60], -v[73:74]
	v_add_f64_e64 v[75:76], v[71:72], -v[57:58]
	s_delay_alu instid0(VALU_DEP_3) | instskip(NEXT) | instid1(VALU_DEP_2)
	v_add_f64_e64 v[55:56], v[55:56], -v[61:62]
	v_add_f64_e64 v[96:97], v[71:72], -v[75:76]
	;; [unrolled: 1-line block ×3, first 2 shown]
	s_delay_alu instid0(VALU_DEP_3) | instskip(NEXT) | instid1(VALU_DEP_3)
	v_add_f64_e32 v[69:70], v[59:60], v[55:56]
	v_add_f64_e64 v[57:58], v[57:58], -v[96:97]
	s_delay_alu instid0(VALU_DEP_1) | instskip(NEXT) | instid1(VALU_DEP_3)
	v_add_f64_e32 v[57:58], v[61:62], v[57:58]
	v_add_f64_e64 v[61:62], v[69:70], -v[59:60]
	s_delay_alu instid0(VALU_DEP_2) | instskip(NEXT) | instid1(VALU_DEP_2)
	v_add_f64_e32 v[57:58], v[69:70], v[57:58]
	v_add_f64_e64 v[69:70], v[69:70], -v[61:62]
	v_add_f64_e64 v[55:56], v[55:56], -v[61:62]
	s_delay_alu instid0(VALU_DEP_3) | instskip(NEXT) | instid1(VALU_DEP_3)
	v_add_f64_e32 v[73:74], v[71:72], v[57:58]
	v_add_f64_e64 v[59:60], v[59:60], -v[69:70]
	s_delay_alu instid0(VALU_DEP_2) | instskip(NEXT) | instid1(VALU_DEP_2)
	v_add_f64_e64 v[61:62], v[73:74], -v[71:72]
	v_add_f64_e32 v[55:56], v[55:56], v[59:60]
	s_delay_alu instid0(VALU_DEP_2) | instskip(NEXT) | instid1(VALU_DEP_1)
	v_add_f64_e64 v[57:58], v[57:58], -v[61:62]
	v_add_f64_e32 v[55:56], v[55:56], v[57:58]
	s_delay_alu instid0(VALU_DEP_1) | instskip(SKIP_1) | instid1(VALU_DEP_1)
	v_add_f64_e32 v[55:56], v[73:74], v[55:56]
	s_wait_alu 0xfffe
	v_cndmask_b32_e64 v55, 0, v55, s26
	v_cmp_neq_f64_e64 s26, -1.0, v[53:54]
	s_delay_alu instid0(VALU_DEP_3) | instskip(SKIP_1) | instid1(VALU_DEP_1)
	v_cndmask_b32_e64 v56, 0x7ff00000, v56, s27
	s_wait_alu 0xf1ff
	v_cndmask_b32_e64 v56, 0x7ff80000, v56, s28
	s_delay_alu instid0(VALU_DEP_1) | instskip(NEXT) | instid1(VALU_DEP_1)
	v_cndmask_b32_e64 v56, 0xfff00000, v56, s26
	v_add_f64_e32 v[69:70], v[51:52], v[55:56]
.LBB42_50:
	s_wait_alu 0xfffe
	s_or_b32 exec_lo, exec_lo, s34
	v_max_num_f64_e32 v[51:52], v[13:14], v[13:14]
	s_delay_alu instid0(VALU_DEP_2) | instskip(SKIP_2) | instid1(VALU_DEP_3)
	v_max_num_f64_e32 v[53:54], v[69:70], v[69:70]
	v_cmp_u_f64_e64 s27, v[69:70], v[69:70]
	v_cmp_u_f64_e64 s26, v[13:14], v[13:14]
	v_min_num_f64_e32 v[55:56], v[53:54], v[51:52]
	v_max_num_f64_e32 v[53:54], v[53:54], v[51:52]
	s_wait_alu 0xf1ff
	s_delay_alu instid0(VALU_DEP_2) | instskip(NEXT) | instid1(VALU_DEP_3)
	v_cndmask_b32_e64 v55, v55, v69, s27
	v_cndmask_b32_e64 v56, v56, v70, s27
	s_delay_alu instid0(VALU_DEP_3) | instskip(NEXT) | instid1(VALU_DEP_4)
	v_cndmask_b32_e64 v54, v54, v70, s27
	v_cndmask_b32_e64 v53, v53, v69, s27
	s_delay_alu instid0(VALU_DEP_4) | instskip(NEXT) | instid1(VALU_DEP_4)
	v_cndmask_b32_e64 v55, v55, v13, s26
	v_cndmask_b32_e64 v56, v56, v14, s26
	s_delay_alu instid0(VALU_DEP_4) | instskip(NEXT) | instid1(VALU_DEP_4)
	v_cndmask_b32_e64 v54, v54, v14, s26
	v_cndmask_b32_e64 v53, v53, v13, s26
	s_delay_alu instid0(VALU_DEP_3) | instskip(NEXT) | instid1(VALU_DEP_2)
	v_cmp_class_f64_e64 s28, v[55:56], 0x1f8
	v_cmp_neq_f64_e64 s27, v[55:56], v[53:54]
	s_or_b32 s27, s27, s28
	s_wait_alu 0xfffe
	s_and_saveexec_b32 s36, s27
	s_cbranch_execz .LBB42_52
; %bb.51:
	v_add_f64_e64 v[55:56], v[55:56], -v[53:54]
	s_mov_b32 s28, 0x652b82fe
	s_mov_b32 s29, 0x3ff71547
	;; [unrolled: 1-line block ×10, first 2 shown]
	s_wait_alu 0xfffe
	s_delay_alu instid0(VALU_DEP_1) | instskip(SKIP_3) | instid1(VALU_DEP_2)
	v_mul_f64_e32 v[57:58], s[28:29], v[55:56]
	s_mov_b32 s28, 0xfca7ab0c
	s_mov_b32 s29, 0x3e928af3
	v_cmp_nlt_f64_e64 s27, 0x40900000, v[55:56]
	v_rndne_f64_e32 v[57:58], v[57:58]
	s_delay_alu instid0(VALU_DEP_1) | instskip(SKIP_2) | instid1(VALU_DEP_2)
	v_fma_f64 v[59:60], v[57:58], s[30:31], v[55:56]
	v_cvt_i32_f64_e32 v69, v[57:58]
	s_mov_b32 s31, 0x3fe62e42
	v_fma_f64 v[59:60], v[57:58], s[34:35], v[59:60]
	s_mov_b32 s35, 0x3c7abc9e
	s_wait_alu 0xfffe
	s_delay_alu instid0(VALU_DEP_1)
	v_fma_f64 v[61:62], v[59:60], s[38:39], s[28:29]
	s_mov_b32 s28, 0x623fde64
	s_mov_b32 s29, 0x3ec71dee
	;; [unrolled: 1-line block ×4, first 2 shown]
	s_wait_alu 0xfffe
	s_delay_alu instid0(VALU_DEP_1) | instskip(SKIP_3) | instid1(VALU_DEP_1)
	v_fma_f64 v[61:62], v[59:60], v[61:62], s[28:29]
	s_mov_b32 s28, 0x7c89e6b0
	s_mov_b32 s29, 0x3efa0199
	s_wait_alu 0xfffe
	v_fma_f64 v[61:62], v[59:60], v[61:62], s[28:29]
	s_mov_b32 s28, 0x14761f6e
	s_mov_b32 s29, 0x3f2a01a0
	s_wait_alu 0xfffe
	s_delay_alu instid0(VALU_DEP_1) | instskip(SKIP_3) | instid1(VALU_DEP_1)
	v_fma_f64 v[61:62], v[59:60], v[61:62], s[28:29]
	s_mov_b32 s28, 0x1852b7b0
	s_mov_b32 s29, 0x3f56c16c
	s_wait_alu 0xfffe
	v_fma_f64 v[61:62], v[59:60], v[61:62], s[28:29]
	s_mov_b32 s28, 0x11122322
	s_mov_b32 s29, 0x3f811111
	;; [unrolled: 9-line block ×3, first 2 shown]
	s_wait_alu 0xfffe
	s_delay_alu instid0(VALU_DEP_1) | instskip(SKIP_3) | instid1(VALU_DEP_1)
	v_fma_f64 v[61:62], v[59:60], v[61:62], s[28:29]
	s_mov_b32 s28, 11
	s_mov_b32 s29, 0x3fe00000
	s_wait_alu 0xfffe
	v_fma_f64 v[61:62], v[59:60], v[61:62], s[28:29]
	v_cmp_ngt_f64_e64 s28, 0xc090cc00, v[55:56]
	s_mov_b32 s29, 0x3fe55555
	v_fma_f64 v[61:62], v[59:60], v[61:62], 1.0
	s_delay_alu instid0(VALU_DEP_1) | instskip(NEXT) | instid1(VALU_DEP_1)
	v_fma_f64 v[57:58], v[59:60], v[61:62], 1.0
	v_ldexp_f64 v[57:58], v[57:58], v69
	s_wait_alu 0xf1ff
	s_delay_alu instid0(VALU_DEP_1) | instskip(SKIP_2) | instid1(VALU_DEP_2)
	v_cndmask_b32_e64 v58, 0x7ff00000, v58, s27
	s_and_b32 s27, s28, s27
	s_wait_alu 0xfffe
	v_cndmask_b32_e64 v55, 0, v57, s27
	s_delay_alu instid0(VALU_DEP_2) | instskip(SKIP_1) | instid1(VALU_DEP_1)
	v_cndmask_b32_e64 v56, 0, v58, s28
	s_mov_b32 s28, 0x55555555
	v_add_f64_e32 v[57:58], 1.0, v[55:56]
	s_delay_alu instid0(VALU_DEP_1) | instskip(SKIP_3) | instid1(VALU_DEP_3)
	v_frexp_mant_f64_e32 v[59:60], v[57:58]
	v_frexp_exp_i32_f64_e32 v69, v[57:58]
	v_add_f64_e32 v[61:62], -1.0, v[57:58]
	s_wait_alu 0xfffe
	v_cmp_gt_f64_e64 s27, s[28:29], v[59:60]
	s_mov_b32 s28, 0x55555780
	v_add_f64_e64 v[59:60], v[61:62], -v[57:58]
	v_add_f64_e64 v[61:62], v[55:56], -v[61:62]
	s_wait_alu 0xf1ff
	v_subrev_co_ci_u32_e64 v104, null, 0, v69, s27
	s_delay_alu instid0(VALU_DEP_3) | instskip(SKIP_1) | instid1(VALU_DEP_3)
	v_add_f64_e32 v[59:60], 1.0, v[59:60]
	v_cmp_nge_f64_e64 s27, -1.0, v[55:56]
	v_sub_nc_u32_e32 v71, 0, v104
	s_delay_alu instid0(VALU_DEP_1) | instskip(NEXT) | instid1(VALU_DEP_4)
	v_ldexp_f64 v[57:58], v[57:58], v71
	v_add_f64_e32 v[59:60], v[61:62], v[59:60]
	s_delay_alu instid0(VALU_DEP_2) | instskip(SKIP_1) | instid1(VALU_DEP_3)
	v_add_f64_e32 v[69:70], 1.0, v[57:58]
	v_add_f64_e32 v[75:76], -1.0, v[57:58]
	v_ldexp_f64 v[59:60], v[59:60], v71
	s_delay_alu instid0(VALU_DEP_3) | instskip(NEXT) | instid1(VALU_DEP_3)
	v_add_f64_e32 v[61:62], -1.0, v[69:70]
	v_add_f64_e32 v[96:97], 1.0, v[75:76]
	s_delay_alu instid0(VALU_DEP_2) | instskip(NEXT) | instid1(VALU_DEP_2)
	v_add_f64_e64 v[61:62], v[57:58], -v[61:62]
	v_add_f64_e64 v[57:58], v[57:58], -v[96:97]
	s_delay_alu instid0(VALU_DEP_2) | instskip(NEXT) | instid1(VALU_DEP_2)
	v_add_f64_e32 v[61:62], v[59:60], v[61:62]
	v_add_f64_e32 v[57:58], v[59:60], v[57:58]
	s_delay_alu instid0(VALU_DEP_2) | instskip(NEXT) | instid1(VALU_DEP_2)
	v_add_f64_e32 v[71:72], v[69:70], v[61:62]
	v_add_f64_e32 v[96:97], v[75:76], v[57:58]
	s_delay_alu instid0(VALU_DEP_2) | instskip(SKIP_1) | instid1(VALU_DEP_2)
	v_rcp_f64_e32 v[73:74], v[71:72]
	v_add_f64_e64 v[69:70], v[71:72], -v[69:70]
	v_add_f64_e64 v[75:76], v[96:97], -v[75:76]
	s_delay_alu instid0(VALU_DEP_2) | instskip(NEXT) | instid1(TRANS32_DEP_1)
	v_add_f64_e64 v[61:62], v[61:62], -v[69:70]
	v_fma_f64 v[98:99], -v[71:72], v[73:74], 1.0
	s_delay_alu instid0(VALU_DEP_3) | instskip(NEXT) | instid1(VALU_DEP_2)
	v_add_f64_e64 v[57:58], v[57:58], -v[75:76]
	v_fma_f64 v[73:74], v[98:99], v[73:74], v[73:74]
	s_delay_alu instid0(VALU_DEP_1) | instskip(NEXT) | instid1(VALU_DEP_1)
	v_fma_f64 v[59:60], -v[71:72], v[73:74], 1.0
	v_fma_f64 v[59:60], v[59:60], v[73:74], v[73:74]
	s_delay_alu instid0(VALU_DEP_1) | instskip(NEXT) | instid1(VALU_DEP_1)
	v_mul_f64_e32 v[73:74], v[96:97], v[59:60]
	v_mul_f64_e32 v[98:99], v[71:72], v[73:74]
	s_delay_alu instid0(VALU_DEP_1) | instskip(NEXT) | instid1(VALU_DEP_1)
	v_fma_f64 v[69:70], v[73:74], v[71:72], -v[98:99]
	v_fma_f64 v[69:70], v[73:74], v[61:62], v[69:70]
	s_delay_alu instid0(VALU_DEP_1) | instskip(NEXT) | instid1(VALU_DEP_1)
	v_add_f64_e32 v[100:101], v[98:99], v[69:70]
	v_add_f64_e64 v[102:103], v[96:97], -v[100:101]
	v_add_f64_e64 v[75:76], v[100:101], -v[98:99]
	s_delay_alu instid0(VALU_DEP_2) | instskip(NEXT) | instid1(VALU_DEP_2)
	v_add_f64_e64 v[96:97], v[96:97], -v[102:103]
	v_add_f64_e64 v[69:70], v[75:76], -v[69:70]
	s_delay_alu instid0(VALU_DEP_2) | instskip(NEXT) | instid1(VALU_DEP_1)
	v_add_f64_e64 v[96:97], v[96:97], -v[100:101]
	v_add_f64_e32 v[57:58], v[57:58], v[96:97]
	s_delay_alu instid0(VALU_DEP_1) | instskip(NEXT) | instid1(VALU_DEP_1)
	v_add_f64_e32 v[57:58], v[69:70], v[57:58]
	v_add_f64_e32 v[69:70], v[102:103], v[57:58]
	s_delay_alu instid0(VALU_DEP_1) | instskip(SKIP_1) | instid1(VALU_DEP_2)
	v_mul_f64_e32 v[75:76], v[59:60], v[69:70]
	v_add_f64_e64 v[100:101], v[102:103], -v[69:70]
	v_mul_f64_e32 v[96:97], v[71:72], v[75:76]
	s_delay_alu instid0(VALU_DEP_2) | instskip(NEXT) | instid1(VALU_DEP_2)
	v_add_f64_e32 v[57:58], v[57:58], v[100:101]
	v_fma_f64 v[71:72], v[75:76], v[71:72], -v[96:97]
	s_delay_alu instid0(VALU_DEP_1) | instskip(NEXT) | instid1(VALU_DEP_1)
	v_fma_f64 v[61:62], v[75:76], v[61:62], v[71:72]
	v_add_f64_e32 v[71:72], v[96:97], v[61:62]
	s_delay_alu instid0(VALU_DEP_1) | instskip(SKIP_1) | instid1(VALU_DEP_2)
	v_add_f64_e64 v[98:99], v[69:70], -v[71:72]
	v_add_f64_e64 v[96:97], v[71:72], -v[96:97]
	;; [unrolled: 1-line block ×3, first 2 shown]
	s_delay_alu instid0(VALU_DEP_2) | instskip(NEXT) | instid1(VALU_DEP_2)
	v_add_f64_e64 v[61:62], v[96:97], -v[61:62]
	v_add_f64_e64 v[69:70], v[69:70], -v[71:72]
	s_delay_alu instid0(VALU_DEP_1) | instskip(SKIP_1) | instid1(VALU_DEP_2)
	v_add_f64_e32 v[57:58], v[57:58], v[69:70]
	v_add_f64_e32 v[69:70], v[73:74], v[75:76]
	;; [unrolled: 1-line block ×3, first 2 shown]
	s_delay_alu instid0(VALU_DEP_2) | instskip(NEXT) | instid1(VALU_DEP_2)
	v_add_f64_e64 v[61:62], v[69:70], -v[73:74]
	v_add_f64_e32 v[57:58], v[98:99], v[57:58]
	s_delay_alu instid0(VALU_DEP_2) | instskip(NEXT) | instid1(VALU_DEP_2)
	v_add_f64_e64 v[61:62], v[75:76], -v[61:62]
	v_mul_f64_e32 v[57:58], v[59:60], v[57:58]
	s_delay_alu instid0(VALU_DEP_1) | instskip(NEXT) | instid1(VALU_DEP_1)
	v_add_f64_e32 v[57:58], v[61:62], v[57:58]
	v_add_f64_e32 v[59:60], v[69:70], v[57:58]
	s_delay_alu instid0(VALU_DEP_1) | instskip(NEXT) | instid1(VALU_DEP_1)
	v_mul_f64_e32 v[61:62], v[59:60], v[59:60]
	v_fma_f64 v[71:72], v[61:62], s[40:41], s[38:39]
	s_mov_b32 s38, 0xd7f4df2e
	s_mov_b32 s39, 0x3fc7474d
	v_mul_f64_e32 v[73:74], v[59:60], v[61:62]
	s_wait_alu 0xfffe
	s_delay_alu instid0(VALU_DEP_2) | instskip(SKIP_3) | instid1(VALU_DEP_1)
	v_fma_f64 v[71:72], v[61:62], v[71:72], s[38:39]
	s_mov_b32 s38, 0x16291751
	s_mov_b32 s39, 0x3fcc71c0
	s_wait_alu 0xfffe
	v_fma_f64 v[71:72], v[61:62], v[71:72], s[38:39]
	s_mov_b32 s38, 0x9b27acf1
	s_mov_b32 s39, 0x3fd24924
	s_wait_alu 0xfffe
	s_delay_alu instid0(VALU_DEP_1) | instskip(SKIP_3) | instid1(VALU_DEP_1)
	v_fma_f64 v[71:72], v[61:62], v[71:72], s[38:39]
	s_mov_b32 s38, 0x998ef7b6
	s_mov_b32 s39, 0x3fd99999
	s_wait_alu 0xfffe
	v_fma_f64 v[71:72], v[61:62], v[71:72], s[38:39]
	s_delay_alu instid0(VALU_DEP_1)
	v_fma_f64 v[61:62], v[61:62], v[71:72], s[28:29]
	v_ldexp_f64 v[71:72], v[59:60], 1
	v_add_f64_e64 v[59:60], v[59:60], -v[69:70]
	v_cmp_neq_f64_e64 s28, 0x7ff00000, v[55:56]
	v_cmp_ngt_f64_e64 s29, -1.0, v[55:56]
	v_mul_f64_e32 v[61:62], v[73:74], v[61:62]
	v_cvt_f64_i32_e32 v[73:74], v104
	v_add_f64_e64 v[57:58], v[57:58], -v[59:60]
	s_and_b32 s27, s27, s28
	s_delay_alu instid0(VALU_DEP_3) | instskip(NEXT) | instid1(VALU_DEP_3)
	v_add_f64_e32 v[69:70], v[71:72], v[61:62]
	v_mul_f64_e32 v[75:76], s[30:31], v[73:74]
	s_delay_alu instid0(VALU_DEP_3) | instskip(NEXT) | instid1(VALU_DEP_3)
	v_ldexp_f64 v[57:58], v[57:58], 1
	v_add_f64_e64 v[59:60], v[69:70], -v[71:72]
	s_delay_alu instid0(VALU_DEP_3) | instskip(NEXT) | instid1(VALU_DEP_2)
	v_fma_f64 v[71:72], v[73:74], s[30:31], -v[75:76]
	v_add_f64_e64 v[59:60], v[61:62], -v[59:60]
	s_delay_alu instid0(VALU_DEP_2) | instskip(NEXT) | instid1(VALU_DEP_2)
	v_fma_f64 v[61:62], v[73:74], s[34:35], v[71:72]
	v_add_f64_e32 v[57:58], v[57:58], v[59:60]
	s_delay_alu instid0(VALU_DEP_2) | instskip(NEXT) | instid1(VALU_DEP_2)
	v_add_f64_e32 v[59:60], v[75:76], v[61:62]
	v_add_f64_e32 v[71:72], v[69:70], v[57:58]
	s_delay_alu instid0(VALU_DEP_2) | instskip(NEXT) | instid1(VALU_DEP_2)
	v_add_f64_e64 v[75:76], v[59:60], -v[75:76]
	v_add_f64_e32 v[73:74], v[59:60], v[71:72]
	v_add_f64_e64 v[69:70], v[71:72], -v[69:70]
	s_delay_alu instid0(VALU_DEP_3) | instskip(NEXT) | instid1(VALU_DEP_3)
	v_add_f64_e64 v[61:62], v[61:62], -v[75:76]
	v_add_f64_e64 v[96:97], v[73:74], -v[59:60]
	s_delay_alu instid0(VALU_DEP_3) | instskip(NEXT) | instid1(VALU_DEP_2)
	v_add_f64_e64 v[57:58], v[57:58], -v[69:70]
	v_add_f64_e64 v[98:99], v[73:74], -v[96:97]
	;; [unrolled: 1-line block ×3, first 2 shown]
	s_delay_alu instid0(VALU_DEP_3) | instskip(NEXT) | instid1(VALU_DEP_3)
	v_add_f64_e32 v[71:72], v[61:62], v[57:58]
	v_add_f64_e64 v[59:60], v[59:60], -v[98:99]
	s_delay_alu instid0(VALU_DEP_1) | instskip(NEXT) | instid1(VALU_DEP_3)
	v_add_f64_e32 v[59:60], v[69:70], v[59:60]
	v_add_f64_e64 v[69:70], v[71:72], -v[61:62]
	s_delay_alu instid0(VALU_DEP_2) | instskip(NEXT) | instid1(VALU_DEP_2)
	v_add_f64_e32 v[59:60], v[71:72], v[59:60]
	v_add_f64_e64 v[71:72], v[71:72], -v[69:70]
	v_add_f64_e64 v[57:58], v[57:58], -v[69:70]
	s_delay_alu instid0(VALU_DEP_3) | instskip(NEXT) | instid1(VALU_DEP_3)
	v_add_f64_e32 v[75:76], v[73:74], v[59:60]
	v_add_f64_e64 v[61:62], v[61:62], -v[71:72]
	s_delay_alu instid0(VALU_DEP_2) | instskip(NEXT) | instid1(VALU_DEP_2)
	v_add_f64_e64 v[69:70], v[75:76], -v[73:74]
	v_add_f64_e32 v[57:58], v[57:58], v[61:62]
	s_delay_alu instid0(VALU_DEP_2) | instskip(NEXT) | instid1(VALU_DEP_1)
	v_add_f64_e64 v[59:60], v[59:60], -v[69:70]
	v_add_f64_e32 v[57:58], v[57:58], v[59:60]
	s_delay_alu instid0(VALU_DEP_1) | instskip(SKIP_1) | instid1(VALU_DEP_1)
	v_add_f64_e32 v[57:58], v[75:76], v[57:58]
	s_wait_alu 0xfffe
	v_cndmask_b32_e64 v57, 0, v57, s27
	v_cmp_neq_f64_e64 s27, -1.0, v[55:56]
	s_delay_alu instid0(VALU_DEP_3) | instskip(NEXT) | instid1(VALU_DEP_1)
	v_cndmask_b32_e64 v58, 0x7ff00000, v58, s28
	v_cndmask_b32_e64 v58, 0x7ff80000, v58, s29
	s_wait_alu 0xf1ff
	s_delay_alu instid0(VALU_DEP_1) | instskip(NEXT) | instid1(VALU_DEP_1)
	v_cndmask_b32_e64 v58, 0xfff00000, v58, s27
	v_add_f64_e32 v[69:70], v[53:54], v[57:58]
.LBB42_52:
	s_wait_alu 0xfffe
	s_or_b32 exec_lo, exec_lo, s36
	v_max_num_f64_e32 v[53:54], v[15:16], v[15:16]
	s_delay_alu instid0(VALU_DEP_2) | instskip(SKIP_2) | instid1(VALU_DEP_3)
	v_max_num_f64_e32 v[55:56], v[69:70], v[69:70]
	v_cmp_u_f64_e64 s28, v[69:70], v[69:70]
	v_cmp_u_f64_e64 s27, v[15:16], v[15:16]
	v_min_num_f64_e32 v[57:58], v[55:56], v[53:54]
	v_max_num_f64_e32 v[55:56], v[55:56], v[53:54]
	s_wait_alu 0xf1ff
	s_delay_alu instid0(VALU_DEP_2) | instskip(NEXT) | instid1(VALU_DEP_3)
	v_cndmask_b32_e64 v57, v57, v69, s28
	v_cndmask_b32_e64 v58, v58, v70, s28
	s_delay_alu instid0(VALU_DEP_3) | instskip(NEXT) | instid1(VALU_DEP_4)
	v_cndmask_b32_e64 v56, v56, v70, s28
	v_cndmask_b32_e64 v55, v55, v69, s28
	s_delay_alu instid0(VALU_DEP_4) | instskip(NEXT) | instid1(VALU_DEP_4)
	v_cndmask_b32_e64 v57, v57, v15, s27
	v_cndmask_b32_e64 v58, v58, v16, s27
	s_delay_alu instid0(VALU_DEP_4) | instskip(NEXT) | instid1(VALU_DEP_4)
	v_cndmask_b32_e64 v56, v56, v16, s27
	v_cndmask_b32_e64 v55, v55, v15, s27
	s_delay_alu instid0(VALU_DEP_3) | instskip(NEXT) | instid1(VALU_DEP_2)
	v_cmp_class_f64_e64 s29, v[57:58], 0x1f8
	v_cmp_neq_f64_e64 s28, v[57:58], v[55:56]
	s_or_b32 s28, s28, s29
	s_wait_alu 0xfffe
	s_and_saveexec_b32 s36, s28
	s_cbranch_execz .LBB42_54
; %bb.53:
	v_add_f64_e64 v[57:58], v[57:58], -v[55:56]
	s_mov_b32 s28, 0x652b82fe
	s_mov_b32 s29, 0x3ff71547
	;; [unrolled: 1-line block ×10, first 2 shown]
	s_wait_alu 0xfffe
	s_delay_alu instid0(VALU_DEP_1) | instskip(SKIP_2) | instid1(VALU_DEP_1)
	v_mul_f64_e32 v[59:60], s[28:29], v[57:58]
	s_mov_b32 s28, 0xfca7ab0c
	s_mov_b32 s29, 0x3e928af3
	v_rndne_f64_e32 v[59:60], v[59:60]
	s_delay_alu instid0(VALU_DEP_1) | instskip(SKIP_2) | instid1(VALU_DEP_2)
	v_fma_f64 v[61:62], v[59:60], s[30:31], v[57:58]
	v_cvt_i32_f64_e32 v71, v[59:60]
	s_mov_b32 s31, 0x3fe62e42
	v_fma_f64 v[61:62], v[59:60], s[34:35], v[61:62]
	s_mov_b32 s35, 0x3c7abc9e
	s_wait_alu 0xfffe
	s_delay_alu instid0(VALU_DEP_1)
	v_fma_f64 v[69:70], v[61:62], s[38:39], s[28:29]
	s_mov_b32 s28, 0x623fde64
	s_mov_b32 s29, 0x3ec71dee
	s_mov_b32 s38, 0x6b47b09a
	s_mov_b32 s39, 0x3fc38538
	s_wait_alu 0xfffe
	s_delay_alu instid0(VALU_DEP_1) | instskip(SKIP_3) | instid1(VALU_DEP_1)
	v_fma_f64 v[69:70], v[61:62], v[69:70], s[28:29]
	s_mov_b32 s28, 0x7c89e6b0
	s_mov_b32 s29, 0x3efa0199
	s_wait_alu 0xfffe
	v_fma_f64 v[69:70], v[61:62], v[69:70], s[28:29]
	s_mov_b32 s28, 0x14761f6e
	s_mov_b32 s29, 0x3f2a01a0
	s_wait_alu 0xfffe
	s_delay_alu instid0(VALU_DEP_1) | instskip(SKIP_3) | instid1(VALU_DEP_1)
	v_fma_f64 v[69:70], v[61:62], v[69:70], s[28:29]
	s_mov_b32 s28, 0x1852b7b0
	s_mov_b32 s29, 0x3f56c16c
	s_wait_alu 0xfffe
	v_fma_f64 v[69:70], v[61:62], v[69:70], s[28:29]
	s_mov_b32 s28, 0x11122322
	s_mov_b32 s29, 0x3f811111
	;; [unrolled: 9-line block ×3, first 2 shown]
	s_wait_alu 0xfffe
	s_delay_alu instid0(VALU_DEP_1) | instskip(SKIP_3) | instid1(VALU_DEP_1)
	v_fma_f64 v[69:70], v[61:62], v[69:70], s[28:29]
	s_mov_b32 s28, 11
	s_mov_b32 s29, 0x3fe00000
	s_wait_alu 0xfffe
	v_fma_f64 v[69:70], v[61:62], v[69:70], s[28:29]
	v_cmp_nlt_f64_e64 s28, 0x40900000, v[57:58]
	v_cmp_ngt_f64_e64 s29, 0xc090cc00, v[57:58]
	s_delay_alu instid0(VALU_DEP_3) | instskip(NEXT) | instid1(VALU_DEP_1)
	v_fma_f64 v[69:70], v[61:62], v[69:70], 1.0
	v_fma_f64 v[59:60], v[61:62], v[69:70], 1.0
	s_delay_alu instid0(VALU_DEP_1) | instskip(SKIP_1) | instid1(VALU_DEP_1)
	v_ldexp_f64 v[59:60], v[59:60], v71
	s_wait_alu 0xf1ff
	v_cndmask_b32_e64 v60, 0x7ff00000, v60, s28
	s_and_b32 s28, s29, s28
	s_wait_alu 0xfffe
	s_delay_alu instid0(VALU_DEP_2) | instskip(SKIP_3) | instid1(VALU_DEP_1)
	v_cndmask_b32_e64 v57, 0, v59, s28
	s_mov_b32 s28, 0x55555555
	v_cndmask_b32_e64 v58, 0, v60, s29
	s_mov_b32 s29, 0x3fe55555
	v_add_f64_e32 v[59:60], 1.0, v[57:58]
	s_delay_alu instid0(VALU_DEP_1) | instskip(SKIP_3) | instid1(VALU_DEP_3)
	v_frexp_mant_f64_e32 v[61:62], v[59:60]
	v_frexp_exp_i32_f64_e32 v71, v[59:60]
	v_add_f64_e32 v[69:70], -1.0, v[59:60]
	s_wait_alu 0xfffe
	v_cmp_gt_f64_e64 s28, s[28:29], v[61:62]
	s_delay_alu instid0(VALU_DEP_2) | instskip(SKIP_2) | instid1(VALU_DEP_3)
	v_add_f64_e64 v[61:62], v[69:70], -v[59:60]
	v_add_f64_e64 v[69:70], v[57:58], -v[69:70]
	s_wait_alu 0xf1ff
	v_subrev_co_ci_u32_e64 v106, null, 0, v71, s28
	s_delay_alu instid0(VALU_DEP_3) | instskip(SKIP_1) | instid1(VALU_DEP_2)
	v_add_f64_e32 v[61:62], 1.0, v[61:62]
	s_mov_b32 s28, 0x55555780
	v_sub_nc_u32_e32 v73, 0, v106
	s_delay_alu instid0(VALU_DEP_1) | instskip(NEXT) | instid1(VALU_DEP_3)
	v_ldexp_f64 v[59:60], v[59:60], v73
	v_add_f64_e32 v[61:62], v[69:70], v[61:62]
	s_delay_alu instid0(VALU_DEP_2) | instskip(SKIP_1) | instid1(VALU_DEP_3)
	v_add_f64_e32 v[71:72], 1.0, v[59:60]
	v_add_f64_e32 v[96:97], -1.0, v[59:60]
	v_ldexp_f64 v[61:62], v[61:62], v73
	s_delay_alu instid0(VALU_DEP_3) | instskip(NEXT) | instid1(VALU_DEP_3)
	v_add_f64_e32 v[69:70], -1.0, v[71:72]
	v_add_f64_e32 v[98:99], 1.0, v[96:97]
	s_delay_alu instid0(VALU_DEP_2) | instskip(NEXT) | instid1(VALU_DEP_2)
	v_add_f64_e64 v[69:70], v[59:60], -v[69:70]
	v_add_f64_e64 v[59:60], v[59:60], -v[98:99]
	s_delay_alu instid0(VALU_DEP_2) | instskip(NEXT) | instid1(VALU_DEP_2)
	v_add_f64_e32 v[69:70], v[61:62], v[69:70]
	v_add_f64_e32 v[59:60], v[61:62], v[59:60]
	s_delay_alu instid0(VALU_DEP_2) | instskip(NEXT) | instid1(VALU_DEP_2)
	v_add_f64_e32 v[73:74], v[71:72], v[69:70]
	v_add_f64_e32 v[98:99], v[96:97], v[59:60]
	s_delay_alu instid0(VALU_DEP_2) | instskip(SKIP_1) | instid1(VALU_DEP_2)
	v_rcp_f64_e32 v[75:76], v[73:74]
	v_add_f64_e64 v[71:72], v[73:74], -v[71:72]
	v_add_f64_e64 v[96:97], v[98:99], -v[96:97]
	s_delay_alu instid0(VALU_DEP_2) | instskip(NEXT) | instid1(TRANS32_DEP_1)
	v_add_f64_e64 v[69:70], v[69:70], -v[71:72]
	v_fma_f64 v[100:101], -v[73:74], v[75:76], 1.0
	s_delay_alu instid0(VALU_DEP_3) | instskip(NEXT) | instid1(VALU_DEP_2)
	v_add_f64_e64 v[59:60], v[59:60], -v[96:97]
	v_fma_f64 v[75:76], v[100:101], v[75:76], v[75:76]
	s_delay_alu instid0(VALU_DEP_1) | instskip(NEXT) | instid1(VALU_DEP_1)
	v_fma_f64 v[61:62], -v[73:74], v[75:76], 1.0
	v_fma_f64 v[61:62], v[61:62], v[75:76], v[75:76]
	s_delay_alu instid0(VALU_DEP_1) | instskip(NEXT) | instid1(VALU_DEP_1)
	v_mul_f64_e32 v[75:76], v[98:99], v[61:62]
	v_mul_f64_e32 v[100:101], v[73:74], v[75:76]
	s_delay_alu instid0(VALU_DEP_1) | instskip(NEXT) | instid1(VALU_DEP_1)
	v_fma_f64 v[71:72], v[75:76], v[73:74], -v[100:101]
	v_fma_f64 v[71:72], v[75:76], v[69:70], v[71:72]
	s_delay_alu instid0(VALU_DEP_1) | instskip(NEXT) | instid1(VALU_DEP_1)
	v_add_f64_e32 v[102:103], v[100:101], v[71:72]
	v_add_f64_e64 v[104:105], v[98:99], -v[102:103]
	v_add_f64_e64 v[96:97], v[102:103], -v[100:101]
	s_delay_alu instid0(VALU_DEP_2) | instskip(NEXT) | instid1(VALU_DEP_2)
	v_add_f64_e64 v[98:99], v[98:99], -v[104:105]
	v_add_f64_e64 v[71:72], v[96:97], -v[71:72]
	s_delay_alu instid0(VALU_DEP_2) | instskip(NEXT) | instid1(VALU_DEP_1)
	v_add_f64_e64 v[98:99], v[98:99], -v[102:103]
	v_add_f64_e32 v[59:60], v[59:60], v[98:99]
	s_delay_alu instid0(VALU_DEP_1) | instskip(NEXT) | instid1(VALU_DEP_1)
	v_add_f64_e32 v[59:60], v[71:72], v[59:60]
	v_add_f64_e32 v[71:72], v[104:105], v[59:60]
	s_delay_alu instid0(VALU_DEP_1) | instskip(SKIP_1) | instid1(VALU_DEP_2)
	v_mul_f64_e32 v[96:97], v[61:62], v[71:72]
	v_add_f64_e64 v[102:103], v[104:105], -v[71:72]
	v_mul_f64_e32 v[98:99], v[73:74], v[96:97]
	s_delay_alu instid0(VALU_DEP_2) | instskip(NEXT) | instid1(VALU_DEP_2)
	v_add_f64_e32 v[59:60], v[59:60], v[102:103]
	v_fma_f64 v[73:74], v[96:97], v[73:74], -v[98:99]
	s_delay_alu instid0(VALU_DEP_1) | instskip(NEXT) | instid1(VALU_DEP_1)
	v_fma_f64 v[69:70], v[96:97], v[69:70], v[73:74]
	v_add_f64_e32 v[73:74], v[98:99], v[69:70]
	s_delay_alu instid0(VALU_DEP_1) | instskip(SKIP_1) | instid1(VALU_DEP_2)
	v_add_f64_e64 v[100:101], v[71:72], -v[73:74]
	v_add_f64_e64 v[98:99], v[73:74], -v[98:99]
	;; [unrolled: 1-line block ×3, first 2 shown]
	s_delay_alu instid0(VALU_DEP_2) | instskip(NEXT) | instid1(VALU_DEP_2)
	v_add_f64_e64 v[69:70], v[98:99], -v[69:70]
	v_add_f64_e64 v[71:72], v[71:72], -v[73:74]
	s_delay_alu instid0(VALU_DEP_1) | instskip(SKIP_1) | instid1(VALU_DEP_2)
	v_add_f64_e32 v[59:60], v[59:60], v[71:72]
	v_add_f64_e32 v[71:72], v[75:76], v[96:97]
	;; [unrolled: 1-line block ×3, first 2 shown]
	s_delay_alu instid0(VALU_DEP_2) | instskip(NEXT) | instid1(VALU_DEP_2)
	v_add_f64_e64 v[69:70], v[71:72], -v[75:76]
	v_add_f64_e32 v[59:60], v[100:101], v[59:60]
	s_delay_alu instid0(VALU_DEP_2) | instskip(NEXT) | instid1(VALU_DEP_2)
	v_add_f64_e64 v[69:70], v[96:97], -v[69:70]
	v_mul_f64_e32 v[59:60], v[61:62], v[59:60]
	s_delay_alu instid0(VALU_DEP_1) | instskip(NEXT) | instid1(VALU_DEP_1)
	v_add_f64_e32 v[59:60], v[69:70], v[59:60]
	v_add_f64_e32 v[61:62], v[71:72], v[59:60]
	s_delay_alu instid0(VALU_DEP_1) | instskip(NEXT) | instid1(VALU_DEP_1)
	v_mul_f64_e32 v[69:70], v[61:62], v[61:62]
	v_fma_f64 v[73:74], v[69:70], s[40:41], s[38:39]
	s_mov_b32 s38, 0xd7f4df2e
	s_mov_b32 s39, 0x3fc7474d
	v_mul_f64_e32 v[75:76], v[61:62], v[69:70]
	s_wait_alu 0xfffe
	s_delay_alu instid0(VALU_DEP_2) | instskip(SKIP_3) | instid1(VALU_DEP_1)
	v_fma_f64 v[73:74], v[69:70], v[73:74], s[38:39]
	s_mov_b32 s38, 0x16291751
	s_mov_b32 s39, 0x3fcc71c0
	s_wait_alu 0xfffe
	v_fma_f64 v[73:74], v[69:70], v[73:74], s[38:39]
	s_mov_b32 s38, 0x9b27acf1
	s_mov_b32 s39, 0x3fd24924
	s_wait_alu 0xfffe
	s_delay_alu instid0(VALU_DEP_1) | instskip(SKIP_3) | instid1(VALU_DEP_1)
	v_fma_f64 v[73:74], v[69:70], v[73:74], s[38:39]
	s_mov_b32 s38, 0x998ef7b6
	s_mov_b32 s39, 0x3fd99999
	s_wait_alu 0xfffe
	v_fma_f64 v[73:74], v[69:70], v[73:74], s[38:39]
	s_delay_alu instid0(VALU_DEP_1)
	v_fma_f64 v[69:70], v[69:70], v[73:74], s[28:29]
	v_ldexp_f64 v[73:74], v[61:62], 1
	v_add_f64_e64 v[61:62], v[61:62], -v[71:72]
	v_cmp_nge_f64_e64 s28, -1.0, v[57:58]
	v_cmp_neq_f64_e64 s29, 0x7ff00000, v[57:58]
	v_mul_f64_e32 v[69:70], v[75:76], v[69:70]
	v_cvt_f64_i32_e32 v[75:76], v106
	v_add_f64_e64 v[59:60], v[59:60], -v[61:62]
	s_and_b32 s28, s28, s29
	s_delay_alu instid0(VALU_DEP_3) | instskip(NEXT) | instid1(VALU_DEP_3)
	v_add_f64_e32 v[71:72], v[73:74], v[69:70]
	v_mul_f64_e32 v[96:97], s[30:31], v[75:76]
	s_delay_alu instid0(VALU_DEP_3) | instskip(NEXT) | instid1(VALU_DEP_3)
	v_ldexp_f64 v[59:60], v[59:60], 1
	v_add_f64_e64 v[61:62], v[71:72], -v[73:74]
	s_delay_alu instid0(VALU_DEP_3) | instskip(SKIP_1) | instid1(VALU_DEP_3)
	v_fma_f64 v[73:74], v[75:76], s[30:31], -v[96:97]
	v_cmp_ngt_f64_e64 s30, -1.0, v[57:58]
	v_add_f64_e64 v[61:62], v[69:70], -v[61:62]
	s_delay_alu instid0(VALU_DEP_3) | instskip(NEXT) | instid1(VALU_DEP_2)
	v_fma_f64 v[69:70], v[75:76], s[34:35], v[73:74]
	v_add_f64_e32 v[59:60], v[59:60], v[61:62]
	s_delay_alu instid0(VALU_DEP_2) | instskip(NEXT) | instid1(VALU_DEP_2)
	v_add_f64_e32 v[61:62], v[96:97], v[69:70]
	v_add_f64_e32 v[73:74], v[71:72], v[59:60]
	s_delay_alu instid0(VALU_DEP_2) | instskip(NEXT) | instid1(VALU_DEP_2)
	v_add_f64_e64 v[96:97], v[61:62], -v[96:97]
	v_add_f64_e32 v[75:76], v[61:62], v[73:74]
	v_add_f64_e64 v[71:72], v[73:74], -v[71:72]
	s_delay_alu instid0(VALU_DEP_3) | instskip(NEXT) | instid1(VALU_DEP_3)
	v_add_f64_e64 v[69:70], v[69:70], -v[96:97]
	v_add_f64_e64 v[98:99], v[75:76], -v[61:62]
	s_delay_alu instid0(VALU_DEP_3) | instskip(NEXT) | instid1(VALU_DEP_2)
	v_add_f64_e64 v[59:60], v[59:60], -v[71:72]
	v_add_f64_e64 v[100:101], v[75:76], -v[98:99]
	;; [unrolled: 1-line block ×3, first 2 shown]
	s_delay_alu instid0(VALU_DEP_3) | instskip(NEXT) | instid1(VALU_DEP_3)
	v_add_f64_e32 v[73:74], v[69:70], v[59:60]
	v_add_f64_e64 v[61:62], v[61:62], -v[100:101]
	s_delay_alu instid0(VALU_DEP_1) | instskip(NEXT) | instid1(VALU_DEP_3)
	v_add_f64_e32 v[61:62], v[71:72], v[61:62]
	v_add_f64_e64 v[71:72], v[73:74], -v[69:70]
	s_delay_alu instid0(VALU_DEP_2) | instskip(NEXT) | instid1(VALU_DEP_2)
	v_add_f64_e32 v[61:62], v[73:74], v[61:62]
	v_add_f64_e64 v[73:74], v[73:74], -v[71:72]
	v_add_f64_e64 v[59:60], v[59:60], -v[71:72]
	s_delay_alu instid0(VALU_DEP_3) | instskip(NEXT) | instid1(VALU_DEP_3)
	v_add_f64_e32 v[96:97], v[75:76], v[61:62]
	v_add_f64_e64 v[69:70], v[69:70], -v[73:74]
	s_delay_alu instid0(VALU_DEP_2) | instskip(NEXT) | instid1(VALU_DEP_2)
	v_add_f64_e64 v[71:72], v[96:97], -v[75:76]
	v_add_f64_e32 v[59:60], v[59:60], v[69:70]
	s_delay_alu instid0(VALU_DEP_2) | instskip(NEXT) | instid1(VALU_DEP_1)
	v_add_f64_e64 v[61:62], v[61:62], -v[71:72]
	v_add_f64_e32 v[59:60], v[59:60], v[61:62]
	s_delay_alu instid0(VALU_DEP_1) | instskip(SKIP_1) | instid1(VALU_DEP_1)
	v_add_f64_e32 v[59:60], v[96:97], v[59:60]
	s_wait_alu 0xfffe
	v_cndmask_b32_e64 v59, 0, v59, s28
	v_cmp_neq_f64_e64 s28, -1.0, v[57:58]
	s_delay_alu instid0(VALU_DEP_3) | instskip(SKIP_1) | instid1(VALU_DEP_1)
	v_cndmask_b32_e64 v60, 0x7ff00000, v60, s29
	s_wait_alu 0xf1ff
	v_cndmask_b32_e64 v60, 0x7ff80000, v60, s30
	s_delay_alu instid0(VALU_DEP_1) | instskip(NEXT) | instid1(VALU_DEP_1)
	v_cndmask_b32_e64 v60, 0xfff00000, v60, s28
	v_add_f64_e32 v[69:70], v[55:56], v[59:60]
.LBB42_54:
	s_wait_alu 0xfffe
	s_or_b32 exec_lo, exec_lo, s36
	v_max_num_f64_e32 v[55:56], v[9:10], v[9:10]
	s_delay_alu instid0(VALU_DEP_2) | instskip(SKIP_2) | instid1(VALU_DEP_3)
	v_max_num_f64_e32 v[57:58], v[69:70], v[69:70]
	v_cmp_u_f64_e64 s29, v[69:70], v[69:70]
	v_cmp_u_f64_e64 s28, v[9:10], v[9:10]
	v_min_num_f64_e32 v[59:60], v[57:58], v[55:56]
	v_max_num_f64_e32 v[57:58], v[57:58], v[55:56]
	s_wait_alu 0xf1ff
	s_delay_alu instid0(VALU_DEP_2) | instskip(NEXT) | instid1(VALU_DEP_3)
	v_cndmask_b32_e64 v59, v59, v69, s29
	v_cndmask_b32_e64 v60, v60, v70, s29
	s_delay_alu instid0(VALU_DEP_3) | instskip(NEXT) | instid1(VALU_DEP_4)
	v_cndmask_b32_e64 v58, v58, v70, s29
	v_cndmask_b32_e64 v57, v57, v69, s29
	s_delay_alu instid0(VALU_DEP_4) | instskip(NEXT) | instid1(VALU_DEP_4)
	v_cndmask_b32_e64 v59, v59, v9, s28
	v_cndmask_b32_e64 v60, v60, v10, s28
	s_delay_alu instid0(VALU_DEP_4) | instskip(NEXT) | instid1(VALU_DEP_4)
	v_cndmask_b32_e64 v58, v58, v10, s28
	v_cndmask_b32_e64 v57, v57, v9, s28
	s_delay_alu instid0(VALU_DEP_3) | instskip(NEXT) | instid1(VALU_DEP_2)
	v_cmp_class_f64_e64 s30, v[59:60], 0x1f8
	v_cmp_neq_f64_e64 s29, v[59:60], v[57:58]
	s_or_b32 s29, s29, s30
	s_wait_alu 0xfffe
	s_and_saveexec_b32 s38, s29
	s_cbranch_execz .LBB42_56
; %bb.55:
	v_add_f64_e64 v[59:60], v[59:60], -v[57:58]
	s_mov_b32 s30, 0x652b82fe
	s_mov_b32 s31, 0x3ff71547
	;; [unrolled: 1-line block ×10, first 2 shown]
	s_wait_alu 0xfffe
	s_delay_alu instid0(VALU_DEP_1) | instskip(SKIP_3) | instid1(VALU_DEP_2)
	v_mul_f64_e32 v[61:62], s[30:31], v[59:60]
	s_mov_b32 s30, 0xfca7ab0c
	s_mov_b32 s31, 0x3e928af3
	v_cmp_nlt_f64_e64 s29, 0x40900000, v[59:60]
	v_rndne_f64_e32 v[61:62], v[61:62]
	s_delay_alu instid0(VALU_DEP_1) | instskip(SKIP_2) | instid1(VALU_DEP_2)
	v_fma_f64 v[69:70], v[61:62], s[34:35], v[59:60]
	v_cvt_i32_f64_e32 v73, v[61:62]
	s_mov_b32 s35, 0x3fe62e42
	v_fma_f64 v[69:70], v[61:62], s[36:37], v[69:70]
	s_mov_b32 s37, 0x3c7abc9e
	s_wait_alu 0xfffe
	s_delay_alu instid0(VALU_DEP_1)
	v_fma_f64 v[71:72], v[69:70], s[40:41], s[30:31]
	s_mov_b32 s30, 0x623fde64
	s_mov_b32 s31, 0x3ec71dee
	s_mov_b32 s40, 0x6b47b09a
	s_mov_b32 s41, 0x3fc38538
	s_wait_alu 0xfffe
	s_delay_alu instid0(VALU_DEP_1) | instskip(SKIP_3) | instid1(VALU_DEP_1)
	v_fma_f64 v[71:72], v[69:70], v[71:72], s[30:31]
	s_mov_b32 s30, 0x7c89e6b0
	s_mov_b32 s31, 0x3efa0199
	s_wait_alu 0xfffe
	v_fma_f64 v[71:72], v[69:70], v[71:72], s[30:31]
	s_mov_b32 s30, 0x14761f6e
	s_mov_b32 s31, 0x3f2a01a0
	s_wait_alu 0xfffe
	s_delay_alu instid0(VALU_DEP_1) | instskip(SKIP_3) | instid1(VALU_DEP_1)
	v_fma_f64 v[71:72], v[69:70], v[71:72], s[30:31]
	s_mov_b32 s30, 0x1852b7b0
	s_mov_b32 s31, 0x3f56c16c
	s_wait_alu 0xfffe
	v_fma_f64 v[71:72], v[69:70], v[71:72], s[30:31]
	s_mov_b32 s30, 0x11122322
	s_mov_b32 s31, 0x3f811111
	;; [unrolled: 9-line block ×3, first 2 shown]
	s_wait_alu 0xfffe
	s_delay_alu instid0(VALU_DEP_1) | instskip(SKIP_3) | instid1(VALU_DEP_1)
	v_fma_f64 v[71:72], v[69:70], v[71:72], s[30:31]
	s_mov_b32 s30, 11
	s_mov_b32 s31, 0x3fe00000
	s_wait_alu 0xfffe
	v_fma_f64 v[71:72], v[69:70], v[71:72], s[30:31]
	v_cmp_ngt_f64_e64 s30, 0xc090cc00, v[59:60]
	s_mov_b32 s31, 0x3fe55555
	v_fma_f64 v[71:72], v[69:70], v[71:72], 1.0
	s_delay_alu instid0(VALU_DEP_1) | instskip(NEXT) | instid1(VALU_DEP_1)
	v_fma_f64 v[61:62], v[69:70], v[71:72], 1.0
	v_ldexp_f64 v[61:62], v[61:62], v73
	s_wait_alu 0xf1ff
	s_delay_alu instid0(VALU_DEP_1) | instskip(SKIP_2) | instid1(VALU_DEP_2)
	v_cndmask_b32_e64 v62, 0x7ff00000, v62, s29
	s_and_b32 s29, s30, s29
	s_wait_alu 0xfffe
	v_cndmask_b32_e64 v59, 0, v61, s29
	s_delay_alu instid0(VALU_DEP_2) | instskip(SKIP_1) | instid1(VALU_DEP_1)
	v_cndmask_b32_e64 v60, 0, v62, s30
	s_mov_b32 s30, 0x55555555
	v_add_f64_e32 v[61:62], 1.0, v[59:60]
	s_delay_alu instid0(VALU_DEP_1) | instskip(SKIP_3) | instid1(VALU_DEP_3)
	v_frexp_mant_f64_e32 v[69:70], v[61:62]
	v_frexp_exp_i32_f64_e32 v73, v[61:62]
	v_add_f64_e32 v[71:72], -1.0, v[61:62]
	s_wait_alu 0xfffe
	v_cmp_gt_f64_e64 s29, s[30:31], v[69:70]
	s_mov_b32 s30, 0x55555780
	v_add_f64_e64 v[69:70], v[71:72], -v[61:62]
	v_add_f64_e64 v[71:72], v[59:60], -v[71:72]
	s_wait_alu 0xf1ff
	v_subrev_co_ci_u32_e64 v108, null, 0, v73, s29
	s_delay_alu instid0(VALU_DEP_3) | instskip(SKIP_1) | instid1(VALU_DEP_3)
	v_add_f64_e32 v[69:70], 1.0, v[69:70]
	v_cmp_nge_f64_e64 s29, -1.0, v[59:60]
	v_sub_nc_u32_e32 v75, 0, v108
	s_delay_alu instid0(VALU_DEP_1) | instskip(NEXT) | instid1(VALU_DEP_4)
	v_ldexp_f64 v[61:62], v[61:62], v75
	v_add_f64_e32 v[69:70], v[71:72], v[69:70]
	s_delay_alu instid0(VALU_DEP_2) | instskip(SKIP_1) | instid1(VALU_DEP_3)
	v_add_f64_e32 v[73:74], 1.0, v[61:62]
	v_add_f64_e32 v[98:99], -1.0, v[61:62]
	v_ldexp_f64 v[69:70], v[69:70], v75
	s_delay_alu instid0(VALU_DEP_3) | instskip(NEXT) | instid1(VALU_DEP_3)
	v_add_f64_e32 v[71:72], -1.0, v[73:74]
	v_add_f64_e32 v[100:101], 1.0, v[98:99]
	s_delay_alu instid0(VALU_DEP_2) | instskip(NEXT) | instid1(VALU_DEP_2)
	v_add_f64_e64 v[71:72], v[61:62], -v[71:72]
	v_add_f64_e64 v[61:62], v[61:62], -v[100:101]
	s_delay_alu instid0(VALU_DEP_2) | instskip(NEXT) | instid1(VALU_DEP_2)
	v_add_f64_e32 v[71:72], v[69:70], v[71:72]
	v_add_f64_e32 v[61:62], v[69:70], v[61:62]
	s_delay_alu instid0(VALU_DEP_2) | instskip(NEXT) | instid1(VALU_DEP_2)
	v_add_f64_e32 v[75:76], v[73:74], v[71:72]
	v_add_f64_e32 v[100:101], v[98:99], v[61:62]
	s_delay_alu instid0(VALU_DEP_2) | instskip(SKIP_1) | instid1(VALU_DEP_2)
	v_rcp_f64_e32 v[96:97], v[75:76]
	v_add_f64_e64 v[73:74], v[75:76], -v[73:74]
	v_add_f64_e64 v[98:99], v[100:101], -v[98:99]
	s_delay_alu instid0(VALU_DEP_2) | instskip(NEXT) | instid1(TRANS32_DEP_1)
	v_add_f64_e64 v[71:72], v[71:72], -v[73:74]
	v_fma_f64 v[102:103], -v[75:76], v[96:97], 1.0
	s_delay_alu instid0(VALU_DEP_3) | instskip(NEXT) | instid1(VALU_DEP_2)
	v_add_f64_e64 v[61:62], v[61:62], -v[98:99]
	v_fma_f64 v[96:97], v[102:103], v[96:97], v[96:97]
	s_delay_alu instid0(VALU_DEP_1) | instskip(NEXT) | instid1(VALU_DEP_1)
	v_fma_f64 v[69:70], -v[75:76], v[96:97], 1.0
	v_fma_f64 v[69:70], v[69:70], v[96:97], v[96:97]
	s_delay_alu instid0(VALU_DEP_1) | instskip(NEXT) | instid1(VALU_DEP_1)
	v_mul_f64_e32 v[96:97], v[100:101], v[69:70]
	v_mul_f64_e32 v[102:103], v[75:76], v[96:97]
	s_delay_alu instid0(VALU_DEP_1) | instskip(NEXT) | instid1(VALU_DEP_1)
	v_fma_f64 v[73:74], v[96:97], v[75:76], -v[102:103]
	v_fma_f64 v[73:74], v[96:97], v[71:72], v[73:74]
	s_delay_alu instid0(VALU_DEP_1) | instskip(NEXT) | instid1(VALU_DEP_1)
	v_add_f64_e32 v[104:105], v[102:103], v[73:74]
	v_add_f64_e64 v[106:107], v[100:101], -v[104:105]
	v_add_f64_e64 v[98:99], v[104:105], -v[102:103]
	s_delay_alu instid0(VALU_DEP_2) | instskip(NEXT) | instid1(VALU_DEP_2)
	v_add_f64_e64 v[100:101], v[100:101], -v[106:107]
	v_add_f64_e64 v[73:74], v[98:99], -v[73:74]
	s_delay_alu instid0(VALU_DEP_2) | instskip(NEXT) | instid1(VALU_DEP_1)
	v_add_f64_e64 v[100:101], v[100:101], -v[104:105]
	v_add_f64_e32 v[61:62], v[61:62], v[100:101]
	s_delay_alu instid0(VALU_DEP_1) | instskip(NEXT) | instid1(VALU_DEP_1)
	v_add_f64_e32 v[61:62], v[73:74], v[61:62]
	v_add_f64_e32 v[73:74], v[106:107], v[61:62]
	s_delay_alu instid0(VALU_DEP_1) | instskip(SKIP_1) | instid1(VALU_DEP_2)
	v_mul_f64_e32 v[98:99], v[69:70], v[73:74]
	v_add_f64_e64 v[104:105], v[106:107], -v[73:74]
	v_mul_f64_e32 v[100:101], v[75:76], v[98:99]
	s_delay_alu instid0(VALU_DEP_2) | instskip(NEXT) | instid1(VALU_DEP_2)
	v_add_f64_e32 v[61:62], v[61:62], v[104:105]
	v_fma_f64 v[75:76], v[98:99], v[75:76], -v[100:101]
	s_delay_alu instid0(VALU_DEP_1) | instskip(NEXT) | instid1(VALU_DEP_1)
	v_fma_f64 v[71:72], v[98:99], v[71:72], v[75:76]
	v_add_f64_e32 v[75:76], v[100:101], v[71:72]
	s_delay_alu instid0(VALU_DEP_1) | instskip(SKIP_1) | instid1(VALU_DEP_2)
	v_add_f64_e64 v[102:103], v[73:74], -v[75:76]
	v_add_f64_e64 v[100:101], v[75:76], -v[100:101]
	;; [unrolled: 1-line block ×3, first 2 shown]
	s_delay_alu instid0(VALU_DEP_2) | instskip(NEXT) | instid1(VALU_DEP_2)
	v_add_f64_e64 v[71:72], v[100:101], -v[71:72]
	v_add_f64_e64 v[73:74], v[73:74], -v[75:76]
	s_delay_alu instid0(VALU_DEP_1) | instskip(SKIP_1) | instid1(VALU_DEP_2)
	v_add_f64_e32 v[61:62], v[61:62], v[73:74]
	v_add_f64_e32 v[73:74], v[96:97], v[98:99]
	;; [unrolled: 1-line block ×3, first 2 shown]
	s_delay_alu instid0(VALU_DEP_2) | instskip(NEXT) | instid1(VALU_DEP_2)
	v_add_f64_e64 v[71:72], v[73:74], -v[96:97]
	v_add_f64_e32 v[61:62], v[102:103], v[61:62]
	s_delay_alu instid0(VALU_DEP_2) | instskip(NEXT) | instid1(VALU_DEP_2)
	v_add_f64_e64 v[71:72], v[98:99], -v[71:72]
	v_mul_f64_e32 v[61:62], v[69:70], v[61:62]
	s_delay_alu instid0(VALU_DEP_1) | instskip(NEXT) | instid1(VALU_DEP_1)
	v_add_f64_e32 v[61:62], v[71:72], v[61:62]
	v_add_f64_e32 v[69:70], v[73:74], v[61:62]
	s_delay_alu instid0(VALU_DEP_1) | instskip(NEXT) | instid1(VALU_DEP_1)
	v_mul_f64_e32 v[71:72], v[69:70], v[69:70]
	v_fma_f64 v[75:76], v[71:72], s[42:43], s[40:41]
	s_mov_b32 s40, 0xd7f4df2e
	s_mov_b32 s41, 0x3fc7474d
	v_mul_f64_e32 v[96:97], v[69:70], v[71:72]
	s_wait_alu 0xfffe
	s_delay_alu instid0(VALU_DEP_2) | instskip(SKIP_3) | instid1(VALU_DEP_1)
	v_fma_f64 v[75:76], v[71:72], v[75:76], s[40:41]
	s_mov_b32 s40, 0x16291751
	s_mov_b32 s41, 0x3fcc71c0
	s_wait_alu 0xfffe
	v_fma_f64 v[75:76], v[71:72], v[75:76], s[40:41]
	s_mov_b32 s40, 0x9b27acf1
	s_mov_b32 s41, 0x3fd24924
	s_wait_alu 0xfffe
	s_delay_alu instid0(VALU_DEP_1) | instskip(SKIP_3) | instid1(VALU_DEP_1)
	v_fma_f64 v[75:76], v[71:72], v[75:76], s[40:41]
	s_mov_b32 s40, 0x998ef7b6
	s_mov_b32 s41, 0x3fd99999
	s_wait_alu 0xfffe
	v_fma_f64 v[75:76], v[71:72], v[75:76], s[40:41]
	s_delay_alu instid0(VALU_DEP_1)
	v_fma_f64 v[71:72], v[71:72], v[75:76], s[30:31]
	v_ldexp_f64 v[75:76], v[69:70], 1
	v_add_f64_e64 v[69:70], v[69:70], -v[73:74]
	v_cmp_neq_f64_e64 s30, 0x7ff00000, v[59:60]
	v_cmp_ngt_f64_e64 s31, -1.0, v[59:60]
	v_mul_f64_e32 v[71:72], v[96:97], v[71:72]
	v_cvt_f64_i32_e32 v[96:97], v108
	v_add_f64_e64 v[61:62], v[61:62], -v[69:70]
	s_and_b32 s29, s29, s30
	s_delay_alu instid0(VALU_DEP_3) | instskip(NEXT) | instid1(VALU_DEP_3)
	v_add_f64_e32 v[73:74], v[75:76], v[71:72]
	v_mul_f64_e32 v[98:99], s[34:35], v[96:97]
	s_delay_alu instid0(VALU_DEP_3) | instskip(NEXT) | instid1(VALU_DEP_3)
	v_ldexp_f64 v[61:62], v[61:62], 1
	v_add_f64_e64 v[69:70], v[73:74], -v[75:76]
	s_delay_alu instid0(VALU_DEP_3) | instskip(NEXT) | instid1(VALU_DEP_2)
	v_fma_f64 v[75:76], v[96:97], s[34:35], -v[98:99]
	v_add_f64_e64 v[69:70], v[71:72], -v[69:70]
	s_delay_alu instid0(VALU_DEP_2) | instskip(NEXT) | instid1(VALU_DEP_2)
	v_fma_f64 v[71:72], v[96:97], s[36:37], v[75:76]
	v_add_f64_e32 v[61:62], v[61:62], v[69:70]
	s_delay_alu instid0(VALU_DEP_2) | instskip(NEXT) | instid1(VALU_DEP_2)
	v_add_f64_e32 v[69:70], v[98:99], v[71:72]
	v_add_f64_e32 v[75:76], v[73:74], v[61:62]
	s_delay_alu instid0(VALU_DEP_2) | instskip(NEXT) | instid1(VALU_DEP_2)
	v_add_f64_e64 v[98:99], v[69:70], -v[98:99]
	v_add_f64_e32 v[96:97], v[69:70], v[75:76]
	v_add_f64_e64 v[73:74], v[75:76], -v[73:74]
	s_delay_alu instid0(VALU_DEP_3) | instskip(NEXT) | instid1(VALU_DEP_3)
	v_add_f64_e64 v[71:72], v[71:72], -v[98:99]
	v_add_f64_e64 v[100:101], v[96:97], -v[69:70]
	s_delay_alu instid0(VALU_DEP_3) | instskip(NEXT) | instid1(VALU_DEP_2)
	v_add_f64_e64 v[61:62], v[61:62], -v[73:74]
	v_add_f64_e64 v[102:103], v[96:97], -v[100:101]
	;; [unrolled: 1-line block ×3, first 2 shown]
	s_delay_alu instid0(VALU_DEP_3) | instskip(NEXT) | instid1(VALU_DEP_3)
	v_add_f64_e32 v[75:76], v[71:72], v[61:62]
	v_add_f64_e64 v[69:70], v[69:70], -v[102:103]
	s_delay_alu instid0(VALU_DEP_1) | instskip(NEXT) | instid1(VALU_DEP_3)
	v_add_f64_e32 v[69:70], v[73:74], v[69:70]
	v_add_f64_e64 v[73:74], v[75:76], -v[71:72]
	s_delay_alu instid0(VALU_DEP_2) | instskip(NEXT) | instid1(VALU_DEP_2)
	v_add_f64_e32 v[69:70], v[75:76], v[69:70]
	v_add_f64_e64 v[75:76], v[75:76], -v[73:74]
	v_add_f64_e64 v[61:62], v[61:62], -v[73:74]
	s_delay_alu instid0(VALU_DEP_3) | instskip(NEXT) | instid1(VALU_DEP_3)
	v_add_f64_e32 v[98:99], v[96:97], v[69:70]
	v_add_f64_e64 v[71:72], v[71:72], -v[75:76]
	s_delay_alu instid0(VALU_DEP_2) | instskip(NEXT) | instid1(VALU_DEP_2)
	v_add_f64_e64 v[73:74], v[98:99], -v[96:97]
	v_add_f64_e32 v[61:62], v[61:62], v[71:72]
	s_delay_alu instid0(VALU_DEP_2) | instskip(NEXT) | instid1(VALU_DEP_1)
	v_add_f64_e64 v[69:70], v[69:70], -v[73:74]
	v_add_f64_e32 v[61:62], v[61:62], v[69:70]
	s_delay_alu instid0(VALU_DEP_1) | instskip(SKIP_1) | instid1(VALU_DEP_1)
	v_add_f64_e32 v[61:62], v[98:99], v[61:62]
	s_wait_alu 0xfffe
	v_cndmask_b32_e64 v61, 0, v61, s29
	v_cmp_neq_f64_e64 s29, -1.0, v[59:60]
	s_delay_alu instid0(VALU_DEP_3) | instskip(NEXT) | instid1(VALU_DEP_1)
	v_cndmask_b32_e64 v62, 0x7ff00000, v62, s30
	v_cndmask_b32_e64 v62, 0x7ff80000, v62, s31
	s_wait_alu 0xf1ff
	s_delay_alu instid0(VALU_DEP_1) | instskip(NEXT) | instid1(VALU_DEP_1)
	v_cndmask_b32_e64 v62, 0xfff00000, v62, s29
	v_add_f64_e32 v[69:70], v[57:58], v[61:62]
.LBB42_56:
	s_wait_alu 0xfffe
	s_or_b32 exec_lo, exec_lo, s38
	v_max_num_f64_e32 v[57:58], v[11:12], v[11:12]
	s_delay_alu instid0(VALU_DEP_2) | instskip(SKIP_2) | instid1(VALU_DEP_3)
	v_max_num_f64_e32 v[59:60], v[69:70], v[69:70]
	v_cmp_u_f64_e64 s30, v[69:70], v[69:70]
	v_cmp_u_f64_e64 s29, v[11:12], v[11:12]
	v_min_num_f64_e32 v[61:62], v[59:60], v[57:58]
	v_max_num_f64_e32 v[59:60], v[59:60], v[57:58]
	s_wait_alu 0xf1ff
	s_delay_alu instid0(VALU_DEP_2) | instskip(NEXT) | instid1(VALU_DEP_3)
	v_cndmask_b32_e64 v61, v61, v69, s30
	v_cndmask_b32_e64 v62, v62, v70, s30
	s_delay_alu instid0(VALU_DEP_3) | instskip(NEXT) | instid1(VALU_DEP_4)
	v_cndmask_b32_e64 v60, v60, v70, s30
	v_cndmask_b32_e64 v59, v59, v69, s30
	s_delay_alu instid0(VALU_DEP_4) | instskip(NEXT) | instid1(VALU_DEP_4)
	v_cndmask_b32_e64 v61, v61, v11, s29
	v_cndmask_b32_e64 v62, v62, v12, s29
	s_delay_alu instid0(VALU_DEP_4) | instskip(NEXT) | instid1(VALU_DEP_4)
	v_cndmask_b32_e64 v60, v60, v12, s29
	v_cndmask_b32_e64 v59, v59, v11, s29
	s_delay_alu instid0(VALU_DEP_3) | instskip(NEXT) | instid1(VALU_DEP_2)
	v_cmp_class_f64_e64 s31, v[61:62], 0x1f8
	v_cmp_neq_f64_e64 s30, v[61:62], v[59:60]
	s_or_b32 s30, s30, s31
	s_wait_alu 0xfffe
	s_and_saveexec_b32 s38, s30
	s_cbranch_execz .LBB42_58
; %bb.57:
	v_add_f64_e64 v[61:62], v[61:62], -v[59:60]
	s_mov_b32 s30, 0x652b82fe
	s_mov_b32 s31, 0x3ff71547
	;; [unrolled: 1-line block ×10, first 2 shown]
	s_wait_alu 0xfffe
	s_delay_alu instid0(VALU_DEP_1) | instskip(SKIP_2) | instid1(VALU_DEP_1)
	v_mul_f64_e32 v[69:70], s[30:31], v[61:62]
	s_mov_b32 s30, 0xfca7ab0c
	s_mov_b32 s31, 0x3e928af3
	v_rndne_f64_e32 v[69:70], v[69:70]
	s_delay_alu instid0(VALU_DEP_1) | instskip(SKIP_2) | instid1(VALU_DEP_2)
	v_fma_f64 v[71:72], v[69:70], s[34:35], v[61:62]
	v_cvt_i32_f64_e32 v75, v[69:70]
	s_mov_b32 s35, 0x3fe62e42
	v_fma_f64 v[71:72], v[69:70], s[36:37], v[71:72]
	s_mov_b32 s37, 0x3c7abc9e
	s_wait_alu 0xfffe
	s_delay_alu instid0(VALU_DEP_1)
	v_fma_f64 v[73:74], v[71:72], s[40:41], s[30:31]
	s_mov_b32 s30, 0x623fde64
	s_mov_b32 s31, 0x3ec71dee
	;; [unrolled: 1-line block ×4, first 2 shown]
	s_wait_alu 0xfffe
	s_delay_alu instid0(VALU_DEP_1) | instskip(SKIP_3) | instid1(VALU_DEP_1)
	v_fma_f64 v[73:74], v[71:72], v[73:74], s[30:31]
	s_mov_b32 s30, 0x7c89e6b0
	s_mov_b32 s31, 0x3efa0199
	s_wait_alu 0xfffe
	v_fma_f64 v[73:74], v[71:72], v[73:74], s[30:31]
	s_mov_b32 s30, 0x14761f6e
	s_mov_b32 s31, 0x3f2a01a0
	s_wait_alu 0xfffe
	s_delay_alu instid0(VALU_DEP_1) | instskip(SKIP_3) | instid1(VALU_DEP_1)
	v_fma_f64 v[73:74], v[71:72], v[73:74], s[30:31]
	s_mov_b32 s30, 0x1852b7b0
	s_mov_b32 s31, 0x3f56c16c
	s_wait_alu 0xfffe
	v_fma_f64 v[73:74], v[71:72], v[73:74], s[30:31]
	s_mov_b32 s30, 0x11122322
	s_mov_b32 s31, 0x3f811111
	;; [unrolled: 9-line block ×3, first 2 shown]
	s_wait_alu 0xfffe
	s_delay_alu instid0(VALU_DEP_1) | instskip(SKIP_3) | instid1(VALU_DEP_1)
	v_fma_f64 v[73:74], v[71:72], v[73:74], s[30:31]
	s_mov_b32 s30, 11
	s_mov_b32 s31, 0x3fe00000
	s_wait_alu 0xfffe
	v_fma_f64 v[73:74], v[71:72], v[73:74], s[30:31]
	v_cmp_nlt_f64_e64 s30, 0x40900000, v[61:62]
	v_cmp_ngt_f64_e64 s31, 0xc090cc00, v[61:62]
	s_delay_alu instid0(VALU_DEP_3) | instskip(NEXT) | instid1(VALU_DEP_1)
	v_fma_f64 v[73:74], v[71:72], v[73:74], 1.0
	v_fma_f64 v[69:70], v[71:72], v[73:74], 1.0
	s_delay_alu instid0(VALU_DEP_1) | instskip(SKIP_1) | instid1(VALU_DEP_1)
	v_ldexp_f64 v[69:70], v[69:70], v75
	s_wait_alu 0xf1ff
	v_cndmask_b32_e64 v70, 0x7ff00000, v70, s30
	s_and_b32 s30, s31, s30
	s_wait_alu 0xfffe
	s_delay_alu instid0(VALU_DEP_2) | instskip(SKIP_3) | instid1(VALU_DEP_1)
	v_cndmask_b32_e64 v61, 0, v69, s30
	s_mov_b32 s30, 0x55555555
	v_cndmask_b32_e64 v62, 0, v70, s31
	s_mov_b32 s31, 0x3fe55555
	v_add_f64_e32 v[69:70], 1.0, v[61:62]
	s_delay_alu instid0(VALU_DEP_1) | instskip(SKIP_3) | instid1(VALU_DEP_3)
	v_frexp_mant_f64_e32 v[71:72], v[69:70]
	v_frexp_exp_i32_f64_e32 v75, v[69:70]
	v_add_f64_e32 v[73:74], -1.0, v[69:70]
	s_wait_alu 0xfffe
	v_cmp_gt_f64_e64 s30, s[30:31], v[71:72]
	s_delay_alu instid0(VALU_DEP_2) | instskip(SKIP_2) | instid1(VALU_DEP_3)
	v_add_f64_e64 v[71:72], v[73:74], -v[69:70]
	v_add_f64_e64 v[73:74], v[61:62], -v[73:74]
	s_wait_alu 0xf1ff
	v_subrev_co_ci_u32_e64 v110, null, 0, v75, s30
	s_delay_alu instid0(VALU_DEP_3) | instskip(SKIP_1) | instid1(VALU_DEP_2)
	v_add_f64_e32 v[71:72], 1.0, v[71:72]
	s_mov_b32 s30, 0x55555780
	v_sub_nc_u32_e32 v96, 0, v110
	s_delay_alu instid0(VALU_DEP_1) | instskip(NEXT) | instid1(VALU_DEP_3)
	v_ldexp_f64 v[69:70], v[69:70], v96
	v_add_f64_e32 v[71:72], v[73:74], v[71:72]
	s_delay_alu instid0(VALU_DEP_2) | instskip(SKIP_1) | instid1(VALU_DEP_3)
	v_add_f64_e32 v[75:76], 1.0, v[69:70]
	v_add_f64_e32 v[100:101], -1.0, v[69:70]
	v_ldexp_f64 v[71:72], v[71:72], v96
	s_delay_alu instid0(VALU_DEP_3) | instskip(NEXT) | instid1(VALU_DEP_3)
	v_add_f64_e32 v[73:74], -1.0, v[75:76]
	v_add_f64_e32 v[102:103], 1.0, v[100:101]
	s_delay_alu instid0(VALU_DEP_2) | instskip(NEXT) | instid1(VALU_DEP_2)
	v_add_f64_e64 v[73:74], v[69:70], -v[73:74]
	v_add_f64_e64 v[69:70], v[69:70], -v[102:103]
	s_delay_alu instid0(VALU_DEP_2) | instskip(NEXT) | instid1(VALU_DEP_2)
	v_add_f64_e32 v[73:74], v[71:72], v[73:74]
	v_add_f64_e32 v[69:70], v[71:72], v[69:70]
	s_delay_alu instid0(VALU_DEP_2) | instskip(NEXT) | instid1(VALU_DEP_2)
	v_add_f64_e32 v[96:97], v[75:76], v[73:74]
	v_add_f64_e32 v[102:103], v[100:101], v[69:70]
	s_delay_alu instid0(VALU_DEP_2) | instskip(SKIP_1) | instid1(VALU_DEP_2)
	v_rcp_f64_e32 v[98:99], v[96:97]
	v_add_f64_e64 v[75:76], v[96:97], -v[75:76]
	v_add_f64_e64 v[100:101], v[102:103], -v[100:101]
	s_delay_alu instid0(VALU_DEP_2) | instskip(NEXT) | instid1(TRANS32_DEP_1)
	v_add_f64_e64 v[73:74], v[73:74], -v[75:76]
	v_fma_f64 v[104:105], -v[96:97], v[98:99], 1.0
	s_delay_alu instid0(VALU_DEP_3) | instskip(NEXT) | instid1(VALU_DEP_2)
	v_add_f64_e64 v[69:70], v[69:70], -v[100:101]
	v_fma_f64 v[98:99], v[104:105], v[98:99], v[98:99]
	s_delay_alu instid0(VALU_DEP_1) | instskip(NEXT) | instid1(VALU_DEP_1)
	v_fma_f64 v[71:72], -v[96:97], v[98:99], 1.0
	v_fma_f64 v[71:72], v[71:72], v[98:99], v[98:99]
	s_delay_alu instid0(VALU_DEP_1) | instskip(NEXT) | instid1(VALU_DEP_1)
	v_mul_f64_e32 v[98:99], v[102:103], v[71:72]
	v_mul_f64_e32 v[104:105], v[96:97], v[98:99]
	s_delay_alu instid0(VALU_DEP_1) | instskip(NEXT) | instid1(VALU_DEP_1)
	v_fma_f64 v[75:76], v[98:99], v[96:97], -v[104:105]
	v_fma_f64 v[75:76], v[98:99], v[73:74], v[75:76]
	s_delay_alu instid0(VALU_DEP_1) | instskip(NEXT) | instid1(VALU_DEP_1)
	v_add_f64_e32 v[106:107], v[104:105], v[75:76]
	v_add_f64_e64 v[108:109], v[102:103], -v[106:107]
	v_add_f64_e64 v[100:101], v[106:107], -v[104:105]
	s_delay_alu instid0(VALU_DEP_2) | instskip(NEXT) | instid1(VALU_DEP_2)
	v_add_f64_e64 v[102:103], v[102:103], -v[108:109]
	v_add_f64_e64 v[75:76], v[100:101], -v[75:76]
	s_delay_alu instid0(VALU_DEP_2) | instskip(NEXT) | instid1(VALU_DEP_1)
	v_add_f64_e64 v[102:103], v[102:103], -v[106:107]
	v_add_f64_e32 v[69:70], v[69:70], v[102:103]
	s_delay_alu instid0(VALU_DEP_1) | instskip(NEXT) | instid1(VALU_DEP_1)
	v_add_f64_e32 v[69:70], v[75:76], v[69:70]
	v_add_f64_e32 v[75:76], v[108:109], v[69:70]
	s_delay_alu instid0(VALU_DEP_1) | instskip(SKIP_1) | instid1(VALU_DEP_2)
	v_mul_f64_e32 v[100:101], v[71:72], v[75:76]
	v_add_f64_e64 v[106:107], v[108:109], -v[75:76]
	v_mul_f64_e32 v[102:103], v[96:97], v[100:101]
	s_delay_alu instid0(VALU_DEP_2) | instskip(NEXT) | instid1(VALU_DEP_2)
	v_add_f64_e32 v[69:70], v[69:70], v[106:107]
	v_fma_f64 v[96:97], v[100:101], v[96:97], -v[102:103]
	s_delay_alu instid0(VALU_DEP_1) | instskip(NEXT) | instid1(VALU_DEP_1)
	v_fma_f64 v[73:74], v[100:101], v[73:74], v[96:97]
	v_add_f64_e32 v[96:97], v[102:103], v[73:74]
	s_delay_alu instid0(VALU_DEP_1) | instskip(SKIP_1) | instid1(VALU_DEP_2)
	v_add_f64_e64 v[104:105], v[75:76], -v[96:97]
	v_add_f64_e64 v[102:103], v[96:97], -v[102:103]
	v_add_f64_e64 v[75:76], v[75:76], -v[104:105]
	s_delay_alu instid0(VALU_DEP_2) | instskip(NEXT) | instid1(VALU_DEP_2)
	v_add_f64_e64 v[73:74], v[102:103], -v[73:74]
	v_add_f64_e64 v[75:76], v[75:76], -v[96:97]
	s_delay_alu instid0(VALU_DEP_1) | instskip(SKIP_1) | instid1(VALU_DEP_2)
	v_add_f64_e32 v[69:70], v[69:70], v[75:76]
	v_add_f64_e32 v[75:76], v[98:99], v[100:101]
	;; [unrolled: 1-line block ×3, first 2 shown]
	s_delay_alu instid0(VALU_DEP_2) | instskip(NEXT) | instid1(VALU_DEP_2)
	v_add_f64_e64 v[73:74], v[75:76], -v[98:99]
	v_add_f64_e32 v[69:70], v[104:105], v[69:70]
	s_delay_alu instid0(VALU_DEP_2) | instskip(NEXT) | instid1(VALU_DEP_2)
	v_add_f64_e64 v[73:74], v[100:101], -v[73:74]
	v_mul_f64_e32 v[69:70], v[71:72], v[69:70]
	s_delay_alu instid0(VALU_DEP_1) | instskip(NEXT) | instid1(VALU_DEP_1)
	v_add_f64_e32 v[69:70], v[73:74], v[69:70]
	v_add_f64_e32 v[71:72], v[75:76], v[69:70]
	s_delay_alu instid0(VALU_DEP_1) | instskip(NEXT) | instid1(VALU_DEP_1)
	v_mul_f64_e32 v[73:74], v[71:72], v[71:72]
	v_fma_f64 v[96:97], v[73:74], s[42:43], s[40:41]
	s_mov_b32 s40, 0xd7f4df2e
	s_mov_b32 s41, 0x3fc7474d
	v_mul_f64_e32 v[98:99], v[71:72], v[73:74]
	s_wait_alu 0xfffe
	s_delay_alu instid0(VALU_DEP_2) | instskip(SKIP_3) | instid1(VALU_DEP_1)
	v_fma_f64 v[96:97], v[73:74], v[96:97], s[40:41]
	s_mov_b32 s40, 0x16291751
	s_mov_b32 s41, 0x3fcc71c0
	s_wait_alu 0xfffe
	v_fma_f64 v[96:97], v[73:74], v[96:97], s[40:41]
	s_mov_b32 s40, 0x9b27acf1
	s_mov_b32 s41, 0x3fd24924
	s_wait_alu 0xfffe
	s_delay_alu instid0(VALU_DEP_1) | instskip(SKIP_3) | instid1(VALU_DEP_1)
	v_fma_f64 v[96:97], v[73:74], v[96:97], s[40:41]
	s_mov_b32 s40, 0x998ef7b6
	s_mov_b32 s41, 0x3fd99999
	s_wait_alu 0xfffe
	v_fma_f64 v[96:97], v[73:74], v[96:97], s[40:41]
	s_delay_alu instid0(VALU_DEP_1)
	v_fma_f64 v[73:74], v[73:74], v[96:97], s[30:31]
	v_ldexp_f64 v[96:97], v[71:72], 1
	v_add_f64_e64 v[71:72], v[71:72], -v[75:76]
	v_cmp_nge_f64_e64 s30, -1.0, v[61:62]
	v_cmp_neq_f64_e64 s31, 0x7ff00000, v[61:62]
	v_mul_f64_e32 v[73:74], v[98:99], v[73:74]
	v_cvt_f64_i32_e32 v[98:99], v110
	v_add_f64_e64 v[69:70], v[69:70], -v[71:72]
	s_and_b32 s30, s30, s31
	s_delay_alu instid0(VALU_DEP_3) | instskip(NEXT) | instid1(VALU_DEP_3)
	v_add_f64_e32 v[75:76], v[96:97], v[73:74]
	v_mul_f64_e32 v[100:101], s[34:35], v[98:99]
	s_delay_alu instid0(VALU_DEP_3) | instskip(NEXT) | instid1(VALU_DEP_3)
	v_ldexp_f64 v[69:70], v[69:70], 1
	v_add_f64_e64 v[71:72], v[75:76], -v[96:97]
	s_delay_alu instid0(VALU_DEP_3) | instskip(SKIP_1) | instid1(VALU_DEP_3)
	v_fma_f64 v[96:97], v[98:99], s[34:35], -v[100:101]
	v_cmp_ngt_f64_e64 s34, -1.0, v[61:62]
	v_add_f64_e64 v[71:72], v[73:74], -v[71:72]
	s_delay_alu instid0(VALU_DEP_3) | instskip(NEXT) | instid1(VALU_DEP_2)
	v_fma_f64 v[73:74], v[98:99], s[36:37], v[96:97]
	v_add_f64_e32 v[69:70], v[69:70], v[71:72]
	s_delay_alu instid0(VALU_DEP_2) | instskip(NEXT) | instid1(VALU_DEP_2)
	v_add_f64_e32 v[71:72], v[100:101], v[73:74]
	v_add_f64_e32 v[96:97], v[75:76], v[69:70]
	s_delay_alu instid0(VALU_DEP_2) | instskip(NEXT) | instid1(VALU_DEP_2)
	v_add_f64_e64 v[100:101], v[71:72], -v[100:101]
	v_add_f64_e32 v[98:99], v[71:72], v[96:97]
	v_add_f64_e64 v[75:76], v[96:97], -v[75:76]
	s_delay_alu instid0(VALU_DEP_3) | instskip(NEXT) | instid1(VALU_DEP_3)
	v_add_f64_e64 v[73:74], v[73:74], -v[100:101]
	v_add_f64_e64 v[102:103], v[98:99], -v[71:72]
	s_delay_alu instid0(VALU_DEP_3) | instskip(NEXT) | instid1(VALU_DEP_2)
	v_add_f64_e64 v[69:70], v[69:70], -v[75:76]
	v_add_f64_e64 v[104:105], v[98:99], -v[102:103]
	;; [unrolled: 1-line block ×3, first 2 shown]
	s_delay_alu instid0(VALU_DEP_3) | instskip(NEXT) | instid1(VALU_DEP_3)
	v_add_f64_e32 v[96:97], v[73:74], v[69:70]
	v_add_f64_e64 v[71:72], v[71:72], -v[104:105]
	s_delay_alu instid0(VALU_DEP_1) | instskip(NEXT) | instid1(VALU_DEP_3)
	v_add_f64_e32 v[71:72], v[75:76], v[71:72]
	v_add_f64_e64 v[75:76], v[96:97], -v[73:74]
	s_delay_alu instid0(VALU_DEP_2) | instskip(NEXT) | instid1(VALU_DEP_2)
	v_add_f64_e32 v[71:72], v[96:97], v[71:72]
	v_add_f64_e64 v[96:97], v[96:97], -v[75:76]
	v_add_f64_e64 v[69:70], v[69:70], -v[75:76]
	s_delay_alu instid0(VALU_DEP_3) | instskip(NEXT) | instid1(VALU_DEP_3)
	v_add_f64_e32 v[100:101], v[98:99], v[71:72]
	v_add_f64_e64 v[73:74], v[73:74], -v[96:97]
	s_delay_alu instid0(VALU_DEP_2) | instskip(NEXT) | instid1(VALU_DEP_2)
	v_add_f64_e64 v[75:76], v[100:101], -v[98:99]
	v_add_f64_e32 v[69:70], v[69:70], v[73:74]
	s_delay_alu instid0(VALU_DEP_2) | instskip(NEXT) | instid1(VALU_DEP_1)
	v_add_f64_e64 v[71:72], v[71:72], -v[75:76]
	v_add_f64_e32 v[69:70], v[69:70], v[71:72]
	s_delay_alu instid0(VALU_DEP_1) | instskip(SKIP_1) | instid1(VALU_DEP_1)
	v_add_f64_e32 v[69:70], v[100:101], v[69:70]
	s_wait_alu 0xfffe
	v_cndmask_b32_e64 v69, 0, v69, s30
	v_cmp_neq_f64_e64 s30, -1.0, v[61:62]
	s_delay_alu instid0(VALU_DEP_3) | instskip(SKIP_1) | instid1(VALU_DEP_1)
	v_cndmask_b32_e64 v70, 0x7ff00000, v70, s31
	s_wait_alu 0xf1ff
	v_cndmask_b32_e64 v70, 0x7ff80000, v70, s34
	s_delay_alu instid0(VALU_DEP_1) | instskip(NEXT) | instid1(VALU_DEP_1)
	v_cndmask_b32_e64 v70, 0xfff00000, v70, s30
	v_add_f64_e32 v[69:70], v[59:60], v[69:70]
.LBB42_58:
	s_wait_alu 0xfffe
	s_or_b32 exec_lo, exec_lo, s38
	v_max_num_f64_e32 v[59:60], v[5:6], v[5:6]
	s_delay_alu instid0(VALU_DEP_2) | instskip(SKIP_2) | instid1(VALU_DEP_3)
	v_max_num_f64_e32 v[61:62], v[69:70], v[69:70]
	v_cmp_u_f64_e64 s31, v[69:70], v[69:70]
	v_cmp_u_f64_e64 s30, v[5:6], v[5:6]
	v_min_num_f64_e32 v[71:72], v[61:62], v[59:60]
	v_max_num_f64_e32 v[61:62], v[61:62], v[59:60]
	s_wait_alu 0xf1ff
	s_delay_alu instid0(VALU_DEP_2) | instskip(NEXT) | instid1(VALU_DEP_3)
	v_cndmask_b32_e64 v71, v71, v69, s31
	v_cndmask_b32_e64 v72, v72, v70, s31
	s_delay_alu instid0(VALU_DEP_3) | instskip(NEXT) | instid1(VALU_DEP_4)
	v_cndmask_b32_e64 v62, v62, v70, s31
	v_cndmask_b32_e64 v61, v61, v69, s31
	s_delay_alu instid0(VALU_DEP_4) | instskip(NEXT) | instid1(VALU_DEP_4)
	v_cndmask_b32_e64 v71, v71, v5, s30
	v_cndmask_b32_e64 v72, v72, v6, s30
	s_delay_alu instid0(VALU_DEP_4) | instskip(NEXT) | instid1(VALU_DEP_4)
	v_cndmask_b32_e64 v62, v62, v6, s30
	v_cndmask_b32_e64 v61, v61, v5, s30
	s_delay_alu instid0(VALU_DEP_3) | instskip(NEXT) | instid1(VALU_DEP_2)
	v_cmp_class_f64_e64 s34, v[71:72], 0x1f8
	v_cmp_neq_f64_e64 s31, v[71:72], v[61:62]
	s_or_b32 s31, s31, s34
	s_wait_alu 0xfffe
	s_and_saveexec_b32 s40, s31
	s_cbranch_execz .LBB42_60
; %bb.59:
	v_add_f64_e64 v[69:70], v[71:72], -v[61:62]
	s_mov_b32 s34, 0x652b82fe
	s_mov_b32 s35, 0x3ff71547
	;; [unrolled: 1-line block ×10, first 2 shown]
	s_wait_alu 0xfffe
	s_delay_alu instid0(VALU_DEP_1) | instskip(SKIP_3) | instid1(VALU_DEP_2)
	v_mul_f64_e32 v[71:72], s[34:35], v[69:70]
	s_mov_b32 s34, 0xfca7ab0c
	s_mov_b32 s35, 0x3e928af3
	v_cmp_nlt_f64_e64 s31, 0x40900000, v[69:70]
	v_rndne_f64_e32 v[71:72], v[71:72]
	s_delay_alu instid0(VALU_DEP_1) | instskip(SKIP_2) | instid1(VALU_DEP_2)
	v_fma_f64 v[73:74], v[71:72], s[36:37], v[69:70]
	v_cvt_i32_f64_e32 v96, v[71:72]
	s_mov_b32 s37, 0x3fe62e42
	v_fma_f64 v[73:74], v[71:72], s[38:39], v[73:74]
	s_mov_b32 s39, 0x3c7abc9e
	s_wait_alu 0xfffe
	s_delay_alu instid0(VALU_DEP_1)
	v_fma_f64 v[75:76], v[73:74], s[42:43], s[34:35]
	s_mov_b32 s34, 0x623fde64
	s_mov_b32 s35, 0x3ec71dee
	;; [unrolled: 1-line block ×4, first 2 shown]
	s_wait_alu 0xfffe
	s_delay_alu instid0(VALU_DEP_1) | instskip(SKIP_3) | instid1(VALU_DEP_1)
	v_fma_f64 v[75:76], v[73:74], v[75:76], s[34:35]
	s_mov_b32 s34, 0x7c89e6b0
	s_mov_b32 s35, 0x3efa0199
	s_wait_alu 0xfffe
	v_fma_f64 v[75:76], v[73:74], v[75:76], s[34:35]
	s_mov_b32 s34, 0x14761f6e
	s_mov_b32 s35, 0x3f2a01a0
	s_wait_alu 0xfffe
	s_delay_alu instid0(VALU_DEP_1) | instskip(SKIP_3) | instid1(VALU_DEP_1)
	v_fma_f64 v[75:76], v[73:74], v[75:76], s[34:35]
	s_mov_b32 s34, 0x1852b7b0
	s_mov_b32 s35, 0x3f56c16c
	s_wait_alu 0xfffe
	v_fma_f64 v[75:76], v[73:74], v[75:76], s[34:35]
	s_mov_b32 s34, 0x11122322
	s_mov_b32 s35, 0x3f811111
	;; [unrolled: 9-line block ×3, first 2 shown]
	s_wait_alu 0xfffe
	s_delay_alu instid0(VALU_DEP_1) | instskip(SKIP_3) | instid1(VALU_DEP_1)
	v_fma_f64 v[75:76], v[73:74], v[75:76], s[34:35]
	s_mov_b32 s34, 11
	s_mov_b32 s35, 0x3fe00000
	s_wait_alu 0xfffe
	v_fma_f64 v[75:76], v[73:74], v[75:76], s[34:35]
	v_cmp_ngt_f64_e64 s34, 0xc090cc00, v[69:70]
	s_mov_b32 s35, 0x3fe55555
	v_fma_f64 v[75:76], v[73:74], v[75:76], 1.0
	s_delay_alu instid0(VALU_DEP_1) | instskip(NEXT) | instid1(VALU_DEP_1)
	v_fma_f64 v[71:72], v[73:74], v[75:76], 1.0
	v_ldexp_f64 v[71:72], v[71:72], v96
	s_wait_alu 0xf1ff
	s_delay_alu instid0(VALU_DEP_1) | instskip(SKIP_2) | instid1(VALU_DEP_2)
	v_cndmask_b32_e64 v72, 0x7ff00000, v72, s31
	s_and_b32 s31, s34, s31
	s_wait_alu 0xfffe
	v_cndmask_b32_e64 v69, 0, v71, s31
	s_delay_alu instid0(VALU_DEP_2) | instskip(SKIP_1) | instid1(VALU_DEP_1)
	v_cndmask_b32_e64 v70, 0, v72, s34
	s_mov_b32 s34, 0x55555555
	v_add_f64_e32 v[71:72], 1.0, v[69:70]
	s_delay_alu instid0(VALU_DEP_1) | instskip(SKIP_3) | instid1(VALU_DEP_3)
	v_frexp_mant_f64_e32 v[73:74], v[71:72]
	v_frexp_exp_i32_f64_e32 v96, v[71:72]
	v_add_f64_e32 v[75:76], -1.0, v[71:72]
	s_wait_alu 0xfffe
	v_cmp_gt_f64_e64 s31, s[34:35], v[73:74]
	s_mov_b32 s34, 0x55555780
	v_add_f64_e64 v[73:74], v[75:76], -v[71:72]
	v_add_f64_e64 v[75:76], v[69:70], -v[75:76]
	s_wait_alu 0xf1ff
	v_subrev_co_ci_u32_e64 v112, null, 0, v96, s31
	s_delay_alu instid0(VALU_DEP_3) | instskip(SKIP_1) | instid1(VALU_DEP_3)
	v_add_f64_e32 v[73:74], 1.0, v[73:74]
	v_cmp_nge_f64_e64 s31, -1.0, v[69:70]
	v_sub_nc_u32_e32 v98, 0, v112
	s_delay_alu instid0(VALU_DEP_1) | instskip(NEXT) | instid1(VALU_DEP_4)
	v_ldexp_f64 v[71:72], v[71:72], v98
	v_add_f64_e32 v[73:74], v[75:76], v[73:74]
	s_delay_alu instid0(VALU_DEP_2) | instskip(SKIP_1) | instid1(VALU_DEP_3)
	v_add_f64_e32 v[96:97], 1.0, v[71:72]
	v_add_f64_e32 v[102:103], -1.0, v[71:72]
	v_ldexp_f64 v[73:74], v[73:74], v98
	s_delay_alu instid0(VALU_DEP_3) | instskip(NEXT) | instid1(VALU_DEP_3)
	v_add_f64_e32 v[75:76], -1.0, v[96:97]
	v_add_f64_e32 v[104:105], 1.0, v[102:103]
	s_delay_alu instid0(VALU_DEP_2) | instskip(NEXT) | instid1(VALU_DEP_2)
	v_add_f64_e64 v[75:76], v[71:72], -v[75:76]
	v_add_f64_e64 v[71:72], v[71:72], -v[104:105]
	s_delay_alu instid0(VALU_DEP_2) | instskip(NEXT) | instid1(VALU_DEP_2)
	v_add_f64_e32 v[75:76], v[73:74], v[75:76]
	v_add_f64_e32 v[71:72], v[73:74], v[71:72]
	s_delay_alu instid0(VALU_DEP_2) | instskip(NEXT) | instid1(VALU_DEP_2)
	v_add_f64_e32 v[98:99], v[96:97], v[75:76]
	v_add_f64_e32 v[104:105], v[102:103], v[71:72]
	s_delay_alu instid0(VALU_DEP_2) | instskip(SKIP_1) | instid1(VALU_DEP_2)
	v_rcp_f64_e32 v[100:101], v[98:99]
	v_add_f64_e64 v[96:97], v[98:99], -v[96:97]
	v_add_f64_e64 v[102:103], v[104:105], -v[102:103]
	s_delay_alu instid0(VALU_DEP_2) | instskip(NEXT) | instid1(TRANS32_DEP_1)
	v_add_f64_e64 v[75:76], v[75:76], -v[96:97]
	v_fma_f64 v[106:107], -v[98:99], v[100:101], 1.0
	s_delay_alu instid0(VALU_DEP_3) | instskip(NEXT) | instid1(VALU_DEP_2)
	v_add_f64_e64 v[71:72], v[71:72], -v[102:103]
	v_fma_f64 v[100:101], v[106:107], v[100:101], v[100:101]
	s_delay_alu instid0(VALU_DEP_1) | instskip(NEXT) | instid1(VALU_DEP_1)
	v_fma_f64 v[73:74], -v[98:99], v[100:101], 1.0
	v_fma_f64 v[73:74], v[73:74], v[100:101], v[100:101]
	s_delay_alu instid0(VALU_DEP_1) | instskip(NEXT) | instid1(VALU_DEP_1)
	v_mul_f64_e32 v[100:101], v[104:105], v[73:74]
	v_mul_f64_e32 v[106:107], v[98:99], v[100:101]
	s_delay_alu instid0(VALU_DEP_1) | instskip(NEXT) | instid1(VALU_DEP_1)
	v_fma_f64 v[96:97], v[100:101], v[98:99], -v[106:107]
	v_fma_f64 v[96:97], v[100:101], v[75:76], v[96:97]
	s_delay_alu instid0(VALU_DEP_1) | instskip(NEXT) | instid1(VALU_DEP_1)
	v_add_f64_e32 v[108:109], v[106:107], v[96:97]
	v_add_f64_e64 v[110:111], v[104:105], -v[108:109]
	v_add_f64_e64 v[102:103], v[108:109], -v[106:107]
	s_delay_alu instid0(VALU_DEP_2) | instskip(NEXT) | instid1(VALU_DEP_2)
	v_add_f64_e64 v[104:105], v[104:105], -v[110:111]
	v_add_f64_e64 v[96:97], v[102:103], -v[96:97]
	s_delay_alu instid0(VALU_DEP_2) | instskip(NEXT) | instid1(VALU_DEP_1)
	v_add_f64_e64 v[104:105], v[104:105], -v[108:109]
	v_add_f64_e32 v[71:72], v[71:72], v[104:105]
	s_delay_alu instid0(VALU_DEP_1) | instskip(NEXT) | instid1(VALU_DEP_1)
	v_add_f64_e32 v[71:72], v[96:97], v[71:72]
	v_add_f64_e32 v[96:97], v[110:111], v[71:72]
	s_delay_alu instid0(VALU_DEP_1) | instskip(SKIP_1) | instid1(VALU_DEP_2)
	v_mul_f64_e32 v[102:103], v[73:74], v[96:97]
	v_add_f64_e64 v[108:109], v[110:111], -v[96:97]
	v_mul_f64_e32 v[104:105], v[98:99], v[102:103]
	s_delay_alu instid0(VALU_DEP_2) | instskip(NEXT) | instid1(VALU_DEP_2)
	v_add_f64_e32 v[71:72], v[71:72], v[108:109]
	v_fma_f64 v[98:99], v[102:103], v[98:99], -v[104:105]
	s_delay_alu instid0(VALU_DEP_1) | instskip(NEXT) | instid1(VALU_DEP_1)
	v_fma_f64 v[75:76], v[102:103], v[75:76], v[98:99]
	v_add_f64_e32 v[98:99], v[104:105], v[75:76]
	s_delay_alu instid0(VALU_DEP_1) | instskip(SKIP_1) | instid1(VALU_DEP_2)
	v_add_f64_e64 v[106:107], v[96:97], -v[98:99]
	v_add_f64_e64 v[104:105], v[98:99], -v[104:105]
	;; [unrolled: 1-line block ×3, first 2 shown]
	s_delay_alu instid0(VALU_DEP_2) | instskip(NEXT) | instid1(VALU_DEP_2)
	v_add_f64_e64 v[75:76], v[104:105], -v[75:76]
	v_add_f64_e64 v[96:97], v[96:97], -v[98:99]
	s_delay_alu instid0(VALU_DEP_1) | instskip(SKIP_1) | instid1(VALU_DEP_2)
	v_add_f64_e32 v[71:72], v[71:72], v[96:97]
	v_add_f64_e32 v[96:97], v[100:101], v[102:103]
	;; [unrolled: 1-line block ×3, first 2 shown]
	s_delay_alu instid0(VALU_DEP_2) | instskip(NEXT) | instid1(VALU_DEP_2)
	v_add_f64_e64 v[75:76], v[96:97], -v[100:101]
	v_add_f64_e32 v[71:72], v[106:107], v[71:72]
	s_delay_alu instid0(VALU_DEP_2) | instskip(NEXT) | instid1(VALU_DEP_2)
	v_add_f64_e64 v[75:76], v[102:103], -v[75:76]
	v_mul_f64_e32 v[71:72], v[73:74], v[71:72]
	s_delay_alu instid0(VALU_DEP_1) | instskip(NEXT) | instid1(VALU_DEP_1)
	v_add_f64_e32 v[71:72], v[75:76], v[71:72]
	v_add_f64_e32 v[73:74], v[96:97], v[71:72]
	s_delay_alu instid0(VALU_DEP_1) | instskip(NEXT) | instid1(VALU_DEP_1)
	v_mul_f64_e32 v[75:76], v[73:74], v[73:74]
	v_fma_f64 v[98:99], v[75:76], s[44:45], s[42:43]
	s_mov_b32 s42, 0xd7f4df2e
	s_mov_b32 s43, 0x3fc7474d
	v_mul_f64_e32 v[100:101], v[73:74], v[75:76]
	s_wait_alu 0xfffe
	s_delay_alu instid0(VALU_DEP_2) | instskip(SKIP_3) | instid1(VALU_DEP_1)
	v_fma_f64 v[98:99], v[75:76], v[98:99], s[42:43]
	s_mov_b32 s42, 0x16291751
	s_mov_b32 s43, 0x3fcc71c0
	s_wait_alu 0xfffe
	v_fma_f64 v[98:99], v[75:76], v[98:99], s[42:43]
	s_mov_b32 s42, 0x9b27acf1
	s_mov_b32 s43, 0x3fd24924
	s_wait_alu 0xfffe
	s_delay_alu instid0(VALU_DEP_1) | instskip(SKIP_3) | instid1(VALU_DEP_1)
	v_fma_f64 v[98:99], v[75:76], v[98:99], s[42:43]
	s_mov_b32 s42, 0x998ef7b6
	s_mov_b32 s43, 0x3fd99999
	s_wait_alu 0xfffe
	v_fma_f64 v[98:99], v[75:76], v[98:99], s[42:43]
	s_delay_alu instid0(VALU_DEP_1)
	v_fma_f64 v[75:76], v[75:76], v[98:99], s[34:35]
	v_ldexp_f64 v[98:99], v[73:74], 1
	v_add_f64_e64 v[73:74], v[73:74], -v[96:97]
	v_cmp_neq_f64_e64 s34, 0x7ff00000, v[69:70]
	v_cmp_ngt_f64_e64 s35, -1.0, v[69:70]
	v_mul_f64_e32 v[75:76], v[100:101], v[75:76]
	v_cvt_f64_i32_e32 v[100:101], v112
	v_add_f64_e64 v[71:72], v[71:72], -v[73:74]
	s_and_b32 s31, s31, s34
	s_delay_alu instid0(VALU_DEP_3) | instskip(NEXT) | instid1(VALU_DEP_3)
	v_add_f64_e32 v[96:97], v[98:99], v[75:76]
	v_mul_f64_e32 v[102:103], s[36:37], v[100:101]
	s_delay_alu instid0(VALU_DEP_3) | instskip(NEXT) | instid1(VALU_DEP_3)
	v_ldexp_f64 v[71:72], v[71:72], 1
	v_add_f64_e64 v[73:74], v[96:97], -v[98:99]
	s_delay_alu instid0(VALU_DEP_3) | instskip(NEXT) | instid1(VALU_DEP_2)
	v_fma_f64 v[98:99], v[100:101], s[36:37], -v[102:103]
	v_add_f64_e64 v[73:74], v[75:76], -v[73:74]
	s_delay_alu instid0(VALU_DEP_2) | instskip(NEXT) | instid1(VALU_DEP_2)
	v_fma_f64 v[75:76], v[100:101], s[38:39], v[98:99]
	v_add_f64_e32 v[71:72], v[71:72], v[73:74]
	s_delay_alu instid0(VALU_DEP_2) | instskip(NEXT) | instid1(VALU_DEP_2)
	v_add_f64_e32 v[73:74], v[102:103], v[75:76]
	v_add_f64_e32 v[98:99], v[96:97], v[71:72]
	s_delay_alu instid0(VALU_DEP_2) | instskip(NEXT) | instid1(VALU_DEP_2)
	v_add_f64_e64 v[102:103], v[73:74], -v[102:103]
	v_add_f64_e32 v[100:101], v[73:74], v[98:99]
	v_add_f64_e64 v[96:97], v[98:99], -v[96:97]
	s_delay_alu instid0(VALU_DEP_3) | instskip(NEXT) | instid1(VALU_DEP_3)
	v_add_f64_e64 v[75:76], v[75:76], -v[102:103]
	v_add_f64_e64 v[104:105], v[100:101], -v[73:74]
	s_delay_alu instid0(VALU_DEP_3) | instskip(NEXT) | instid1(VALU_DEP_2)
	v_add_f64_e64 v[71:72], v[71:72], -v[96:97]
	v_add_f64_e64 v[106:107], v[100:101], -v[104:105]
	;; [unrolled: 1-line block ×3, first 2 shown]
	s_delay_alu instid0(VALU_DEP_3) | instskip(NEXT) | instid1(VALU_DEP_3)
	v_add_f64_e32 v[98:99], v[75:76], v[71:72]
	v_add_f64_e64 v[73:74], v[73:74], -v[106:107]
	s_delay_alu instid0(VALU_DEP_1) | instskip(NEXT) | instid1(VALU_DEP_3)
	v_add_f64_e32 v[73:74], v[96:97], v[73:74]
	v_add_f64_e64 v[96:97], v[98:99], -v[75:76]
	s_delay_alu instid0(VALU_DEP_2) | instskip(NEXT) | instid1(VALU_DEP_2)
	v_add_f64_e32 v[73:74], v[98:99], v[73:74]
	v_add_f64_e64 v[98:99], v[98:99], -v[96:97]
	v_add_f64_e64 v[71:72], v[71:72], -v[96:97]
	s_delay_alu instid0(VALU_DEP_3) | instskip(NEXT) | instid1(VALU_DEP_3)
	v_add_f64_e32 v[102:103], v[100:101], v[73:74]
	v_add_f64_e64 v[75:76], v[75:76], -v[98:99]
	s_delay_alu instid0(VALU_DEP_2) | instskip(NEXT) | instid1(VALU_DEP_2)
	v_add_f64_e64 v[96:97], v[102:103], -v[100:101]
	v_add_f64_e32 v[71:72], v[71:72], v[75:76]
	s_delay_alu instid0(VALU_DEP_2) | instskip(NEXT) | instid1(VALU_DEP_1)
	v_add_f64_e64 v[73:74], v[73:74], -v[96:97]
	v_add_f64_e32 v[71:72], v[71:72], v[73:74]
	s_delay_alu instid0(VALU_DEP_1) | instskip(SKIP_1) | instid1(VALU_DEP_1)
	v_add_f64_e32 v[71:72], v[102:103], v[71:72]
	s_wait_alu 0xfffe
	v_cndmask_b32_e64 v71, 0, v71, s31
	v_cmp_neq_f64_e64 s31, -1.0, v[69:70]
	s_delay_alu instid0(VALU_DEP_3) | instskip(NEXT) | instid1(VALU_DEP_1)
	v_cndmask_b32_e64 v72, 0x7ff00000, v72, s34
	v_cndmask_b32_e64 v72, 0x7ff80000, v72, s35
	s_wait_alu 0xf1ff
	s_delay_alu instid0(VALU_DEP_1) | instskip(NEXT) | instid1(VALU_DEP_1)
	v_cndmask_b32_e64 v72, 0xfff00000, v72, s31
	v_add_f64_e32 v[69:70], v[61:62], v[71:72]
.LBB42_60:
	s_wait_alu 0xfffe
	s_or_b32 exec_lo, exec_lo, s40
	v_max_num_f64_e32 v[61:62], v[7:8], v[7:8]
	s_delay_alu instid0(VALU_DEP_2) | instskip(SKIP_2) | instid1(VALU_DEP_3)
	v_max_num_f64_e32 v[71:72], v[69:70], v[69:70]
	v_cmp_u_f64_e64 s34, v[69:70], v[69:70]
	v_cmp_u_f64_e64 s31, v[7:8], v[7:8]
	v_min_num_f64_e32 v[73:74], v[71:72], v[61:62]
	v_max_num_f64_e32 v[71:72], v[71:72], v[61:62]
	s_wait_alu 0xf1ff
	s_delay_alu instid0(VALU_DEP_2) | instskip(NEXT) | instid1(VALU_DEP_3)
	v_cndmask_b32_e64 v73, v73, v69, s34
	v_cndmask_b32_e64 v74, v74, v70, s34
	s_delay_alu instid0(VALU_DEP_3) | instskip(NEXT) | instid1(VALU_DEP_4)
	v_cndmask_b32_e64 v72, v72, v70, s34
	v_cndmask_b32_e64 v71, v71, v69, s34
	s_delay_alu instid0(VALU_DEP_4) | instskip(NEXT) | instid1(VALU_DEP_4)
	v_cndmask_b32_e64 v73, v73, v7, s31
	v_cndmask_b32_e64 v74, v74, v8, s31
	s_delay_alu instid0(VALU_DEP_4) | instskip(NEXT) | instid1(VALU_DEP_4)
	v_cndmask_b32_e64 v72, v72, v8, s31
	v_cndmask_b32_e64 v71, v71, v7, s31
	s_delay_alu instid0(VALU_DEP_3) | instskip(NEXT) | instid1(VALU_DEP_2)
	v_cmp_class_f64_e64 s35, v[73:74], 0x1f8
	v_cmp_neq_f64_e64 s34, v[73:74], v[71:72]
	s_or_b32 s34, s34, s35
	s_wait_alu 0xfffe
	s_and_saveexec_b32 s40, s34
	s_cbranch_execz .LBB42_62
; %bb.61:
	v_add_f64_e64 v[69:70], v[73:74], -v[71:72]
	s_mov_b32 s34, 0x652b82fe
	s_mov_b32 s35, 0x3ff71547
	;; [unrolled: 1-line block ×10, first 2 shown]
	s_wait_alu 0xfffe
	s_delay_alu instid0(VALU_DEP_1) | instskip(SKIP_2) | instid1(VALU_DEP_1)
	v_mul_f64_e32 v[73:74], s[34:35], v[69:70]
	s_mov_b32 s34, 0xfca7ab0c
	s_mov_b32 s35, 0x3e928af3
	v_rndne_f64_e32 v[73:74], v[73:74]
	s_delay_alu instid0(VALU_DEP_1) | instskip(SKIP_2) | instid1(VALU_DEP_2)
	v_fma_f64 v[75:76], v[73:74], s[36:37], v[69:70]
	v_cvt_i32_f64_e32 v98, v[73:74]
	s_mov_b32 s37, 0x3fe62e42
	v_fma_f64 v[75:76], v[73:74], s[38:39], v[75:76]
	s_mov_b32 s39, 0x3c7abc9e
	s_wait_alu 0xfffe
	s_delay_alu instid0(VALU_DEP_1)
	v_fma_f64 v[96:97], v[75:76], s[42:43], s[34:35]
	s_mov_b32 s34, 0x623fde64
	s_mov_b32 s35, 0x3ec71dee
	;; [unrolled: 1-line block ×4, first 2 shown]
	s_wait_alu 0xfffe
	s_delay_alu instid0(VALU_DEP_1) | instskip(SKIP_3) | instid1(VALU_DEP_1)
	v_fma_f64 v[96:97], v[75:76], v[96:97], s[34:35]
	s_mov_b32 s34, 0x7c89e6b0
	s_mov_b32 s35, 0x3efa0199
	s_wait_alu 0xfffe
	v_fma_f64 v[96:97], v[75:76], v[96:97], s[34:35]
	s_mov_b32 s34, 0x14761f6e
	s_mov_b32 s35, 0x3f2a01a0
	s_wait_alu 0xfffe
	s_delay_alu instid0(VALU_DEP_1) | instskip(SKIP_3) | instid1(VALU_DEP_1)
	v_fma_f64 v[96:97], v[75:76], v[96:97], s[34:35]
	s_mov_b32 s34, 0x1852b7b0
	s_mov_b32 s35, 0x3f56c16c
	s_wait_alu 0xfffe
	v_fma_f64 v[96:97], v[75:76], v[96:97], s[34:35]
	s_mov_b32 s34, 0x11122322
	s_mov_b32 s35, 0x3f811111
	;; [unrolled: 9-line block ×3, first 2 shown]
	s_wait_alu 0xfffe
	s_delay_alu instid0(VALU_DEP_1) | instskip(SKIP_3) | instid1(VALU_DEP_1)
	v_fma_f64 v[96:97], v[75:76], v[96:97], s[34:35]
	s_mov_b32 s34, 11
	s_mov_b32 s35, 0x3fe00000
	s_wait_alu 0xfffe
	v_fma_f64 v[96:97], v[75:76], v[96:97], s[34:35]
	v_cmp_nlt_f64_e64 s34, 0x40900000, v[69:70]
	v_cmp_ngt_f64_e64 s35, 0xc090cc00, v[69:70]
	s_delay_alu instid0(VALU_DEP_3) | instskip(NEXT) | instid1(VALU_DEP_1)
	v_fma_f64 v[96:97], v[75:76], v[96:97], 1.0
	v_fma_f64 v[73:74], v[75:76], v[96:97], 1.0
	s_delay_alu instid0(VALU_DEP_1) | instskip(SKIP_1) | instid1(VALU_DEP_1)
	v_ldexp_f64 v[73:74], v[73:74], v98
	s_wait_alu 0xf1ff
	v_cndmask_b32_e64 v74, 0x7ff00000, v74, s34
	s_and_b32 s34, s35, s34
	s_wait_alu 0xfffe
	s_delay_alu instid0(VALU_DEP_2) | instskip(SKIP_3) | instid1(VALU_DEP_1)
	v_cndmask_b32_e64 v69, 0, v73, s34
	s_mov_b32 s34, 0x55555555
	v_cndmask_b32_e64 v70, 0, v74, s35
	s_mov_b32 s35, 0x3fe55555
	v_add_f64_e32 v[73:74], 1.0, v[69:70]
	s_delay_alu instid0(VALU_DEP_1) | instskip(SKIP_3) | instid1(VALU_DEP_3)
	v_frexp_mant_f64_e32 v[75:76], v[73:74]
	v_frexp_exp_i32_f64_e32 v98, v[73:74]
	v_add_f64_e32 v[96:97], -1.0, v[73:74]
	s_wait_alu 0xfffe
	v_cmp_gt_f64_e64 s34, s[34:35], v[75:76]
	s_delay_alu instid0(VALU_DEP_2) | instskip(SKIP_2) | instid1(VALU_DEP_3)
	v_add_f64_e64 v[75:76], v[96:97], -v[73:74]
	v_add_f64_e64 v[96:97], v[69:70], -v[96:97]
	s_wait_alu 0xf1ff
	v_subrev_co_ci_u32_e64 v114, null, 0, v98, s34
	s_delay_alu instid0(VALU_DEP_3) | instskip(SKIP_1) | instid1(VALU_DEP_2)
	v_add_f64_e32 v[75:76], 1.0, v[75:76]
	s_mov_b32 s34, 0x55555780
	v_sub_nc_u32_e32 v100, 0, v114
	s_delay_alu instid0(VALU_DEP_1) | instskip(NEXT) | instid1(VALU_DEP_3)
	v_ldexp_f64 v[73:74], v[73:74], v100
	v_add_f64_e32 v[75:76], v[96:97], v[75:76]
	s_delay_alu instid0(VALU_DEP_2) | instskip(SKIP_1) | instid1(VALU_DEP_3)
	v_add_f64_e32 v[98:99], 1.0, v[73:74]
	v_add_f64_e32 v[104:105], -1.0, v[73:74]
	v_ldexp_f64 v[75:76], v[75:76], v100
	s_delay_alu instid0(VALU_DEP_3) | instskip(NEXT) | instid1(VALU_DEP_3)
	v_add_f64_e32 v[96:97], -1.0, v[98:99]
	v_add_f64_e32 v[106:107], 1.0, v[104:105]
	s_delay_alu instid0(VALU_DEP_2) | instskip(NEXT) | instid1(VALU_DEP_2)
	v_add_f64_e64 v[96:97], v[73:74], -v[96:97]
	v_add_f64_e64 v[73:74], v[73:74], -v[106:107]
	s_delay_alu instid0(VALU_DEP_2) | instskip(NEXT) | instid1(VALU_DEP_2)
	v_add_f64_e32 v[96:97], v[75:76], v[96:97]
	v_add_f64_e32 v[73:74], v[75:76], v[73:74]
	s_delay_alu instid0(VALU_DEP_2) | instskip(NEXT) | instid1(VALU_DEP_2)
	v_add_f64_e32 v[100:101], v[98:99], v[96:97]
	v_add_f64_e32 v[106:107], v[104:105], v[73:74]
	s_delay_alu instid0(VALU_DEP_2) | instskip(SKIP_1) | instid1(VALU_DEP_2)
	v_rcp_f64_e32 v[102:103], v[100:101]
	v_add_f64_e64 v[98:99], v[100:101], -v[98:99]
	v_add_f64_e64 v[104:105], v[106:107], -v[104:105]
	s_delay_alu instid0(VALU_DEP_2) | instskip(NEXT) | instid1(TRANS32_DEP_1)
	v_add_f64_e64 v[96:97], v[96:97], -v[98:99]
	v_fma_f64 v[108:109], -v[100:101], v[102:103], 1.0
	s_delay_alu instid0(VALU_DEP_3) | instskip(NEXT) | instid1(VALU_DEP_2)
	v_add_f64_e64 v[73:74], v[73:74], -v[104:105]
	v_fma_f64 v[102:103], v[108:109], v[102:103], v[102:103]
	s_delay_alu instid0(VALU_DEP_1) | instskip(NEXT) | instid1(VALU_DEP_1)
	v_fma_f64 v[75:76], -v[100:101], v[102:103], 1.0
	v_fma_f64 v[75:76], v[75:76], v[102:103], v[102:103]
	s_delay_alu instid0(VALU_DEP_1) | instskip(NEXT) | instid1(VALU_DEP_1)
	v_mul_f64_e32 v[102:103], v[106:107], v[75:76]
	v_mul_f64_e32 v[108:109], v[100:101], v[102:103]
	s_delay_alu instid0(VALU_DEP_1) | instskip(NEXT) | instid1(VALU_DEP_1)
	v_fma_f64 v[98:99], v[102:103], v[100:101], -v[108:109]
	v_fma_f64 v[98:99], v[102:103], v[96:97], v[98:99]
	s_delay_alu instid0(VALU_DEP_1) | instskip(NEXT) | instid1(VALU_DEP_1)
	v_add_f64_e32 v[110:111], v[108:109], v[98:99]
	v_add_f64_e64 v[112:113], v[106:107], -v[110:111]
	v_add_f64_e64 v[104:105], v[110:111], -v[108:109]
	s_delay_alu instid0(VALU_DEP_2) | instskip(NEXT) | instid1(VALU_DEP_2)
	v_add_f64_e64 v[106:107], v[106:107], -v[112:113]
	v_add_f64_e64 v[98:99], v[104:105], -v[98:99]
	s_delay_alu instid0(VALU_DEP_2) | instskip(NEXT) | instid1(VALU_DEP_1)
	v_add_f64_e64 v[106:107], v[106:107], -v[110:111]
	v_add_f64_e32 v[73:74], v[73:74], v[106:107]
	s_delay_alu instid0(VALU_DEP_1) | instskip(NEXT) | instid1(VALU_DEP_1)
	v_add_f64_e32 v[73:74], v[98:99], v[73:74]
	v_add_f64_e32 v[98:99], v[112:113], v[73:74]
	s_delay_alu instid0(VALU_DEP_1) | instskip(SKIP_1) | instid1(VALU_DEP_2)
	v_mul_f64_e32 v[104:105], v[75:76], v[98:99]
	v_add_f64_e64 v[110:111], v[112:113], -v[98:99]
	v_mul_f64_e32 v[106:107], v[100:101], v[104:105]
	s_delay_alu instid0(VALU_DEP_2) | instskip(NEXT) | instid1(VALU_DEP_2)
	v_add_f64_e32 v[73:74], v[73:74], v[110:111]
	v_fma_f64 v[100:101], v[104:105], v[100:101], -v[106:107]
	s_delay_alu instid0(VALU_DEP_1) | instskip(NEXT) | instid1(VALU_DEP_1)
	v_fma_f64 v[96:97], v[104:105], v[96:97], v[100:101]
	v_add_f64_e32 v[100:101], v[106:107], v[96:97]
	s_delay_alu instid0(VALU_DEP_1) | instskip(SKIP_1) | instid1(VALU_DEP_2)
	v_add_f64_e64 v[108:109], v[98:99], -v[100:101]
	v_add_f64_e64 v[106:107], v[100:101], -v[106:107]
	;; [unrolled: 1-line block ×3, first 2 shown]
	s_delay_alu instid0(VALU_DEP_2) | instskip(NEXT) | instid1(VALU_DEP_2)
	v_add_f64_e64 v[96:97], v[106:107], -v[96:97]
	v_add_f64_e64 v[98:99], v[98:99], -v[100:101]
	s_delay_alu instid0(VALU_DEP_1) | instskip(SKIP_1) | instid1(VALU_DEP_2)
	v_add_f64_e32 v[73:74], v[73:74], v[98:99]
	v_add_f64_e32 v[98:99], v[102:103], v[104:105]
	v_add_f64_e32 v[73:74], v[96:97], v[73:74]
	s_delay_alu instid0(VALU_DEP_2) | instskip(NEXT) | instid1(VALU_DEP_2)
	v_add_f64_e64 v[96:97], v[98:99], -v[102:103]
	v_add_f64_e32 v[73:74], v[108:109], v[73:74]
	s_delay_alu instid0(VALU_DEP_2) | instskip(NEXT) | instid1(VALU_DEP_2)
	v_add_f64_e64 v[96:97], v[104:105], -v[96:97]
	v_mul_f64_e32 v[73:74], v[75:76], v[73:74]
	s_delay_alu instid0(VALU_DEP_1) | instskip(NEXT) | instid1(VALU_DEP_1)
	v_add_f64_e32 v[73:74], v[96:97], v[73:74]
	v_add_f64_e32 v[75:76], v[98:99], v[73:74]
	s_delay_alu instid0(VALU_DEP_1) | instskip(NEXT) | instid1(VALU_DEP_1)
	v_mul_f64_e32 v[96:97], v[75:76], v[75:76]
	v_fma_f64 v[100:101], v[96:97], s[44:45], s[42:43]
	s_mov_b32 s42, 0xd7f4df2e
	s_mov_b32 s43, 0x3fc7474d
	v_mul_f64_e32 v[102:103], v[75:76], v[96:97]
	s_wait_alu 0xfffe
	s_delay_alu instid0(VALU_DEP_2) | instskip(SKIP_3) | instid1(VALU_DEP_1)
	v_fma_f64 v[100:101], v[96:97], v[100:101], s[42:43]
	s_mov_b32 s42, 0x16291751
	s_mov_b32 s43, 0x3fcc71c0
	s_wait_alu 0xfffe
	v_fma_f64 v[100:101], v[96:97], v[100:101], s[42:43]
	s_mov_b32 s42, 0x9b27acf1
	s_mov_b32 s43, 0x3fd24924
	s_wait_alu 0xfffe
	s_delay_alu instid0(VALU_DEP_1) | instskip(SKIP_3) | instid1(VALU_DEP_1)
	v_fma_f64 v[100:101], v[96:97], v[100:101], s[42:43]
	s_mov_b32 s42, 0x998ef7b6
	s_mov_b32 s43, 0x3fd99999
	s_wait_alu 0xfffe
	v_fma_f64 v[100:101], v[96:97], v[100:101], s[42:43]
	s_delay_alu instid0(VALU_DEP_1)
	v_fma_f64 v[96:97], v[96:97], v[100:101], s[34:35]
	v_ldexp_f64 v[100:101], v[75:76], 1
	v_add_f64_e64 v[75:76], v[75:76], -v[98:99]
	v_cmp_nge_f64_e64 s34, -1.0, v[69:70]
	v_cmp_neq_f64_e64 s35, 0x7ff00000, v[69:70]
	v_mul_f64_e32 v[96:97], v[102:103], v[96:97]
	v_cvt_f64_i32_e32 v[102:103], v114
	v_add_f64_e64 v[73:74], v[73:74], -v[75:76]
	s_and_b32 s34, s34, s35
	s_delay_alu instid0(VALU_DEP_3) | instskip(NEXT) | instid1(VALU_DEP_3)
	v_add_f64_e32 v[98:99], v[100:101], v[96:97]
	v_mul_f64_e32 v[104:105], s[36:37], v[102:103]
	s_delay_alu instid0(VALU_DEP_3) | instskip(NEXT) | instid1(VALU_DEP_3)
	v_ldexp_f64 v[73:74], v[73:74], 1
	v_add_f64_e64 v[75:76], v[98:99], -v[100:101]
	s_delay_alu instid0(VALU_DEP_3) | instskip(SKIP_1) | instid1(VALU_DEP_3)
	v_fma_f64 v[100:101], v[102:103], s[36:37], -v[104:105]
	v_cmp_ngt_f64_e64 s36, -1.0, v[69:70]
	v_add_f64_e64 v[75:76], v[96:97], -v[75:76]
	s_delay_alu instid0(VALU_DEP_3) | instskip(NEXT) | instid1(VALU_DEP_2)
	v_fma_f64 v[96:97], v[102:103], s[38:39], v[100:101]
	v_add_f64_e32 v[73:74], v[73:74], v[75:76]
	s_delay_alu instid0(VALU_DEP_2) | instskip(NEXT) | instid1(VALU_DEP_2)
	v_add_f64_e32 v[75:76], v[104:105], v[96:97]
	v_add_f64_e32 v[100:101], v[98:99], v[73:74]
	s_delay_alu instid0(VALU_DEP_2) | instskip(NEXT) | instid1(VALU_DEP_2)
	v_add_f64_e64 v[104:105], v[75:76], -v[104:105]
	v_add_f64_e32 v[102:103], v[75:76], v[100:101]
	v_add_f64_e64 v[98:99], v[100:101], -v[98:99]
	s_delay_alu instid0(VALU_DEP_3) | instskip(NEXT) | instid1(VALU_DEP_3)
	v_add_f64_e64 v[96:97], v[96:97], -v[104:105]
	v_add_f64_e64 v[106:107], v[102:103], -v[75:76]
	s_delay_alu instid0(VALU_DEP_3) | instskip(NEXT) | instid1(VALU_DEP_2)
	v_add_f64_e64 v[73:74], v[73:74], -v[98:99]
	v_add_f64_e64 v[108:109], v[102:103], -v[106:107]
	;; [unrolled: 1-line block ×3, first 2 shown]
	s_delay_alu instid0(VALU_DEP_3) | instskip(NEXT) | instid1(VALU_DEP_3)
	v_add_f64_e32 v[100:101], v[96:97], v[73:74]
	v_add_f64_e64 v[75:76], v[75:76], -v[108:109]
	s_delay_alu instid0(VALU_DEP_1) | instskip(NEXT) | instid1(VALU_DEP_3)
	v_add_f64_e32 v[75:76], v[98:99], v[75:76]
	v_add_f64_e64 v[98:99], v[100:101], -v[96:97]
	s_delay_alu instid0(VALU_DEP_2) | instskip(NEXT) | instid1(VALU_DEP_2)
	v_add_f64_e32 v[75:76], v[100:101], v[75:76]
	v_add_f64_e64 v[100:101], v[100:101], -v[98:99]
	v_add_f64_e64 v[73:74], v[73:74], -v[98:99]
	s_delay_alu instid0(VALU_DEP_3) | instskip(NEXT) | instid1(VALU_DEP_3)
	v_add_f64_e32 v[104:105], v[102:103], v[75:76]
	v_add_f64_e64 v[96:97], v[96:97], -v[100:101]
	s_delay_alu instid0(VALU_DEP_2) | instskip(NEXT) | instid1(VALU_DEP_2)
	v_add_f64_e64 v[98:99], v[104:105], -v[102:103]
	v_add_f64_e32 v[73:74], v[73:74], v[96:97]
	s_delay_alu instid0(VALU_DEP_2) | instskip(NEXT) | instid1(VALU_DEP_1)
	v_add_f64_e64 v[75:76], v[75:76], -v[98:99]
	v_add_f64_e32 v[73:74], v[73:74], v[75:76]
	s_delay_alu instid0(VALU_DEP_1) | instskip(SKIP_1) | instid1(VALU_DEP_1)
	v_add_f64_e32 v[73:74], v[104:105], v[73:74]
	s_wait_alu 0xfffe
	v_cndmask_b32_e64 v73, 0, v73, s34
	v_cmp_neq_f64_e64 s34, -1.0, v[69:70]
	s_delay_alu instid0(VALU_DEP_3) | instskip(SKIP_1) | instid1(VALU_DEP_1)
	v_cndmask_b32_e64 v74, 0x7ff00000, v74, s35
	s_wait_alu 0xf1ff
	v_cndmask_b32_e64 v74, 0x7ff80000, v74, s36
	s_delay_alu instid0(VALU_DEP_1) | instskip(NEXT) | instid1(VALU_DEP_1)
	v_cndmask_b32_e64 v74, 0xfff00000, v74, s34
	v_add_f64_e32 v[69:70], v[71:72], v[73:74]
.LBB42_62:
	s_wait_alu 0xfffe
	s_or_b32 exec_lo, exec_lo, s40
	s_load_b64 s[36:37], s[0:1], 0x20
	v_mbcnt_lo_u32_b32 v96, -1, 0
	s_delay_alu instid0(VALU_DEP_2) | instskip(NEXT) | instid1(VALU_DEP_3)
	v_mov_b32_dpp v71, v69 row_shr:1 row_mask:0xf bank_mask:0xf
	v_mov_b32_dpp v72, v70 row_shr:1 row_mask:0xf bank_mask:0xf
	v_dual_mov_b32 v73, v69 :: v_dual_mov_b32 v74, v70
	s_delay_alu instid0(VALU_DEP_4) | instskip(SKIP_1) | instid1(VALU_DEP_1)
	v_and_b32_e32 v75, 15, v96
	s_mov_b32 s40, exec_lo
	v_cmpx_ne_u32_e32 0, v75
	s_cbranch_execz .LBB42_66
; %bb.63:
	v_max_num_f64_e32 v[73:74], v[71:72], v[71:72]
	v_max_num_f64_e32 v[97:98], v[69:70], v[69:70]
	v_cmp_u_f64_e64 s0, v[71:72], v[71:72]
	v_cmp_u_f64_e64 s1, v[69:70], v[69:70]
	s_delay_alu instid0(VALU_DEP_3) | instskip(SKIP_1) | instid1(VALU_DEP_2)
	v_min_num_f64_e32 v[99:100], v[73:74], v[97:98]
	v_max_num_f64_e32 v[73:74], v[73:74], v[97:98]
	v_cndmask_b32_e64 v76, v100, v72, s0
	s_delay_alu instid0(VALU_DEP_3) | instskip(NEXT) | instid1(VALU_DEP_3)
	v_cndmask_b32_e64 v97, v99, v71, s0
	v_cndmask_b32_e64 v98, v74, v72, s0
	s_delay_alu instid0(VALU_DEP_4) | instskip(NEXT) | instid1(VALU_DEP_4)
	v_cndmask_b32_e64 v99, v73, v71, s0
	v_cndmask_b32_e64 v74, v76, v70, s1
	s_delay_alu instid0(VALU_DEP_4) | instskip(NEXT) | instid1(VALU_DEP_4)
	v_cndmask_b32_e64 v73, v97, v69, s1
	v_cndmask_b32_e64 v70, v98, v70, s1
	s_delay_alu instid0(VALU_DEP_4) | instskip(NEXT) | instid1(VALU_DEP_3)
	v_cndmask_b32_e64 v69, v99, v69, s1
	v_cmp_class_f64_e64 s1, v[73:74], 0x1f8
	s_delay_alu instid0(VALU_DEP_2)
	v_cmp_neq_f64_e64 s0, v[73:74], v[69:70]
	s_or_b32 s0, s0, s1
	s_wait_alu 0xfffe
	s_and_saveexec_b32 s41, s0
	s_cbranch_execz .LBB42_65
; %bb.64:
	v_add_f64_e64 v[71:72], v[73:74], -v[69:70]
	s_mov_b32 s0, 0x652b82fe
	s_mov_b32 s1, 0x3ff71547
	;; [unrolled: 1-line block ×10, first 2 shown]
	s_wait_alu 0xfffe
	s_delay_alu instid0(VALU_DEP_1) | instskip(SKIP_2) | instid1(VALU_DEP_1)
	v_mul_f64_e32 v[73:74], s[0:1], v[71:72]
	s_mov_b32 s0, 0xfca7ab0c
	s_mov_b32 s1, 0x3e928af3
	v_rndne_f64_e32 v[73:74], v[73:74]
	s_delay_alu instid0(VALU_DEP_1) | instskip(SKIP_2) | instid1(VALU_DEP_2)
	v_fma_f64 v[97:98], v[73:74], s[34:35], v[71:72]
	v_cvt_i32_f64_e32 v76, v[73:74]
	s_mov_b32 s35, 0x3fe62e42
	v_fma_f64 v[97:98], v[73:74], s[38:39], v[97:98]
	s_mov_b32 s39, 0x3c7abc9e
	s_wait_alu 0xfffe
	s_delay_alu instid0(VALU_DEP_1)
	v_fma_f64 v[99:100], v[97:98], s[42:43], s[0:1]
	s_mov_b32 s0, 0x623fde64
	s_mov_b32 s1, 0x3ec71dee
	;; [unrolled: 1-line block ×4, first 2 shown]
	s_wait_alu 0xfffe
	s_delay_alu instid0(VALU_DEP_1) | instskip(SKIP_3) | instid1(VALU_DEP_1)
	v_fma_f64 v[99:100], v[97:98], v[99:100], s[0:1]
	s_mov_b32 s0, 0x7c89e6b0
	s_mov_b32 s1, 0x3efa0199
	s_wait_alu 0xfffe
	v_fma_f64 v[99:100], v[97:98], v[99:100], s[0:1]
	s_mov_b32 s0, 0x14761f6e
	s_mov_b32 s1, 0x3f2a01a0
	s_wait_alu 0xfffe
	s_delay_alu instid0(VALU_DEP_1) | instskip(SKIP_3) | instid1(VALU_DEP_1)
	v_fma_f64 v[99:100], v[97:98], v[99:100], s[0:1]
	s_mov_b32 s0, 0x1852b7b0
	s_mov_b32 s1, 0x3f56c16c
	s_wait_alu 0xfffe
	v_fma_f64 v[99:100], v[97:98], v[99:100], s[0:1]
	s_mov_b32 s0, 0x11122322
	s_mov_b32 s1, 0x3f811111
	;; [unrolled: 9-line block ×3, first 2 shown]
	s_wait_alu 0xfffe
	s_delay_alu instid0(VALU_DEP_1) | instskip(SKIP_3) | instid1(VALU_DEP_1)
	v_fma_f64 v[99:100], v[97:98], v[99:100], s[0:1]
	s_mov_b32 s0, 11
	s_mov_b32 s1, 0x3fe00000
	s_wait_alu 0xfffe
	v_fma_f64 v[99:100], v[97:98], v[99:100], s[0:1]
	v_cmp_nlt_f64_e64 s0, 0x40900000, v[71:72]
	v_cmp_ngt_f64_e64 s1, 0xc090cc00, v[71:72]
	s_delay_alu instid0(VALU_DEP_3) | instskip(NEXT) | instid1(VALU_DEP_1)
	v_fma_f64 v[99:100], v[97:98], v[99:100], 1.0
	v_fma_f64 v[73:74], v[97:98], v[99:100], 1.0
	s_delay_alu instid0(VALU_DEP_1) | instskip(SKIP_1) | instid1(VALU_DEP_1)
	v_ldexp_f64 v[73:74], v[73:74], v76
	s_wait_alu 0xf1ff
	v_cndmask_b32_e64 v74, 0x7ff00000, v74, s0
	s_and_b32 s0, s1, s0
	s_wait_alu 0xfffe
	s_delay_alu instid0(VALU_DEP_2) | instskip(SKIP_3) | instid1(VALU_DEP_1)
	v_cndmask_b32_e64 v71, 0, v73, s0
	s_mov_b32 s0, 0x55555555
	v_cndmask_b32_e64 v72, 0, v74, s1
	s_mov_b32 s1, 0x3fe55555
	v_add_f64_e32 v[73:74], 1.0, v[71:72]
	s_delay_alu instid0(VALU_DEP_1) | instskip(SKIP_3) | instid1(VALU_DEP_3)
	v_frexp_mant_f64_e32 v[97:98], v[73:74]
	v_frexp_exp_i32_f64_e32 v76, v[73:74]
	v_add_f64_e32 v[99:100], -1.0, v[73:74]
	s_wait_alu 0xfffe
	v_cmp_gt_f64_e64 s0, s[0:1], v[97:98]
	s_delay_alu instid0(VALU_DEP_2) | instskip(SKIP_2) | instid1(VALU_DEP_3)
	v_add_f64_e64 v[97:98], v[99:100], -v[73:74]
	v_add_f64_e64 v[99:100], v[71:72], -v[99:100]
	s_wait_alu 0xf1ff
	v_subrev_co_ci_u32_e64 v76, null, 0, v76, s0
	s_delay_alu instid0(VALU_DEP_3) | instskip(SKIP_1) | instid1(VALU_DEP_2)
	v_add_f64_e32 v[97:98], 1.0, v[97:98]
	s_mov_b32 s0, 0x55555780
	v_sub_nc_u32_e32 v103, 0, v76
	s_delay_alu instid0(VALU_DEP_1) | instskip(NEXT) | instid1(VALU_DEP_3)
	v_ldexp_f64 v[73:74], v[73:74], v103
	v_add_f64_e32 v[97:98], v[99:100], v[97:98]
	s_delay_alu instid0(VALU_DEP_2) | instskip(SKIP_1) | instid1(VALU_DEP_3)
	v_add_f64_e32 v[101:102], 1.0, v[73:74]
	v_add_f64_e32 v[107:108], -1.0, v[73:74]
	v_ldexp_f64 v[97:98], v[97:98], v103
	s_delay_alu instid0(VALU_DEP_3) | instskip(NEXT) | instid1(VALU_DEP_3)
	v_add_f64_e32 v[99:100], -1.0, v[101:102]
	v_add_f64_e32 v[109:110], 1.0, v[107:108]
	s_delay_alu instid0(VALU_DEP_2) | instskip(NEXT) | instid1(VALU_DEP_2)
	v_add_f64_e64 v[99:100], v[73:74], -v[99:100]
	v_add_f64_e64 v[73:74], v[73:74], -v[109:110]
	s_delay_alu instid0(VALU_DEP_2) | instskip(NEXT) | instid1(VALU_DEP_2)
	v_add_f64_e32 v[99:100], v[97:98], v[99:100]
	v_add_f64_e32 v[73:74], v[97:98], v[73:74]
	s_delay_alu instid0(VALU_DEP_2) | instskip(NEXT) | instid1(VALU_DEP_2)
	v_add_f64_e32 v[103:104], v[101:102], v[99:100]
	v_add_f64_e32 v[109:110], v[107:108], v[73:74]
	s_delay_alu instid0(VALU_DEP_2) | instskip(SKIP_1) | instid1(VALU_DEP_2)
	v_rcp_f64_e32 v[105:106], v[103:104]
	v_add_f64_e64 v[101:102], v[103:104], -v[101:102]
	v_add_f64_e64 v[107:108], v[109:110], -v[107:108]
	s_delay_alu instid0(VALU_DEP_2) | instskip(NEXT) | instid1(TRANS32_DEP_1)
	v_add_f64_e64 v[99:100], v[99:100], -v[101:102]
	v_fma_f64 v[111:112], -v[103:104], v[105:106], 1.0
	s_delay_alu instid0(VALU_DEP_3) | instskip(NEXT) | instid1(VALU_DEP_2)
	v_add_f64_e64 v[73:74], v[73:74], -v[107:108]
	v_fma_f64 v[105:106], v[111:112], v[105:106], v[105:106]
	s_delay_alu instid0(VALU_DEP_1) | instskip(NEXT) | instid1(VALU_DEP_1)
	v_fma_f64 v[97:98], -v[103:104], v[105:106], 1.0
	v_fma_f64 v[97:98], v[97:98], v[105:106], v[105:106]
	s_delay_alu instid0(VALU_DEP_1) | instskip(NEXT) | instid1(VALU_DEP_1)
	v_mul_f64_e32 v[105:106], v[109:110], v[97:98]
	v_mul_f64_e32 v[111:112], v[103:104], v[105:106]
	s_delay_alu instid0(VALU_DEP_1) | instskip(NEXT) | instid1(VALU_DEP_1)
	v_fma_f64 v[101:102], v[105:106], v[103:104], -v[111:112]
	v_fma_f64 v[101:102], v[105:106], v[99:100], v[101:102]
	s_delay_alu instid0(VALU_DEP_1) | instskip(NEXT) | instid1(VALU_DEP_1)
	v_add_f64_e32 v[113:114], v[111:112], v[101:102]
	v_add_f64_e64 v[115:116], v[109:110], -v[113:114]
	v_add_f64_e64 v[107:108], v[113:114], -v[111:112]
	s_delay_alu instid0(VALU_DEP_2) | instskip(NEXT) | instid1(VALU_DEP_2)
	v_add_f64_e64 v[109:110], v[109:110], -v[115:116]
	v_add_f64_e64 v[101:102], v[107:108], -v[101:102]
	s_delay_alu instid0(VALU_DEP_2) | instskip(NEXT) | instid1(VALU_DEP_1)
	v_add_f64_e64 v[109:110], v[109:110], -v[113:114]
	v_add_f64_e32 v[73:74], v[73:74], v[109:110]
	s_delay_alu instid0(VALU_DEP_1) | instskip(NEXT) | instid1(VALU_DEP_1)
	v_add_f64_e32 v[73:74], v[101:102], v[73:74]
	v_add_f64_e32 v[101:102], v[115:116], v[73:74]
	s_delay_alu instid0(VALU_DEP_1) | instskip(SKIP_1) | instid1(VALU_DEP_2)
	v_mul_f64_e32 v[107:108], v[97:98], v[101:102]
	v_add_f64_e64 v[113:114], v[115:116], -v[101:102]
	v_mul_f64_e32 v[109:110], v[103:104], v[107:108]
	s_delay_alu instid0(VALU_DEP_2) | instskip(NEXT) | instid1(VALU_DEP_2)
	v_add_f64_e32 v[73:74], v[73:74], v[113:114]
	v_fma_f64 v[103:104], v[107:108], v[103:104], -v[109:110]
	s_delay_alu instid0(VALU_DEP_1) | instskip(NEXT) | instid1(VALU_DEP_1)
	v_fma_f64 v[99:100], v[107:108], v[99:100], v[103:104]
	v_add_f64_e32 v[103:104], v[109:110], v[99:100]
	s_delay_alu instid0(VALU_DEP_1) | instskip(SKIP_1) | instid1(VALU_DEP_2)
	v_add_f64_e64 v[111:112], v[101:102], -v[103:104]
	v_add_f64_e64 v[109:110], v[103:104], -v[109:110]
	;; [unrolled: 1-line block ×3, first 2 shown]
	s_delay_alu instid0(VALU_DEP_2) | instskip(NEXT) | instid1(VALU_DEP_2)
	v_add_f64_e64 v[99:100], v[109:110], -v[99:100]
	v_add_f64_e64 v[101:102], v[101:102], -v[103:104]
	s_delay_alu instid0(VALU_DEP_1) | instskip(SKIP_1) | instid1(VALU_DEP_2)
	v_add_f64_e32 v[73:74], v[73:74], v[101:102]
	v_add_f64_e32 v[101:102], v[105:106], v[107:108]
	;; [unrolled: 1-line block ×3, first 2 shown]
	s_delay_alu instid0(VALU_DEP_2) | instskip(NEXT) | instid1(VALU_DEP_2)
	v_add_f64_e64 v[99:100], v[101:102], -v[105:106]
	v_add_f64_e32 v[73:74], v[111:112], v[73:74]
	s_delay_alu instid0(VALU_DEP_2) | instskip(NEXT) | instid1(VALU_DEP_2)
	v_add_f64_e64 v[99:100], v[107:108], -v[99:100]
	v_mul_f64_e32 v[73:74], v[97:98], v[73:74]
	s_delay_alu instid0(VALU_DEP_1) | instskip(NEXT) | instid1(VALU_DEP_1)
	v_add_f64_e32 v[73:74], v[99:100], v[73:74]
	v_add_f64_e32 v[97:98], v[101:102], v[73:74]
	s_delay_alu instid0(VALU_DEP_1) | instskip(NEXT) | instid1(VALU_DEP_1)
	v_mul_f64_e32 v[99:100], v[97:98], v[97:98]
	v_fma_f64 v[103:104], v[99:100], s[44:45], s[42:43]
	s_mov_b32 s42, 0xd7f4df2e
	s_mov_b32 s43, 0x3fc7474d
	v_mul_f64_e32 v[105:106], v[97:98], v[99:100]
	s_wait_alu 0xfffe
	s_delay_alu instid0(VALU_DEP_2) | instskip(SKIP_3) | instid1(VALU_DEP_1)
	v_fma_f64 v[103:104], v[99:100], v[103:104], s[42:43]
	s_mov_b32 s42, 0x16291751
	s_mov_b32 s43, 0x3fcc71c0
	s_wait_alu 0xfffe
	v_fma_f64 v[103:104], v[99:100], v[103:104], s[42:43]
	s_mov_b32 s42, 0x9b27acf1
	s_mov_b32 s43, 0x3fd24924
	s_wait_alu 0xfffe
	s_delay_alu instid0(VALU_DEP_1) | instskip(SKIP_3) | instid1(VALU_DEP_1)
	v_fma_f64 v[103:104], v[99:100], v[103:104], s[42:43]
	s_mov_b32 s42, 0x998ef7b6
	s_mov_b32 s43, 0x3fd99999
	s_wait_alu 0xfffe
	v_fma_f64 v[103:104], v[99:100], v[103:104], s[42:43]
	s_delay_alu instid0(VALU_DEP_1)
	v_fma_f64 v[99:100], v[99:100], v[103:104], s[0:1]
	v_ldexp_f64 v[103:104], v[97:98], 1
	v_add_f64_e64 v[97:98], v[97:98], -v[101:102]
	v_cmp_nge_f64_e64 s0, -1.0, v[71:72]
	v_cmp_neq_f64_e64 s1, 0x7ff00000, v[71:72]
	v_mul_f64_e32 v[99:100], v[105:106], v[99:100]
	v_cvt_f64_i32_e32 v[105:106], v76
	v_add_f64_e64 v[73:74], v[73:74], -v[97:98]
	s_and_b32 s0, s0, s1
	s_delay_alu instid0(VALU_DEP_3) | instskip(NEXT) | instid1(VALU_DEP_3)
	v_add_f64_e32 v[101:102], v[103:104], v[99:100]
	v_mul_f64_e32 v[107:108], s[34:35], v[105:106]
	s_delay_alu instid0(VALU_DEP_3) | instskip(NEXT) | instid1(VALU_DEP_3)
	v_ldexp_f64 v[73:74], v[73:74], 1
	v_add_f64_e64 v[97:98], v[101:102], -v[103:104]
	s_delay_alu instid0(VALU_DEP_3) | instskip(SKIP_1) | instid1(VALU_DEP_3)
	v_fma_f64 v[103:104], v[105:106], s[34:35], -v[107:108]
	v_cmp_ngt_f64_e64 s34, -1.0, v[71:72]
	v_add_f64_e64 v[97:98], v[99:100], -v[97:98]
	s_delay_alu instid0(VALU_DEP_3) | instskip(NEXT) | instid1(VALU_DEP_2)
	v_fma_f64 v[99:100], v[105:106], s[38:39], v[103:104]
	v_add_f64_e32 v[73:74], v[73:74], v[97:98]
	s_delay_alu instid0(VALU_DEP_2) | instskip(NEXT) | instid1(VALU_DEP_2)
	v_add_f64_e32 v[97:98], v[107:108], v[99:100]
	v_add_f64_e32 v[103:104], v[101:102], v[73:74]
	s_delay_alu instid0(VALU_DEP_2) | instskip(NEXT) | instid1(VALU_DEP_2)
	v_add_f64_e64 v[107:108], v[97:98], -v[107:108]
	v_add_f64_e32 v[105:106], v[97:98], v[103:104]
	v_add_f64_e64 v[101:102], v[103:104], -v[101:102]
	s_delay_alu instid0(VALU_DEP_3) | instskip(NEXT) | instid1(VALU_DEP_3)
	v_add_f64_e64 v[99:100], v[99:100], -v[107:108]
	v_add_f64_e64 v[109:110], v[105:106], -v[97:98]
	s_delay_alu instid0(VALU_DEP_3) | instskip(NEXT) | instid1(VALU_DEP_2)
	v_add_f64_e64 v[73:74], v[73:74], -v[101:102]
	v_add_f64_e64 v[111:112], v[105:106], -v[109:110]
	;; [unrolled: 1-line block ×3, first 2 shown]
	s_delay_alu instid0(VALU_DEP_3) | instskip(NEXT) | instid1(VALU_DEP_3)
	v_add_f64_e32 v[103:104], v[99:100], v[73:74]
	v_add_f64_e64 v[97:98], v[97:98], -v[111:112]
	s_delay_alu instid0(VALU_DEP_1) | instskip(NEXT) | instid1(VALU_DEP_3)
	v_add_f64_e32 v[97:98], v[101:102], v[97:98]
	v_add_f64_e64 v[101:102], v[103:104], -v[99:100]
	s_delay_alu instid0(VALU_DEP_2) | instskip(NEXT) | instid1(VALU_DEP_2)
	v_add_f64_e32 v[97:98], v[103:104], v[97:98]
	v_add_f64_e64 v[103:104], v[103:104], -v[101:102]
	v_add_f64_e64 v[73:74], v[73:74], -v[101:102]
	s_delay_alu instid0(VALU_DEP_3) | instskip(NEXT) | instid1(VALU_DEP_3)
	v_add_f64_e32 v[107:108], v[105:106], v[97:98]
	v_add_f64_e64 v[99:100], v[99:100], -v[103:104]
	s_delay_alu instid0(VALU_DEP_2) | instskip(NEXT) | instid1(VALU_DEP_2)
	v_add_f64_e64 v[101:102], v[107:108], -v[105:106]
	v_add_f64_e32 v[73:74], v[73:74], v[99:100]
	s_delay_alu instid0(VALU_DEP_2) | instskip(NEXT) | instid1(VALU_DEP_1)
	v_add_f64_e64 v[97:98], v[97:98], -v[101:102]
	v_add_f64_e32 v[73:74], v[73:74], v[97:98]
	s_delay_alu instid0(VALU_DEP_1) | instskip(SKIP_1) | instid1(VALU_DEP_1)
	v_add_f64_e32 v[73:74], v[107:108], v[73:74]
	s_wait_alu 0xfffe
	v_cndmask_b32_e64 v73, 0, v73, s0
	v_cmp_neq_f64_e64 s0, -1.0, v[71:72]
	s_delay_alu instid0(VALU_DEP_3) | instskip(SKIP_1) | instid1(VALU_DEP_1)
	v_cndmask_b32_e64 v74, 0x7ff00000, v74, s1
	s_wait_alu 0xf1ff
	v_cndmask_b32_e64 v74, 0x7ff80000, v74, s34
	s_delay_alu instid0(VALU_DEP_1) | instskip(NEXT) | instid1(VALU_DEP_1)
	v_cndmask_b32_e64 v74, 0xfff00000, v74, s0
	v_add_f64_e32 v[71:72], v[69:70], v[73:74]
.LBB42_65:
	s_wait_alu 0xfffe
	s_or_b32 exec_lo, exec_lo, s41
	s_delay_alu instid0(VALU_DEP_1)
	v_dual_mov_b32 v73, v71 :: v_dual_mov_b32 v74, v72
	v_dual_mov_b32 v69, v71 :: v_dual_mov_b32 v70, v72
.LBB42_66:
	s_wait_alu 0xfffe
	s_or_b32 exec_lo, exec_lo, s40
	s_delay_alu instid0(VALU_DEP_2)
	v_mov_b32_dpp v71, v73 row_shr:2 row_mask:0xf bank_mask:0xf
	v_mov_b32_dpp v72, v74 row_shr:2 row_mask:0xf bank_mask:0xf
	s_mov_b32 s40, exec_lo
	v_cmpx_lt_u32_e32 1, v75
	s_cbranch_execz .LBB42_70
; %bb.67:
	s_delay_alu instid0(VALU_DEP_2) | instskip(SKIP_3) | instid1(VALU_DEP_3)
	v_max_num_f64_e32 v[73:74], v[71:72], v[71:72]
	v_max_num_f64_e32 v[97:98], v[69:70], v[69:70]
	v_cmp_u_f64_e64 s0, v[71:72], v[71:72]
	v_cmp_u_f64_e64 s1, v[69:70], v[69:70]
	v_min_num_f64_e32 v[99:100], v[73:74], v[97:98]
	v_max_num_f64_e32 v[73:74], v[73:74], v[97:98]
	s_wait_alu 0xf1ff
	s_delay_alu instid0(VALU_DEP_2) | instskip(NEXT) | instid1(VALU_DEP_3)
	v_cndmask_b32_e64 v76, v100, v72, s0
	v_cndmask_b32_e64 v97, v99, v71, s0
	s_delay_alu instid0(VALU_DEP_3) | instskip(NEXT) | instid1(VALU_DEP_4)
	v_cndmask_b32_e64 v98, v74, v72, s0
	v_cndmask_b32_e64 v99, v73, v71, s0
	s_delay_alu instid0(VALU_DEP_4) | instskip(NEXT) | instid1(VALU_DEP_4)
	v_cndmask_b32_e64 v74, v76, v70, s1
	v_cndmask_b32_e64 v73, v97, v69, s1
	s_delay_alu instid0(VALU_DEP_4) | instskip(NEXT) | instid1(VALU_DEP_4)
	v_cndmask_b32_e64 v70, v98, v70, s1
	v_cndmask_b32_e64 v69, v99, v69, s1
	s_delay_alu instid0(VALU_DEP_3) | instskip(NEXT) | instid1(VALU_DEP_2)
	v_cmp_class_f64_e64 s1, v[73:74], 0x1f8
	v_cmp_neq_f64_e64 s0, v[73:74], v[69:70]
	s_or_b32 s0, s0, s1
	s_wait_alu 0xfffe
	s_and_saveexec_b32 s41, s0
	s_cbranch_execz .LBB42_69
; %bb.68:
	v_add_f64_e64 v[71:72], v[73:74], -v[69:70]
	s_mov_b32 s0, 0x652b82fe
	s_mov_b32 s1, 0x3ff71547
	;; [unrolled: 1-line block ×10, first 2 shown]
	s_wait_alu 0xfffe
	s_delay_alu instid0(VALU_DEP_1) | instskip(SKIP_2) | instid1(VALU_DEP_1)
	v_mul_f64_e32 v[73:74], s[0:1], v[71:72]
	s_mov_b32 s0, 0xfca7ab0c
	s_mov_b32 s1, 0x3e928af3
	v_rndne_f64_e32 v[73:74], v[73:74]
	s_delay_alu instid0(VALU_DEP_1) | instskip(SKIP_2) | instid1(VALU_DEP_2)
	v_fma_f64 v[97:98], v[73:74], s[34:35], v[71:72]
	v_cvt_i32_f64_e32 v76, v[73:74]
	s_mov_b32 s35, 0x3fe62e42
	v_fma_f64 v[97:98], v[73:74], s[38:39], v[97:98]
	s_mov_b32 s39, 0x3c7abc9e
	s_wait_alu 0xfffe
	s_delay_alu instid0(VALU_DEP_1)
	v_fma_f64 v[99:100], v[97:98], s[42:43], s[0:1]
	s_mov_b32 s0, 0x623fde64
	s_mov_b32 s1, 0x3ec71dee
	;; [unrolled: 1-line block ×4, first 2 shown]
	s_wait_alu 0xfffe
	s_delay_alu instid0(VALU_DEP_1) | instskip(SKIP_3) | instid1(VALU_DEP_1)
	v_fma_f64 v[99:100], v[97:98], v[99:100], s[0:1]
	s_mov_b32 s0, 0x7c89e6b0
	s_mov_b32 s1, 0x3efa0199
	s_wait_alu 0xfffe
	v_fma_f64 v[99:100], v[97:98], v[99:100], s[0:1]
	s_mov_b32 s0, 0x14761f6e
	s_mov_b32 s1, 0x3f2a01a0
	s_wait_alu 0xfffe
	s_delay_alu instid0(VALU_DEP_1) | instskip(SKIP_3) | instid1(VALU_DEP_1)
	v_fma_f64 v[99:100], v[97:98], v[99:100], s[0:1]
	s_mov_b32 s0, 0x1852b7b0
	s_mov_b32 s1, 0x3f56c16c
	s_wait_alu 0xfffe
	v_fma_f64 v[99:100], v[97:98], v[99:100], s[0:1]
	s_mov_b32 s0, 0x11122322
	s_mov_b32 s1, 0x3f811111
	;; [unrolled: 9-line block ×3, first 2 shown]
	s_wait_alu 0xfffe
	s_delay_alu instid0(VALU_DEP_1) | instskip(SKIP_3) | instid1(VALU_DEP_1)
	v_fma_f64 v[99:100], v[97:98], v[99:100], s[0:1]
	s_mov_b32 s0, 11
	s_mov_b32 s1, 0x3fe00000
	s_wait_alu 0xfffe
	v_fma_f64 v[99:100], v[97:98], v[99:100], s[0:1]
	v_cmp_nlt_f64_e64 s0, 0x40900000, v[71:72]
	v_cmp_ngt_f64_e64 s1, 0xc090cc00, v[71:72]
	s_delay_alu instid0(VALU_DEP_3) | instskip(NEXT) | instid1(VALU_DEP_1)
	v_fma_f64 v[99:100], v[97:98], v[99:100], 1.0
	v_fma_f64 v[73:74], v[97:98], v[99:100], 1.0
	s_delay_alu instid0(VALU_DEP_1) | instskip(SKIP_1) | instid1(VALU_DEP_1)
	v_ldexp_f64 v[73:74], v[73:74], v76
	s_wait_alu 0xf1ff
	v_cndmask_b32_e64 v74, 0x7ff00000, v74, s0
	s_and_b32 s0, s1, s0
	s_wait_alu 0xfffe
	s_delay_alu instid0(VALU_DEP_2) | instskip(SKIP_3) | instid1(VALU_DEP_1)
	v_cndmask_b32_e64 v71, 0, v73, s0
	s_mov_b32 s0, 0x55555555
	v_cndmask_b32_e64 v72, 0, v74, s1
	s_mov_b32 s1, 0x3fe55555
	v_add_f64_e32 v[73:74], 1.0, v[71:72]
	s_delay_alu instid0(VALU_DEP_1) | instskip(SKIP_3) | instid1(VALU_DEP_3)
	v_frexp_mant_f64_e32 v[97:98], v[73:74]
	v_frexp_exp_i32_f64_e32 v76, v[73:74]
	v_add_f64_e32 v[99:100], -1.0, v[73:74]
	s_wait_alu 0xfffe
	v_cmp_gt_f64_e64 s0, s[0:1], v[97:98]
	s_delay_alu instid0(VALU_DEP_2) | instskip(SKIP_2) | instid1(VALU_DEP_3)
	v_add_f64_e64 v[97:98], v[99:100], -v[73:74]
	v_add_f64_e64 v[99:100], v[71:72], -v[99:100]
	s_wait_alu 0xf1ff
	v_subrev_co_ci_u32_e64 v76, null, 0, v76, s0
	s_delay_alu instid0(VALU_DEP_3) | instskip(SKIP_1) | instid1(VALU_DEP_2)
	v_add_f64_e32 v[97:98], 1.0, v[97:98]
	s_mov_b32 s0, 0x55555780
	v_sub_nc_u32_e32 v103, 0, v76
	s_delay_alu instid0(VALU_DEP_1) | instskip(NEXT) | instid1(VALU_DEP_3)
	v_ldexp_f64 v[73:74], v[73:74], v103
	v_add_f64_e32 v[97:98], v[99:100], v[97:98]
	s_delay_alu instid0(VALU_DEP_2) | instskip(SKIP_1) | instid1(VALU_DEP_3)
	v_add_f64_e32 v[101:102], 1.0, v[73:74]
	v_add_f64_e32 v[107:108], -1.0, v[73:74]
	v_ldexp_f64 v[97:98], v[97:98], v103
	s_delay_alu instid0(VALU_DEP_3) | instskip(NEXT) | instid1(VALU_DEP_3)
	v_add_f64_e32 v[99:100], -1.0, v[101:102]
	v_add_f64_e32 v[109:110], 1.0, v[107:108]
	s_delay_alu instid0(VALU_DEP_2) | instskip(NEXT) | instid1(VALU_DEP_2)
	v_add_f64_e64 v[99:100], v[73:74], -v[99:100]
	v_add_f64_e64 v[73:74], v[73:74], -v[109:110]
	s_delay_alu instid0(VALU_DEP_2) | instskip(NEXT) | instid1(VALU_DEP_2)
	v_add_f64_e32 v[99:100], v[97:98], v[99:100]
	v_add_f64_e32 v[73:74], v[97:98], v[73:74]
	s_delay_alu instid0(VALU_DEP_2) | instskip(NEXT) | instid1(VALU_DEP_2)
	v_add_f64_e32 v[103:104], v[101:102], v[99:100]
	v_add_f64_e32 v[109:110], v[107:108], v[73:74]
	s_delay_alu instid0(VALU_DEP_2) | instskip(SKIP_1) | instid1(VALU_DEP_2)
	v_rcp_f64_e32 v[105:106], v[103:104]
	v_add_f64_e64 v[101:102], v[103:104], -v[101:102]
	v_add_f64_e64 v[107:108], v[109:110], -v[107:108]
	s_delay_alu instid0(VALU_DEP_2) | instskip(NEXT) | instid1(TRANS32_DEP_1)
	v_add_f64_e64 v[99:100], v[99:100], -v[101:102]
	v_fma_f64 v[111:112], -v[103:104], v[105:106], 1.0
	s_delay_alu instid0(VALU_DEP_3) | instskip(NEXT) | instid1(VALU_DEP_2)
	v_add_f64_e64 v[73:74], v[73:74], -v[107:108]
	v_fma_f64 v[105:106], v[111:112], v[105:106], v[105:106]
	s_delay_alu instid0(VALU_DEP_1) | instskip(NEXT) | instid1(VALU_DEP_1)
	v_fma_f64 v[97:98], -v[103:104], v[105:106], 1.0
	v_fma_f64 v[97:98], v[97:98], v[105:106], v[105:106]
	s_delay_alu instid0(VALU_DEP_1) | instskip(NEXT) | instid1(VALU_DEP_1)
	v_mul_f64_e32 v[105:106], v[109:110], v[97:98]
	v_mul_f64_e32 v[111:112], v[103:104], v[105:106]
	s_delay_alu instid0(VALU_DEP_1) | instskip(NEXT) | instid1(VALU_DEP_1)
	v_fma_f64 v[101:102], v[105:106], v[103:104], -v[111:112]
	v_fma_f64 v[101:102], v[105:106], v[99:100], v[101:102]
	s_delay_alu instid0(VALU_DEP_1) | instskip(NEXT) | instid1(VALU_DEP_1)
	v_add_f64_e32 v[113:114], v[111:112], v[101:102]
	v_add_f64_e64 v[115:116], v[109:110], -v[113:114]
	v_add_f64_e64 v[107:108], v[113:114], -v[111:112]
	s_delay_alu instid0(VALU_DEP_2) | instskip(NEXT) | instid1(VALU_DEP_2)
	v_add_f64_e64 v[109:110], v[109:110], -v[115:116]
	v_add_f64_e64 v[101:102], v[107:108], -v[101:102]
	s_delay_alu instid0(VALU_DEP_2) | instskip(NEXT) | instid1(VALU_DEP_1)
	v_add_f64_e64 v[109:110], v[109:110], -v[113:114]
	v_add_f64_e32 v[73:74], v[73:74], v[109:110]
	s_delay_alu instid0(VALU_DEP_1) | instskip(NEXT) | instid1(VALU_DEP_1)
	v_add_f64_e32 v[73:74], v[101:102], v[73:74]
	v_add_f64_e32 v[101:102], v[115:116], v[73:74]
	s_delay_alu instid0(VALU_DEP_1) | instskip(SKIP_1) | instid1(VALU_DEP_2)
	v_mul_f64_e32 v[107:108], v[97:98], v[101:102]
	v_add_f64_e64 v[113:114], v[115:116], -v[101:102]
	v_mul_f64_e32 v[109:110], v[103:104], v[107:108]
	s_delay_alu instid0(VALU_DEP_2) | instskip(NEXT) | instid1(VALU_DEP_2)
	v_add_f64_e32 v[73:74], v[73:74], v[113:114]
	v_fma_f64 v[103:104], v[107:108], v[103:104], -v[109:110]
	s_delay_alu instid0(VALU_DEP_1) | instskip(NEXT) | instid1(VALU_DEP_1)
	v_fma_f64 v[99:100], v[107:108], v[99:100], v[103:104]
	v_add_f64_e32 v[103:104], v[109:110], v[99:100]
	s_delay_alu instid0(VALU_DEP_1) | instskip(SKIP_1) | instid1(VALU_DEP_2)
	v_add_f64_e64 v[111:112], v[101:102], -v[103:104]
	v_add_f64_e64 v[109:110], v[103:104], -v[109:110]
	v_add_f64_e64 v[101:102], v[101:102], -v[111:112]
	s_delay_alu instid0(VALU_DEP_2) | instskip(NEXT) | instid1(VALU_DEP_2)
	v_add_f64_e64 v[99:100], v[109:110], -v[99:100]
	v_add_f64_e64 v[101:102], v[101:102], -v[103:104]
	s_delay_alu instid0(VALU_DEP_1) | instskip(SKIP_1) | instid1(VALU_DEP_2)
	v_add_f64_e32 v[73:74], v[73:74], v[101:102]
	v_add_f64_e32 v[101:102], v[105:106], v[107:108]
	;; [unrolled: 1-line block ×3, first 2 shown]
	s_delay_alu instid0(VALU_DEP_2) | instskip(NEXT) | instid1(VALU_DEP_2)
	v_add_f64_e64 v[99:100], v[101:102], -v[105:106]
	v_add_f64_e32 v[73:74], v[111:112], v[73:74]
	s_delay_alu instid0(VALU_DEP_2) | instskip(NEXT) | instid1(VALU_DEP_2)
	v_add_f64_e64 v[99:100], v[107:108], -v[99:100]
	v_mul_f64_e32 v[73:74], v[97:98], v[73:74]
	s_delay_alu instid0(VALU_DEP_1) | instskip(NEXT) | instid1(VALU_DEP_1)
	v_add_f64_e32 v[73:74], v[99:100], v[73:74]
	v_add_f64_e32 v[97:98], v[101:102], v[73:74]
	s_delay_alu instid0(VALU_DEP_1) | instskip(NEXT) | instid1(VALU_DEP_1)
	v_mul_f64_e32 v[99:100], v[97:98], v[97:98]
	v_fma_f64 v[103:104], v[99:100], s[44:45], s[42:43]
	s_mov_b32 s42, 0xd7f4df2e
	s_mov_b32 s43, 0x3fc7474d
	v_mul_f64_e32 v[105:106], v[97:98], v[99:100]
	s_wait_alu 0xfffe
	s_delay_alu instid0(VALU_DEP_2) | instskip(SKIP_3) | instid1(VALU_DEP_1)
	v_fma_f64 v[103:104], v[99:100], v[103:104], s[42:43]
	s_mov_b32 s42, 0x16291751
	s_mov_b32 s43, 0x3fcc71c0
	s_wait_alu 0xfffe
	v_fma_f64 v[103:104], v[99:100], v[103:104], s[42:43]
	s_mov_b32 s42, 0x9b27acf1
	s_mov_b32 s43, 0x3fd24924
	s_wait_alu 0xfffe
	s_delay_alu instid0(VALU_DEP_1) | instskip(SKIP_3) | instid1(VALU_DEP_1)
	v_fma_f64 v[103:104], v[99:100], v[103:104], s[42:43]
	s_mov_b32 s42, 0x998ef7b6
	s_mov_b32 s43, 0x3fd99999
	s_wait_alu 0xfffe
	v_fma_f64 v[103:104], v[99:100], v[103:104], s[42:43]
	s_delay_alu instid0(VALU_DEP_1)
	v_fma_f64 v[99:100], v[99:100], v[103:104], s[0:1]
	v_ldexp_f64 v[103:104], v[97:98], 1
	v_add_f64_e64 v[97:98], v[97:98], -v[101:102]
	v_cmp_nge_f64_e64 s0, -1.0, v[71:72]
	v_cmp_neq_f64_e64 s1, 0x7ff00000, v[71:72]
	v_mul_f64_e32 v[99:100], v[105:106], v[99:100]
	v_cvt_f64_i32_e32 v[105:106], v76
	v_add_f64_e64 v[73:74], v[73:74], -v[97:98]
	s_and_b32 s0, s0, s1
	s_delay_alu instid0(VALU_DEP_3) | instskip(NEXT) | instid1(VALU_DEP_3)
	v_add_f64_e32 v[101:102], v[103:104], v[99:100]
	v_mul_f64_e32 v[107:108], s[34:35], v[105:106]
	s_delay_alu instid0(VALU_DEP_3) | instskip(NEXT) | instid1(VALU_DEP_3)
	v_ldexp_f64 v[73:74], v[73:74], 1
	v_add_f64_e64 v[97:98], v[101:102], -v[103:104]
	s_delay_alu instid0(VALU_DEP_3) | instskip(SKIP_1) | instid1(VALU_DEP_3)
	v_fma_f64 v[103:104], v[105:106], s[34:35], -v[107:108]
	v_cmp_ngt_f64_e64 s34, -1.0, v[71:72]
	v_add_f64_e64 v[97:98], v[99:100], -v[97:98]
	s_delay_alu instid0(VALU_DEP_3) | instskip(NEXT) | instid1(VALU_DEP_2)
	v_fma_f64 v[99:100], v[105:106], s[38:39], v[103:104]
	v_add_f64_e32 v[73:74], v[73:74], v[97:98]
	s_delay_alu instid0(VALU_DEP_2) | instskip(NEXT) | instid1(VALU_DEP_2)
	v_add_f64_e32 v[97:98], v[107:108], v[99:100]
	v_add_f64_e32 v[103:104], v[101:102], v[73:74]
	s_delay_alu instid0(VALU_DEP_2) | instskip(NEXT) | instid1(VALU_DEP_2)
	v_add_f64_e64 v[107:108], v[97:98], -v[107:108]
	v_add_f64_e32 v[105:106], v[97:98], v[103:104]
	v_add_f64_e64 v[101:102], v[103:104], -v[101:102]
	s_delay_alu instid0(VALU_DEP_3) | instskip(NEXT) | instid1(VALU_DEP_3)
	v_add_f64_e64 v[99:100], v[99:100], -v[107:108]
	v_add_f64_e64 v[109:110], v[105:106], -v[97:98]
	s_delay_alu instid0(VALU_DEP_3) | instskip(NEXT) | instid1(VALU_DEP_2)
	v_add_f64_e64 v[73:74], v[73:74], -v[101:102]
	v_add_f64_e64 v[111:112], v[105:106], -v[109:110]
	;; [unrolled: 1-line block ×3, first 2 shown]
	s_delay_alu instid0(VALU_DEP_3) | instskip(NEXT) | instid1(VALU_DEP_3)
	v_add_f64_e32 v[103:104], v[99:100], v[73:74]
	v_add_f64_e64 v[97:98], v[97:98], -v[111:112]
	s_delay_alu instid0(VALU_DEP_1) | instskip(NEXT) | instid1(VALU_DEP_3)
	v_add_f64_e32 v[97:98], v[101:102], v[97:98]
	v_add_f64_e64 v[101:102], v[103:104], -v[99:100]
	s_delay_alu instid0(VALU_DEP_2) | instskip(NEXT) | instid1(VALU_DEP_2)
	v_add_f64_e32 v[97:98], v[103:104], v[97:98]
	v_add_f64_e64 v[103:104], v[103:104], -v[101:102]
	v_add_f64_e64 v[73:74], v[73:74], -v[101:102]
	s_delay_alu instid0(VALU_DEP_3) | instskip(NEXT) | instid1(VALU_DEP_3)
	v_add_f64_e32 v[107:108], v[105:106], v[97:98]
	v_add_f64_e64 v[99:100], v[99:100], -v[103:104]
	s_delay_alu instid0(VALU_DEP_2) | instskip(NEXT) | instid1(VALU_DEP_2)
	v_add_f64_e64 v[101:102], v[107:108], -v[105:106]
	v_add_f64_e32 v[73:74], v[73:74], v[99:100]
	s_delay_alu instid0(VALU_DEP_2) | instskip(NEXT) | instid1(VALU_DEP_1)
	v_add_f64_e64 v[97:98], v[97:98], -v[101:102]
	v_add_f64_e32 v[73:74], v[73:74], v[97:98]
	s_delay_alu instid0(VALU_DEP_1) | instskip(SKIP_1) | instid1(VALU_DEP_1)
	v_add_f64_e32 v[73:74], v[107:108], v[73:74]
	s_wait_alu 0xfffe
	v_cndmask_b32_e64 v73, 0, v73, s0
	v_cmp_neq_f64_e64 s0, -1.0, v[71:72]
	s_delay_alu instid0(VALU_DEP_3) | instskip(SKIP_1) | instid1(VALU_DEP_1)
	v_cndmask_b32_e64 v74, 0x7ff00000, v74, s1
	s_wait_alu 0xf1ff
	v_cndmask_b32_e64 v74, 0x7ff80000, v74, s34
	s_delay_alu instid0(VALU_DEP_1) | instskip(NEXT) | instid1(VALU_DEP_1)
	v_cndmask_b32_e64 v74, 0xfff00000, v74, s0
	v_add_f64_e32 v[71:72], v[69:70], v[73:74]
.LBB42_69:
	s_wait_alu 0xfffe
	s_or_b32 exec_lo, exec_lo, s41
	s_delay_alu instid0(VALU_DEP_1)
	v_dual_mov_b32 v69, v71 :: v_dual_mov_b32 v70, v72
	v_dual_mov_b32 v73, v71 :: v_dual_mov_b32 v74, v72
.LBB42_70:
	s_wait_alu 0xfffe
	s_or_b32 exec_lo, exec_lo, s40
	s_delay_alu instid0(VALU_DEP_1) | instskip(NEXT) | instid1(VALU_DEP_2)
	v_mov_b32_dpp v71, v73 row_shr:4 row_mask:0xf bank_mask:0xf
	v_mov_b32_dpp v72, v74 row_shr:4 row_mask:0xf bank_mask:0xf
	s_mov_b32 s40, exec_lo
	v_cmpx_lt_u32_e32 3, v75
	s_cbranch_execz .LBB42_74
; %bb.71:
	s_delay_alu instid0(VALU_DEP_2) | instskip(SKIP_3) | instid1(VALU_DEP_3)
	v_max_num_f64_e32 v[73:74], v[71:72], v[71:72]
	v_max_num_f64_e32 v[97:98], v[69:70], v[69:70]
	v_cmp_u_f64_e64 s0, v[71:72], v[71:72]
	v_cmp_u_f64_e64 s1, v[69:70], v[69:70]
	v_min_num_f64_e32 v[99:100], v[73:74], v[97:98]
	v_max_num_f64_e32 v[73:74], v[73:74], v[97:98]
	s_wait_alu 0xf1ff
	s_delay_alu instid0(VALU_DEP_2) | instskip(NEXT) | instid1(VALU_DEP_3)
	v_cndmask_b32_e64 v76, v100, v72, s0
	v_cndmask_b32_e64 v97, v99, v71, s0
	s_delay_alu instid0(VALU_DEP_3) | instskip(NEXT) | instid1(VALU_DEP_4)
	v_cndmask_b32_e64 v98, v74, v72, s0
	v_cndmask_b32_e64 v99, v73, v71, s0
	s_delay_alu instid0(VALU_DEP_4) | instskip(NEXT) | instid1(VALU_DEP_4)
	v_cndmask_b32_e64 v74, v76, v70, s1
	v_cndmask_b32_e64 v73, v97, v69, s1
	s_delay_alu instid0(VALU_DEP_4) | instskip(NEXT) | instid1(VALU_DEP_4)
	v_cndmask_b32_e64 v70, v98, v70, s1
	v_cndmask_b32_e64 v69, v99, v69, s1
	s_delay_alu instid0(VALU_DEP_3) | instskip(NEXT) | instid1(VALU_DEP_2)
	v_cmp_class_f64_e64 s1, v[73:74], 0x1f8
	v_cmp_neq_f64_e64 s0, v[73:74], v[69:70]
	s_or_b32 s0, s0, s1
	s_wait_alu 0xfffe
	s_and_saveexec_b32 s41, s0
	s_cbranch_execz .LBB42_73
; %bb.72:
	v_add_f64_e64 v[71:72], v[73:74], -v[69:70]
	s_mov_b32 s0, 0x652b82fe
	s_mov_b32 s1, 0x3ff71547
	s_mov_b32 s35, 0xbfe62e42
	s_mov_b32 s34, 0xfefa39ef
	s_mov_b32 s39, 0xbc7abc9e
	s_mov_b32 s38, 0x3b39803f
	s_mov_b32 s42, 0x6a5dcb37
	s_mov_b32 s43, 0x3e5ade15
	s_mov_b32 s44, 0xbf559e2b
	s_mov_b32 s45, 0x3fc3ab76
	s_wait_alu 0xfffe
	s_delay_alu instid0(VALU_DEP_1) | instskip(SKIP_2) | instid1(VALU_DEP_1)
	v_mul_f64_e32 v[73:74], s[0:1], v[71:72]
	s_mov_b32 s0, 0xfca7ab0c
	s_mov_b32 s1, 0x3e928af3
	v_rndne_f64_e32 v[73:74], v[73:74]
	s_delay_alu instid0(VALU_DEP_1) | instskip(SKIP_2) | instid1(VALU_DEP_2)
	v_fma_f64 v[97:98], v[73:74], s[34:35], v[71:72]
	v_cvt_i32_f64_e32 v76, v[73:74]
	s_mov_b32 s35, 0x3fe62e42
	v_fma_f64 v[97:98], v[73:74], s[38:39], v[97:98]
	s_mov_b32 s39, 0x3c7abc9e
	s_wait_alu 0xfffe
	s_delay_alu instid0(VALU_DEP_1)
	v_fma_f64 v[99:100], v[97:98], s[42:43], s[0:1]
	s_mov_b32 s0, 0x623fde64
	s_mov_b32 s1, 0x3ec71dee
	;; [unrolled: 1-line block ×4, first 2 shown]
	s_wait_alu 0xfffe
	s_delay_alu instid0(VALU_DEP_1) | instskip(SKIP_3) | instid1(VALU_DEP_1)
	v_fma_f64 v[99:100], v[97:98], v[99:100], s[0:1]
	s_mov_b32 s0, 0x7c89e6b0
	s_mov_b32 s1, 0x3efa0199
	s_wait_alu 0xfffe
	v_fma_f64 v[99:100], v[97:98], v[99:100], s[0:1]
	s_mov_b32 s0, 0x14761f6e
	s_mov_b32 s1, 0x3f2a01a0
	s_wait_alu 0xfffe
	s_delay_alu instid0(VALU_DEP_1) | instskip(SKIP_3) | instid1(VALU_DEP_1)
	v_fma_f64 v[99:100], v[97:98], v[99:100], s[0:1]
	s_mov_b32 s0, 0x1852b7b0
	s_mov_b32 s1, 0x3f56c16c
	s_wait_alu 0xfffe
	v_fma_f64 v[99:100], v[97:98], v[99:100], s[0:1]
	s_mov_b32 s0, 0x11122322
	s_mov_b32 s1, 0x3f811111
	;; [unrolled: 9-line block ×3, first 2 shown]
	s_wait_alu 0xfffe
	s_delay_alu instid0(VALU_DEP_1) | instskip(SKIP_3) | instid1(VALU_DEP_1)
	v_fma_f64 v[99:100], v[97:98], v[99:100], s[0:1]
	s_mov_b32 s0, 11
	s_mov_b32 s1, 0x3fe00000
	s_wait_alu 0xfffe
	v_fma_f64 v[99:100], v[97:98], v[99:100], s[0:1]
	v_cmp_nlt_f64_e64 s0, 0x40900000, v[71:72]
	v_cmp_ngt_f64_e64 s1, 0xc090cc00, v[71:72]
	s_delay_alu instid0(VALU_DEP_3) | instskip(NEXT) | instid1(VALU_DEP_1)
	v_fma_f64 v[99:100], v[97:98], v[99:100], 1.0
	v_fma_f64 v[73:74], v[97:98], v[99:100], 1.0
	s_delay_alu instid0(VALU_DEP_1) | instskip(SKIP_1) | instid1(VALU_DEP_1)
	v_ldexp_f64 v[73:74], v[73:74], v76
	s_wait_alu 0xf1ff
	v_cndmask_b32_e64 v74, 0x7ff00000, v74, s0
	s_and_b32 s0, s1, s0
	s_wait_alu 0xfffe
	s_delay_alu instid0(VALU_DEP_2) | instskip(SKIP_3) | instid1(VALU_DEP_1)
	v_cndmask_b32_e64 v71, 0, v73, s0
	s_mov_b32 s0, 0x55555555
	v_cndmask_b32_e64 v72, 0, v74, s1
	s_mov_b32 s1, 0x3fe55555
	v_add_f64_e32 v[73:74], 1.0, v[71:72]
	s_delay_alu instid0(VALU_DEP_1) | instskip(SKIP_3) | instid1(VALU_DEP_3)
	v_frexp_mant_f64_e32 v[97:98], v[73:74]
	v_frexp_exp_i32_f64_e32 v76, v[73:74]
	v_add_f64_e32 v[99:100], -1.0, v[73:74]
	s_wait_alu 0xfffe
	v_cmp_gt_f64_e64 s0, s[0:1], v[97:98]
	s_delay_alu instid0(VALU_DEP_2) | instskip(SKIP_2) | instid1(VALU_DEP_3)
	v_add_f64_e64 v[97:98], v[99:100], -v[73:74]
	v_add_f64_e64 v[99:100], v[71:72], -v[99:100]
	s_wait_alu 0xf1ff
	v_subrev_co_ci_u32_e64 v76, null, 0, v76, s0
	s_delay_alu instid0(VALU_DEP_3) | instskip(SKIP_1) | instid1(VALU_DEP_2)
	v_add_f64_e32 v[97:98], 1.0, v[97:98]
	s_mov_b32 s0, 0x55555780
	v_sub_nc_u32_e32 v103, 0, v76
	s_delay_alu instid0(VALU_DEP_1) | instskip(NEXT) | instid1(VALU_DEP_3)
	v_ldexp_f64 v[73:74], v[73:74], v103
	v_add_f64_e32 v[97:98], v[99:100], v[97:98]
	s_delay_alu instid0(VALU_DEP_2) | instskip(SKIP_1) | instid1(VALU_DEP_3)
	v_add_f64_e32 v[101:102], 1.0, v[73:74]
	v_add_f64_e32 v[107:108], -1.0, v[73:74]
	v_ldexp_f64 v[97:98], v[97:98], v103
	s_delay_alu instid0(VALU_DEP_3) | instskip(NEXT) | instid1(VALU_DEP_3)
	v_add_f64_e32 v[99:100], -1.0, v[101:102]
	v_add_f64_e32 v[109:110], 1.0, v[107:108]
	s_delay_alu instid0(VALU_DEP_2) | instskip(NEXT) | instid1(VALU_DEP_2)
	v_add_f64_e64 v[99:100], v[73:74], -v[99:100]
	v_add_f64_e64 v[73:74], v[73:74], -v[109:110]
	s_delay_alu instid0(VALU_DEP_2) | instskip(NEXT) | instid1(VALU_DEP_2)
	v_add_f64_e32 v[99:100], v[97:98], v[99:100]
	v_add_f64_e32 v[73:74], v[97:98], v[73:74]
	s_delay_alu instid0(VALU_DEP_2) | instskip(NEXT) | instid1(VALU_DEP_2)
	v_add_f64_e32 v[103:104], v[101:102], v[99:100]
	v_add_f64_e32 v[109:110], v[107:108], v[73:74]
	s_delay_alu instid0(VALU_DEP_2) | instskip(SKIP_1) | instid1(VALU_DEP_2)
	v_rcp_f64_e32 v[105:106], v[103:104]
	v_add_f64_e64 v[101:102], v[103:104], -v[101:102]
	v_add_f64_e64 v[107:108], v[109:110], -v[107:108]
	s_delay_alu instid0(VALU_DEP_2) | instskip(NEXT) | instid1(TRANS32_DEP_1)
	v_add_f64_e64 v[99:100], v[99:100], -v[101:102]
	v_fma_f64 v[111:112], -v[103:104], v[105:106], 1.0
	s_delay_alu instid0(VALU_DEP_3) | instskip(NEXT) | instid1(VALU_DEP_2)
	v_add_f64_e64 v[73:74], v[73:74], -v[107:108]
	v_fma_f64 v[105:106], v[111:112], v[105:106], v[105:106]
	s_delay_alu instid0(VALU_DEP_1) | instskip(NEXT) | instid1(VALU_DEP_1)
	v_fma_f64 v[97:98], -v[103:104], v[105:106], 1.0
	v_fma_f64 v[97:98], v[97:98], v[105:106], v[105:106]
	s_delay_alu instid0(VALU_DEP_1) | instskip(NEXT) | instid1(VALU_DEP_1)
	v_mul_f64_e32 v[105:106], v[109:110], v[97:98]
	v_mul_f64_e32 v[111:112], v[103:104], v[105:106]
	s_delay_alu instid0(VALU_DEP_1) | instskip(NEXT) | instid1(VALU_DEP_1)
	v_fma_f64 v[101:102], v[105:106], v[103:104], -v[111:112]
	v_fma_f64 v[101:102], v[105:106], v[99:100], v[101:102]
	s_delay_alu instid0(VALU_DEP_1) | instskip(NEXT) | instid1(VALU_DEP_1)
	v_add_f64_e32 v[113:114], v[111:112], v[101:102]
	v_add_f64_e64 v[115:116], v[109:110], -v[113:114]
	v_add_f64_e64 v[107:108], v[113:114], -v[111:112]
	s_delay_alu instid0(VALU_DEP_2) | instskip(NEXT) | instid1(VALU_DEP_2)
	v_add_f64_e64 v[109:110], v[109:110], -v[115:116]
	v_add_f64_e64 v[101:102], v[107:108], -v[101:102]
	s_delay_alu instid0(VALU_DEP_2) | instskip(NEXT) | instid1(VALU_DEP_1)
	v_add_f64_e64 v[109:110], v[109:110], -v[113:114]
	v_add_f64_e32 v[73:74], v[73:74], v[109:110]
	s_delay_alu instid0(VALU_DEP_1) | instskip(NEXT) | instid1(VALU_DEP_1)
	v_add_f64_e32 v[73:74], v[101:102], v[73:74]
	v_add_f64_e32 v[101:102], v[115:116], v[73:74]
	s_delay_alu instid0(VALU_DEP_1) | instskip(SKIP_1) | instid1(VALU_DEP_2)
	v_mul_f64_e32 v[107:108], v[97:98], v[101:102]
	v_add_f64_e64 v[113:114], v[115:116], -v[101:102]
	v_mul_f64_e32 v[109:110], v[103:104], v[107:108]
	s_delay_alu instid0(VALU_DEP_2) | instskip(NEXT) | instid1(VALU_DEP_2)
	v_add_f64_e32 v[73:74], v[73:74], v[113:114]
	v_fma_f64 v[103:104], v[107:108], v[103:104], -v[109:110]
	s_delay_alu instid0(VALU_DEP_1) | instskip(NEXT) | instid1(VALU_DEP_1)
	v_fma_f64 v[99:100], v[107:108], v[99:100], v[103:104]
	v_add_f64_e32 v[103:104], v[109:110], v[99:100]
	s_delay_alu instid0(VALU_DEP_1) | instskip(SKIP_1) | instid1(VALU_DEP_2)
	v_add_f64_e64 v[111:112], v[101:102], -v[103:104]
	v_add_f64_e64 v[109:110], v[103:104], -v[109:110]
	;; [unrolled: 1-line block ×3, first 2 shown]
	s_delay_alu instid0(VALU_DEP_2) | instskip(NEXT) | instid1(VALU_DEP_2)
	v_add_f64_e64 v[99:100], v[109:110], -v[99:100]
	v_add_f64_e64 v[101:102], v[101:102], -v[103:104]
	s_delay_alu instid0(VALU_DEP_1) | instskip(SKIP_1) | instid1(VALU_DEP_2)
	v_add_f64_e32 v[73:74], v[73:74], v[101:102]
	v_add_f64_e32 v[101:102], v[105:106], v[107:108]
	;; [unrolled: 1-line block ×3, first 2 shown]
	s_delay_alu instid0(VALU_DEP_2) | instskip(NEXT) | instid1(VALU_DEP_2)
	v_add_f64_e64 v[99:100], v[101:102], -v[105:106]
	v_add_f64_e32 v[73:74], v[111:112], v[73:74]
	s_delay_alu instid0(VALU_DEP_2) | instskip(NEXT) | instid1(VALU_DEP_2)
	v_add_f64_e64 v[99:100], v[107:108], -v[99:100]
	v_mul_f64_e32 v[73:74], v[97:98], v[73:74]
	s_delay_alu instid0(VALU_DEP_1) | instskip(NEXT) | instid1(VALU_DEP_1)
	v_add_f64_e32 v[73:74], v[99:100], v[73:74]
	v_add_f64_e32 v[97:98], v[101:102], v[73:74]
	s_delay_alu instid0(VALU_DEP_1) | instskip(NEXT) | instid1(VALU_DEP_1)
	v_mul_f64_e32 v[99:100], v[97:98], v[97:98]
	v_fma_f64 v[103:104], v[99:100], s[44:45], s[42:43]
	s_mov_b32 s42, 0xd7f4df2e
	s_mov_b32 s43, 0x3fc7474d
	v_mul_f64_e32 v[105:106], v[97:98], v[99:100]
	s_wait_alu 0xfffe
	s_delay_alu instid0(VALU_DEP_2) | instskip(SKIP_3) | instid1(VALU_DEP_1)
	v_fma_f64 v[103:104], v[99:100], v[103:104], s[42:43]
	s_mov_b32 s42, 0x16291751
	s_mov_b32 s43, 0x3fcc71c0
	s_wait_alu 0xfffe
	v_fma_f64 v[103:104], v[99:100], v[103:104], s[42:43]
	s_mov_b32 s42, 0x9b27acf1
	s_mov_b32 s43, 0x3fd24924
	s_wait_alu 0xfffe
	s_delay_alu instid0(VALU_DEP_1) | instskip(SKIP_3) | instid1(VALU_DEP_1)
	v_fma_f64 v[103:104], v[99:100], v[103:104], s[42:43]
	s_mov_b32 s42, 0x998ef7b6
	s_mov_b32 s43, 0x3fd99999
	s_wait_alu 0xfffe
	v_fma_f64 v[103:104], v[99:100], v[103:104], s[42:43]
	s_delay_alu instid0(VALU_DEP_1)
	v_fma_f64 v[99:100], v[99:100], v[103:104], s[0:1]
	v_ldexp_f64 v[103:104], v[97:98], 1
	v_add_f64_e64 v[97:98], v[97:98], -v[101:102]
	v_cmp_nge_f64_e64 s0, -1.0, v[71:72]
	v_cmp_neq_f64_e64 s1, 0x7ff00000, v[71:72]
	v_mul_f64_e32 v[99:100], v[105:106], v[99:100]
	v_cvt_f64_i32_e32 v[105:106], v76
	v_add_f64_e64 v[73:74], v[73:74], -v[97:98]
	s_and_b32 s0, s0, s1
	s_delay_alu instid0(VALU_DEP_3) | instskip(NEXT) | instid1(VALU_DEP_3)
	v_add_f64_e32 v[101:102], v[103:104], v[99:100]
	v_mul_f64_e32 v[107:108], s[34:35], v[105:106]
	s_delay_alu instid0(VALU_DEP_3) | instskip(NEXT) | instid1(VALU_DEP_3)
	v_ldexp_f64 v[73:74], v[73:74], 1
	v_add_f64_e64 v[97:98], v[101:102], -v[103:104]
	s_delay_alu instid0(VALU_DEP_3) | instskip(SKIP_1) | instid1(VALU_DEP_3)
	v_fma_f64 v[103:104], v[105:106], s[34:35], -v[107:108]
	v_cmp_ngt_f64_e64 s34, -1.0, v[71:72]
	v_add_f64_e64 v[97:98], v[99:100], -v[97:98]
	s_delay_alu instid0(VALU_DEP_3) | instskip(NEXT) | instid1(VALU_DEP_2)
	v_fma_f64 v[99:100], v[105:106], s[38:39], v[103:104]
	v_add_f64_e32 v[73:74], v[73:74], v[97:98]
	s_delay_alu instid0(VALU_DEP_2) | instskip(NEXT) | instid1(VALU_DEP_2)
	v_add_f64_e32 v[97:98], v[107:108], v[99:100]
	v_add_f64_e32 v[103:104], v[101:102], v[73:74]
	s_delay_alu instid0(VALU_DEP_2) | instskip(NEXT) | instid1(VALU_DEP_2)
	v_add_f64_e64 v[107:108], v[97:98], -v[107:108]
	v_add_f64_e32 v[105:106], v[97:98], v[103:104]
	v_add_f64_e64 v[101:102], v[103:104], -v[101:102]
	s_delay_alu instid0(VALU_DEP_3) | instskip(NEXT) | instid1(VALU_DEP_3)
	v_add_f64_e64 v[99:100], v[99:100], -v[107:108]
	v_add_f64_e64 v[109:110], v[105:106], -v[97:98]
	s_delay_alu instid0(VALU_DEP_3) | instskip(NEXT) | instid1(VALU_DEP_2)
	v_add_f64_e64 v[73:74], v[73:74], -v[101:102]
	v_add_f64_e64 v[111:112], v[105:106], -v[109:110]
	;; [unrolled: 1-line block ×3, first 2 shown]
	s_delay_alu instid0(VALU_DEP_3) | instskip(NEXT) | instid1(VALU_DEP_3)
	v_add_f64_e32 v[103:104], v[99:100], v[73:74]
	v_add_f64_e64 v[97:98], v[97:98], -v[111:112]
	s_delay_alu instid0(VALU_DEP_1) | instskip(NEXT) | instid1(VALU_DEP_3)
	v_add_f64_e32 v[97:98], v[101:102], v[97:98]
	v_add_f64_e64 v[101:102], v[103:104], -v[99:100]
	s_delay_alu instid0(VALU_DEP_2) | instskip(NEXT) | instid1(VALU_DEP_2)
	v_add_f64_e32 v[97:98], v[103:104], v[97:98]
	v_add_f64_e64 v[103:104], v[103:104], -v[101:102]
	v_add_f64_e64 v[73:74], v[73:74], -v[101:102]
	s_delay_alu instid0(VALU_DEP_3) | instskip(NEXT) | instid1(VALU_DEP_3)
	v_add_f64_e32 v[107:108], v[105:106], v[97:98]
	v_add_f64_e64 v[99:100], v[99:100], -v[103:104]
	s_delay_alu instid0(VALU_DEP_2) | instskip(NEXT) | instid1(VALU_DEP_2)
	v_add_f64_e64 v[101:102], v[107:108], -v[105:106]
	v_add_f64_e32 v[73:74], v[73:74], v[99:100]
	s_delay_alu instid0(VALU_DEP_2) | instskip(NEXT) | instid1(VALU_DEP_1)
	v_add_f64_e64 v[97:98], v[97:98], -v[101:102]
	v_add_f64_e32 v[73:74], v[73:74], v[97:98]
	s_delay_alu instid0(VALU_DEP_1) | instskip(SKIP_1) | instid1(VALU_DEP_1)
	v_add_f64_e32 v[73:74], v[107:108], v[73:74]
	s_wait_alu 0xfffe
	v_cndmask_b32_e64 v73, 0, v73, s0
	v_cmp_neq_f64_e64 s0, -1.0, v[71:72]
	s_delay_alu instid0(VALU_DEP_3) | instskip(SKIP_1) | instid1(VALU_DEP_1)
	v_cndmask_b32_e64 v74, 0x7ff00000, v74, s1
	s_wait_alu 0xf1ff
	v_cndmask_b32_e64 v74, 0x7ff80000, v74, s34
	s_delay_alu instid0(VALU_DEP_1) | instskip(NEXT) | instid1(VALU_DEP_1)
	v_cndmask_b32_e64 v74, 0xfff00000, v74, s0
	v_add_f64_e32 v[71:72], v[69:70], v[73:74]
.LBB42_73:
	s_wait_alu 0xfffe
	s_or_b32 exec_lo, exec_lo, s41
	s_delay_alu instid0(VALU_DEP_1)
	v_dual_mov_b32 v69, v71 :: v_dual_mov_b32 v70, v72
	v_dual_mov_b32 v73, v71 :: v_dual_mov_b32 v74, v72
.LBB42_74:
	s_wait_alu 0xfffe
	s_or_b32 exec_lo, exec_lo, s40
	s_delay_alu instid0(VALU_DEP_1) | instskip(NEXT) | instid1(VALU_DEP_2)
	v_mov_b32_dpp v71, v73 row_shr:8 row_mask:0xf bank_mask:0xf
	v_mov_b32_dpp v72, v74 row_shr:8 row_mask:0xf bank_mask:0xf
	s_mov_b32 s40, exec_lo
	v_cmpx_lt_u32_e32 7, v75
	s_cbranch_execz .LBB42_78
; %bb.75:
	s_delay_alu instid0(VALU_DEP_2) | instskip(SKIP_3) | instid1(VALU_DEP_3)
	v_max_num_f64_e32 v[73:74], v[71:72], v[71:72]
	v_max_num_f64_e32 v[75:76], v[69:70], v[69:70]
	v_cmp_u_f64_e64 s0, v[71:72], v[71:72]
	v_cmp_u_f64_e64 s1, v[69:70], v[69:70]
	v_min_num_f64_e32 v[97:98], v[73:74], v[75:76]
	v_max_num_f64_e32 v[73:74], v[73:74], v[75:76]
	s_wait_alu 0xf1ff
	s_delay_alu instid0(VALU_DEP_2) | instskip(NEXT) | instid1(VALU_DEP_3)
	v_cndmask_b32_e64 v75, v98, v72, s0
	v_cndmask_b32_e64 v76, v97, v71, s0
	s_delay_alu instid0(VALU_DEP_3) | instskip(NEXT) | instid1(VALU_DEP_4)
	v_cndmask_b32_e64 v97, v74, v72, s0
	v_cndmask_b32_e64 v98, v73, v71, s0
	s_delay_alu instid0(VALU_DEP_4) | instskip(NEXT) | instid1(VALU_DEP_4)
	v_cndmask_b32_e64 v74, v75, v70, s1
	v_cndmask_b32_e64 v73, v76, v69, s1
	s_delay_alu instid0(VALU_DEP_4) | instskip(NEXT) | instid1(VALU_DEP_4)
	v_cndmask_b32_e64 v70, v97, v70, s1
	v_cndmask_b32_e64 v69, v98, v69, s1
	s_delay_alu instid0(VALU_DEP_3) | instskip(NEXT) | instid1(VALU_DEP_2)
	v_cmp_class_f64_e64 s1, v[73:74], 0x1f8
	v_cmp_neq_f64_e64 s0, v[73:74], v[69:70]
	s_or_b32 s0, s0, s1
	s_wait_alu 0xfffe
	s_and_saveexec_b32 s41, s0
	s_cbranch_execz .LBB42_77
; %bb.76:
	v_add_f64_e64 v[71:72], v[73:74], -v[69:70]
	s_mov_b32 s0, 0x652b82fe
	s_mov_b32 s1, 0x3ff71547
	s_mov_b32 s35, 0xbfe62e42
	s_mov_b32 s34, 0xfefa39ef
	s_mov_b32 s39, 0xbc7abc9e
	s_mov_b32 s38, 0x3b39803f
	s_mov_b32 s42, 0x6a5dcb37
	s_mov_b32 s43, 0x3e5ade15
	s_mov_b32 s44, 0xbf559e2b
	s_mov_b32 s45, 0x3fc3ab76
	s_wait_alu 0xfffe
	s_delay_alu instid0(VALU_DEP_1) | instskip(SKIP_2) | instid1(VALU_DEP_1)
	v_mul_f64_e32 v[73:74], s[0:1], v[71:72]
	s_mov_b32 s0, 0xfca7ab0c
	s_mov_b32 s1, 0x3e928af3
	v_rndne_f64_e32 v[73:74], v[73:74]
	s_delay_alu instid0(VALU_DEP_1) | instskip(SKIP_2) | instid1(VALU_DEP_2)
	v_fma_f64 v[75:76], v[73:74], s[34:35], v[71:72]
	v_cvt_i32_f64_e32 v99, v[73:74]
	s_mov_b32 s35, 0x3fe62e42
	v_fma_f64 v[75:76], v[73:74], s[38:39], v[75:76]
	s_mov_b32 s39, 0x3c7abc9e
	s_wait_alu 0xfffe
	s_delay_alu instid0(VALU_DEP_1)
	v_fma_f64 v[97:98], v[75:76], s[42:43], s[0:1]
	s_mov_b32 s0, 0x623fde64
	s_mov_b32 s1, 0x3ec71dee
	;; [unrolled: 1-line block ×4, first 2 shown]
	s_wait_alu 0xfffe
	s_delay_alu instid0(VALU_DEP_1) | instskip(SKIP_3) | instid1(VALU_DEP_1)
	v_fma_f64 v[97:98], v[75:76], v[97:98], s[0:1]
	s_mov_b32 s0, 0x7c89e6b0
	s_mov_b32 s1, 0x3efa0199
	s_wait_alu 0xfffe
	v_fma_f64 v[97:98], v[75:76], v[97:98], s[0:1]
	s_mov_b32 s0, 0x14761f6e
	s_mov_b32 s1, 0x3f2a01a0
	s_wait_alu 0xfffe
	s_delay_alu instid0(VALU_DEP_1) | instskip(SKIP_3) | instid1(VALU_DEP_1)
	v_fma_f64 v[97:98], v[75:76], v[97:98], s[0:1]
	s_mov_b32 s0, 0x1852b7b0
	s_mov_b32 s1, 0x3f56c16c
	s_wait_alu 0xfffe
	v_fma_f64 v[97:98], v[75:76], v[97:98], s[0:1]
	s_mov_b32 s0, 0x11122322
	s_mov_b32 s1, 0x3f811111
	;; [unrolled: 9-line block ×3, first 2 shown]
	s_wait_alu 0xfffe
	s_delay_alu instid0(VALU_DEP_1) | instskip(SKIP_3) | instid1(VALU_DEP_1)
	v_fma_f64 v[97:98], v[75:76], v[97:98], s[0:1]
	s_mov_b32 s0, 11
	s_mov_b32 s1, 0x3fe00000
	s_wait_alu 0xfffe
	v_fma_f64 v[97:98], v[75:76], v[97:98], s[0:1]
	v_cmp_nlt_f64_e64 s0, 0x40900000, v[71:72]
	v_cmp_ngt_f64_e64 s1, 0xc090cc00, v[71:72]
	s_delay_alu instid0(VALU_DEP_3) | instskip(NEXT) | instid1(VALU_DEP_1)
	v_fma_f64 v[97:98], v[75:76], v[97:98], 1.0
	v_fma_f64 v[73:74], v[75:76], v[97:98], 1.0
	s_delay_alu instid0(VALU_DEP_1) | instskip(SKIP_1) | instid1(VALU_DEP_1)
	v_ldexp_f64 v[73:74], v[73:74], v99
	s_wait_alu 0xf1ff
	v_cndmask_b32_e64 v74, 0x7ff00000, v74, s0
	s_and_b32 s0, s1, s0
	s_wait_alu 0xfffe
	s_delay_alu instid0(VALU_DEP_2) | instskip(SKIP_3) | instid1(VALU_DEP_1)
	v_cndmask_b32_e64 v71, 0, v73, s0
	s_mov_b32 s0, 0x55555555
	v_cndmask_b32_e64 v72, 0, v74, s1
	s_mov_b32 s1, 0x3fe55555
	v_add_f64_e32 v[73:74], 1.0, v[71:72]
	s_delay_alu instid0(VALU_DEP_1) | instskip(SKIP_3) | instid1(VALU_DEP_3)
	v_frexp_mant_f64_e32 v[75:76], v[73:74]
	v_frexp_exp_i32_f64_e32 v99, v[73:74]
	v_add_f64_e32 v[97:98], -1.0, v[73:74]
	s_wait_alu 0xfffe
	v_cmp_gt_f64_e64 s0, s[0:1], v[75:76]
	s_delay_alu instid0(VALU_DEP_2) | instskip(SKIP_2) | instid1(VALU_DEP_3)
	v_add_f64_e64 v[75:76], v[97:98], -v[73:74]
	v_add_f64_e64 v[97:98], v[71:72], -v[97:98]
	s_wait_alu 0xf1ff
	v_subrev_co_ci_u32_e64 v115, null, 0, v99, s0
	s_delay_alu instid0(VALU_DEP_3) | instskip(SKIP_1) | instid1(VALU_DEP_2)
	v_add_f64_e32 v[75:76], 1.0, v[75:76]
	s_mov_b32 s0, 0x55555780
	v_sub_nc_u32_e32 v101, 0, v115
	s_delay_alu instid0(VALU_DEP_1) | instskip(NEXT) | instid1(VALU_DEP_3)
	v_ldexp_f64 v[73:74], v[73:74], v101
	v_add_f64_e32 v[75:76], v[97:98], v[75:76]
	s_delay_alu instid0(VALU_DEP_2) | instskip(SKIP_1) | instid1(VALU_DEP_3)
	v_add_f64_e32 v[99:100], 1.0, v[73:74]
	v_add_f64_e32 v[105:106], -1.0, v[73:74]
	v_ldexp_f64 v[75:76], v[75:76], v101
	s_delay_alu instid0(VALU_DEP_3) | instskip(NEXT) | instid1(VALU_DEP_3)
	v_add_f64_e32 v[97:98], -1.0, v[99:100]
	v_add_f64_e32 v[107:108], 1.0, v[105:106]
	s_delay_alu instid0(VALU_DEP_2) | instskip(NEXT) | instid1(VALU_DEP_2)
	v_add_f64_e64 v[97:98], v[73:74], -v[97:98]
	v_add_f64_e64 v[73:74], v[73:74], -v[107:108]
	s_delay_alu instid0(VALU_DEP_2) | instskip(NEXT) | instid1(VALU_DEP_2)
	v_add_f64_e32 v[97:98], v[75:76], v[97:98]
	v_add_f64_e32 v[73:74], v[75:76], v[73:74]
	s_delay_alu instid0(VALU_DEP_2) | instskip(NEXT) | instid1(VALU_DEP_2)
	v_add_f64_e32 v[101:102], v[99:100], v[97:98]
	v_add_f64_e32 v[107:108], v[105:106], v[73:74]
	s_delay_alu instid0(VALU_DEP_2) | instskip(SKIP_1) | instid1(VALU_DEP_2)
	v_rcp_f64_e32 v[103:104], v[101:102]
	v_add_f64_e64 v[99:100], v[101:102], -v[99:100]
	v_add_f64_e64 v[105:106], v[107:108], -v[105:106]
	s_delay_alu instid0(VALU_DEP_2) | instskip(NEXT) | instid1(TRANS32_DEP_1)
	v_add_f64_e64 v[97:98], v[97:98], -v[99:100]
	v_fma_f64 v[109:110], -v[101:102], v[103:104], 1.0
	s_delay_alu instid0(VALU_DEP_3) | instskip(NEXT) | instid1(VALU_DEP_2)
	v_add_f64_e64 v[73:74], v[73:74], -v[105:106]
	v_fma_f64 v[103:104], v[109:110], v[103:104], v[103:104]
	s_delay_alu instid0(VALU_DEP_1) | instskip(NEXT) | instid1(VALU_DEP_1)
	v_fma_f64 v[75:76], -v[101:102], v[103:104], 1.0
	v_fma_f64 v[75:76], v[75:76], v[103:104], v[103:104]
	s_delay_alu instid0(VALU_DEP_1) | instskip(NEXT) | instid1(VALU_DEP_1)
	v_mul_f64_e32 v[103:104], v[107:108], v[75:76]
	v_mul_f64_e32 v[109:110], v[101:102], v[103:104]
	s_delay_alu instid0(VALU_DEP_1) | instskip(NEXT) | instid1(VALU_DEP_1)
	v_fma_f64 v[99:100], v[103:104], v[101:102], -v[109:110]
	v_fma_f64 v[99:100], v[103:104], v[97:98], v[99:100]
	s_delay_alu instid0(VALU_DEP_1) | instskip(NEXT) | instid1(VALU_DEP_1)
	v_add_f64_e32 v[111:112], v[109:110], v[99:100]
	v_add_f64_e64 v[113:114], v[107:108], -v[111:112]
	v_add_f64_e64 v[105:106], v[111:112], -v[109:110]
	s_delay_alu instid0(VALU_DEP_2) | instskip(NEXT) | instid1(VALU_DEP_2)
	v_add_f64_e64 v[107:108], v[107:108], -v[113:114]
	v_add_f64_e64 v[99:100], v[105:106], -v[99:100]
	s_delay_alu instid0(VALU_DEP_2) | instskip(NEXT) | instid1(VALU_DEP_1)
	v_add_f64_e64 v[107:108], v[107:108], -v[111:112]
	v_add_f64_e32 v[73:74], v[73:74], v[107:108]
	s_delay_alu instid0(VALU_DEP_1) | instskip(NEXT) | instid1(VALU_DEP_1)
	v_add_f64_e32 v[73:74], v[99:100], v[73:74]
	v_add_f64_e32 v[99:100], v[113:114], v[73:74]
	s_delay_alu instid0(VALU_DEP_1) | instskip(SKIP_1) | instid1(VALU_DEP_2)
	v_mul_f64_e32 v[105:106], v[75:76], v[99:100]
	v_add_f64_e64 v[111:112], v[113:114], -v[99:100]
	v_mul_f64_e32 v[107:108], v[101:102], v[105:106]
	s_delay_alu instid0(VALU_DEP_2) | instskip(NEXT) | instid1(VALU_DEP_2)
	v_add_f64_e32 v[73:74], v[73:74], v[111:112]
	v_fma_f64 v[101:102], v[105:106], v[101:102], -v[107:108]
	s_delay_alu instid0(VALU_DEP_1) | instskip(NEXT) | instid1(VALU_DEP_1)
	v_fma_f64 v[97:98], v[105:106], v[97:98], v[101:102]
	v_add_f64_e32 v[101:102], v[107:108], v[97:98]
	s_delay_alu instid0(VALU_DEP_1) | instskip(SKIP_1) | instid1(VALU_DEP_2)
	v_add_f64_e64 v[109:110], v[99:100], -v[101:102]
	v_add_f64_e64 v[107:108], v[101:102], -v[107:108]
	;; [unrolled: 1-line block ×3, first 2 shown]
	s_delay_alu instid0(VALU_DEP_2) | instskip(NEXT) | instid1(VALU_DEP_2)
	v_add_f64_e64 v[97:98], v[107:108], -v[97:98]
	v_add_f64_e64 v[99:100], v[99:100], -v[101:102]
	s_delay_alu instid0(VALU_DEP_1) | instskip(SKIP_1) | instid1(VALU_DEP_2)
	v_add_f64_e32 v[73:74], v[73:74], v[99:100]
	v_add_f64_e32 v[99:100], v[103:104], v[105:106]
	;; [unrolled: 1-line block ×3, first 2 shown]
	s_delay_alu instid0(VALU_DEP_2) | instskip(NEXT) | instid1(VALU_DEP_2)
	v_add_f64_e64 v[97:98], v[99:100], -v[103:104]
	v_add_f64_e32 v[73:74], v[109:110], v[73:74]
	s_delay_alu instid0(VALU_DEP_2) | instskip(NEXT) | instid1(VALU_DEP_2)
	v_add_f64_e64 v[97:98], v[105:106], -v[97:98]
	v_mul_f64_e32 v[73:74], v[75:76], v[73:74]
	s_delay_alu instid0(VALU_DEP_1) | instskip(NEXT) | instid1(VALU_DEP_1)
	v_add_f64_e32 v[73:74], v[97:98], v[73:74]
	v_add_f64_e32 v[75:76], v[99:100], v[73:74]
	s_delay_alu instid0(VALU_DEP_1) | instskip(NEXT) | instid1(VALU_DEP_1)
	v_mul_f64_e32 v[97:98], v[75:76], v[75:76]
	v_fma_f64 v[101:102], v[97:98], s[44:45], s[42:43]
	s_mov_b32 s42, 0xd7f4df2e
	s_mov_b32 s43, 0x3fc7474d
	v_mul_f64_e32 v[103:104], v[75:76], v[97:98]
	s_wait_alu 0xfffe
	s_delay_alu instid0(VALU_DEP_2) | instskip(SKIP_3) | instid1(VALU_DEP_1)
	v_fma_f64 v[101:102], v[97:98], v[101:102], s[42:43]
	s_mov_b32 s42, 0x16291751
	s_mov_b32 s43, 0x3fcc71c0
	s_wait_alu 0xfffe
	v_fma_f64 v[101:102], v[97:98], v[101:102], s[42:43]
	s_mov_b32 s42, 0x9b27acf1
	s_mov_b32 s43, 0x3fd24924
	s_wait_alu 0xfffe
	s_delay_alu instid0(VALU_DEP_1) | instskip(SKIP_3) | instid1(VALU_DEP_1)
	v_fma_f64 v[101:102], v[97:98], v[101:102], s[42:43]
	s_mov_b32 s42, 0x998ef7b6
	s_mov_b32 s43, 0x3fd99999
	s_wait_alu 0xfffe
	v_fma_f64 v[101:102], v[97:98], v[101:102], s[42:43]
	s_delay_alu instid0(VALU_DEP_1)
	v_fma_f64 v[97:98], v[97:98], v[101:102], s[0:1]
	v_ldexp_f64 v[101:102], v[75:76], 1
	v_add_f64_e64 v[75:76], v[75:76], -v[99:100]
	v_cmp_nge_f64_e64 s0, -1.0, v[71:72]
	v_cmp_neq_f64_e64 s1, 0x7ff00000, v[71:72]
	v_mul_f64_e32 v[97:98], v[103:104], v[97:98]
	v_cvt_f64_i32_e32 v[103:104], v115
	v_add_f64_e64 v[73:74], v[73:74], -v[75:76]
	s_and_b32 s0, s0, s1
	s_delay_alu instid0(VALU_DEP_3) | instskip(NEXT) | instid1(VALU_DEP_3)
	v_add_f64_e32 v[99:100], v[101:102], v[97:98]
	v_mul_f64_e32 v[105:106], s[34:35], v[103:104]
	s_delay_alu instid0(VALU_DEP_3) | instskip(NEXT) | instid1(VALU_DEP_3)
	v_ldexp_f64 v[73:74], v[73:74], 1
	v_add_f64_e64 v[75:76], v[99:100], -v[101:102]
	s_delay_alu instid0(VALU_DEP_3) | instskip(SKIP_1) | instid1(VALU_DEP_3)
	v_fma_f64 v[101:102], v[103:104], s[34:35], -v[105:106]
	v_cmp_ngt_f64_e64 s34, -1.0, v[71:72]
	v_add_f64_e64 v[75:76], v[97:98], -v[75:76]
	s_delay_alu instid0(VALU_DEP_3) | instskip(NEXT) | instid1(VALU_DEP_2)
	v_fma_f64 v[97:98], v[103:104], s[38:39], v[101:102]
	v_add_f64_e32 v[73:74], v[73:74], v[75:76]
	s_delay_alu instid0(VALU_DEP_2) | instskip(NEXT) | instid1(VALU_DEP_2)
	v_add_f64_e32 v[75:76], v[105:106], v[97:98]
	v_add_f64_e32 v[101:102], v[99:100], v[73:74]
	s_delay_alu instid0(VALU_DEP_2) | instskip(NEXT) | instid1(VALU_DEP_2)
	v_add_f64_e64 v[105:106], v[75:76], -v[105:106]
	v_add_f64_e32 v[103:104], v[75:76], v[101:102]
	v_add_f64_e64 v[99:100], v[101:102], -v[99:100]
	s_delay_alu instid0(VALU_DEP_3) | instskip(NEXT) | instid1(VALU_DEP_3)
	v_add_f64_e64 v[97:98], v[97:98], -v[105:106]
	v_add_f64_e64 v[107:108], v[103:104], -v[75:76]
	s_delay_alu instid0(VALU_DEP_3) | instskip(NEXT) | instid1(VALU_DEP_2)
	v_add_f64_e64 v[73:74], v[73:74], -v[99:100]
	v_add_f64_e64 v[109:110], v[103:104], -v[107:108]
	;; [unrolled: 1-line block ×3, first 2 shown]
	s_delay_alu instid0(VALU_DEP_3) | instskip(NEXT) | instid1(VALU_DEP_3)
	v_add_f64_e32 v[101:102], v[97:98], v[73:74]
	v_add_f64_e64 v[75:76], v[75:76], -v[109:110]
	s_delay_alu instid0(VALU_DEP_1) | instskip(NEXT) | instid1(VALU_DEP_3)
	v_add_f64_e32 v[75:76], v[99:100], v[75:76]
	v_add_f64_e64 v[99:100], v[101:102], -v[97:98]
	s_delay_alu instid0(VALU_DEP_2) | instskip(NEXT) | instid1(VALU_DEP_2)
	v_add_f64_e32 v[75:76], v[101:102], v[75:76]
	v_add_f64_e64 v[101:102], v[101:102], -v[99:100]
	v_add_f64_e64 v[73:74], v[73:74], -v[99:100]
	s_delay_alu instid0(VALU_DEP_3) | instskip(NEXT) | instid1(VALU_DEP_3)
	v_add_f64_e32 v[105:106], v[103:104], v[75:76]
	v_add_f64_e64 v[97:98], v[97:98], -v[101:102]
	s_delay_alu instid0(VALU_DEP_2) | instskip(NEXT) | instid1(VALU_DEP_2)
	v_add_f64_e64 v[99:100], v[105:106], -v[103:104]
	v_add_f64_e32 v[73:74], v[73:74], v[97:98]
	s_delay_alu instid0(VALU_DEP_2) | instskip(NEXT) | instid1(VALU_DEP_1)
	v_add_f64_e64 v[75:76], v[75:76], -v[99:100]
	v_add_f64_e32 v[73:74], v[73:74], v[75:76]
	s_delay_alu instid0(VALU_DEP_1) | instskip(SKIP_1) | instid1(VALU_DEP_1)
	v_add_f64_e32 v[73:74], v[105:106], v[73:74]
	s_wait_alu 0xfffe
	v_cndmask_b32_e64 v73, 0, v73, s0
	v_cmp_neq_f64_e64 s0, -1.0, v[71:72]
	s_delay_alu instid0(VALU_DEP_3) | instskip(SKIP_1) | instid1(VALU_DEP_1)
	v_cndmask_b32_e64 v74, 0x7ff00000, v74, s1
	s_wait_alu 0xf1ff
	v_cndmask_b32_e64 v74, 0x7ff80000, v74, s34
	s_delay_alu instid0(VALU_DEP_1) | instskip(NEXT) | instid1(VALU_DEP_1)
	v_cndmask_b32_e64 v74, 0xfff00000, v74, s0
	v_add_f64_e32 v[71:72], v[69:70], v[73:74]
.LBB42_77:
	s_wait_alu 0xfffe
	s_or_b32 exec_lo, exec_lo, s41
	s_delay_alu instid0(VALU_DEP_1)
	v_dual_mov_b32 v73, v71 :: v_dual_mov_b32 v74, v72
	v_dual_mov_b32 v69, v71 :: v_dual_mov_b32 v70, v72
.LBB42_78:
	s_wait_alu 0xfffe
	s_or_b32 exec_lo, exec_lo, s40
	ds_swizzle_b32 v71, v73 offset:swizzle(BROADCAST,32,15)
	ds_swizzle_b32 v72, v74 offset:swizzle(BROADCAST,32,15)
	v_and_b32_e32 v73, 16, v96
	s_mov_b32 s40, exec_lo
	s_delay_alu instid0(VALU_DEP_1)
	v_cmpx_ne_u32_e32 0, v73
	s_cbranch_execz .LBB42_82
; %bb.79:
	s_wait_dscnt 0x0
	v_max_num_f64_e32 v[73:74], v[71:72], v[71:72]
	v_max_num_f64_e32 v[75:76], v[69:70], v[69:70]
	v_cmp_u_f64_e64 s0, v[71:72], v[71:72]
	v_cmp_u_f64_e64 s1, v[69:70], v[69:70]
	s_delay_alu instid0(VALU_DEP_3) | instskip(SKIP_2) | instid1(VALU_DEP_2)
	v_min_num_f64_e32 v[97:98], v[73:74], v[75:76]
	v_max_num_f64_e32 v[73:74], v[73:74], v[75:76]
	s_wait_alu 0xf1ff
	v_cndmask_b32_e64 v75, v98, v72, s0
	s_delay_alu instid0(VALU_DEP_3) | instskip(NEXT) | instid1(VALU_DEP_3)
	v_cndmask_b32_e64 v76, v97, v71, s0
	v_cndmask_b32_e64 v97, v74, v72, s0
	s_delay_alu instid0(VALU_DEP_4) | instskip(NEXT) | instid1(VALU_DEP_4)
	v_cndmask_b32_e64 v98, v73, v71, s0
	v_cndmask_b32_e64 v74, v75, v70, s1
	s_delay_alu instid0(VALU_DEP_4) | instskip(NEXT) | instid1(VALU_DEP_4)
	v_cndmask_b32_e64 v73, v76, v69, s1
	v_cndmask_b32_e64 v70, v97, v70, s1
	s_delay_alu instid0(VALU_DEP_4) | instskip(NEXT) | instid1(VALU_DEP_3)
	v_cndmask_b32_e64 v69, v98, v69, s1
	v_cmp_class_f64_e64 s1, v[73:74], 0x1f8
	s_delay_alu instid0(VALU_DEP_2)
	v_cmp_neq_f64_e64 s0, v[73:74], v[69:70]
	s_or_b32 s0, s0, s1
	s_wait_alu 0xfffe
	s_and_saveexec_b32 s41, s0
	s_cbranch_execz .LBB42_81
; %bb.80:
	v_add_f64_e64 v[71:72], v[73:74], -v[69:70]
	s_mov_b32 s0, 0x652b82fe
	s_mov_b32 s1, 0x3ff71547
	;; [unrolled: 1-line block ×10, first 2 shown]
	s_wait_alu 0xfffe
	s_delay_alu instid0(VALU_DEP_1) | instskip(SKIP_2) | instid1(VALU_DEP_1)
	v_mul_f64_e32 v[73:74], s[0:1], v[71:72]
	s_mov_b32 s0, 0xfca7ab0c
	s_mov_b32 s1, 0x3e928af3
	v_rndne_f64_e32 v[73:74], v[73:74]
	s_delay_alu instid0(VALU_DEP_1) | instskip(SKIP_2) | instid1(VALU_DEP_2)
	v_fma_f64 v[75:76], v[73:74], s[34:35], v[71:72]
	v_cvt_i32_f64_e32 v99, v[73:74]
	s_mov_b32 s35, 0x3fe62e42
	v_fma_f64 v[75:76], v[73:74], s[38:39], v[75:76]
	s_mov_b32 s39, 0x3c7abc9e
	s_wait_alu 0xfffe
	s_delay_alu instid0(VALU_DEP_1)
	v_fma_f64 v[97:98], v[75:76], s[42:43], s[0:1]
	s_mov_b32 s0, 0x623fde64
	s_mov_b32 s1, 0x3ec71dee
	;; [unrolled: 1-line block ×4, first 2 shown]
	s_wait_alu 0xfffe
	s_delay_alu instid0(VALU_DEP_1) | instskip(SKIP_3) | instid1(VALU_DEP_1)
	v_fma_f64 v[97:98], v[75:76], v[97:98], s[0:1]
	s_mov_b32 s0, 0x7c89e6b0
	s_mov_b32 s1, 0x3efa0199
	s_wait_alu 0xfffe
	v_fma_f64 v[97:98], v[75:76], v[97:98], s[0:1]
	s_mov_b32 s0, 0x14761f6e
	s_mov_b32 s1, 0x3f2a01a0
	s_wait_alu 0xfffe
	s_delay_alu instid0(VALU_DEP_1) | instskip(SKIP_3) | instid1(VALU_DEP_1)
	v_fma_f64 v[97:98], v[75:76], v[97:98], s[0:1]
	s_mov_b32 s0, 0x1852b7b0
	s_mov_b32 s1, 0x3f56c16c
	s_wait_alu 0xfffe
	v_fma_f64 v[97:98], v[75:76], v[97:98], s[0:1]
	s_mov_b32 s0, 0x11122322
	s_mov_b32 s1, 0x3f811111
	;; [unrolled: 9-line block ×3, first 2 shown]
	s_wait_alu 0xfffe
	s_delay_alu instid0(VALU_DEP_1) | instskip(SKIP_3) | instid1(VALU_DEP_1)
	v_fma_f64 v[97:98], v[75:76], v[97:98], s[0:1]
	s_mov_b32 s0, 11
	s_mov_b32 s1, 0x3fe00000
	s_wait_alu 0xfffe
	v_fma_f64 v[97:98], v[75:76], v[97:98], s[0:1]
	v_cmp_nlt_f64_e64 s0, 0x40900000, v[71:72]
	v_cmp_ngt_f64_e64 s1, 0xc090cc00, v[71:72]
	s_delay_alu instid0(VALU_DEP_3) | instskip(NEXT) | instid1(VALU_DEP_1)
	v_fma_f64 v[97:98], v[75:76], v[97:98], 1.0
	v_fma_f64 v[73:74], v[75:76], v[97:98], 1.0
	s_delay_alu instid0(VALU_DEP_1) | instskip(SKIP_1) | instid1(VALU_DEP_1)
	v_ldexp_f64 v[73:74], v[73:74], v99
	s_wait_alu 0xf1ff
	v_cndmask_b32_e64 v74, 0x7ff00000, v74, s0
	s_and_b32 s0, s1, s0
	s_wait_alu 0xfffe
	s_delay_alu instid0(VALU_DEP_2) | instskip(SKIP_3) | instid1(VALU_DEP_1)
	v_cndmask_b32_e64 v71, 0, v73, s0
	s_mov_b32 s0, 0x55555555
	v_cndmask_b32_e64 v72, 0, v74, s1
	s_mov_b32 s1, 0x3fe55555
	v_add_f64_e32 v[73:74], 1.0, v[71:72]
	s_delay_alu instid0(VALU_DEP_1) | instskip(SKIP_3) | instid1(VALU_DEP_3)
	v_frexp_mant_f64_e32 v[75:76], v[73:74]
	v_frexp_exp_i32_f64_e32 v99, v[73:74]
	v_add_f64_e32 v[97:98], -1.0, v[73:74]
	s_wait_alu 0xfffe
	v_cmp_gt_f64_e64 s0, s[0:1], v[75:76]
	s_delay_alu instid0(VALU_DEP_2) | instskip(SKIP_2) | instid1(VALU_DEP_3)
	v_add_f64_e64 v[75:76], v[97:98], -v[73:74]
	v_add_f64_e64 v[97:98], v[71:72], -v[97:98]
	s_wait_alu 0xf1ff
	v_subrev_co_ci_u32_e64 v115, null, 0, v99, s0
	s_delay_alu instid0(VALU_DEP_3) | instskip(SKIP_1) | instid1(VALU_DEP_2)
	v_add_f64_e32 v[75:76], 1.0, v[75:76]
	s_mov_b32 s0, 0x55555780
	v_sub_nc_u32_e32 v101, 0, v115
	s_delay_alu instid0(VALU_DEP_1) | instskip(NEXT) | instid1(VALU_DEP_3)
	v_ldexp_f64 v[73:74], v[73:74], v101
	v_add_f64_e32 v[75:76], v[97:98], v[75:76]
	s_delay_alu instid0(VALU_DEP_2) | instskip(SKIP_1) | instid1(VALU_DEP_3)
	v_add_f64_e32 v[99:100], 1.0, v[73:74]
	v_add_f64_e32 v[105:106], -1.0, v[73:74]
	v_ldexp_f64 v[75:76], v[75:76], v101
	s_delay_alu instid0(VALU_DEP_3) | instskip(NEXT) | instid1(VALU_DEP_3)
	v_add_f64_e32 v[97:98], -1.0, v[99:100]
	v_add_f64_e32 v[107:108], 1.0, v[105:106]
	s_delay_alu instid0(VALU_DEP_2) | instskip(NEXT) | instid1(VALU_DEP_2)
	v_add_f64_e64 v[97:98], v[73:74], -v[97:98]
	v_add_f64_e64 v[73:74], v[73:74], -v[107:108]
	s_delay_alu instid0(VALU_DEP_2) | instskip(NEXT) | instid1(VALU_DEP_2)
	v_add_f64_e32 v[97:98], v[75:76], v[97:98]
	v_add_f64_e32 v[73:74], v[75:76], v[73:74]
	s_delay_alu instid0(VALU_DEP_2) | instskip(NEXT) | instid1(VALU_DEP_2)
	v_add_f64_e32 v[101:102], v[99:100], v[97:98]
	v_add_f64_e32 v[107:108], v[105:106], v[73:74]
	s_delay_alu instid0(VALU_DEP_2) | instskip(SKIP_1) | instid1(VALU_DEP_2)
	v_rcp_f64_e32 v[103:104], v[101:102]
	v_add_f64_e64 v[99:100], v[101:102], -v[99:100]
	v_add_f64_e64 v[105:106], v[107:108], -v[105:106]
	s_delay_alu instid0(VALU_DEP_2) | instskip(NEXT) | instid1(TRANS32_DEP_1)
	v_add_f64_e64 v[97:98], v[97:98], -v[99:100]
	v_fma_f64 v[109:110], -v[101:102], v[103:104], 1.0
	s_delay_alu instid0(VALU_DEP_3) | instskip(NEXT) | instid1(VALU_DEP_2)
	v_add_f64_e64 v[73:74], v[73:74], -v[105:106]
	v_fma_f64 v[103:104], v[109:110], v[103:104], v[103:104]
	s_delay_alu instid0(VALU_DEP_1) | instskip(NEXT) | instid1(VALU_DEP_1)
	v_fma_f64 v[75:76], -v[101:102], v[103:104], 1.0
	v_fma_f64 v[75:76], v[75:76], v[103:104], v[103:104]
	s_delay_alu instid0(VALU_DEP_1) | instskip(NEXT) | instid1(VALU_DEP_1)
	v_mul_f64_e32 v[103:104], v[107:108], v[75:76]
	v_mul_f64_e32 v[109:110], v[101:102], v[103:104]
	s_delay_alu instid0(VALU_DEP_1) | instskip(NEXT) | instid1(VALU_DEP_1)
	v_fma_f64 v[99:100], v[103:104], v[101:102], -v[109:110]
	v_fma_f64 v[99:100], v[103:104], v[97:98], v[99:100]
	s_delay_alu instid0(VALU_DEP_1) | instskip(NEXT) | instid1(VALU_DEP_1)
	v_add_f64_e32 v[111:112], v[109:110], v[99:100]
	v_add_f64_e64 v[113:114], v[107:108], -v[111:112]
	v_add_f64_e64 v[105:106], v[111:112], -v[109:110]
	s_delay_alu instid0(VALU_DEP_2) | instskip(NEXT) | instid1(VALU_DEP_2)
	v_add_f64_e64 v[107:108], v[107:108], -v[113:114]
	v_add_f64_e64 v[99:100], v[105:106], -v[99:100]
	s_delay_alu instid0(VALU_DEP_2) | instskip(NEXT) | instid1(VALU_DEP_1)
	v_add_f64_e64 v[107:108], v[107:108], -v[111:112]
	v_add_f64_e32 v[73:74], v[73:74], v[107:108]
	s_delay_alu instid0(VALU_DEP_1) | instskip(NEXT) | instid1(VALU_DEP_1)
	v_add_f64_e32 v[73:74], v[99:100], v[73:74]
	v_add_f64_e32 v[99:100], v[113:114], v[73:74]
	s_delay_alu instid0(VALU_DEP_1) | instskip(SKIP_1) | instid1(VALU_DEP_2)
	v_mul_f64_e32 v[105:106], v[75:76], v[99:100]
	v_add_f64_e64 v[111:112], v[113:114], -v[99:100]
	v_mul_f64_e32 v[107:108], v[101:102], v[105:106]
	s_delay_alu instid0(VALU_DEP_2) | instskip(NEXT) | instid1(VALU_DEP_2)
	v_add_f64_e32 v[73:74], v[73:74], v[111:112]
	v_fma_f64 v[101:102], v[105:106], v[101:102], -v[107:108]
	s_delay_alu instid0(VALU_DEP_1) | instskip(NEXT) | instid1(VALU_DEP_1)
	v_fma_f64 v[97:98], v[105:106], v[97:98], v[101:102]
	v_add_f64_e32 v[101:102], v[107:108], v[97:98]
	s_delay_alu instid0(VALU_DEP_1) | instskip(SKIP_1) | instid1(VALU_DEP_2)
	v_add_f64_e64 v[109:110], v[99:100], -v[101:102]
	v_add_f64_e64 v[107:108], v[101:102], -v[107:108]
	v_add_f64_e64 v[99:100], v[99:100], -v[109:110]
	s_delay_alu instid0(VALU_DEP_2) | instskip(NEXT) | instid1(VALU_DEP_2)
	v_add_f64_e64 v[97:98], v[107:108], -v[97:98]
	v_add_f64_e64 v[99:100], v[99:100], -v[101:102]
	s_delay_alu instid0(VALU_DEP_1) | instskip(SKIP_1) | instid1(VALU_DEP_2)
	v_add_f64_e32 v[73:74], v[73:74], v[99:100]
	v_add_f64_e32 v[99:100], v[103:104], v[105:106]
	;; [unrolled: 1-line block ×3, first 2 shown]
	s_delay_alu instid0(VALU_DEP_2) | instskip(NEXT) | instid1(VALU_DEP_2)
	v_add_f64_e64 v[97:98], v[99:100], -v[103:104]
	v_add_f64_e32 v[73:74], v[109:110], v[73:74]
	s_delay_alu instid0(VALU_DEP_2) | instskip(NEXT) | instid1(VALU_DEP_2)
	v_add_f64_e64 v[97:98], v[105:106], -v[97:98]
	v_mul_f64_e32 v[73:74], v[75:76], v[73:74]
	s_delay_alu instid0(VALU_DEP_1) | instskip(NEXT) | instid1(VALU_DEP_1)
	v_add_f64_e32 v[73:74], v[97:98], v[73:74]
	v_add_f64_e32 v[75:76], v[99:100], v[73:74]
	s_delay_alu instid0(VALU_DEP_1) | instskip(NEXT) | instid1(VALU_DEP_1)
	v_mul_f64_e32 v[97:98], v[75:76], v[75:76]
	v_fma_f64 v[101:102], v[97:98], s[44:45], s[42:43]
	s_mov_b32 s42, 0xd7f4df2e
	s_mov_b32 s43, 0x3fc7474d
	v_mul_f64_e32 v[103:104], v[75:76], v[97:98]
	s_wait_alu 0xfffe
	s_delay_alu instid0(VALU_DEP_2) | instskip(SKIP_3) | instid1(VALU_DEP_1)
	v_fma_f64 v[101:102], v[97:98], v[101:102], s[42:43]
	s_mov_b32 s42, 0x16291751
	s_mov_b32 s43, 0x3fcc71c0
	s_wait_alu 0xfffe
	v_fma_f64 v[101:102], v[97:98], v[101:102], s[42:43]
	s_mov_b32 s42, 0x9b27acf1
	s_mov_b32 s43, 0x3fd24924
	s_wait_alu 0xfffe
	s_delay_alu instid0(VALU_DEP_1) | instskip(SKIP_3) | instid1(VALU_DEP_1)
	v_fma_f64 v[101:102], v[97:98], v[101:102], s[42:43]
	s_mov_b32 s42, 0x998ef7b6
	s_mov_b32 s43, 0x3fd99999
	s_wait_alu 0xfffe
	v_fma_f64 v[101:102], v[97:98], v[101:102], s[42:43]
	s_delay_alu instid0(VALU_DEP_1)
	v_fma_f64 v[97:98], v[97:98], v[101:102], s[0:1]
	v_ldexp_f64 v[101:102], v[75:76], 1
	v_add_f64_e64 v[75:76], v[75:76], -v[99:100]
	v_cmp_nge_f64_e64 s0, -1.0, v[71:72]
	v_cmp_neq_f64_e64 s1, 0x7ff00000, v[71:72]
	v_mul_f64_e32 v[97:98], v[103:104], v[97:98]
	v_cvt_f64_i32_e32 v[103:104], v115
	v_add_f64_e64 v[73:74], v[73:74], -v[75:76]
	s_and_b32 s0, s0, s1
	s_delay_alu instid0(VALU_DEP_3) | instskip(NEXT) | instid1(VALU_DEP_3)
	v_add_f64_e32 v[99:100], v[101:102], v[97:98]
	v_mul_f64_e32 v[105:106], s[34:35], v[103:104]
	s_delay_alu instid0(VALU_DEP_3) | instskip(NEXT) | instid1(VALU_DEP_3)
	v_ldexp_f64 v[73:74], v[73:74], 1
	v_add_f64_e64 v[75:76], v[99:100], -v[101:102]
	s_delay_alu instid0(VALU_DEP_3) | instskip(SKIP_1) | instid1(VALU_DEP_3)
	v_fma_f64 v[101:102], v[103:104], s[34:35], -v[105:106]
	v_cmp_ngt_f64_e64 s34, -1.0, v[71:72]
	v_add_f64_e64 v[75:76], v[97:98], -v[75:76]
	s_delay_alu instid0(VALU_DEP_3) | instskip(NEXT) | instid1(VALU_DEP_2)
	v_fma_f64 v[97:98], v[103:104], s[38:39], v[101:102]
	v_add_f64_e32 v[73:74], v[73:74], v[75:76]
	s_delay_alu instid0(VALU_DEP_2) | instskip(NEXT) | instid1(VALU_DEP_2)
	v_add_f64_e32 v[75:76], v[105:106], v[97:98]
	v_add_f64_e32 v[101:102], v[99:100], v[73:74]
	s_delay_alu instid0(VALU_DEP_2) | instskip(NEXT) | instid1(VALU_DEP_2)
	v_add_f64_e64 v[105:106], v[75:76], -v[105:106]
	v_add_f64_e32 v[103:104], v[75:76], v[101:102]
	v_add_f64_e64 v[99:100], v[101:102], -v[99:100]
	s_delay_alu instid0(VALU_DEP_3) | instskip(NEXT) | instid1(VALU_DEP_3)
	v_add_f64_e64 v[97:98], v[97:98], -v[105:106]
	v_add_f64_e64 v[107:108], v[103:104], -v[75:76]
	s_delay_alu instid0(VALU_DEP_3) | instskip(NEXT) | instid1(VALU_DEP_2)
	v_add_f64_e64 v[73:74], v[73:74], -v[99:100]
	v_add_f64_e64 v[109:110], v[103:104], -v[107:108]
	;; [unrolled: 1-line block ×3, first 2 shown]
	s_delay_alu instid0(VALU_DEP_3) | instskip(NEXT) | instid1(VALU_DEP_3)
	v_add_f64_e32 v[101:102], v[97:98], v[73:74]
	v_add_f64_e64 v[75:76], v[75:76], -v[109:110]
	s_delay_alu instid0(VALU_DEP_1) | instskip(NEXT) | instid1(VALU_DEP_3)
	v_add_f64_e32 v[75:76], v[99:100], v[75:76]
	v_add_f64_e64 v[99:100], v[101:102], -v[97:98]
	s_delay_alu instid0(VALU_DEP_2) | instskip(NEXT) | instid1(VALU_DEP_2)
	v_add_f64_e32 v[75:76], v[101:102], v[75:76]
	v_add_f64_e64 v[101:102], v[101:102], -v[99:100]
	v_add_f64_e64 v[73:74], v[73:74], -v[99:100]
	s_delay_alu instid0(VALU_DEP_3) | instskip(NEXT) | instid1(VALU_DEP_3)
	v_add_f64_e32 v[105:106], v[103:104], v[75:76]
	v_add_f64_e64 v[97:98], v[97:98], -v[101:102]
	s_delay_alu instid0(VALU_DEP_2) | instskip(NEXT) | instid1(VALU_DEP_2)
	v_add_f64_e64 v[99:100], v[105:106], -v[103:104]
	v_add_f64_e32 v[73:74], v[73:74], v[97:98]
	s_delay_alu instid0(VALU_DEP_2) | instskip(NEXT) | instid1(VALU_DEP_1)
	v_add_f64_e64 v[75:76], v[75:76], -v[99:100]
	v_add_f64_e32 v[73:74], v[73:74], v[75:76]
	s_delay_alu instid0(VALU_DEP_1) | instskip(SKIP_1) | instid1(VALU_DEP_1)
	v_add_f64_e32 v[73:74], v[105:106], v[73:74]
	s_wait_alu 0xfffe
	v_cndmask_b32_e64 v73, 0, v73, s0
	v_cmp_neq_f64_e64 s0, -1.0, v[71:72]
	s_delay_alu instid0(VALU_DEP_3) | instskip(SKIP_1) | instid1(VALU_DEP_1)
	v_cndmask_b32_e64 v74, 0x7ff00000, v74, s1
	s_wait_alu 0xf1ff
	v_cndmask_b32_e64 v74, 0x7ff80000, v74, s34
	s_delay_alu instid0(VALU_DEP_1) | instskip(NEXT) | instid1(VALU_DEP_1)
	v_cndmask_b32_e64 v74, 0xfff00000, v74, s0
	v_add_f64_e32 v[71:72], v[69:70], v[73:74]
.LBB42_81:
	s_wait_alu 0xfffe
	s_or_b32 exec_lo, exec_lo, s41
	s_delay_alu instid0(VALU_DEP_1)
	v_dual_mov_b32 v69, v71 :: v_dual_mov_b32 v70, v72
.LBB42_82:
	s_wait_alu 0xfffe
	s_or_b32 exec_lo, exec_lo, s40
	s_wait_dscnt 0x1
	v_or_b32_e32 v71, 31, v0
	s_mov_b32 s1, exec_lo
	s_delay_alu instid0(VALU_DEP_1)
	v_cmpx_eq_u32_e64 v0, v71
; %bb.83:
	ds_store_b64 v95, v[69:70]
; %bb.84:
	s_wait_alu 0xfffe
	s_or_b32 exec_lo, exec_lo, s1
	s_delay_alu instid0(SALU_CYCLE_1)
	s_mov_b32 s40, exec_lo
	s_wait_loadcnt_dscnt 0x0
	s_barrier_signal -1
	s_barrier_wait -1
	global_inv scope:SCOPE_SE
	v_cmpx_gt_u32_e32 8, v0
	s_cbranch_execz .LBB42_98
; %bb.85:
	ds_load_b64 v[71:72], v77
	v_and_b32_e32 v97, 7, v96
	s_mov_b32 s41, exec_lo
	s_wait_dscnt 0x0
	v_mov_b32_dpp v73, v71 row_shr:1 row_mask:0xf bank_mask:0xf
	v_mov_b32_dpp v74, v72 row_shr:1 row_mask:0xf bank_mask:0xf
	v_dual_mov_b32 v75, v71 :: v_dual_mov_b32 v76, v72
	v_cmpx_ne_u32_e32 0, v97
	s_cbranch_execz .LBB42_89
; %bb.86:
	s_delay_alu instid0(VALU_DEP_3) | instskip(SKIP_3) | instid1(VALU_DEP_3)
	v_max_num_f64_e32 v[75:76], v[73:74], v[73:74]
	v_max_num_f64_e32 v[98:99], v[71:72], v[71:72]
	v_cmp_u_f64_e64 s0, v[73:74], v[73:74]
	v_cmp_u_f64_e64 s1, v[71:72], v[71:72]
	v_min_num_f64_e32 v[100:101], v[75:76], v[98:99]
	v_max_num_f64_e32 v[75:76], v[75:76], v[98:99]
	s_wait_alu 0xf1ff
	s_delay_alu instid0(VALU_DEP_2) | instskip(NEXT) | instid1(VALU_DEP_3)
	v_cndmask_b32_e64 v98, v101, v74, s0
	v_cndmask_b32_e64 v99, v100, v73, s0
	s_delay_alu instid0(VALU_DEP_3) | instskip(NEXT) | instid1(VALU_DEP_4)
	v_cndmask_b32_e64 v100, v76, v74, s0
	v_cndmask_b32_e64 v101, v75, v73, s0
	s_delay_alu instid0(VALU_DEP_4) | instskip(NEXT) | instid1(VALU_DEP_4)
	v_cndmask_b32_e64 v76, v98, v72, s1
	v_cndmask_b32_e64 v75, v99, v71, s1
	s_delay_alu instid0(VALU_DEP_4) | instskip(NEXT) | instid1(VALU_DEP_4)
	v_cndmask_b32_e64 v72, v100, v72, s1
	v_cndmask_b32_e64 v71, v101, v71, s1
	s_delay_alu instid0(VALU_DEP_3) | instskip(NEXT) | instid1(VALU_DEP_2)
	v_cmp_class_f64_e64 s1, v[75:76], 0x1f8
	v_cmp_neq_f64_e64 s0, v[75:76], v[71:72]
	s_or_b32 s0, s0, s1
	s_wait_alu 0xfffe
	s_and_saveexec_b32 s42, s0
	s_cbranch_execz .LBB42_88
; %bb.87:
	v_add_f64_e64 v[73:74], v[75:76], -v[71:72]
	s_mov_b32 s0, 0x652b82fe
	s_mov_b32 s1, 0x3ff71547
	;; [unrolled: 1-line block ×10, first 2 shown]
	s_wait_alu 0xfffe
	s_delay_alu instid0(VALU_DEP_1) | instskip(SKIP_2) | instid1(VALU_DEP_1)
	v_mul_f64_e32 v[75:76], s[0:1], v[73:74]
	s_mov_b32 s0, 0xfca7ab0c
	s_mov_b32 s1, 0x3e928af3
	v_rndne_f64_e32 v[75:76], v[75:76]
	s_delay_alu instid0(VALU_DEP_1) | instskip(SKIP_2) | instid1(VALU_DEP_2)
	v_fma_f64 v[98:99], v[75:76], s[34:35], v[73:74]
	v_cvt_i32_f64_e32 v102, v[75:76]
	s_mov_b32 s35, 0x3fe62e42
	v_fma_f64 v[98:99], v[75:76], s[38:39], v[98:99]
	s_mov_b32 s39, 0x3c7abc9e
	s_wait_alu 0xfffe
	s_delay_alu instid0(VALU_DEP_1)
	v_fma_f64 v[100:101], v[98:99], s[44:45], s[0:1]
	s_mov_b32 s0, 0x623fde64
	s_mov_b32 s1, 0x3ec71dee
	;; [unrolled: 1-line block ×4, first 2 shown]
	s_wait_alu 0xfffe
	s_delay_alu instid0(VALU_DEP_1) | instskip(SKIP_3) | instid1(VALU_DEP_1)
	v_fma_f64 v[100:101], v[98:99], v[100:101], s[0:1]
	s_mov_b32 s0, 0x7c89e6b0
	s_mov_b32 s1, 0x3efa0199
	s_wait_alu 0xfffe
	v_fma_f64 v[100:101], v[98:99], v[100:101], s[0:1]
	s_mov_b32 s0, 0x14761f6e
	s_mov_b32 s1, 0x3f2a01a0
	s_wait_alu 0xfffe
	s_delay_alu instid0(VALU_DEP_1) | instskip(SKIP_3) | instid1(VALU_DEP_1)
	v_fma_f64 v[100:101], v[98:99], v[100:101], s[0:1]
	s_mov_b32 s0, 0x1852b7b0
	s_mov_b32 s1, 0x3f56c16c
	s_wait_alu 0xfffe
	v_fma_f64 v[100:101], v[98:99], v[100:101], s[0:1]
	s_mov_b32 s0, 0x11122322
	s_mov_b32 s1, 0x3f811111
	;; [unrolled: 9-line block ×3, first 2 shown]
	s_wait_alu 0xfffe
	s_delay_alu instid0(VALU_DEP_1) | instskip(SKIP_3) | instid1(VALU_DEP_1)
	v_fma_f64 v[100:101], v[98:99], v[100:101], s[0:1]
	s_mov_b32 s0, 11
	s_mov_b32 s1, 0x3fe00000
	s_wait_alu 0xfffe
	v_fma_f64 v[100:101], v[98:99], v[100:101], s[0:1]
	v_cmp_nlt_f64_e64 s0, 0x40900000, v[73:74]
	v_cmp_ngt_f64_e64 s1, 0xc090cc00, v[73:74]
	s_delay_alu instid0(VALU_DEP_3) | instskip(NEXT) | instid1(VALU_DEP_1)
	v_fma_f64 v[100:101], v[98:99], v[100:101], 1.0
	v_fma_f64 v[75:76], v[98:99], v[100:101], 1.0
	s_delay_alu instid0(VALU_DEP_1) | instskip(SKIP_1) | instid1(VALU_DEP_1)
	v_ldexp_f64 v[75:76], v[75:76], v102
	s_wait_alu 0xf1ff
	v_cndmask_b32_e64 v76, 0x7ff00000, v76, s0
	s_and_b32 s0, s1, s0
	s_wait_alu 0xfffe
	s_delay_alu instid0(VALU_DEP_2) | instskip(SKIP_3) | instid1(VALU_DEP_1)
	v_cndmask_b32_e64 v73, 0, v75, s0
	s_mov_b32 s0, 0x55555555
	v_cndmask_b32_e64 v74, 0, v76, s1
	s_mov_b32 s1, 0x3fe55555
	v_add_f64_e32 v[75:76], 1.0, v[73:74]
	s_delay_alu instid0(VALU_DEP_1) | instskip(SKIP_3) | instid1(VALU_DEP_3)
	v_frexp_mant_f64_e32 v[98:99], v[75:76]
	v_frexp_exp_i32_f64_e32 v102, v[75:76]
	v_add_f64_e32 v[100:101], -1.0, v[75:76]
	s_wait_alu 0xfffe
	v_cmp_gt_f64_e64 s0, s[0:1], v[98:99]
	s_delay_alu instid0(VALU_DEP_2) | instskip(SKIP_2) | instid1(VALU_DEP_3)
	v_add_f64_e64 v[98:99], v[100:101], -v[75:76]
	v_add_f64_e64 v[100:101], v[73:74], -v[100:101]
	s_wait_alu 0xf1ff
	v_subrev_co_ci_u32_e64 v118, null, 0, v102, s0
	s_delay_alu instid0(VALU_DEP_3) | instskip(SKIP_1) | instid1(VALU_DEP_2)
	v_add_f64_e32 v[98:99], 1.0, v[98:99]
	s_mov_b32 s0, 0x55555780
	v_sub_nc_u32_e32 v104, 0, v118
	s_delay_alu instid0(VALU_DEP_1) | instskip(NEXT) | instid1(VALU_DEP_3)
	v_ldexp_f64 v[75:76], v[75:76], v104
	v_add_f64_e32 v[98:99], v[100:101], v[98:99]
	s_delay_alu instid0(VALU_DEP_2) | instskip(SKIP_1) | instid1(VALU_DEP_3)
	v_add_f64_e32 v[102:103], 1.0, v[75:76]
	v_add_f64_e32 v[108:109], -1.0, v[75:76]
	v_ldexp_f64 v[98:99], v[98:99], v104
	s_delay_alu instid0(VALU_DEP_3) | instskip(NEXT) | instid1(VALU_DEP_3)
	v_add_f64_e32 v[100:101], -1.0, v[102:103]
	v_add_f64_e32 v[110:111], 1.0, v[108:109]
	s_delay_alu instid0(VALU_DEP_2) | instskip(NEXT) | instid1(VALU_DEP_2)
	v_add_f64_e64 v[100:101], v[75:76], -v[100:101]
	v_add_f64_e64 v[75:76], v[75:76], -v[110:111]
	s_delay_alu instid0(VALU_DEP_2) | instskip(NEXT) | instid1(VALU_DEP_2)
	v_add_f64_e32 v[100:101], v[98:99], v[100:101]
	v_add_f64_e32 v[75:76], v[98:99], v[75:76]
	s_delay_alu instid0(VALU_DEP_2) | instskip(NEXT) | instid1(VALU_DEP_2)
	v_add_f64_e32 v[104:105], v[102:103], v[100:101]
	v_add_f64_e32 v[110:111], v[108:109], v[75:76]
	s_delay_alu instid0(VALU_DEP_2) | instskip(SKIP_1) | instid1(VALU_DEP_2)
	v_rcp_f64_e32 v[106:107], v[104:105]
	v_add_f64_e64 v[102:103], v[104:105], -v[102:103]
	v_add_f64_e64 v[108:109], v[110:111], -v[108:109]
	s_delay_alu instid0(VALU_DEP_2) | instskip(NEXT) | instid1(TRANS32_DEP_1)
	v_add_f64_e64 v[100:101], v[100:101], -v[102:103]
	v_fma_f64 v[112:113], -v[104:105], v[106:107], 1.0
	s_delay_alu instid0(VALU_DEP_3) | instskip(NEXT) | instid1(VALU_DEP_2)
	v_add_f64_e64 v[75:76], v[75:76], -v[108:109]
	v_fma_f64 v[106:107], v[112:113], v[106:107], v[106:107]
	s_delay_alu instid0(VALU_DEP_1) | instskip(NEXT) | instid1(VALU_DEP_1)
	v_fma_f64 v[98:99], -v[104:105], v[106:107], 1.0
	v_fma_f64 v[98:99], v[98:99], v[106:107], v[106:107]
	s_delay_alu instid0(VALU_DEP_1) | instskip(NEXT) | instid1(VALU_DEP_1)
	v_mul_f64_e32 v[106:107], v[110:111], v[98:99]
	v_mul_f64_e32 v[112:113], v[104:105], v[106:107]
	s_delay_alu instid0(VALU_DEP_1) | instskip(NEXT) | instid1(VALU_DEP_1)
	v_fma_f64 v[102:103], v[106:107], v[104:105], -v[112:113]
	v_fma_f64 v[102:103], v[106:107], v[100:101], v[102:103]
	s_delay_alu instid0(VALU_DEP_1) | instskip(NEXT) | instid1(VALU_DEP_1)
	v_add_f64_e32 v[114:115], v[112:113], v[102:103]
	v_add_f64_e64 v[116:117], v[110:111], -v[114:115]
	v_add_f64_e64 v[108:109], v[114:115], -v[112:113]
	s_delay_alu instid0(VALU_DEP_2) | instskip(NEXT) | instid1(VALU_DEP_2)
	v_add_f64_e64 v[110:111], v[110:111], -v[116:117]
	v_add_f64_e64 v[102:103], v[108:109], -v[102:103]
	s_delay_alu instid0(VALU_DEP_2) | instskip(NEXT) | instid1(VALU_DEP_1)
	v_add_f64_e64 v[110:111], v[110:111], -v[114:115]
	v_add_f64_e32 v[75:76], v[75:76], v[110:111]
	s_delay_alu instid0(VALU_DEP_1) | instskip(NEXT) | instid1(VALU_DEP_1)
	v_add_f64_e32 v[75:76], v[102:103], v[75:76]
	v_add_f64_e32 v[102:103], v[116:117], v[75:76]
	s_delay_alu instid0(VALU_DEP_1) | instskip(SKIP_1) | instid1(VALU_DEP_2)
	v_mul_f64_e32 v[108:109], v[98:99], v[102:103]
	v_add_f64_e64 v[114:115], v[116:117], -v[102:103]
	v_mul_f64_e32 v[110:111], v[104:105], v[108:109]
	s_delay_alu instid0(VALU_DEP_2) | instskip(NEXT) | instid1(VALU_DEP_2)
	v_add_f64_e32 v[75:76], v[75:76], v[114:115]
	v_fma_f64 v[104:105], v[108:109], v[104:105], -v[110:111]
	s_delay_alu instid0(VALU_DEP_1) | instskip(NEXT) | instid1(VALU_DEP_1)
	v_fma_f64 v[100:101], v[108:109], v[100:101], v[104:105]
	v_add_f64_e32 v[104:105], v[110:111], v[100:101]
	s_delay_alu instid0(VALU_DEP_1) | instskip(SKIP_1) | instid1(VALU_DEP_2)
	v_add_f64_e64 v[112:113], v[102:103], -v[104:105]
	v_add_f64_e64 v[110:111], v[104:105], -v[110:111]
	v_add_f64_e64 v[102:103], v[102:103], -v[112:113]
	s_delay_alu instid0(VALU_DEP_2) | instskip(NEXT) | instid1(VALU_DEP_2)
	v_add_f64_e64 v[100:101], v[110:111], -v[100:101]
	v_add_f64_e64 v[102:103], v[102:103], -v[104:105]
	s_delay_alu instid0(VALU_DEP_1) | instskip(SKIP_1) | instid1(VALU_DEP_2)
	v_add_f64_e32 v[75:76], v[75:76], v[102:103]
	v_add_f64_e32 v[102:103], v[106:107], v[108:109]
	;; [unrolled: 1-line block ×3, first 2 shown]
	s_delay_alu instid0(VALU_DEP_2) | instskip(NEXT) | instid1(VALU_DEP_2)
	v_add_f64_e64 v[100:101], v[102:103], -v[106:107]
	v_add_f64_e32 v[75:76], v[112:113], v[75:76]
	s_delay_alu instid0(VALU_DEP_2) | instskip(NEXT) | instid1(VALU_DEP_2)
	v_add_f64_e64 v[100:101], v[108:109], -v[100:101]
	v_mul_f64_e32 v[75:76], v[98:99], v[75:76]
	s_delay_alu instid0(VALU_DEP_1) | instskip(NEXT) | instid1(VALU_DEP_1)
	v_add_f64_e32 v[75:76], v[100:101], v[75:76]
	v_add_f64_e32 v[98:99], v[102:103], v[75:76]
	s_delay_alu instid0(VALU_DEP_1) | instskip(NEXT) | instid1(VALU_DEP_1)
	v_mul_f64_e32 v[100:101], v[98:99], v[98:99]
	v_fma_f64 v[104:105], v[100:101], s[46:47], s[44:45]
	s_mov_b32 s44, 0xd7f4df2e
	s_mov_b32 s45, 0x3fc7474d
	v_mul_f64_e32 v[106:107], v[98:99], v[100:101]
	s_wait_alu 0xfffe
	s_delay_alu instid0(VALU_DEP_2) | instskip(SKIP_3) | instid1(VALU_DEP_1)
	v_fma_f64 v[104:105], v[100:101], v[104:105], s[44:45]
	s_mov_b32 s44, 0x16291751
	s_mov_b32 s45, 0x3fcc71c0
	s_wait_alu 0xfffe
	v_fma_f64 v[104:105], v[100:101], v[104:105], s[44:45]
	s_mov_b32 s44, 0x9b27acf1
	s_mov_b32 s45, 0x3fd24924
	s_wait_alu 0xfffe
	s_delay_alu instid0(VALU_DEP_1) | instskip(SKIP_3) | instid1(VALU_DEP_1)
	v_fma_f64 v[104:105], v[100:101], v[104:105], s[44:45]
	s_mov_b32 s44, 0x998ef7b6
	s_mov_b32 s45, 0x3fd99999
	s_wait_alu 0xfffe
	v_fma_f64 v[104:105], v[100:101], v[104:105], s[44:45]
	s_delay_alu instid0(VALU_DEP_1)
	v_fma_f64 v[100:101], v[100:101], v[104:105], s[0:1]
	v_ldexp_f64 v[104:105], v[98:99], 1
	v_add_f64_e64 v[98:99], v[98:99], -v[102:103]
	v_cmp_nge_f64_e64 s0, -1.0, v[73:74]
	v_cmp_neq_f64_e64 s1, 0x7ff00000, v[73:74]
	v_mul_f64_e32 v[100:101], v[106:107], v[100:101]
	v_cvt_f64_i32_e32 v[106:107], v118
	v_add_f64_e64 v[75:76], v[75:76], -v[98:99]
	s_and_b32 s0, s0, s1
	s_delay_alu instid0(VALU_DEP_3) | instskip(NEXT) | instid1(VALU_DEP_3)
	v_add_f64_e32 v[102:103], v[104:105], v[100:101]
	v_mul_f64_e32 v[108:109], s[34:35], v[106:107]
	s_delay_alu instid0(VALU_DEP_3) | instskip(NEXT) | instid1(VALU_DEP_3)
	v_ldexp_f64 v[75:76], v[75:76], 1
	v_add_f64_e64 v[98:99], v[102:103], -v[104:105]
	s_delay_alu instid0(VALU_DEP_3) | instskip(SKIP_1) | instid1(VALU_DEP_3)
	v_fma_f64 v[104:105], v[106:107], s[34:35], -v[108:109]
	v_cmp_ngt_f64_e64 s34, -1.0, v[73:74]
	v_add_f64_e64 v[98:99], v[100:101], -v[98:99]
	s_delay_alu instid0(VALU_DEP_3) | instskip(NEXT) | instid1(VALU_DEP_2)
	v_fma_f64 v[100:101], v[106:107], s[38:39], v[104:105]
	v_add_f64_e32 v[75:76], v[75:76], v[98:99]
	s_delay_alu instid0(VALU_DEP_2) | instskip(NEXT) | instid1(VALU_DEP_2)
	v_add_f64_e32 v[98:99], v[108:109], v[100:101]
	v_add_f64_e32 v[104:105], v[102:103], v[75:76]
	s_delay_alu instid0(VALU_DEP_2) | instskip(NEXT) | instid1(VALU_DEP_2)
	v_add_f64_e64 v[108:109], v[98:99], -v[108:109]
	v_add_f64_e32 v[106:107], v[98:99], v[104:105]
	v_add_f64_e64 v[102:103], v[104:105], -v[102:103]
	s_delay_alu instid0(VALU_DEP_3) | instskip(NEXT) | instid1(VALU_DEP_3)
	v_add_f64_e64 v[100:101], v[100:101], -v[108:109]
	v_add_f64_e64 v[110:111], v[106:107], -v[98:99]
	s_delay_alu instid0(VALU_DEP_3) | instskip(NEXT) | instid1(VALU_DEP_2)
	v_add_f64_e64 v[75:76], v[75:76], -v[102:103]
	v_add_f64_e64 v[112:113], v[106:107], -v[110:111]
	;; [unrolled: 1-line block ×3, first 2 shown]
	s_delay_alu instid0(VALU_DEP_3) | instskip(NEXT) | instid1(VALU_DEP_3)
	v_add_f64_e32 v[104:105], v[100:101], v[75:76]
	v_add_f64_e64 v[98:99], v[98:99], -v[112:113]
	s_delay_alu instid0(VALU_DEP_1) | instskip(NEXT) | instid1(VALU_DEP_3)
	v_add_f64_e32 v[98:99], v[102:103], v[98:99]
	v_add_f64_e64 v[102:103], v[104:105], -v[100:101]
	s_delay_alu instid0(VALU_DEP_2) | instskip(NEXT) | instid1(VALU_DEP_2)
	v_add_f64_e32 v[98:99], v[104:105], v[98:99]
	v_add_f64_e64 v[104:105], v[104:105], -v[102:103]
	v_add_f64_e64 v[75:76], v[75:76], -v[102:103]
	s_delay_alu instid0(VALU_DEP_3) | instskip(NEXT) | instid1(VALU_DEP_3)
	v_add_f64_e32 v[108:109], v[106:107], v[98:99]
	v_add_f64_e64 v[100:101], v[100:101], -v[104:105]
	s_delay_alu instid0(VALU_DEP_2) | instskip(NEXT) | instid1(VALU_DEP_2)
	v_add_f64_e64 v[102:103], v[108:109], -v[106:107]
	v_add_f64_e32 v[75:76], v[75:76], v[100:101]
	s_delay_alu instid0(VALU_DEP_2) | instskip(NEXT) | instid1(VALU_DEP_1)
	v_add_f64_e64 v[98:99], v[98:99], -v[102:103]
	v_add_f64_e32 v[75:76], v[75:76], v[98:99]
	s_delay_alu instid0(VALU_DEP_1) | instskip(SKIP_1) | instid1(VALU_DEP_1)
	v_add_f64_e32 v[75:76], v[108:109], v[75:76]
	s_wait_alu 0xfffe
	v_cndmask_b32_e64 v75, 0, v75, s0
	v_cmp_neq_f64_e64 s0, -1.0, v[73:74]
	s_delay_alu instid0(VALU_DEP_3) | instskip(SKIP_1) | instid1(VALU_DEP_1)
	v_cndmask_b32_e64 v76, 0x7ff00000, v76, s1
	s_wait_alu 0xf1ff
	v_cndmask_b32_e64 v76, 0x7ff80000, v76, s34
	s_delay_alu instid0(VALU_DEP_1) | instskip(NEXT) | instid1(VALU_DEP_1)
	v_cndmask_b32_e64 v76, 0xfff00000, v76, s0
	v_add_f64_e32 v[73:74], v[71:72], v[75:76]
.LBB42_88:
	s_wait_alu 0xfffe
	s_or_b32 exec_lo, exec_lo, s42
	s_delay_alu instid0(VALU_DEP_1)
	v_dual_mov_b32 v75, v73 :: v_dual_mov_b32 v76, v74
	v_dual_mov_b32 v71, v73 :: v_dual_mov_b32 v72, v74
.LBB42_89:
	s_wait_alu 0xfffe
	s_or_b32 exec_lo, exec_lo, s41
	s_delay_alu instid0(VALU_DEP_2)
	v_mov_b32_dpp v73, v75 row_shr:2 row_mask:0xf bank_mask:0xf
	v_mov_b32_dpp v74, v76 row_shr:2 row_mask:0xf bank_mask:0xf
	s_mov_b32 s41, exec_lo
	v_cmpx_lt_u32_e32 1, v97
	s_cbranch_execz .LBB42_93
; %bb.90:
	s_delay_alu instid0(VALU_DEP_2) | instskip(SKIP_3) | instid1(VALU_DEP_3)
	v_max_num_f64_e32 v[75:76], v[73:74], v[73:74]
	v_max_num_f64_e32 v[98:99], v[71:72], v[71:72]
	v_cmp_u_f64_e64 s0, v[73:74], v[73:74]
	v_cmp_u_f64_e64 s1, v[71:72], v[71:72]
	v_min_num_f64_e32 v[100:101], v[75:76], v[98:99]
	v_max_num_f64_e32 v[75:76], v[75:76], v[98:99]
	s_wait_alu 0xf1ff
	s_delay_alu instid0(VALU_DEP_2) | instskip(NEXT) | instid1(VALU_DEP_3)
	v_cndmask_b32_e64 v98, v101, v74, s0
	v_cndmask_b32_e64 v99, v100, v73, s0
	s_delay_alu instid0(VALU_DEP_3) | instskip(NEXT) | instid1(VALU_DEP_4)
	v_cndmask_b32_e64 v100, v76, v74, s0
	v_cndmask_b32_e64 v101, v75, v73, s0
	s_delay_alu instid0(VALU_DEP_4) | instskip(NEXT) | instid1(VALU_DEP_4)
	v_cndmask_b32_e64 v76, v98, v72, s1
	v_cndmask_b32_e64 v75, v99, v71, s1
	s_delay_alu instid0(VALU_DEP_4) | instskip(NEXT) | instid1(VALU_DEP_4)
	v_cndmask_b32_e64 v72, v100, v72, s1
	v_cndmask_b32_e64 v71, v101, v71, s1
	s_delay_alu instid0(VALU_DEP_3) | instskip(NEXT) | instid1(VALU_DEP_2)
	v_cmp_class_f64_e64 s1, v[75:76], 0x1f8
	v_cmp_neq_f64_e64 s0, v[75:76], v[71:72]
	s_or_b32 s0, s0, s1
	s_wait_alu 0xfffe
	s_and_saveexec_b32 s42, s0
	s_cbranch_execz .LBB42_92
; %bb.91:
	v_add_f64_e64 v[73:74], v[75:76], -v[71:72]
	s_mov_b32 s0, 0x652b82fe
	s_mov_b32 s1, 0x3ff71547
	;; [unrolled: 1-line block ×10, first 2 shown]
	s_wait_alu 0xfffe
	s_delay_alu instid0(VALU_DEP_1) | instskip(SKIP_2) | instid1(VALU_DEP_1)
	v_mul_f64_e32 v[75:76], s[0:1], v[73:74]
	s_mov_b32 s0, 0xfca7ab0c
	s_mov_b32 s1, 0x3e928af3
	v_rndne_f64_e32 v[75:76], v[75:76]
	s_delay_alu instid0(VALU_DEP_1) | instskip(SKIP_2) | instid1(VALU_DEP_2)
	v_fma_f64 v[98:99], v[75:76], s[34:35], v[73:74]
	v_cvt_i32_f64_e32 v102, v[75:76]
	s_mov_b32 s35, 0x3fe62e42
	v_fma_f64 v[98:99], v[75:76], s[38:39], v[98:99]
	s_mov_b32 s39, 0x3c7abc9e
	s_wait_alu 0xfffe
	s_delay_alu instid0(VALU_DEP_1)
	v_fma_f64 v[100:101], v[98:99], s[44:45], s[0:1]
	s_mov_b32 s0, 0x623fde64
	s_mov_b32 s1, 0x3ec71dee
	;; [unrolled: 1-line block ×4, first 2 shown]
	s_wait_alu 0xfffe
	s_delay_alu instid0(VALU_DEP_1) | instskip(SKIP_3) | instid1(VALU_DEP_1)
	v_fma_f64 v[100:101], v[98:99], v[100:101], s[0:1]
	s_mov_b32 s0, 0x7c89e6b0
	s_mov_b32 s1, 0x3efa0199
	s_wait_alu 0xfffe
	v_fma_f64 v[100:101], v[98:99], v[100:101], s[0:1]
	s_mov_b32 s0, 0x14761f6e
	s_mov_b32 s1, 0x3f2a01a0
	s_wait_alu 0xfffe
	s_delay_alu instid0(VALU_DEP_1) | instskip(SKIP_3) | instid1(VALU_DEP_1)
	v_fma_f64 v[100:101], v[98:99], v[100:101], s[0:1]
	s_mov_b32 s0, 0x1852b7b0
	s_mov_b32 s1, 0x3f56c16c
	s_wait_alu 0xfffe
	v_fma_f64 v[100:101], v[98:99], v[100:101], s[0:1]
	s_mov_b32 s0, 0x11122322
	s_mov_b32 s1, 0x3f811111
	;; [unrolled: 9-line block ×3, first 2 shown]
	s_wait_alu 0xfffe
	s_delay_alu instid0(VALU_DEP_1) | instskip(SKIP_3) | instid1(VALU_DEP_1)
	v_fma_f64 v[100:101], v[98:99], v[100:101], s[0:1]
	s_mov_b32 s0, 11
	s_mov_b32 s1, 0x3fe00000
	s_wait_alu 0xfffe
	v_fma_f64 v[100:101], v[98:99], v[100:101], s[0:1]
	v_cmp_nlt_f64_e64 s0, 0x40900000, v[73:74]
	v_cmp_ngt_f64_e64 s1, 0xc090cc00, v[73:74]
	s_delay_alu instid0(VALU_DEP_3) | instskip(NEXT) | instid1(VALU_DEP_1)
	v_fma_f64 v[100:101], v[98:99], v[100:101], 1.0
	v_fma_f64 v[75:76], v[98:99], v[100:101], 1.0
	s_delay_alu instid0(VALU_DEP_1) | instskip(SKIP_1) | instid1(VALU_DEP_1)
	v_ldexp_f64 v[75:76], v[75:76], v102
	s_wait_alu 0xf1ff
	v_cndmask_b32_e64 v76, 0x7ff00000, v76, s0
	s_and_b32 s0, s1, s0
	s_wait_alu 0xfffe
	s_delay_alu instid0(VALU_DEP_2) | instskip(SKIP_3) | instid1(VALU_DEP_1)
	v_cndmask_b32_e64 v73, 0, v75, s0
	s_mov_b32 s0, 0x55555555
	v_cndmask_b32_e64 v74, 0, v76, s1
	s_mov_b32 s1, 0x3fe55555
	v_add_f64_e32 v[75:76], 1.0, v[73:74]
	s_delay_alu instid0(VALU_DEP_1) | instskip(SKIP_3) | instid1(VALU_DEP_3)
	v_frexp_mant_f64_e32 v[98:99], v[75:76]
	v_frexp_exp_i32_f64_e32 v102, v[75:76]
	v_add_f64_e32 v[100:101], -1.0, v[75:76]
	s_wait_alu 0xfffe
	v_cmp_gt_f64_e64 s0, s[0:1], v[98:99]
	s_delay_alu instid0(VALU_DEP_2) | instskip(SKIP_2) | instid1(VALU_DEP_3)
	v_add_f64_e64 v[98:99], v[100:101], -v[75:76]
	v_add_f64_e64 v[100:101], v[73:74], -v[100:101]
	s_wait_alu 0xf1ff
	v_subrev_co_ci_u32_e64 v118, null, 0, v102, s0
	s_delay_alu instid0(VALU_DEP_3) | instskip(SKIP_1) | instid1(VALU_DEP_2)
	v_add_f64_e32 v[98:99], 1.0, v[98:99]
	s_mov_b32 s0, 0x55555780
	v_sub_nc_u32_e32 v104, 0, v118
	s_delay_alu instid0(VALU_DEP_1) | instskip(NEXT) | instid1(VALU_DEP_3)
	v_ldexp_f64 v[75:76], v[75:76], v104
	v_add_f64_e32 v[98:99], v[100:101], v[98:99]
	s_delay_alu instid0(VALU_DEP_2) | instskip(SKIP_1) | instid1(VALU_DEP_3)
	v_add_f64_e32 v[102:103], 1.0, v[75:76]
	v_add_f64_e32 v[108:109], -1.0, v[75:76]
	v_ldexp_f64 v[98:99], v[98:99], v104
	s_delay_alu instid0(VALU_DEP_3) | instskip(NEXT) | instid1(VALU_DEP_3)
	v_add_f64_e32 v[100:101], -1.0, v[102:103]
	v_add_f64_e32 v[110:111], 1.0, v[108:109]
	s_delay_alu instid0(VALU_DEP_2) | instskip(NEXT) | instid1(VALU_DEP_2)
	v_add_f64_e64 v[100:101], v[75:76], -v[100:101]
	v_add_f64_e64 v[75:76], v[75:76], -v[110:111]
	s_delay_alu instid0(VALU_DEP_2) | instskip(NEXT) | instid1(VALU_DEP_2)
	v_add_f64_e32 v[100:101], v[98:99], v[100:101]
	v_add_f64_e32 v[75:76], v[98:99], v[75:76]
	s_delay_alu instid0(VALU_DEP_2) | instskip(NEXT) | instid1(VALU_DEP_2)
	v_add_f64_e32 v[104:105], v[102:103], v[100:101]
	v_add_f64_e32 v[110:111], v[108:109], v[75:76]
	s_delay_alu instid0(VALU_DEP_2) | instskip(SKIP_1) | instid1(VALU_DEP_2)
	v_rcp_f64_e32 v[106:107], v[104:105]
	v_add_f64_e64 v[102:103], v[104:105], -v[102:103]
	v_add_f64_e64 v[108:109], v[110:111], -v[108:109]
	s_delay_alu instid0(VALU_DEP_2) | instskip(NEXT) | instid1(TRANS32_DEP_1)
	v_add_f64_e64 v[100:101], v[100:101], -v[102:103]
	v_fma_f64 v[112:113], -v[104:105], v[106:107], 1.0
	s_delay_alu instid0(VALU_DEP_3) | instskip(NEXT) | instid1(VALU_DEP_2)
	v_add_f64_e64 v[75:76], v[75:76], -v[108:109]
	v_fma_f64 v[106:107], v[112:113], v[106:107], v[106:107]
	s_delay_alu instid0(VALU_DEP_1) | instskip(NEXT) | instid1(VALU_DEP_1)
	v_fma_f64 v[98:99], -v[104:105], v[106:107], 1.0
	v_fma_f64 v[98:99], v[98:99], v[106:107], v[106:107]
	s_delay_alu instid0(VALU_DEP_1) | instskip(NEXT) | instid1(VALU_DEP_1)
	v_mul_f64_e32 v[106:107], v[110:111], v[98:99]
	v_mul_f64_e32 v[112:113], v[104:105], v[106:107]
	s_delay_alu instid0(VALU_DEP_1) | instskip(NEXT) | instid1(VALU_DEP_1)
	v_fma_f64 v[102:103], v[106:107], v[104:105], -v[112:113]
	v_fma_f64 v[102:103], v[106:107], v[100:101], v[102:103]
	s_delay_alu instid0(VALU_DEP_1) | instskip(NEXT) | instid1(VALU_DEP_1)
	v_add_f64_e32 v[114:115], v[112:113], v[102:103]
	v_add_f64_e64 v[116:117], v[110:111], -v[114:115]
	v_add_f64_e64 v[108:109], v[114:115], -v[112:113]
	s_delay_alu instid0(VALU_DEP_2) | instskip(NEXT) | instid1(VALU_DEP_2)
	v_add_f64_e64 v[110:111], v[110:111], -v[116:117]
	v_add_f64_e64 v[102:103], v[108:109], -v[102:103]
	s_delay_alu instid0(VALU_DEP_2) | instskip(NEXT) | instid1(VALU_DEP_1)
	v_add_f64_e64 v[110:111], v[110:111], -v[114:115]
	v_add_f64_e32 v[75:76], v[75:76], v[110:111]
	s_delay_alu instid0(VALU_DEP_1) | instskip(NEXT) | instid1(VALU_DEP_1)
	v_add_f64_e32 v[75:76], v[102:103], v[75:76]
	v_add_f64_e32 v[102:103], v[116:117], v[75:76]
	s_delay_alu instid0(VALU_DEP_1) | instskip(SKIP_1) | instid1(VALU_DEP_2)
	v_mul_f64_e32 v[108:109], v[98:99], v[102:103]
	v_add_f64_e64 v[114:115], v[116:117], -v[102:103]
	v_mul_f64_e32 v[110:111], v[104:105], v[108:109]
	s_delay_alu instid0(VALU_DEP_2) | instskip(NEXT) | instid1(VALU_DEP_2)
	v_add_f64_e32 v[75:76], v[75:76], v[114:115]
	v_fma_f64 v[104:105], v[108:109], v[104:105], -v[110:111]
	s_delay_alu instid0(VALU_DEP_1) | instskip(NEXT) | instid1(VALU_DEP_1)
	v_fma_f64 v[100:101], v[108:109], v[100:101], v[104:105]
	v_add_f64_e32 v[104:105], v[110:111], v[100:101]
	s_delay_alu instid0(VALU_DEP_1) | instskip(SKIP_1) | instid1(VALU_DEP_2)
	v_add_f64_e64 v[112:113], v[102:103], -v[104:105]
	v_add_f64_e64 v[110:111], v[104:105], -v[110:111]
	;; [unrolled: 1-line block ×3, first 2 shown]
	s_delay_alu instid0(VALU_DEP_2) | instskip(NEXT) | instid1(VALU_DEP_2)
	v_add_f64_e64 v[100:101], v[110:111], -v[100:101]
	v_add_f64_e64 v[102:103], v[102:103], -v[104:105]
	s_delay_alu instid0(VALU_DEP_1) | instskip(SKIP_1) | instid1(VALU_DEP_2)
	v_add_f64_e32 v[75:76], v[75:76], v[102:103]
	v_add_f64_e32 v[102:103], v[106:107], v[108:109]
	;; [unrolled: 1-line block ×3, first 2 shown]
	s_delay_alu instid0(VALU_DEP_2) | instskip(NEXT) | instid1(VALU_DEP_2)
	v_add_f64_e64 v[100:101], v[102:103], -v[106:107]
	v_add_f64_e32 v[75:76], v[112:113], v[75:76]
	s_delay_alu instid0(VALU_DEP_2) | instskip(NEXT) | instid1(VALU_DEP_2)
	v_add_f64_e64 v[100:101], v[108:109], -v[100:101]
	v_mul_f64_e32 v[75:76], v[98:99], v[75:76]
	s_delay_alu instid0(VALU_DEP_1) | instskip(NEXT) | instid1(VALU_DEP_1)
	v_add_f64_e32 v[75:76], v[100:101], v[75:76]
	v_add_f64_e32 v[98:99], v[102:103], v[75:76]
	s_delay_alu instid0(VALU_DEP_1) | instskip(NEXT) | instid1(VALU_DEP_1)
	v_mul_f64_e32 v[100:101], v[98:99], v[98:99]
	v_fma_f64 v[104:105], v[100:101], s[46:47], s[44:45]
	s_mov_b32 s44, 0xd7f4df2e
	s_mov_b32 s45, 0x3fc7474d
	v_mul_f64_e32 v[106:107], v[98:99], v[100:101]
	s_wait_alu 0xfffe
	s_delay_alu instid0(VALU_DEP_2) | instskip(SKIP_3) | instid1(VALU_DEP_1)
	v_fma_f64 v[104:105], v[100:101], v[104:105], s[44:45]
	s_mov_b32 s44, 0x16291751
	s_mov_b32 s45, 0x3fcc71c0
	s_wait_alu 0xfffe
	v_fma_f64 v[104:105], v[100:101], v[104:105], s[44:45]
	s_mov_b32 s44, 0x9b27acf1
	s_mov_b32 s45, 0x3fd24924
	s_wait_alu 0xfffe
	s_delay_alu instid0(VALU_DEP_1) | instskip(SKIP_3) | instid1(VALU_DEP_1)
	v_fma_f64 v[104:105], v[100:101], v[104:105], s[44:45]
	s_mov_b32 s44, 0x998ef7b6
	s_mov_b32 s45, 0x3fd99999
	s_wait_alu 0xfffe
	v_fma_f64 v[104:105], v[100:101], v[104:105], s[44:45]
	s_delay_alu instid0(VALU_DEP_1)
	v_fma_f64 v[100:101], v[100:101], v[104:105], s[0:1]
	v_ldexp_f64 v[104:105], v[98:99], 1
	v_add_f64_e64 v[98:99], v[98:99], -v[102:103]
	v_cmp_nge_f64_e64 s0, -1.0, v[73:74]
	v_cmp_neq_f64_e64 s1, 0x7ff00000, v[73:74]
	v_mul_f64_e32 v[100:101], v[106:107], v[100:101]
	v_cvt_f64_i32_e32 v[106:107], v118
	v_add_f64_e64 v[75:76], v[75:76], -v[98:99]
	s_and_b32 s0, s0, s1
	s_delay_alu instid0(VALU_DEP_3) | instskip(NEXT) | instid1(VALU_DEP_3)
	v_add_f64_e32 v[102:103], v[104:105], v[100:101]
	v_mul_f64_e32 v[108:109], s[34:35], v[106:107]
	s_delay_alu instid0(VALU_DEP_3) | instskip(NEXT) | instid1(VALU_DEP_3)
	v_ldexp_f64 v[75:76], v[75:76], 1
	v_add_f64_e64 v[98:99], v[102:103], -v[104:105]
	s_delay_alu instid0(VALU_DEP_3) | instskip(SKIP_1) | instid1(VALU_DEP_3)
	v_fma_f64 v[104:105], v[106:107], s[34:35], -v[108:109]
	v_cmp_ngt_f64_e64 s34, -1.0, v[73:74]
	v_add_f64_e64 v[98:99], v[100:101], -v[98:99]
	s_delay_alu instid0(VALU_DEP_3) | instskip(NEXT) | instid1(VALU_DEP_2)
	v_fma_f64 v[100:101], v[106:107], s[38:39], v[104:105]
	v_add_f64_e32 v[75:76], v[75:76], v[98:99]
	s_delay_alu instid0(VALU_DEP_2) | instskip(NEXT) | instid1(VALU_DEP_2)
	v_add_f64_e32 v[98:99], v[108:109], v[100:101]
	v_add_f64_e32 v[104:105], v[102:103], v[75:76]
	s_delay_alu instid0(VALU_DEP_2) | instskip(NEXT) | instid1(VALU_DEP_2)
	v_add_f64_e64 v[108:109], v[98:99], -v[108:109]
	v_add_f64_e32 v[106:107], v[98:99], v[104:105]
	v_add_f64_e64 v[102:103], v[104:105], -v[102:103]
	s_delay_alu instid0(VALU_DEP_3) | instskip(NEXT) | instid1(VALU_DEP_3)
	v_add_f64_e64 v[100:101], v[100:101], -v[108:109]
	v_add_f64_e64 v[110:111], v[106:107], -v[98:99]
	s_delay_alu instid0(VALU_DEP_3) | instskip(NEXT) | instid1(VALU_DEP_2)
	v_add_f64_e64 v[75:76], v[75:76], -v[102:103]
	v_add_f64_e64 v[112:113], v[106:107], -v[110:111]
	;; [unrolled: 1-line block ×3, first 2 shown]
	s_delay_alu instid0(VALU_DEP_3) | instskip(NEXT) | instid1(VALU_DEP_3)
	v_add_f64_e32 v[104:105], v[100:101], v[75:76]
	v_add_f64_e64 v[98:99], v[98:99], -v[112:113]
	s_delay_alu instid0(VALU_DEP_1) | instskip(NEXT) | instid1(VALU_DEP_3)
	v_add_f64_e32 v[98:99], v[102:103], v[98:99]
	v_add_f64_e64 v[102:103], v[104:105], -v[100:101]
	s_delay_alu instid0(VALU_DEP_2) | instskip(NEXT) | instid1(VALU_DEP_2)
	v_add_f64_e32 v[98:99], v[104:105], v[98:99]
	v_add_f64_e64 v[104:105], v[104:105], -v[102:103]
	v_add_f64_e64 v[75:76], v[75:76], -v[102:103]
	s_delay_alu instid0(VALU_DEP_3) | instskip(NEXT) | instid1(VALU_DEP_3)
	v_add_f64_e32 v[108:109], v[106:107], v[98:99]
	v_add_f64_e64 v[100:101], v[100:101], -v[104:105]
	s_delay_alu instid0(VALU_DEP_2) | instskip(NEXT) | instid1(VALU_DEP_2)
	v_add_f64_e64 v[102:103], v[108:109], -v[106:107]
	v_add_f64_e32 v[75:76], v[75:76], v[100:101]
	s_delay_alu instid0(VALU_DEP_2) | instskip(NEXT) | instid1(VALU_DEP_1)
	v_add_f64_e64 v[98:99], v[98:99], -v[102:103]
	v_add_f64_e32 v[75:76], v[75:76], v[98:99]
	s_delay_alu instid0(VALU_DEP_1) | instskip(SKIP_1) | instid1(VALU_DEP_1)
	v_add_f64_e32 v[75:76], v[108:109], v[75:76]
	s_wait_alu 0xfffe
	v_cndmask_b32_e64 v75, 0, v75, s0
	v_cmp_neq_f64_e64 s0, -1.0, v[73:74]
	s_delay_alu instid0(VALU_DEP_3) | instskip(SKIP_1) | instid1(VALU_DEP_1)
	v_cndmask_b32_e64 v76, 0x7ff00000, v76, s1
	s_wait_alu 0xf1ff
	v_cndmask_b32_e64 v76, 0x7ff80000, v76, s34
	s_delay_alu instid0(VALU_DEP_1) | instskip(NEXT) | instid1(VALU_DEP_1)
	v_cndmask_b32_e64 v76, 0xfff00000, v76, s0
	v_add_f64_e32 v[73:74], v[71:72], v[75:76]
.LBB42_92:
	s_wait_alu 0xfffe
	s_or_b32 exec_lo, exec_lo, s42
	s_delay_alu instid0(VALU_DEP_1)
	v_dual_mov_b32 v75, v73 :: v_dual_mov_b32 v76, v74
	v_dual_mov_b32 v71, v73 :: v_dual_mov_b32 v72, v74
.LBB42_93:
	s_wait_alu 0xfffe
	s_or_b32 exec_lo, exec_lo, s41
	s_delay_alu instid0(VALU_DEP_2)
	v_mov_b32_dpp v73, v75 row_shr:4 row_mask:0xf bank_mask:0xf
	v_mov_b32_dpp v74, v76 row_shr:4 row_mask:0xf bank_mask:0xf
	s_mov_b32 s41, exec_lo
	v_cmpx_lt_u32_e32 3, v97
	s_cbranch_execz .LBB42_97
; %bb.94:
	s_delay_alu instid0(VALU_DEP_2) | instskip(SKIP_3) | instid1(VALU_DEP_3)
	v_max_num_f64_e32 v[75:76], v[73:74], v[73:74]
	v_max_num_f64_e32 v[97:98], v[71:72], v[71:72]
	v_cmp_u_f64_e64 s0, v[73:74], v[73:74]
	v_cmp_u_f64_e64 s1, v[71:72], v[71:72]
	v_min_num_f64_e32 v[99:100], v[75:76], v[97:98]
	v_max_num_f64_e32 v[75:76], v[75:76], v[97:98]
	s_wait_alu 0xf1ff
	s_delay_alu instid0(VALU_DEP_2) | instskip(NEXT) | instid1(VALU_DEP_3)
	v_cndmask_b32_e64 v97, v100, v74, s0
	v_cndmask_b32_e64 v98, v99, v73, s0
	s_delay_alu instid0(VALU_DEP_3) | instskip(NEXT) | instid1(VALU_DEP_4)
	v_cndmask_b32_e64 v99, v76, v74, s0
	v_cndmask_b32_e64 v100, v75, v73, s0
	s_delay_alu instid0(VALU_DEP_4) | instskip(NEXT) | instid1(VALU_DEP_4)
	v_cndmask_b32_e64 v76, v97, v72, s1
	v_cndmask_b32_e64 v75, v98, v71, s1
	s_delay_alu instid0(VALU_DEP_4) | instskip(NEXT) | instid1(VALU_DEP_4)
	v_cndmask_b32_e64 v72, v99, v72, s1
	v_cndmask_b32_e64 v71, v100, v71, s1
	s_delay_alu instid0(VALU_DEP_3) | instskip(NEXT) | instid1(VALU_DEP_2)
	v_cmp_class_f64_e64 s1, v[75:76], 0x1f8
	v_cmp_neq_f64_e64 s0, v[75:76], v[71:72]
	s_or_b32 s0, s0, s1
	s_wait_alu 0xfffe
	s_and_saveexec_b32 s42, s0
	s_cbranch_execz .LBB42_96
; %bb.95:
	v_add_f64_e64 v[73:74], v[75:76], -v[71:72]
	s_mov_b32 s0, 0x652b82fe
	s_mov_b32 s1, 0x3ff71547
	;; [unrolled: 1-line block ×10, first 2 shown]
	s_wait_alu 0xfffe
	s_delay_alu instid0(VALU_DEP_1) | instskip(SKIP_2) | instid1(VALU_DEP_1)
	v_mul_f64_e32 v[75:76], s[0:1], v[73:74]
	s_mov_b32 s0, 0xfca7ab0c
	s_mov_b32 s1, 0x3e928af3
	v_rndne_f64_e32 v[75:76], v[75:76]
	s_delay_alu instid0(VALU_DEP_1) | instskip(SKIP_2) | instid1(VALU_DEP_2)
	v_fma_f64 v[97:98], v[75:76], s[34:35], v[73:74]
	v_cvt_i32_f64_e32 v101, v[75:76]
	s_mov_b32 s35, 0x3fe62e42
	v_fma_f64 v[97:98], v[75:76], s[38:39], v[97:98]
	s_mov_b32 s39, 0x3c7abc9e
	s_wait_alu 0xfffe
	s_delay_alu instid0(VALU_DEP_1)
	v_fma_f64 v[99:100], v[97:98], s[44:45], s[0:1]
	s_mov_b32 s0, 0x623fde64
	s_mov_b32 s1, 0x3ec71dee
	;; [unrolled: 1-line block ×4, first 2 shown]
	s_wait_alu 0xfffe
	s_delay_alu instid0(VALU_DEP_1) | instskip(SKIP_3) | instid1(VALU_DEP_1)
	v_fma_f64 v[99:100], v[97:98], v[99:100], s[0:1]
	s_mov_b32 s0, 0x7c89e6b0
	s_mov_b32 s1, 0x3efa0199
	s_wait_alu 0xfffe
	v_fma_f64 v[99:100], v[97:98], v[99:100], s[0:1]
	s_mov_b32 s0, 0x14761f6e
	s_mov_b32 s1, 0x3f2a01a0
	s_wait_alu 0xfffe
	s_delay_alu instid0(VALU_DEP_1) | instskip(SKIP_3) | instid1(VALU_DEP_1)
	v_fma_f64 v[99:100], v[97:98], v[99:100], s[0:1]
	s_mov_b32 s0, 0x1852b7b0
	s_mov_b32 s1, 0x3f56c16c
	s_wait_alu 0xfffe
	v_fma_f64 v[99:100], v[97:98], v[99:100], s[0:1]
	s_mov_b32 s0, 0x11122322
	s_mov_b32 s1, 0x3f811111
	;; [unrolled: 9-line block ×3, first 2 shown]
	s_wait_alu 0xfffe
	s_delay_alu instid0(VALU_DEP_1) | instskip(SKIP_3) | instid1(VALU_DEP_1)
	v_fma_f64 v[99:100], v[97:98], v[99:100], s[0:1]
	s_mov_b32 s0, 11
	s_mov_b32 s1, 0x3fe00000
	s_wait_alu 0xfffe
	v_fma_f64 v[99:100], v[97:98], v[99:100], s[0:1]
	v_cmp_nlt_f64_e64 s0, 0x40900000, v[73:74]
	v_cmp_ngt_f64_e64 s1, 0xc090cc00, v[73:74]
	s_delay_alu instid0(VALU_DEP_3) | instskip(NEXT) | instid1(VALU_DEP_1)
	v_fma_f64 v[99:100], v[97:98], v[99:100], 1.0
	v_fma_f64 v[75:76], v[97:98], v[99:100], 1.0
	s_delay_alu instid0(VALU_DEP_1) | instskip(SKIP_1) | instid1(VALU_DEP_1)
	v_ldexp_f64 v[75:76], v[75:76], v101
	s_wait_alu 0xf1ff
	v_cndmask_b32_e64 v76, 0x7ff00000, v76, s0
	s_and_b32 s0, s1, s0
	s_wait_alu 0xfffe
	s_delay_alu instid0(VALU_DEP_2) | instskip(SKIP_3) | instid1(VALU_DEP_1)
	v_cndmask_b32_e64 v73, 0, v75, s0
	s_mov_b32 s0, 0x55555555
	v_cndmask_b32_e64 v74, 0, v76, s1
	s_mov_b32 s1, 0x3fe55555
	v_add_f64_e32 v[75:76], 1.0, v[73:74]
	s_delay_alu instid0(VALU_DEP_1) | instskip(SKIP_3) | instid1(VALU_DEP_3)
	v_frexp_mant_f64_e32 v[97:98], v[75:76]
	v_frexp_exp_i32_f64_e32 v101, v[75:76]
	v_add_f64_e32 v[99:100], -1.0, v[75:76]
	s_wait_alu 0xfffe
	v_cmp_gt_f64_e64 s0, s[0:1], v[97:98]
	s_delay_alu instid0(VALU_DEP_2) | instskip(SKIP_2) | instid1(VALU_DEP_3)
	v_add_f64_e64 v[97:98], v[99:100], -v[75:76]
	v_add_f64_e64 v[99:100], v[73:74], -v[99:100]
	s_wait_alu 0xf1ff
	v_subrev_co_ci_u32_e64 v117, null, 0, v101, s0
	s_delay_alu instid0(VALU_DEP_3) | instskip(SKIP_1) | instid1(VALU_DEP_2)
	v_add_f64_e32 v[97:98], 1.0, v[97:98]
	s_mov_b32 s0, 0x55555780
	v_sub_nc_u32_e32 v103, 0, v117
	s_delay_alu instid0(VALU_DEP_1) | instskip(NEXT) | instid1(VALU_DEP_3)
	v_ldexp_f64 v[75:76], v[75:76], v103
	v_add_f64_e32 v[97:98], v[99:100], v[97:98]
	s_delay_alu instid0(VALU_DEP_2) | instskip(SKIP_1) | instid1(VALU_DEP_3)
	v_add_f64_e32 v[101:102], 1.0, v[75:76]
	v_add_f64_e32 v[107:108], -1.0, v[75:76]
	v_ldexp_f64 v[97:98], v[97:98], v103
	s_delay_alu instid0(VALU_DEP_3) | instskip(NEXT) | instid1(VALU_DEP_3)
	v_add_f64_e32 v[99:100], -1.0, v[101:102]
	v_add_f64_e32 v[109:110], 1.0, v[107:108]
	s_delay_alu instid0(VALU_DEP_2) | instskip(NEXT) | instid1(VALU_DEP_2)
	v_add_f64_e64 v[99:100], v[75:76], -v[99:100]
	v_add_f64_e64 v[75:76], v[75:76], -v[109:110]
	s_delay_alu instid0(VALU_DEP_2) | instskip(NEXT) | instid1(VALU_DEP_2)
	v_add_f64_e32 v[99:100], v[97:98], v[99:100]
	v_add_f64_e32 v[75:76], v[97:98], v[75:76]
	s_delay_alu instid0(VALU_DEP_2) | instskip(NEXT) | instid1(VALU_DEP_2)
	v_add_f64_e32 v[103:104], v[101:102], v[99:100]
	v_add_f64_e32 v[109:110], v[107:108], v[75:76]
	s_delay_alu instid0(VALU_DEP_2) | instskip(SKIP_1) | instid1(VALU_DEP_2)
	v_rcp_f64_e32 v[105:106], v[103:104]
	v_add_f64_e64 v[101:102], v[103:104], -v[101:102]
	v_add_f64_e64 v[107:108], v[109:110], -v[107:108]
	s_delay_alu instid0(VALU_DEP_2) | instskip(NEXT) | instid1(TRANS32_DEP_1)
	v_add_f64_e64 v[99:100], v[99:100], -v[101:102]
	v_fma_f64 v[111:112], -v[103:104], v[105:106], 1.0
	s_delay_alu instid0(VALU_DEP_3) | instskip(NEXT) | instid1(VALU_DEP_2)
	v_add_f64_e64 v[75:76], v[75:76], -v[107:108]
	v_fma_f64 v[105:106], v[111:112], v[105:106], v[105:106]
	s_delay_alu instid0(VALU_DEP_1) | instskip(NEXT) | instid1(VALU_DEP_1)
	v_fma_f64 v[97:98], -v[103:104], v[105:106], 1.0
	v_fma_f64 v[97:98], v[97:98], v[105:106], v[105:106]
	s_delay_alu instid0(VALU_DEP_1) | instskip(NEXT) | instid1(VALU_DEP_1)
	v_mul_f64_e32 v[105:106], v[109:110], v[97:98]
	v_mul_f64_e32 v[111:112], v[103:104], v[105:106]
	s_delay_alu instid0(VALU_DEP_1) | instskip(NEXT) | instid1(VALU_DEP_1)
	v_fma_f64 v[101:102], v[105:106], v[103:104], -v[111:112]
	v_fma_f64 v[101:102], v[105:106], v[99:100], v[101:102]
	s_delay_alu instid0(VALU_DEP_1) | instskip(NEXT) | instid1(VALU_DEP_1)
	v_add_f64_e32 v[113:114], v[111:112], v[101:102]
	v_add_f64_e64 v[115:116], v[109:110], -v[113:114]
	v_add_f64_e64 v[107:108], v[113:114], -v[111:112]
	s_delay_alu instid0(VALU_DEP_2) | instskip(NEXT) | instid1(VALU_DEP_2)
	v_add_f64_e64 v[109:110], v[109:110], -v[115:116]
	v_add_f64_e64 v[101:102], v[107:108], -v[101:102]
	s_delay_alu instid0(VALU_DEP_2) | instskip(NEXT) | instid1(VALU_DEP_1)
	v_add_f64_e64 v[109:110], v[109:110], -v[113:114]
	v_add_f64_e32 v[75:76], v[75:76], v[109:110]
	s_delay_alu instid0(VALU_DEP_1) | instskip(NEXT) | instid1(VALU_DEP_1)
	v_add_f64_e32 v[75:76], v[101:102], v[75:76]
	v_add_f64_e32 v[101:102], v[115:116], v[75:76]
	s_delay_alu instid0(VALU_DEP_1) | instskip(SKIP_1) | instid1(VALU_DEP_2)
	v_mul_f64_e32 v[107:108], v[97:98], v[101:102]
	v_add_f64_e64 v[113:114], v[115:116], -v[101:102]
	v_mul_f64_e32 v[109:110], v[103:104], v[107:108]
	s_delay_alu instid0(VALU_DEP_2) | instskip(NEXT) | instid1(VALU_DEP_2)
	v_add_f64_e32 v[75:76], v[75:76], v[113:114]
	v_fma_f64 v[103:104], v[107:108], v[103:104], -v[109:110]
	s_delay_alu instid0(VALU_DEP_1) | instskip(NEXT) | instid1(VALU_DEP_1)
	v_fma_f64 v[99:100], v[107:108], v[99:100], v[103:104]
	v_add_f64_e32 v[103:104], v[109:110], v[99:100]
	s_delay_alu instid0(VALU_DEP_1) | instskip(SKIP_1) | instid1(VALU_DEP_2)
	v_add_f64_e64 v[111:112], v[101:102], -v[103:104]
	v_add_f64_e64 v[109:110], v[103:104], -v[109:110]
	v_add_f64_e64 v[101:102], v[101:102], -v[111:112]
	s_delay_alu instid0(VALU_DEP_2) | instskip(NEXT) | instid1(VALU_DEP_2)
	v_add_f64_e64 v[99:100], v[109:110], -v[99:100]
	v_add_f64_e64 v[101:102], v[101:102], -v[103:104]
	s_delay_alu instid0(VALU_DEP_1) | instskip(SKIP_1) | instid1(VALU_DEP_2)
	v_add_f64_e32 v[75:76], v[75:76], v[101:102]
	v_add_f64_e32 v[101:102], v[105:106], v[107:108]
	;; [unrolled: 1-line block ×3, first 2 shown]
	s_delay_alu instid0(VALU_DEP_2) | instskip(NEXT) | instid1(VALU_DEP_2)
	v_add_f64_e64 v[99:100], v[101:102], -v[105:106]
	v_add_f64_e32 v[75:76], v[111:112], v[75:76]
	s_delay_alu instid0(VALU_DEP_2) | instskip(NEXT) | instid1(VALU_DEP_2)
	v_add_f64_e64 v[99:100], v[107:108], -v[99:100]
	v_mul_f64_e32 v[75:76], v[97:98], v[75:76]
	s_delay_alu instid0(VALU_DEP_1) | instskip(NEXT) | instid1(VALU_DEP_1)
	v_add_f64_e32 v[75:76], v[99:100], v[75:76]
	v_add_f64_e32 v[97:98], v[101:102], v[75:76]
	s_delay_alu instid0(VALU_DEP_1) | instskip(NEXT) | instid1(VALU_DEP_1)
	v_mul_f64_e32 v[99:100], v[97:98], v[97:98]
	v_fma_f64 v[103:104], v[99:100], s[46:47], s[44:45]
	s_mov_b32 s44, 0xd7f4df2e
	s_mov_b32 s45, 0x3fc7474d
	v_mul_f64_e32 v[105:106], v[97:98], v[99:100]
	s_wait_alu 0xfffe
	s_delay_alu instid0(VALU_DEP_2) | instskip(SKIP_3) | instid1(VALU_DEP_1)
	v_fma_f64 v[103:104], v[99:100], v[103:104], s[44:45]
	s_mov_b32 s44, 0x16291751
	s_mov_b32 s45, 0x3fcc71c0
	s_wait_alu 0xfffe
	v_fma_f64 v[103:104], v[99:100], v[103:104], s[44:45]
	s_mov_b32 s44, 0x9b27acf1
	s_mov_b32 s45, 0x3fd24924
	s_wait_alu 0xfffe
	s_delay_alu instid0(VALU_DEP_1) | instskip(SKIP_3) | instid1(VALU_DEP_1)
	v_fma_f64 v[103:104], v[99:100], v[103:104], s[44:45]
	s_mov_b32 s44, 0x998ef7b6
	s_mov_b32 s45, 0x3fd99999
	s_wait_alu 0xfffe
	v_fma_f64 v[103:104], v[99:100], v[103:104], s[44:45]
	s_delay_alu instid0(VALU_DEP_1)
	v_fma_f64 v[99:100], v[99:100], v[103:104], s[0:1]
	v_ldexp_f64 v[103:104], v[97:98], 1
	v_add_f64_e64 v[97:98], v[97:98], -v[101:102]
	v_cmp_nge_f64_e64 s0, -1.0, v[73:74]
	v_cmp_neq_f64_e64 s1, 0x7ff00000, v[73:74]
	v_mul_f64_e32 v[99:100], v[105:106], v[99:100]
	v_cvt_f64_i32_e32 v[105:106], v117
	v_add_f64_e64 v[75:76], v[75:76], -v[97:98]
	s_and_b32 s0, s0, s1
	s_delay_alu instid0(VALU_DEP_3) | instskip(NEXT) | instid1(VALU_DEP_3)
	v_add_f64_e32 v[101:102], v[103:104], v[99:100]
	v_mul_f64_e32 v[107:108], s[34:35], v[105:106]
	s_delay_alu instid0(VALU_DEP_3) | instskip(NEXT) | instid1(VALU_DEP_3)
	v_ldexp_f64 v[75:76], v[75:76], 1
	v_add_f64_e64 v[97:98], v[101:102], -v[103:104]
	s_delay_alu instid0(VALU_DEP_3) | instskip(SKIP_1) | instid1(VALU_DEP_3)
	v_fma_f64 v[103:104], v[105:106], s[34:35], -v[107:108]
	v_cmp_ngt_f64_e64 s34, -1.0, v[73:74]
	v_add_f64_e64 v[97:98], v[99:100], -v[97:98]
	s_delay_alu instid0(VALU_DEP_3) | instskip(NEXT) | instid1(VALU_DEP_2)
	v_fma_f64 v[99:100], v[105:106], s[38:39], v[103:104]
	v_add_f64_e32 v[75:76], v[75:76], v[97:98]
	s_delay_alu instid0(VALU_DEP_2) | instskip(NEXT) | instid1(VALU_DEP_2)
	v_add_f64_e32 v[97:98], v[107:108], v[99:100]
	v_add_f64_e32 v[103:104], v[101:102], v[75:76]
	s_delay_alu instid0(VALU_DEP_2) | instskip(NEXT) | instid1(VALU_DEP_2)
	v_add_f64_e64 v[107:108], v[97:98], -v[107:108]
	v_add_f64_e32 v[105:106], v[97:98], v[103:104]
	v_add_f64_e64 v[101:102], v[103:104], -v[101:102]
	s_delay_alu instid0(VALU_DEP_3) | instskip(NEXT) | instid1(VALU_DEP_3)
	v_add_f64_e64 v[99:100], v[99:100], -v[107:108]
	v_add_f64_e64 v[109:110], v[105:106], -v[97:98]
	s_delay_alu instid0(VALU_DEP_3) | instskip(NEXT) | instid1(VALU_DEP_2)
	v_add_f64_e64 v[75:76], v[75:76], -v[101:102]
	v_add_f64_e64 v[111:112], v[105:106], -v[109:110]
	;; [unrolled: 1-line block ×3, first 2 shown]
	s_delay_alu instid0(VALU_DEP_3) | instskip(NEXT) | instid1(VALU_DEP_3)
	v_add_f64_e32 v[103:104], v[99:100], v[75:76]
	v_add_f64_e64 v[97:98], v[97:98], -v[111:112]
	s_delay_alu instid0(VALU_DEP_1) | instskip(NEXT) | instid1(VALU_DEP_3)
	v_add_f64_e32 v[97:98], v[101:102], v[97:98]
	v_add_f64_e64 v[101:102], v[103:104], -v[99:100]
	s_delay_alu instid0(VALU_DEP_2) | instskip(NEXT) | instid1(VALU_DEP_2)
	v_add_f64_e32 v[97:98], v[103:104], v[97:98]
	v_add_f64_e64 v[103:104], v[103:104], -v[101:102]
	v_add_f64_e64 v[75:76], v[75:76], -v[101:102]
	s_delay_alu instid0(VALU_DEP_3) | instskip(NEXT) | instid1(VALU_DEP_3)
	v_add_f64_e32 v[107:108], v[105:106], v[97:98]
	v_add_f64_e64 v[99:100], v[99:100], -v[103:104]
	s_delay_alu instid0(VALU_DEP_2) | instskip(NEXT) | instid1(VALU_DEP_2)
	v_add_f64_e64 v[101:102], v[107:108], -v[105:106]
	v_add_f64_e32 v[75:76], v[75:76], v[99:100]
	s_delay_alu instid0(VALU_DEP_2) | instskip(NEXT) | instid1(VALU_DEP_1)
	v_add_f64_e64 v[97:98], v[97:98], -v[101:102]
	v_add_f64_e32 v[75:76], v[75:76], v[97:98]
	s_delay_alu instid0(VALU_DEP_1) | instskip(SKIP_1) | instid1(VALU_DEP_1)
	v_add_f64_e32 v[75:76], v[107:108], v[75:76]
	s_wait_alu 0xfffe
	v_cndmask_b32_e64 v75, 0, v75, s0
	v_cmp_neq_f64_e64 s0, -1.0, v[73:74]
	s_delay_alu instid0(VALU_DEP_3) | instskip(SKIP_1) | instid1(VALU_DEP_1)
	v_cndmask_b32_e64 v76, 0x7ff00000, v76, s1
	s_wait_alu 0xf1ff
	v_cndmask_b32_e64 v76, 0x7ff80000, v76, s34
	s_delay_alu instid0(VALU_DEP_1) | instskip(NEXT) | instid1(VALU_DEP_1)
	v_cndmask_b32_e64 v76, 0xfff00000, v76, s0
	v_add_f64_e32 v[73:74], v[71:72], v[75:76]
.LBB42_96:
	s_wait_alu 0xfffe
	s_or_b32 exec_lo, exec_lo, s42
	s_delay_alu instid0(VALU_DEP_1)
	v_dual_mov_b32 v71, v73 :: v_dual_mov_b32 v72, v74
.LBB42_97:
	s_wait_alu 0xfffe
	s_or_b32 exec_lo, exec_lo, s41
	ds_store_b64 v77, v[71:72]
.LBB42_98:
	s_wait_alu 0xfffe
	s_or_b32 exec_lo, exec_lo, s40
	s_delay_alu instid0(SALU_CYCLE_1)
	s_mov_b32 s40, exec_lo
	s_wait_loadcnt_dscnt 0x0
	s_barrier_signal -1
	s_barrier_wait -1
	global_inv scope:SCOPE_SE
                                        ; implicit-def: $vgpr71_vgpr72
	v_cmpx_lt_u32_e32 31, v0
	s_cbranch_execz .LBB42_102
; %bb.99:
	v_add_nc_u32_e32 v71, -8, v95
	v_max_num_f64_e32 v[73:74], v[69:70], v[69:70]
	v_cmp_u_f64_e64 s1, v[69:70], v[69:70]
	ds_load_b64 v[71:72], v71
	s_wait_dscnt 0x0
	v_max_num_f64_e32 v[75:76], v[71:72], v[71:72]
	v_cmp_u_f64_e64 s0, v[71:72], v[71:72]
	s_delay_alu instid0(VALU_DEP_2) | instskip(SKIP_2) | instid1(VALU_DEP_2)
	v_min_num_f64_e32 v[97:98], v[75:76], v[73:74]
	v_max_num_f64_e32 v[73:74], v[75:76], v[73:74]
	s_wait_alu 0xf1ff
	v_cndmask_b32_e64 v75, v97, v71, s0
	s_delay_alu instid0(VALU_DEP_3) | instskip(NEXT) | instid1(VALU_DEP_3)
	v_cndmask_b32_e64 v76, v98, v72, s0
	v_cndmask_b32_e64 v74, v74, v72, s0
	s_delay_alu instid0(VALU_DEP_4) | instskip(NEXT) | instid1(VALU_DEP_4)
	v_cndmask_b32_e64 v73, v73, v71, s0
	v_cndmask_b32_e64 v75, v75, v69, s1
	s_delay_alu instid0(VALU_DEP_4) | instskip(NEXT) | instid1(VALU_DEP_4)
	v_cndmask_b32_e64 v76, v76, v70, s1
	v_cndmask_b32_e64 v74, v74, v70, s1
	s_delay_alu instid0(VALU_DEP_4) | instskip(SKIP_1) | instid1(VALU_DEP_4)
	v_cndmask_b32_e64 v73, v73, v69, s1
	v_dual_mov_b32 v69, v71 :: v_dual_mov_b32 v70, v72
	v_cmp_class_f64_e64 s1, v[75:76], 0x1f8
	s_delay_alu instid0(VALU_DEP_3)
	v_cmp_neq_f64_e64 s0, v[75:76], v[73:74]
	s_or_b32 s0, s0, s1
	s_wait_alu 0xfffe
	s_and_saveexec_b32 s41, s0
	s_cbranch_execz .LBB42_101
; %bb.100:
	v_add_f64_e64 v[69:70], v[75:76], -v[73:74]
	s_mov_b32 s0, 0x652b82fe
	s_mov_b32 s1, 0x3ff71547
	;; [unrolled: 1-line block ×10, first 2 shown]
	s_wait_alu 0xfffe
	s_delay_alu instid0(VALU_DEP_1) | instskip(SKIP_2) | instid1(VALU_DEP_1)
	v_mul_f64_e32 v[75:76], s[0:1], v[69:70]
	s_mov_b32 s0, 0xfca7ab0c
	s_mov_b32 s1, 0x3e928af3
	v_rndne_f64_e32 v[75:76], v[75:76]
	s_delay_alu instid0(VALU_DEP_1) | instskip(SKIP_2) | instid1(VALU_DEP_2)
	v_fma_f64 v[97:98], v[75:76], s[34:35], v[69:70]
	v_cvt_i32_f64_e32 v95, v[75:76]
	s_mov_b32 s35, 0x3fe62e42
	v_fma_f64 v[97:98], v[75:76], s[38:39], v[97:98]
	s_mov_b32 s39, 0x3c7abc9e
	s_wait_alu 0xfffe
	s_delay_alu instid0(VALU_DEP_1)
	v_fma_f64 v[99:100], v[97:98], s[42:43], s[0:1]
	s_mov_b32 s0, 0x623fde64
	s_mov_b32 s1, 0x3ec71dee
	;; [unrolled: 1-line block ×4, first 2 shown]
	s_wait_alu 0xfffe
	s_delay_alu instid0(VALU_DEP_1) | instskip(SKIP_3) | instid1(VALU_DEP_1)
	v_fma_f64 v[99:100], v[97:98], v[99:100], s[0:1]
	s_mov_b32 s0, 0x7c89e6b0
	s_mov_b32 s1, 0x3efa0199
	s_wait_alu 0xfffe
	v_fma_f64 v[99:100], v[97:98], v[99:100], s[0:1]
	s_mov_b32 s0, 0x14761f6e
	s_mov_b32 s1, 0x3f2a01a0
	s_wait_alu 0xfffe
	s_delay_alu instid0(VALU_DEP_1) | instskip(SKIP_3) | instid1(VALU_DEP_1)
	v_fma_f64 v[99:100], v[97:98], v[99:100], s[0:1]
	s_mov_b32 s0, 0x1852b7b0
	s_mov_b32 s1, 0x3f56c16c
	s_wait_alu 0xfffe
	v_fma_f64 v[99:100], v[97:98], v[99:100], s[0:1]
	s_mov_b32 s0, 0x11122322
	s_mov_b32 s1, 0x3f811111
	;; [unrolled: 9-line block ×3, first 2 shown]
	s_wait_alu 0xfffe
	s_delay_alu instid0(VALU_DEP_1) | instskip(SKIP_3) | instid1(VALU_DEP_1)
	v_fma_f64 v[99:100], v[97:98], v[99:100], s[0:1]
	s_mov_b32 s0, 11
	s_mov_b32 s1, 0x3fe00000
	s_wait_alu 0xfffe
	v_fma_f64 v[99:100], v[97:98], v[99:100], s[0:1]
	v_cmp_nlt_f64_e64 s0, 0x40900000, v[69:70]
	v_cmp_ngt_f64_e64 s1, 0xc090cc00, v[69:70]
	s_delay_alu instid0(VALU_DEP_3) | instskip(NEXT) | instid1(VALU_DEP_1)
	v_fma_f64 v[99:100], v[97:98], v[99:100], 1.0
	v_fma_f64 v[75:76], v[97:98], v[99:100], 1.0
	s_delay_alu instid0(VALU_DEP_1) | instskip(SKIP_1) | instid1(VALU_DEP_1)
	v_ldexp_f64 v[75:76], v[75:76], v95
	s_wait_alu 0xf1ff
	v_cndmask_b32_e64 v76, 0x7ff00000, v76, s0
	s_and_b32 s0, s1, s0
	s_wait_alu 0xfffe
	s_delay_alu instid0(VALU_DEP_2) | instskip(SKIP_3) | instid1(VALU_DEP_1)
	v_cndmask_b32_e64 v69, 0, v75, s0
	s_mov_b32 s0, 0x55555555
	v_cndmask_b32_e64 v70, 0, v76, s1
	s_mov_b32 s1, 0x3fe55555
	v_add_f64_e32 v[75:76], 1.0, v[69:70]
	s_delay_alu instid0(VALU_DEP_1) | instskip(SKIP_3) | instid1(VALU_DEP_3)
	v_frexp_mant_f64_e32 v[97:98], v[75:76]
	v_frexp_exp_i32_f64_e32 v95, v[75:76]
	v_add_f64_e32 v[99:100], -1.0, v[75:76]
	s_wait_alu 0xfffe
	v_cmp_gt_f64_e64 s0, s[0:1], v[97:98]
	s_delay_alu instid0(VALU_DEP_2) | instskip(SKIP_2) | instid1(VALU_DEP_3)
	v_add_f64_e64 v[97:98], v[99:100], -v[75:76]
	v_add_f64_e64 v[99:100], v[69:70], -v[99:100]
	s_wait_alu 0xf1ff
	v_subrev_co_ci_u32_e64 v95, null, 0, v95, s0
	s_delay_alu instid0(VALU_DEP_3) | instskip(SKIP_1) | instid1(VALU_DEP_2)
	v_add_f64_e32 v[97:98], 1.0, v[97:98]
	s_mov_b32 s0, 0x55555780
	v_sub_nc_u32_e32 v103, 0, v95
	s_delay_alu instid0(VALU_DEP_1) | instskip(NEXT) | instid1(VALU_DEP_3)
	v_ldexp_f64 v[75:76], v[75:76], v103
	v_add_f64_e32 v[97:98], v[99:100], v[97:98]
	s_delay_alu instid0(VALU_DEP_2) | instskip(SKIP_1) | instid1(VALU_DEP_3)
	v_add_f64_e32 v[101:102], 1.0, v[75:76]
	v_add_f64_e32 v[107:108], -1.0, v[75:76]
	v_ldexp_f64 v[97:98], v[97:98], v103
	s_delay_alu instid0(VALU_DEP_3) | instskip(NEXT) | instid1(VALU_DEP_3)
	v_add_f64_e32 v[99:100], -1.0, v[101:102]
	v_add_f64_e32 v[109:110], 1.0, v[107:108]
	s_delay_alu instid0(VALU_DEP_2) | instskip(NEXT) | instid1(VALU_DEP_2)
	v_add_f64_e64 v[99:100], v[75:76], -v[99:100]
	v_add_f64_e64 v[75:76], v[75:76], -v[109:110]
	s_delay_alu instid0(VALU_DEP_2) | instskip(NEXT) | instid1(VALU_DEP_2)
	v_add_f64_e32 v[99:100], v[97:98], v[99:100]
	v_add_f64_e32 v[75:76], v[97:98], v[75:76]
	s_delay_alu instid0(VALU_DEP_2) | instskip(NEXT) | instid1(VALU_DEP_2)
	v_add_f64_e32 v[103:104], v[101:102], v[99:100]
	v_add_f64_e32 v[109:110], v[107:108], v[75:76]
	s_delay_alu instid0(VALU_DEP_2) | instskip(SKIP_1) | instid1(VALU_DEP_2)
	v_rcp_f64_e32 v[105:106], v[103:104]
	v_add_f64_e64 v[101:102], v[103:104], -v[101:102]
	v_add_f64_e64 v[107:108], v[109:110], -v[107:108]
	s_delay_alu instid0(VALU_DEP_2) | instskip(NEXT) | instid1(TRANS32_DEP_1)
	v_add_f64_e64 v[99:100], v[99:100], -v[101:102]
	v_fma_f64 v[111:112], -v[103:104], v[105:106], 1.0
	s_delay_alu instid0(VALU_DEP_3) | instskip(NEXT) | instid1(VALU_DEP_2)
	v_add_f64_e64 v[75:76], v[75:76], -v[107:108]
	v_fma_f64 v[105:106], v[111:112], v[105:106], v[105:106]
	s_delay_alu instid0(VALU_DEP_1) | instskip(NEXT) | instid1(VALU_DEP_1)
	v_fma_f64 v[97:98], -v[103:104], v[105:106], 1.0
	v_fma_f64 v[97:98], v[97:98], v[105:106], v[105:106]
	s_delay_alu instid0(VALU_DEP_1) | instskip(NEXT) | instid1(VALU_DEP_1)
	v_mul_f64_e32 v[105:106], v[109:110], v[97:98]
	v_mul_f64_e32 v[111:112], v[103:104], v[105:106]
	s_delay_alu instid0(VALU_DEP_1) | instskip(NEXT) | instid1(VALU_DEP_1)
	v_fma_f64 v[101:102], v[105:106], v[103:104], -v[111:112]
	v_fma_f64 v[101:102], v[105:106], v[99:100], v[101:102]
	s_delay_alu instid0(VALU_DEP_1) | instskip(NEXT) | instid1(VALU_DEP_1)
	v_add_f64_e32 v[113:114], v[111:112], v[101:102]
	v_add_f64_e64 v[115:116], v[109:110], -v[113:114]
	v_add_f64_e64 v[107:108], v[113:114], -v[111:112]
	s_delay_alu instid0(VALU_DEP_2) | instskip(NEXT) | instid1(VALU_DEP_2)
	v_add_f64_e64 v[109:110], v[109:110], -v[115:116]
	v_add_f64_e64 v[101:102], v[107:108], -v[101:102]
	s_delay_alu instid0(VALU_DEP_2) | instskip(NEXT) | instid1(VALU_DEP_1)
	v_add_f64_e64 v[109:110], v[109:110], -v[113:114]
	v_add_f64_e32 v[75:76], v[75:76], v[109:110]
	s_delay_alu instid0(VALU_DEP_1) | instskip(NEXT) | instid1(VALU_DEP_1)
	v_add_f64_e32 v[75:76], v[101:102], v[75:76]
	v_add_f64_e32 v[101:102], v[115:116], v[75:76]
	s_delay_alu instid0(VALU_DEP_1) | instskip(SKIP_1) | instid1(VALU_DEP_2)
	v_mul_f64_e32 v[107:108], v[97:98], v[101:102]
	v_add_f64_e64 v[113:114], v[115:116], -v[101:102]
	v_mul_f64_e32 v[109:110], v[103:104], v[107:108]
	s_delay_alu instid0(VALU_DEP_2) | instskip(NEXT) | instid1(VALU_DEP_2)
	v_add_f64_e32 v[75:76], v[75:76], v[113:114]
	v_fma_f64 v[103:104], v[107:108], v[103:104], -v[109:110]
	s_delay_alu instid0(VALU_DEP_1) | instskip(NEXT) | instid1(VALU_DEP_1)
	v_fma_f64 v[99:100], v[107:108], v[99:100], v[103:104]
	v_add_f64_e32 v[103:104], v[109:110], v[99:100]
	s_delay_alu instid0(VALU_DEP_1) | instskip(SKIP_1) | instid1(VALU_DEP_2)
	v_add_f64_e64 v[111:112], v[101:102], -v[103:104]
	v_add_f64_e64 v[109:110], v[103:104], -v[109:110]
	;; [unrolled: 1-line block ×3, first 2 shown]
	s_delay_alu instid0(VALU_DEP_2) | instskip(NEXT) | instid1(VALU_DEP_2)
	v_add_f64_e64 v[99:100], v[109:110], -v[99:100]
	v_add_f64_e64 v[101:102], v[101:102], -v[103:104]
	s_delay_alu instid0(VALU_DEP_1) | instskip(SKIP_1) | instid1(VALU_DEP_2)
	v_add_f64_e32 v[75:76], v[75:76], v[101:102]
	v_add_f64_e32 v[101:102], v[105:106], v[107:108]
	;; [unrolled: 1-line block ×3, first 2 shown]
	s_delay_alu instid0(VALU_DEP_2) | instskip(NEXT) | instid1(VALU_DEP_2)
	v_add_f64_e64 v[99:100], v[101:102], -v[105:106]
	v_add_f64_e32 v[75:76], v[111:112], v[75:76]
	s_delay_alu instid0(VALU_DEP_2) | instskip(NEXT) | instid1(VALU_DEP_2)
	v_add_f64_e64 v[99:100], v[107:108], -v[99:100]
	v_mul_f64_e32 v[75:76], v[97:98], v[75:76]
	s_delay_alu instid0(VALU_DEP_1) | instskip(NEXT) | instid1(VALU_DEP_1)
	v_add_f64_e32 v[75:76], v[99:100], v[75:76]
	v_add_f64_e32 v[97:98], v[101:102], v[75:76]
	s_delay_alu instid0(VALU_DEP_1) | instskip(NEXT) | instid1(VALU_DEP_1)
	v_mul_f64_e32 v[99:100], v[97:98], v[97:98]
	v_fma_f64 v[103:104], v[99:100], s[44:45], s[42:43]
	s_mov_b32 s42, 0xd7f4df2e
	s_mov_b32 s43, 0x3fc7474d
	v_mul_f64_e32 v[105:106], v[97:98], v[99:100]
	s_wait_alu 0xfffe
	s_delay_alu instid0(VALU_DEP_2) | instskip(SKIP_3) | instid1(VALU_DEP_1)
	v_fma_f64 v[103:104], v[99:100], v[103:104], s[42:43]
	s_mov_b32 s42, 0x16291751
	s_mov_b32 s43, 0x3fcc71c0
	s_wait_alu 0xfffe
	v_fma_f64 v[103:104], v[99:100], v[103:104], s[42:43]
	s_mov_b32 s42, 0x9b27acf1
	s_mov_b32 s43, 0x3fd24924
	s_wait_alu 0xfffe
	s_delay_alu instid0(VALU_DEP_1) | instskip(SKIP_3) | instid1(VALU_DEP_1)
	v_fma_f64 v[103:104], v[99:100], v[103:104], s[42:43]
	s_mov_b32 s42, 0x998ef7b6
	s_mov_b32 s43, 0x3fd99999
	s_wait_alu 0xfffe
	v_fma_f64 v[103:104], v[99:100], v[103:104], s[42:43]
	s_delay_alu instid0(VALU_DEP_1)
	v_fma_f64 v[99:100], v[99:100], v[103:104], s[0:1]
	v_ldexp_f64 v[103:104], v[97:98], 1
	v_add_f64_e64 v[97:98], v[97:98], -v[101:102]
	v_cmp_nge_f64_e64 s0, -1.0, v[69:70]
	v_cmp_neq_f64_e64 s1, 0x7ff00000, v[69:70]
	v_mul_f64_e32 v[99:100], v[105:106], v[99:100]
	v_cvt_f64_i32_e32 v[105:106], v95
	v_add_f64_e64 v[75:76], v[75:76], -v[97:98]
	s_and_b32 s0, s0, s1
	s_delay_alu instid0(VALU_DEP_3) | instskip(NEXT) | instid1(VALU_DEP_3)
	v_add_f64_e32 v[101:102], v[103:104], v[99:100]
	v_mul_f64_e32 v[107:108], s[34:35], v[105:106]
	s_delay_alu instid0(VALU_DEP_3) | instskip(NEXT) | instid1(VALU_DEP_3)
	v_ldexp_f64 v[75:76], v[75:76], 1
	v_add_f64_e64 v[97:98], v[101:102], -v[103:104]
	s_delay_alu instid0(VALU_DEP_3) | instskip(SKIP_1) | instid1(VALU_DEP_3)
	v_fma_f64 v[103:104], v[105:106], s[34:35], -v[107:108]
	v_cmp_ngt_f64_e64 s34, -1.0, v[69:70]
	v_add_f64_e64 v[97:98], v[99:100], -v[97:98]
	s_delay_alu instid0(VALU_DEP_3) | instskip(NEXT) | instid1(VALU_DEP_2)
	v_fma_f64 v[99:100], v[105:106], s[38:39], v[103:104]
	v_add_f64_e32 v[75:76], v[75:76], v[97:98]
	s_delay_alu instid0(VALU_DEP_2) | instskip(NEXT) | instid1(VALU_DEP_2)
	v_add_f64_e32 v[97:98], v[107:108], v[99:100]
	v_add_f64_e32 v[103:104], v[101:102], v[75:76]
	s_delay_alu instid0(VALU_DEP_2) | instskip(NEXT) | instid1(VALU_DEP_2)
	v_add_f64_e64 v[107:108], v[97:98], -v[107:108]
	v_add_f64_e32 v[105:106], v[97:98], v[103:104]
	v_add_f64_e64 v[101:102], v[103:104], -v[101:102]
	s_delay_alu instid0(VALU_DEP_3) | instskip(NEXT) | instid1(VALU_DEP_3)
	v_add_f64_e64 v[99:100], v[99:100], -v[107:108]
	v_add_f64_e64 v[109:110], v[105:106], -v[97:98]
	s_delay_alu instid0(VALU_DEP_3) | instskip(NEXT) | instid1(VALU_DEP_2)
	v_add_f64_e64 v[75:76], v[75:76], -v[101:102]
	v_add_f64_e64 v[111:112], v[105:106], -v[109:110]
	;; [unrolled: 1-line block ×3, first 2 shown]
	s_delay_alu instid0(VALU_DEP_3) | instskip(NEXT) | instid1(VALU_DEP_3)
	v_add_f64_e32 v[103:104], v[99:100], v[75:76]
	v_add_f64_e64 v[97:98], v[97:98], -v[111:112]
	s_delay_alu instid0(VALU_DEP_1) | instskip(NEXT) | instid1(VALU_DEP_3)
	v_add_f64_e32 v[97:98], v[101:102], v[97:98]
	v_add_f64_e64 v[101:102], v[103:104], -v[99:100]
	s_delay_alu instid0(VALU_DEP_2) | instskip(NEXT) | instid1(VALU_DEP_2)
	v_add_f64_e32 v[97:98], v[103:104], v[97:98]
	v_add_f64_e64 v[103:104], v[103:104], -v[101:102]
	v_add_f64_e64 v[75:76], v[75:76], -v[101:102]
	s_delay_alu instid0(VALU_DEP_3) | instskip(NEXT) | instid1(VALU_DEP_3)
	v_add_f64_e32 v[107:108], v[105:106], v[97:98]
	v_add_f64_e64 v[99:100], v[99:100], -v[103:104]
	s_delay_alu instid0(VALU_DEP_2) | instskip(NEXT) | instid1(VALU_DEP_2)
	v_add_f64_e64 v[101:102], v[107:108], -v[105:106]
	v_add_f64_e32 v[75:76], v[75:76], v[99:100]
	s_delay_alu instid0(VALU_DEP_2) | instskip(NEXT) | instid1(VALU_DEP_1)
	v_add_f64_e64 v[97:98], v[97:98], -v[101:102]
	v_add_f64_e32 v[75:76], v[75:76], v[97:98]
	s_delay_alu instid0(VALU_DEP_1) | instskip(SKIP_1) | instid1(VALU_DEP_1)
	v_add_f64_e32 v[75:76], v[107:108], v[75:76]
	s_wait_alu 0xfffe
	v_cndmask_b32_e64 v75, 0, v75, s0
	v_cmp_neq_f64_e64 s0, -1.0, v[69:70]
	s_delay_alu instid0(VALU_DEP_3) | instskip(SKIP_1) | instid1(VALU_DEP_1)
	v_cndmask_b32_e64 v76, 0x7ff00000, v76, s1
	s_wait_alu 0xf1ff
	v_cndmask_b32_e64 v76, 0x7ff80000, v76, s34
	s_delay_alu instid0(VALU_DEP_1) | instskip(NEXT) | instid1(VALU_DEP_1)
	v_cndmask_b32_e64 v76, 0xfff00000, v76, s0
	v_add_f64_e32 v[69:70], v[73:74], v[75:76]
.LBB42_101:
	s_wait_alu 0xfffe
	s_or_b32 exec_lo, exec_lo, s41
.LBB42_102:
	s_wait_alu 0xfffe
	s_or_b32 exec_lo, exec_lo, s40
	v_add_nc_u32_e32 v73, -1, v96
	s_mov_b32 s40, exec_lo
	s_delay_alu instid0(VALU_DEP_1) | instskip(SKIP_1) | instid1(VALU_DEP_1)
	v_cmp_gt_i32_e64 s0, 0, v73
	s_wait_alu 0xf1ff
	v_cndmask_b32_e64 v73, v73, v96, s0
	s_delay_alu instid0(VALU_DEP_1)
	v_lshlrev_b32_e32 v73, 2, v73
	ds_bpermute_b32 v69, v73, v69
	ds_bpermute_b32 v70, v73, v70
	v_cmpx_ne_u32_e32 0, v0
	s_cbranch_execz .LBB42_106
; %bb.103:
	v_cmp_eq_u32_e64 s0, 0, v96
	s_wait_dscnt 0x0
	s_wait_alu 0xf1ff
	s_delay_alu instid0(VALU_DEP_1) | instskip(SKIP_1) | instid1(VALU_DEP_1)
	v_cndmask_b32_e64 v70, v70, v72, s0
	v_cndmask_b32_e64 v69, v69, v71, s0
	v_max_num_f64_e32 v[65:66], v[69:70], v[69:70]
	v_cmp_u_f64_e64 s0, v[69:70], v[69:70]
	s_delay_alu instid0(VALU_DEP_2) | instskip(SKIP_2) | instid1(VALU_DEP_2)
	v_min_num_f64_e32 v[67:68], v[65:66], v[63:64]
	v_max_num_f64_e32 v[63:64], v[65:66], v[63:64]
	s_wait_alu 0xf1ff
	v_cndmask_b32_e64 v0, v68, v70, s0
	s_delay_alu instid0(VALU_DEP_3) | instskip(NEXT) | instid1(VALU_DEP_3)
	v_cndmask_b32_e64 v65, v67, v69, s0
	v_cndmask_b32_e64 v66, v64, v70, s0
	s_delay_alu instid0(VALU_DEP_4) | instskip(NEXT) | instid1(VALU_DEP_4)
	v_cndmask_b32_e64 v67, v63, v69, s0
	v_cndmask_b32_e64 v64, v0, v2, s33
	s_delay_alu instid0(VALU_DEP_4) | instskip(NEXT) | instid1(VALU_DEP_4)
	v_cndmask_b32_e64 v63, v65, v1, s33
	v_cndmask_b32_e64 v2, v66, v2, s33
	s_delay_alu instid0(VALU_DEP_4) | instskip(NEXT) | instid1(VALU_DEP_3)
	v_cndmask_b32_e64 v1, v67, v1, s33
	v_cmp_class_f64_e64 s1, v[63:64], 0x1f8
	s_delay_alu instid0(VALU_DEP_2)
	v_cmp_neq_f64_e64 s0, v[63:64], v[1:2]
	s_or_b32 s0, s0, s1
	s_wait_alu 0xfffe
	s_and_saveexec_b32 s41, s0
	s_cbranch_execz .LBB42_105
; %bb.104:
	v_add_f64_e64 v[63:64], v[63:64], -v[1:2]
	s_mov_b32 s0, 0x652b82fe
	s_mov_b32 s1, 0x3ff71547
	;; [unrolled: 1-line block ×10, first 2 shown]
	s_wait_alu 0xfffe
	s_delay_alu instid0(VALU_DEP_1) | instskip(SKIP_2) | instid1(VALU_DEP_1)
	v_mul_f64_e32 v[65:66], s[0:1], v[63:64]
	s_mov_b32 s0, 0xfca7ab0c
	s_mov_b32 s1, 0x3e928af3
	v_rndne_f64_e32 v[65:66], v[65:66]
	s_delay_alu instid0(VALU_DEP_1) | instskip(SKIP_2) | instid1(VALU_DEP_2)
	v_fma_f64 v[67:68], v[65:66], s[34:35], v[63:64]
	v_cvt_i32_f64_e32 v0, v[65:66]
	s_mov_b32 s35, 0x3fe62e42
	v_fma_f64 v[67:68], v[65:66], s[38:39], v[67:68]
	s_mov_b32 s39, 0x3c7abc9e
	s_wait_alu 0xfffe
	s_delay_alu instid0(VALU_DEP_1)
	v_fma_f64 v[69:70], v[67:68], s[42:43], s[0:1]
	s_mov_b32 s0, 0x623fde64
	s_mov_b32 s1, 0x3ec71dee
	;; [unrolled: 1-line block ×4, first 2 shown]
	s_wait_alu 0xfffe
	s_delay_alu instid0(VALU_DEP_1) | instskip(SKIP_3) | instid1(VALU_DEP_1)
	v_fma_f64 v[69:70], v[67:68], v[69:70], s[0:1]
	s_mov_b32 s0, 0x7c89e6b0
	s_mov_b32 s1, 0x3efa0199
	s_wait_alu 0xfffe
	v_fma_f64 v[69:70], v[67:68], v[69:70], s[0:1]
	s_mov_b32 s0, 0x14761f6e
	s_mov_b32 s1, 0x3f2a01a0
	s_wait_alu 0xfffe
	s_delay_alu instid0(VALU_DEP_1) | instskip(SKIP_3) | instid1(VALU_DEP_1)
	v_fma_f64 v[69:70], v[67:68], v[69:70], s[0:1]
	s_mov_b32 s0, 0x1852b7b0
	s_mov_b32 s1, 0x3f56c16c
	s_wait_alu 0xfffe
	v_fma_f64 v[69:70], v[67:68], v[69:70], s[0:1]
	s_mov_b32 s0, 0x11122322
	s_mov_b32 s1, 0x3f811111
	;; [unrolled: 9-line block ×3, first 2 shown]
	s_wait_alu 0xfffe
	s_delay_alu instid0(VALU_DEP_1) | instskip(SKIP_3) | instid1(VALU_DEP_1)
	v_fma_f64 v[69:70], v[67:68], v[69:70], s[0:1]
	s_mov_b32 s0, 11
	s_mov_b32 s1, 0x3fe00000
	s_wait_alu 0xfffe
	v_fma_f64 v[69:70], v[67:68], v[69:70], s[0:1]
	v_cmp_nlt_f64_e64 s0, 0x40900000, v[63:64]
	v_cmp_ngt_f64_e64 s1, 0xc090cc00, v[63:64]
	s_delay_alu instid0(VALU_DEP_3) | instskip(NEXT) | instid1(VALU_DEP_1)
	v_fma_f64 v[69:70], v[67:68], v[69:70], 1.0
	v_fma_f64 v[65:66], v[67:68], v[69:70], 1.0
	s_delay_alu instid0(VALU_DEP_1) | instskip(SKIP_1) | instid1(VALU_DEP_1)
	v_ldexp_f64 v[65:66], v[65:66], v0
	s_wait_alu 0xf1ff
	v_cndmask_b32_e64 v0, 0x7ff00000, v66, s0
	s_and_b32 s0, s1, s0
	s_wait_alu 0xfffe
	s_delay_alu instid0(VALU_DEP_2) | instskip(SKIP_3) | instid1(VALU_DEP_1)
	v_cndmask_b32_e64 v63, 0, v65, s0
	s_mov_b32 s0, 0x55555555
	v_cndmask_b32_e64 v64, 0, v0, s1
	s_mov_b32 s1, 0x3fe55555
	v_add_f64_e32 v[65:66], 1.0, v[63:64]
	v_cmp_ngt_f64_e64 s33, -1.0, v[63:64]
	s_delay_alu instid0(VALU_DEP_2) | instskip(SKIP_3) | instid1(VALU_DEP_3)
	v_frexp_mant_f64_e32 v[67:68], v[65:66]
	v_frexp_exp_i32_f64_e32 v0, v[65:66]
	v_add_f64_e32 v[69:70], -1.0, v[65:66]
	s_wait_alu 0xfffe
	v_cmp_gt_f64_e64 s0, s[0:1], v[67:68]
	s_delay_alu instid0(VALU_DEP_2) | instskip(SKIP_2) | instid1(VALU_DEP_3)
	v_add_f64_e64 v[67:68], v[69:70], -v[65:66]
	v_add_f64_e64 v[69:70], v[63:64], -v[69:70]
	s_wait_alu 0xf1ff
	v_subrev_co_ci_u32_e64 v0, null, 0, v0, s0
	s_delay_alu instid0(VALU_DEP_3) | instskip(SKIP_1) | instid1(VALU_DEP_2)
	v_add_f64_e32 v[67:68], 1.0, v[67:68]
	s_mov_b32 s0, 0x55555780
	v_sub_nc_u32_e32 v73, 0, v0
	s_delay_alu instid0(VALU_DEP_1) | instskip(NEXT) | instid1(VALU_DEP_3)
	v_ldexp_f64 v[65:66], v[65:66], v73
	v_add_f64_e32 v[67:68], v[69:70], v[67:68]
	s_delay_alu instid0(VALU_DEP_2) | instskip(SKIP_1) | instid1(VALU_DEP_3)
	v_add_f64_e32 v[71:72], 1.0, v[65:66]
	v_add_f64_e32 v[95:96], -1.0, v[65:66]
	v_ldexp_f64 v[67:68], v[67:68], v73
	s_delay_alu instid0(VALU_DEP_3) | instskip(NEXT) | instid1(VALU_DEP_3)
	v_add_f64_e32 v[69:70], -1.0, v[71:72]
	v_add_f64_e32 v[97:98], 1.0, v[95:96]
	s_delay_alu instid0(VALU_DEP_2) | instskip(NEXT) | instid1(VALU_DEP_2)
	v_add_f64_e64 v[69:70], v[65:66], -v[69:70]
	v_add_f64_e64 v[65:66], v[65:66], -v[97:98]
	s_delay_alu instid0(VALU_DEP_2) | instskip(NEXT) | instid1(VALU_DEP_2)
	v_add_f64_e32 v[69:70], v[67:68], v[69:70]
	v_add_f64_e32 v[65:66], v[67:68], v[65:66]
	s_delay_alu instid0(VALU_DEP_2) | instskip(NEXT) | instid1(VALU_DEP_2)
	v_add_f64_e32 v[73:74], v[71:72], v[69:70]
	v_add_f64_e32 v[97:98], v[95:96], v[65:66]
	s_delay_alu instid0(VALU_DEP_2) | instskip(SKIP_1) | instid1(VALU_DEP_2)
	v_rcp_f64_e32 v[75:76], v[73:74]
	v_add_f64_e64 v[71:72], v[73:74], -v[71:72]
	v_add_f64_e64 v[95:96], v[97:98], -v[95:96]
	s_delay_alu instid0(VALU_DEP_2) | instskip(NEXT) | instid1(TRANS32_DEP_1)
	v_add_f64_e64 v[69:70], v[69:70], -v[71:72]
	v_fma_f64 v[99:100], -v[73:74], v[75:76], 1.0
	s_delay_alu instid0(VALU_DEP_3) | instskip(NEXT) | instid1(VALU_DEP_2)
	v_add_f64_e64 v[65:66], v[65:66], -v[95:96]
	v_fma_f64 v[75:76], v[99:100], v[75:76], v[75:76]
	s_delay_alu instid0(VALU_DEP_1) | instskip(NEXT) | instid1(VALU_DEP_1)
	v_fma_f64 v[67:68], -v[73:74], v[75:76], 1.0
	v_fma_f64 v[67:68], v[67:68], v[75:76], v[75:76]
	s_delay_alu instid0(VALU_DEP_1) | instskip(NEXT) | instid1(VALU_DEP_1)
	v_mul_f64_e32 v[75:76], v[97:98], v[67:68]
	v_mul_f64_e32 v[99:100], v[73:74], v[75:76]
	s_delay_alu instid0(VALU_DEP_1) | instskip(NEXT) | instid1(VALU_DEP_1)
	v_fma_f64 v[71:72], v[75:76], v[73:74], -v[99:100]
	v_fma_f64 v[71:72], v[75:76], v[69:70], v[71:72]
	s_delay_alu instid0(VALU_DEP_1) | instskip(NEXT) | instid1(VALU_DEP_1)
	v_add_f64_e32 v[101:102], v[99:100], v[71:72]
	v_add_f64_e64 v[103:104], v[97:98], -v[101:102]
	v_add_f64_e64 v[95:96], v[101:102], -v[99:100]
	s_delay_alu instid0(VALU_DEP_2) | instskip(NEXT) | instid1(VALU_DEP_2)
	v_add_f64_e64 v[97:98], v[97:98], -v[103:104]
	v_add_f64_e64 v[71:72], v[95:96], -v[71:72]
	s_delay_alu instid0(VALU_DEP_2) | instskip(NEXT) | instid1(VALU_DEP_1)
	v_add_f64_e64 v[97:98], v[97:98], -v[101:102]
	v_add_f64_e32 v[65:66], v[65:66], v[97:98]
	s_delay_alu instid0(VALU_DEP_1) | instskip(NEXT) | instid1(VALU_DEP_1)
	v_add_f64_e32 v[65:66], v[71:72], v[65:66]
	v_add_f64_e32 v[71:72], v[103:104], v[65:66]
	s_delay_alu instid0(VALU_DEP_1) | instskip(SKIP_1) | instid1(VALU_DEP_2)
	v_mul_f64_e32 v[95:96], v[67:68], v[71:72]
	v_add_f64_e64 v[101:102], v[103:104], -v[71:72]
	v_mul_f64_e32 v[97:98], v[73:74], v[95:96]
	s_delay_alu instid0(VALU_DEP_2) | instskip(NEXT) | instid1(VALU_DEP_2)
	v_add_f64_e32 v[65:66], v[65:66], v[101:102]
	v_fma_f64 v[73:74], v[95:96], v[73:74], -v[97:98]
	s_delay_alu instid0(VALU_DEP_1) | instskip(NEXT) | instid1(VALU_DEP_1)
	v_fma_f64 v[69:70], v[95:96], v[69:70], v[73:74]
	v_add_f64_e32 v[73:74], v[97:98], v[69:70]
	s_delay_alu instid0(VALU_DEP_1) | instskip(SKIP_1) | instid1(VALU_DEP_2)
	v_add_f64_e64 v[99:100], v[71:72], -v[73:74]
	v_add_f64_e64 v[97:98], v[73:74], -v[97:98]
	;; [unrolled: 1-line block ×3, first 2 shown]
	s_delay_alu instid0(VALU_DEP_2) | instskip(NEXT) | instid1(VALU_DEP_2)
	v_add_f64_e64 v[69:70], v[97:98], -v[69:70]
	v_add_f64_e64 v[71:72], v[71:72], -v[73:74]
	s_delay_alu instid0(VALU_DEP_1) | instskip(SKIP_1) | instid1(VALU_DEP_2)
	v_add_f64_e32 v[65:66], v[65:66], v[71:72]
	v_add_f64_e32 v[71:72], v[75:76], v[95:96]
	;; [unrolled: 1-line block ×3, first 2 shown]
	s_delay_alu instid0(VALU_DEP_2) | instskip(NEXT) | instid1(VALU_DEP_2)
	v_add_f64_e64 v[69:70], v[71:72], -v[75:76]
	v_add_f64_e32 v[65:66], v[99:100], v[65:66]
	s_delay_alu instid0(VALU_DEP_2) | instskip(NEXT) | instid1(VALU_DEP_2)
	v_add_f64_e64 v[69:70], v[95:96], -v[69:70]
	v_mul_f64_e32 v[65:66], v[67:68], v[65:66]
	s_delay_alu instid0(VALU_DEP_1) | instskip(NEXT) | instid1(VALU_DEP_1)
	v_add_f64_e32 v[65:66], v[69:70], v[65:66]
	v_add_f64_e32 v[67:68], v[71:72], v[65:66]
	s_delay_alu instid0(VALU_DEP_1) | instskip(NEXT) | instid1(VALU_DEP_1)
	v_mul_f64_e32 v[69:70], v[67:68], v[67:68]
	v_fma_f64 v[73:74], v[69:70], s[44:45], s[42:43]
	s_mov_b32 s42, 0xd7f4df2e
	s_mov_b32 s43, 0x3fc7474d
	v_mul_f64_e32 v[75:76], v[67:68], v[69:70]
	s_wait_alu 0xfffe
	s_delay_alu instid0(VALU_DEP_2) | instskip(SKIP_3) | instid1(VALU_DEP_1)
	v_fma_f64 v[73:74], v[69:70], v[73:74], s[42:43]
	s_mov_b32 s42, 0x16291751
	s_mov_b32 s43, 0x3fcc71c0
	s_wait_alu 0xfffe
	v_fma_f64 v[73:74], v[69:70], v[73:74], s[42:43]
	s_mov_b32 s42, 0x9b27acf1
	s_mov_b32 s43, 0x3fd24924
	s_wait_alu 0xfffe
	s_delay_alu instid0(VALU_DEP_1) | instskip(SKIP_3) | instid1(VALU_DEP_1)
	v_fma_f64 v[73:74], v[69:70], v[73:74], s[42:43]
	s_mov_b32 s42, 0x998ef7b6
	s_mov_b32 s43, 0x3fd99999
	s_wait_alu 0xfffe
	v_fma_f64 v[73:74], v[69:70], v[73:74], s[42:43]
	s_delay_alu instid0(VALU_DEP_1)
	v_fma_f64 v[69:70], v[69:70], v[73:74], s[0:1]
	v_ldexp_f64 v[73:74], v[67:68], 1
	v_add_f64_e64 v[67:68], v[67:68], -v[71:72]
	v_cmp_nge_f64_e64 s0, -1.0, v[63:64]
	v_cmp_neq_f64_e64 s1, 0x7ff00000, v[63:64]
	v_mul_f64_e32 v[69:70], v[75:76], v[69:70]
	v_cvt_f64_i32_e32 v[75:76], v0
	v_add_f64_e64 v[65:66], v[65:66], -v[67:68]
	s_and_b32 s0, s0, s1
	s_delay_alu instid0(VALU_DEP_3) | instskip(NEXT) | instid1(VALU_DEP_3)
	v_add_f64_e32 v[71:72], v[73:74], v[69:70]
	v_mul_f64_e32 v[95:96], s[34:35], v[75:76]
	s_delay_alu instid0(VALU_DEP_3) | instskip(NEXT) | instid1(VALU_DEP_3)
	v_ldexp_f64 v[65:66], v[65:66], 1
	v_add_f64_e64 v[67:68], v[71:72], -v[73:74]
	s_delay_alu instid0(VALU_DEP_3) | instskip(NEXT) | instid1(VALU_DEP_2)
	v_fma_f64 v[73:74], v[75:76], s[34:35], -v[95:96]
	v_add_f64_e64 v[67:68], v[69:70], -v[67:68]
	s_delay_alu instid0(VALU_DEP_2) | instskip(NEXT) | instid1(VALU_DEP_2)
	v_fma_f64 v[69:70], v[75:76], s[38:39], v[73:74]
	v_add_f64_e32 v[65:66], v[65:66], v[67:68]
	s_delay_alu instid0(VALU_DEP_2) | instskip(NEXT) | instid1(VALU_DEP_2)
	v_add_f64_e32 v[67:68], v[95:96], v[69:70]
	v_add_f64_e32 v[73:74], v[71:72], v[65:66]
	s_delay_alu instid0(VALU_DEP_2) | instskip(NEXT) | instid1(VALU_DEP_2)
	v_add_f64_e64 v[95:96], v[67:68], -v[95:96]
	v_add_f64_e32 v[75:76], v[67:68], v[73:74]
	v_add_f64_e64 v[71:72], v[73:74], -v[71:72]
	s_delay_alu instid0(VALU_DEP_3) | instskip(NEXT) | instid1(VALU_DEP_3)
	v_add_f64_e64 v[69:70], v[69:70], -v[95:96]
	v_add_f64_e64 v[97:98], v[75:76], -v[67:68]
	s_delay_alu instid0(VALU_DEP_3) | instskip(NEXT) | instid1(VALU_DEP_2)
	v_add_f64_e64 v[65:66], v[65:66], -v[71:72]
	v_add_f64_e64 v[99:100], v[75:76], -v[97:98]
	;; [unrolled: 1-line block ×3, first 2 shown]
	s_delay_alu instid0(VALU_DEP_3) | instskip(NEXT) | instid1(VALU_DEP_3)
	v_add_f64_e32 v[73:74], v[69:70], v[65:66]
	v_add_f64_e64 v[67:68], v[67:68], -v[99:100]
	s_delay_alu instid0(VALU_DEP_1) | instskip(NEXT) | instid1(VALU_DEP_3)
	v_add_f64_e32 v[67:68], v[71:72], v[67:68]
	v_add_f64_e64 v[71:72], v[73:74], -v[69:70]
	s_delay_alu instid0(VALU_DEP_2) | instskip(NEXT) | instid1(VALU_DEP_2)
	v_add_f64_e32 v[67:68], v[73:74], v[67:68]
	v_add_f64_e64 v[73:74], v[73:74], -v[71:72]
	v_add_f64_e64 v[65:66], v[65:66], -v[71:72]
	s_delay_alu instid0(VALU_DEP_3) | instskip(NEXT) | instid1(VALU_DEP_3)
	v_add_f64_e32 v[95:96], v[75:76], v[67:68]
	v_add_f64_e64 v[69:70], v[69:70], -v[73:74]
	s_delay_alu instid0(VALU_DEP_2) | instskip(NEXT) | instid1(VALU_DEP_2)
	v_add_f64_e64 v[71:72], v[95:96], -v[75:76]
	v_add_f64_e32 v[65:66], v[65:66], v[69:70]
	s_delay_alu instid0(VALU_DEP_2) | instskip(NEXT) | instid1(VALU_DEP_1)
	v_add_f64_e64 v[67:68], v[67:68], -v[71:72]
	v_add_f64_e32 v[65:66], v[65:66], v[67:68]
	s_delay_alu instid0(VALU_DEP_1) | instskip(SKIP_1) | instid1(VALU_DEP_1)
	v_add_f64_e32 v[65:66], v[95:96], v[65:66]
	s_wait_alu 0xfffe
	v_cndmask_b32_e64 v65, 0, v65, s0
	v_cmp_neq_f64_e64 s0, -1.0, v[63:64]
	s_delay_alu instid0(VALU_DEP_3) | instskip(NEXT) | instid1(VALU_DEP_1)
	v_cndmask_b32_e64 v0, 0x7ff00000, v66, s1
	v_cndmask_b32_e64 v0, 0x7ff80000, v0, s33
	s_wait_alu 0xf1ff
	s_delay_alu instid0(VALU_DEP_1) | instskip(NEXT) | instid1(VALU_DEP_1)
	v_cndmask_b32_e64 v66, 0xfff00000, v0, s0
	v_add_f64_e32 v[69:70], v[1:2], v[65:66]
.LBB42_105:
	s_wait_alu 0xfffe
	s_or_b32 exec_lo, exec_lo, s41
	s_delay_alu instid0(VALU_DEP_1) | instskip(SKIP_1) | instid1(VALU_DEP_1)
	v_max_num_f64_e32 v[0:1], v[69:70], v[69:70]
	;;#ASMSTART
	;;#ASMEND
	v_min_num_f64_e32 v[65:66], v[0:1], v[35:36]
	v_max_num_f64_e32 v[67:68], v[0:1], v[35:36]
	v_dual_mov_b32 v1, v69 :: v_dual_mov_b32 v2, v70
.LBB42_106:
	s_wait_alu 0xfffe
	s_or_b32 exec_lo, exec_lo, s40
	s_delay_alu instid0(VALU_DEP_1) | instskip(SKIP_1) | instid1(VALU_DEP_1)
	v_cmp_u_f64_e64 s0, v[1:2], v[1:2]
	s_wait_alu 0xf1ff
	v_cndmask_b32_e64 v0, v65, v1, s0
	v_cndmask_b32_e64 v35, v66, v2, s0
	;; [unrolled: 1-line block ×4, first 2 shown]
	s_delay_alu instid0(VALU_DEP_4) | instskip(NEXT) | instid1(VALU_DEP_4)
	v_cndmask_b32_e64 v63, v0, v3, s17
	v_cndmask_b32_e64 v64, v35, v4, s17
	s_delay_alu instid0(VALU_DEP_4) | instskip(NEXT) | instid1(VALU_DEP_4)
	v_cndmask_b32_e64 v36, v36, v4, s17
	v_cndmask_b32_e64 v35, v65, v3, s17
	v_dual_mov_b32 v4, v2 :: v_dual_mov_b32 v3, v1
	s_delay_alu instid0(VALU_DEP_4) | instskip(NEXT) | instid1(VALU_DEP_3)
	v_cmp_class_f64_e64 s1, v[63:64], 0x1f8
	v_cmp_neq_f64_e64 s0, v[63:64], v[35:36]
	s_or_b32 s0, s0, s1
	s_wait_alu 0xfffe
	s_and_saveexec_b32 s33, s0
	s_cbranch_execz .LBB42_108
; %bb.107:
	v_add_f64_e64 v[3:4], v[63:64], -v[35:36]
	s_mov_b32 s0, 0x652b82fe
	s_mov_b32 s1, 0x3ff71547
	;; [unrolled: 1-line block ×10, first 2 shown]
	s_wait_alu 0xfffe
	s_delay_alu instid0(VALU_DEP_1) | instskip(SKIP_2) | instid1(VALU_DEP_1)
	v_mul_f64_e32 v[63:64], s[0:1], v[3:4]
	s_mov_b32 s0, 0xfca7ab0c
	s_mov_b32 s1, 0x3e928af3
	v_rndne_f64_e32 v[63:64], v[63:64]
	s_delay_alu instid0(VALU_DEP_1) | instskip(SKIP_2) | instid1(VALU_DEP_2)
	v_fma_f64 v[65:66], v[63:64], s[34:35], v[3:4]
	v_cvt_i32_f64_e32 v0, v[63:64]
	s_mov_b32 s35, 0x3fe62e42
	v_fma_f64 v[65:66], v[63:64], s[38:39], v[65:66]
	s_mov_b32 s39, 0x3c7abc9e
	s_wait_alu 0xfffe
	s_delay_alu instid0(VALU_DEP_1)
	v_fma_f64 v[67:68], v[65:66], s[40:41], s[0:1]
	s_mov_b32 s0, 0x623fde64
	s_mov_b32 s1, 0x3ec71dee
	;; [unrolled: 1-line block ×4, first 2 shown]
	s_wait_alu 0xfffe
	s_delay_alu instid0(VALU_DEP_1) | instskip(SKIP_3) | instid1(VALU_DEP_1)
	v_fma_f64 v[67:68], v[65:66], v[67:68], s[0:1]
	s_mov_b32 s0, 0x7c89e6b0
	s_mov_b32 s1, 0x3efa0199
	s_wait_alu 0xfffe
	v_fma_f64 v[67:68], v[65:66], v[67:68], s[0:1]
	s_mov_b32 s0, 0x14761f6e
	s_mov_b32 s1, 0x3f2a01a0
	s_wait_alu 0xfffe
	s_delay_alu instid0(VALU_DEP_1) | instskip(SKIP_3) | instid1(VALU_DEP_1)
	v_fma_f64 v[67:68], v[65:66], v[67:68], s[0:1]
	s_mov_b32 s0, 0x1852b7b0
	s_mov_b32 s1, 0x3f56c16c
	s_wait_alu 0xfffe
	v_fma_f64 v[67:68], v[65:66], v[67:68], s[0:1]
	s_mov_b32 s0, 0x11122322
	s_mov_b32 s1, 0x3f811111
	;; [unrolled: 9-line block ×3, first 2 shown]
	s_wait_alu 0xfffe
	s_delay_alu instid0(VALU_DEP_1) | instskip(SKIP_3) | instid1(VALU_DEP_1)
	v_fma_f64 v[67:68], v[65:66], v[67:68], s[0:1]
	s_mov_b32 s0, 11
	s_mov_b32 s1, 0x3fe00000
	s_wait_alu 0xfffe
	v_fma_f64 v[67:68], v[65:66], v[67:68], s[0:1]
	v_cmp_nlt_f64_e64 s0, 0x40900000, v[3:4]
	v_cmp_ngt_f64_e64 s1, 0xc090cc00, v[3:4]
	s_delay_alu instid0(VALU_DEP_3) | instskip(NEXT) | instid1(VALU_DEP_1)
	v_fma_f64 v[67:68], v[65:66], v[67:68], 1.0
	v_fma_f64 v[63:64], v[65:66], v[67:68], 1.0
	s_delay_alu instid0(VALU_DEP_1) | instskip(SKIP_1) | instid1(VALU_DEP_1)
	v_ldexp_f64 v[63:64], v[63:64], v0
	s_wait_alu 0xf1ff
	v_cndmask_b32_e64 v0, 0x7ff00000, v64, s0
	s_and_b32 s0, s1, s0
	s_wait_alu 0xfffe
	s_delay_alu instid0(VALU_DEP_2) | instskip(SKIP_3) | instid1(VALU_DEP_1)
	v_cndmask_b32_e64 v3, 0, v63, s0
	s_mov_b32 s0, 0x55555555
	v_cndmask_b32_e64 v4, 0, v0, s1
	s_mov_b32 s1, 0x3fe55555
	v_add_f64_e32 v[63:64], 1.0, v[3:4]
	v_cmp_ngt_f64_e64 s17, -1.0, v[3:4]
	s_delay_alu instid0(VALU_DEP_2) | instskip(SKIP_3) | instid1(VALU_DEP_3)
	v_frexp_mant_f64_e32 v[65:66], v[63:64]
	v_frexp_exp_i32_f64_e32 v0, v[63:64]
	v_add_f64_e32 v[67:68], -1.0, v[63:64]
	s_wait_alu 0xfffe
	v_cmp_gt_f64_e64 s0, s[0:1], v[65:66]
	s_delay_alu instid0(VALU_DEP_2) | instskip(SKIP_2) | instid1(VALU_DEP_3)
	v_add_f64_e64 v[65:66], v[67:68], -v[63:64]
	v_add_f64_e64 v[67:68], v[3:4], -v[67:68]
	s_wait_alu 0xf1ff
	v_subrev_co_ci_u32_e64 v0, null, 0, v0, s0
	s_delay_alu instid0(VALU_DEP_3) | instskip(SKIP_1) | instid1(VALU_DEP_2)
	v_add_f64_e32 v[65:66], 1.0, v[65:66]
	s_mov_b32 s0, 0x55555780
	v_sub_nc_u32_e32 v71, 0, v0
	s_delay_alu instid0(VALU_DEP_1) | instskip(NEXT) | instid1(VALU_DEP_3)
	v_ldexp_f64 v[63:64], v[63:64], v71
	v_add_f64_e32 v[65:66], v[67:68], v[65:66]
	s_wait_dscnt 0x0
	s_delay_alu instid0(VALU_DEP_2) | instskip(SKIP_1) | instid1(VALU_DEP_3)
	v_add_f64_e32 v[69:70], 1.0, v[63:64]
	v_add_f64_e32 v[75:76], -1.0, v[63:64]
	v_ldexp_f64 v[65:66], v[65:66], v71
	s_delay_alu instid0(VALU_DEP_3) | instskip(NEXT) | instid1(VALU_DEP_3)
	v_add_f64_e32 v[67:68], -1.0, v[69:70]
	v_add_f64_e32 v[95:96], 1.0, v[75:76]
	s_delay_alu instid0(VALU_DEP_2) | instskip(NEXT) | instid1(VALU_DEP_2)
	v_add_f64_e64 v[67:68], v[63:64], -v[67:68]
	v_add_f64_e64 v[63:64], v[63:64], -v[95:96]
	s_delay_alu instid0(VALU_DEP_2) | instskip(NEXT) | instid1(VALU_DEP_2)
	v_add_f64_e32 v[67:68], v[65:66], v[67:68]
	v_add_f64_e32 v[63:64], v[65:66], v[63:64]
	s_delay_alu instid0(VALU_DEP_2) | instskip(NEXT) | instid1(VALU_DEP_2)
	v_add_f64_e32 v[71:72], v[69:70], v[67:68]
	v_add_f64_e32 v[95:96], v[75:76], v[63:64]
	s_delay_alu instid0(VALU_DEP_2) | instskip(SKIP_1) | instid1(VALU_DEP_2)
	v_rcp_f64_e32 v[73:74], v[71:72]
	v_add_f64_e64 v[69:70], v[71:72], -v[69:70]
	v_add_f64_e64 v[75:76], v[95:96], -v[75:76]
	s_delay_alu instid0(VALU_DEP_2) | instskip(NEXT) | instid1(TRANS32_DEP_1)
	v_add_f64_e64 v[67:68], v[67:68], -v[69:70]
	v_fma_f64 v[97:98], -v[71:72], v[73:74], 1.0
	s_delay_alu instid0(VALU_DEP_3) | instskip(NEXT) | instid1(VALU_DEP_2)
	v_add_f64_e64 v[63:64], v[63:64], -v[75:76]
	v_fma_f64 v[73:74], v[97:98], v[73:74], v[73:74]
	s_delay_alu instid0(VALU_DEP_1) | instskip(NEXT) | instid1(VALU_DEP_1)
	v_fma_f64 v[65:66], -v[71:72], v[73:74], 1.0
	v_fma_f64 v[65:66], v[65:66], v[73:74], v[73:74]
	s_delay_alu instid0(VALU_DEP_1) | instskip(NEXT) | instid1(VALU_DEP_1)
	v_mul_f64_e32 v[73:74], v[95:96], v[65:66]
	v_mul_f64_e32 v[97:98], v[71:72], v[73:74]
	s_delay_alu instid0(VALU_DEP_1) | instskip(NEXT) | instid1(VALU_DEP_1)
	v_fma_f64 v[69:70], v[73:74], v[71:72], -v[97:98]
	v_fma_f64 v[69:70], v[73:74], v[67:68], v[69:70]
	s_delay_alu instid0(VALU_DEP_1) | instskip(NEXT) | instid1(VALU_DEP_1)
	v_add_f64_e32 v[99:100], v[97:98], v[69:70]
	v_add_f64_e64 v[101:102], v[95:96], -v[99:100]
	v_add_f64_e64 v[75:76], v[99:100], -v[97:98]
	s_delay_alu instid0(VALU_DEP_2) | instskip(NEXT) | instid1(VALU_DEP_2)
	v_add_f64_e64 v[95:96], v[95:96], -v[101:102]
	v_add_f64_e64 v[69:70], v[75:76], -v[69:70]
	s_delay_alu instid0(VALU_DEP_2) | instskip(NEXT) | instid1(VALU_DEP_1)
	v_add_f64_e64 v[95:96], v[95:96], -v[99:100]
	v_add_f64_e32 v[63:64], v[63:64], v[95:96]
	s_delay_alu instid0(VALU_DEP_1) | instskip(NEXT) | instid1(VALU_DEP_1)
	v_add_f64_e32 v[63:64], v[69:70], v[63:64]
	v_add_f64_e32 v[69:70], v[101:102], v[63:64]
	s_delay_alu instid0(VALU_DEP_1) | instskip(SKIP_1) | instid1(VALU_DEP_2)
	v_mul_f64_e32 v[75:76], v[65:66], v[69:70]
	v_add_f64_e64 v[99:100], v[101:102], -v[69:70]
	v_mul_f64_e32 v[95:96], v[71:72], v[75:76]
	s_delay_alu instid0(VALU_DEP_2) | instskip(NEXT) | instid1(VALU_DEP_2)
	v_add_f64_e32 v[63:64], v[63:64], v[99:100]
	v_fma_f64 v[71:72], v[75:76], v[71:72], -v[95:96]
	s_delay_alu instid0(VALU_DEP_1) | instskip(NEXT) | instid1(VALU_DEP_1)
	v_fma_f64 v[67:68], v[75:76], v[67:68], v[71:72]
	v_add_f64_e32 v[71:72], v[95:96], v[67:68]
	s_delay_alu instid0(VALU_DEP_1) | instskip(SKIP_1) | instid1(VALU_DEP_2)
	v_add_f64_e64 v[97:98], v[69:70], -v[71:72]
	v_add_f64_e64 v[95:96], v[71:72], -v[95:96]
	;; [unrolled: 1-line block ×3, first 2 shown]
	s_delay_alu instid0(VALU_DEP_2) | instskip(NEXT) | instid1(VALU_DEP_2)
	v_add_f64_e64 v[67:68], v[95:96], -v[67:68]
	v_add_f64_e64 v[69:70], v[69:70], -v[71:72]
	s_delay_alu instid0(VALU_DEP_1) | instskip(SKIP_1) | instid1(VALU_DEP_2)
	v_add_f64_e32 v[63:64], v[63:64], v[69:70]
	v_add_f64_e32 v[69:70], v[73:74], v[75:76]
	;; [unrolled: 1-line block ×3, first 2 shown]
	s_delay_alu instid0(VALU_DEP_2) | instskip(NEXT) | instid1(VALU_DEP_2)
	v_add_f64_e64 v[67:68], v[69:70], -v[73:74]
	v_add_f64_e32 v[63:64], v[97:98], v[63:64]
	s_delay_alu instid0(VALU_DEP_2) | instskip(NEXT) | instid1(VALU_DEP_2)
	v_add_f64_e64 v[67:68], v[75:76], -v[67:68]
	v_mul_f64_e32 v[63:64], v[65:66], v[63:64]
	s_delay_alu instid0(VALU_DEP_1) | instskip(NEXT) | instid1(VALU_DEP_1)
	v_add_f64_e32 v[63:64], v[67:68], v[63:64]
	v_add_f64_e32 v[65:66], v[69:70], v[63:64]
	s_delay_alu instid0(VALU_DEP_1) | instskip(NEXT) | instid1(VALU_DEP_1)
	v_mul_f64_e32 v[67:68], v[65:66], v[65:66]
	v_fma_f64 v[71:72], v[67:68], s[42:43], s[40:41]
	s_mov_b32 s40, 0xd7f4df2e
	s_mov_b32 s41, 0x3fc7474d
	v_mul_f64_e32 v[73:74], v[65:66], v[67:68]
	s_wait_alu 0xfffe
	s_delay_alu instid0(VALU_DEP_2) | instskip(SKIP_3) | instid1(VALU_DEP_1)
	v_fma_f64 v[71:72], v[67:68], v[71:72], s[40:41]
	s_mov_b32 s40, 0x16291751
	s_mov_b32 s41, 0x3fcc71c0
	s_wait_alu 0xfffe
	v_fma_f64 v[71:72], v[67:68], v[71:72], s[40:41]
	s_mov_b32 s40, 0x9b27acf1
	s_mov_b32 s41, 0x3fd24924
	s_wait_alu 0xfffe
	s_delay_alu instid0(VALU_DEP_1) | instskip(SKIP_3) | instid1(VALU_DEP_1)
	v_fma_f64 v[71:72], v[67:68], v[71:72], s[40:41]
	s_mov_b32 s40, 0x998ef7b6
	s_mov_b32 s41, 0x3fd99999
	s_wait_alu 0xfffe
	v_fma_f64 v[71:72], v[67:68], v[71:72], s[40:41]
	s_delay_alu instid0(VALU_DEP_1)
	v_fma_f64 v[67:68], v[67:68], v[71:72], s[0:1]
	v_ldexp_f64 v[71:72], v[65:66], 1
	v_add_f64_e64 v[65:66], v[65:66], -v[69:70]
	v_cmp_nge_f64_e64 s0, -1.0, v[3:4]
	v_cmp_neq_f64_e64 s1, 0x7ff00000, v[3:4]
	v_mul_f64_e32 v[67:68], v[73:74], v[67:68]
	v_cvt_f64_i32_e32 v[73:74], v0
	v_add_f64_e64 v[63:64], v[63:64], -v[65:66]
	s_and_b32 s0, s0, s1
	s_delay_alu instid0(VALU_DEP_3) | instskip(NEXT) | instid1(VALU_DEP_3)
	v_add_f64_e32 v[69:70], v[71:72], v[67:68]
	v_mul_f64_e32 v[75:76], s[34:35], v[73:74]
	s_delay_alu instid0(VALU_DEP_3) | instskip(NEXT) | instid1(VALU_DEP_3)
	v_ldexp_f64 v[63:64], v[63:64], 1
	v_add_f64_e64 v[65:66], v[69:70], -v[71:72]
	s_delay_alu instid0(VALU_DEP_3) | instskip(NEXT) | instid1(VALU_DEP_2)
	v_fma_f64 v[71:72], v[73:74], s[34:35], -v[75:76]
	v_add_f64_e64 v[65:66], v[67:68], -v[65:66]
	s_delay_alu instid0(VALU_DEP_2) | instskip(NEXT) | instid1(VALU_DEP_2)
	v_fma_f64 v[67:68], v[73:74], s[38:39], v[71:72]
	v_add_f64_e32 v[63:64], v[63:64], v[65:66]
	s_delay_alu instid0(VALU_DEP_2) | instskip(NEXT) | instid1(VALU_DEP_2)
	v_add_f64_e32 v[65:66], v[75:76], v[67:68]
	v_add_f64_e32 v[71:72], v[69:70], v[63:64]
	s_delay_alu instid0(VALU_DEP_2) | instskip(NEXT) | instid1(VALU_DEP_2)
	v_add_f64_e64 v[75:76], v[65:66], -v[75:76]
	v_add_f64_e32 v[73:74], v[65:66], v[71:72]
	v_add_f64_e64 v[69:70], v[71:72], -v[69:70]
	s_delay_alu instid0(VALU_DEP_3) | instskip(NEXT) | instid1(VALU_DEP_3)
	v_add_f64_e64 v[67:68], v[67:68], -v[75:76]
	v_add_f64_e64 v[95:96], v[73:74], -v[65:66]
	s_delay_alu instid0(VALU_DEP_3) | instskip(NEXT) | instid1(VALU_DEP_2)
	v_add_f64_e64 v[63:64], v[63:64], -v[69:70]
	v_add_f64_e64 v[97:98], v[73:74], -v[95:96]
	;; [unrolled: 1-line block ×3, first 2 shown]
	s_delay_alu instid0(VALU_DEP_3) | instskip(NEXT) | instid1(VALU_DEP_3)
	v_add_f64_e32 v[71:72], v[67:68], v[63:64]
	v_add_f64_e64 v[65:66], v[65:66], -v[97:98]
	s_delay_alu instid0(VALU_DEP_1) | instskip(NEXT) | instid1(VALU_DEP_3)
	v_add_f64_e32 v[65:66], v[69:70], v[65:66]
	v_add_f64_e64 v[69:70], v[71:72], -v[67:68]
	s_delay_alu instid0(VALU_DEP_2) | instskip(NEXT) | instid1(VALU_DEP_2)
	v_add_f64_e32 v[65:66], v[71:72], v[65:66]
	v_add_f64_e64 v[71:72], v[71:72], -v[69:70]
	v_add_f64_e64 v[63:64], v[63:64], -v[69:70]
	s_delay_alu instid0(VALU_DEP_3) | instskip(NEXT) | instid1(VALU_DEP_3)
	v_add_f64_e32 v[75:76], v[73:74], v[65:66]
	v_add_f64_e64 v[67:68], v[67:68], -v[71:72]
	s_delay_alu instid0(VALU_DEP_2) | instskip(NEXT) | instid1(VALU_DEP_2)
	v_add_f64_e64 v[69:70], v[75:76], -v[73:74]
	v_add_f64_e32 v[63:64], v[63:64], v[67:68]
	s_delay_alu instid0(VALU_DEP_2) | instskip(NEXT) | instid1(VALU_DEP_1)
	v_add_f64_e64 v[65:66], v[65:66], -v[69:70]
	v_add_f64_e32 v[63:64], v[63:64], v[65:66]
	s_delay_alu instid0(VALU_DEP_1) | instskip(SKIP_1) | instid1(VALU_DEP_1)
	v_add_f64_e32 v[63:64], v[75:76], v[63:64]
	s_wait_alu 0xfffe
	v_cndmask_b32_e64 v63, 0, v63, s0
	v_cmp_neq_f64_e64 s0, -1.0, v[3:4]
	s_delay_alu instid0(VALU_DEP_3) | instskip(NEXT) | instid1(VALU_DEP_1)
	v_cndmask_b32_e64 v0, 0x7ff00000, v64, s1
	v_cndmask_b32_e64 v0, 0x7ff80000, v0, s17
	s_wait_alu 0xf1ff
	s_delay_alu instid0(VALU_DEP_1) | instskip(NEXT) | instid1(VALU_DEP_1)
	v_cndmask_b32_e64 v64, 0xfff00000, v0, s0
	v_add_f64_e32 v[3:4], v[35:36], v[63:64]
.LBB42_108:
	s_wait_alu 0xfffe
	s_or_b32 exec_lo, exec_lo, s33
	s_delay_alu instid0(VALU_DEP_1) | instskip(SKIP_1) | instid1(VALU_DEP_2)
	v_max_num_f64_e32 v[35:36], v[3:4], v[3:4]
	v_cmp_u_f64_e64 s0, v[3:4], v[3:4]
	v_min_num_f64_e32 v[63:64], v[35:36], v[33:34]
	v_max_num_f64_e32 v[33:34], v[35:36], v[33:34]
	s_wait_alu 0xf1ff
	s_delay_alu instid0(VALU_DEP_2) | instskip(NEXT) | instid1(VALU_DEP_3)
	v_cndmask_b32_e64 v0, v63, v3, s0
	v_cndmask_b32_e64 v35, v64, v4, s0
	s_delay_alu instid0(VALU_DEP_3) | instskip(NEXT) | instid1(VALU_DEP_4)
	v_cndmask_b32_e64 v34, v34, v4, s0
	v_cndmask_b32_e64 v33, v33, v3, s0
	s_delay_alu instid0(VALU_DEP_3) | instskip(SKIP_1) | instid1(VALU_DEP_4)
	v_cndmask_b32_e64 v36, v35, v30, s18
	v_cndmask_b32_e64 v35, v0, v29, s18
	;; [unrolled: 1-line block ×3, first 2 shown]
	s_delay_alu instid0(VALU_DEP_4) | instskip(SKIP_1) | instid1(VALU_DEP_4)
	v_cndmask_b32_e64 v33, v33, v29, s18
	v_dual_mov_b32 v30, v4 :: v_dual_mov_b32 v29, v3
	v_cmp_class_f64_e64 s1, v[35:36], 0x1f8
	s_delay_alu instid0(VALU_DEP_3)
	v_cmp_neq_f64_e64 s0, v[35:36], v[33:34]
	s_or_b32 s0, s0, s1
	s_wait_alu 0xfffe
	s_and_saveexec_b32 s18, s0
	s_cbranch_execz .LBB42_110
; %bb.109:
	v_add_f64_e64 v[29:30], v[35:36], -v[33:34]
	s_mov_b32 s0, 0x652b82fe
	s_mov_b32 s1, 0x3ff71547
	;; [unrolled: 1-line block ×10, first 2 shown]
	s_wait_alu 0xfffe
	s_delay_alu instid0(VALU_DEP_1) | instskip(SKIP_2) | instid1(VALU_DEP_1)
	v_mul_f64_e32 v[35:36], s[0:1], v[29:30]
	s_mov_b32 s0, 0xfca7ab0c
	s_mov_b32 s1, 0x3e928af3
	v_rndne_f64_e32 v[35:36], v[35:36]
	s_delay_alu instid0(VALU_DEP_1) | instskip(SKIP_2) | instid1(VALU_DEP_2)
	v_fma_f64 v[63:64], v[35:36], s[34:35], v[29:30]
	v_cvt_i32_f64_e32 v0, v[35:36]
	s_mov_b32 s35, 0x3fe62e42
	v_fma_f64 v[63:64], v[35:36], s[38:39], v[63:64]
	s_mov_b32 s39, 0x3c7abc9e
	s_wait_alu 0xfffe
	s_delay_alu instid0(VALU_DEP_1)
	v_fma_f64 v[65:66], v[63:64], s[40:41], s[0:1]
	s_mov_b32 s0, 0x623fde64
	s_mov_b32 s1, 0x3ec71dee
	;; [unrolled: 1-line block ×4, first 2 shown]
	s_wait_alu 0xfffe
	s_delay_alu instid0(VALU_DEP_1) | instskip(SKIP_3) | instid1(VALU_DEP_1)
	v_fma_f64 v[65:66], v[63:64], v[65:66], s[0:1]
	s_mov_b32 s0, 0x7c89e6b0
	s_mov_b32 s1, 0x3efa0199
	s_wait_alu 0xfffe
	v_fma_f64 v[65:66], v[63:64], v[65:66], s[0:1]
	s_mov_b32 s0, 0x14761f6e
	s_mov_b32 s1, 0x3f2a01a0
	s_wait_alu 0xfffe
	s_delay_alu instid0(VALU_DEP_1) | instskip(SKIP_3) | instid1(VALU_DEP_1)
	v_fma_f64 v[65:66], v[63:64], v[65:66], s[0:1]
	s_mov_b32 s0, 0x1852b7b0
	s_mov_b32 s1, 0x3f56c16c
	s_wait_alu 0xfffe
	v_fma_f64 v[65:66], v[63:64], v[65:66], s[0:1]
	s_mov_b32 s0, 0x11122322
	s_mov_b32 s1, 0x3f811111
	;; [unrolled: 9-line block ×3, first 2 shown]
	s_wait_alu 0xfffe
	s_delay_alu instid0(VALU_DEP_1) | instskip(SKIP_3) | instid1(VALU_DEP_1)
	v_fma_f64 v[65:66], v[63:64], v[65:66], s[0:1]
	s_mov_b32 s0, 11
	s_mov_b32 s1, 0x3fe00000
	s_wait_alu 0xfffe
	v_fma_f64 v[65:66], v[63:64], v[65:66], s[0:1]
	v_cmp_nlt_f64_e64 s0, 0x40900000, v[29:30]
	v_cmp_ngt_f64_e64 s1, 0xc090cc00, v[29:30]
	s_delay_alu instid0(VALU_DEP_3) | instskip(NEXT) | instid1(VALU_DEP_1)
	v_fma_f64 v[65:66], v[63:64], v[65:66], 1.0
	v_fma_f64 v[35:36], v[63:64], v[65:66], 1.0
	s_delay_alu instid0(VALU_DEP_1) | instskip(SKIP_1) | instid1(VALU_DEP_1)
	v_ldexp_f64 v[35:36], v[35:36], v0
	s_wait_alu 0xf1ff
	v_cndmask_b32_e64 v0, 0x7ff00000, v36, s0
	s_and_b32 s0, s1, s0
	s_wait_alu 0xfffe
	s_delay_alu instid0(VALU_DEP_2) | instskip(SKIP_3) | instid1(VALU_DEP_1)
	v_cndmask_b32_e64 v29, 0, v35, s0
	s_mov_b32 s0, 0x55555555
	v_cndmask_b32_e64 v30, 0, v0, s1
	s_mov_b32 s1, 0x3fe55555
	v_add_f64_e32 v[35:36], 1.0, v[29:30]
	v_cmp_ngt_f64_e64 s17, -1.0, v[29:30]
	s_delay_alu instid0(VALU_DEP_2) | instskip(SKIP_3) | instid1(VALU_DEP_3)
	v_frexp_mant_f64_e32 v[63:64], v[35:36]
	v_frexp_exp_i32_f64_e32 v0, v[35:36]
	v_add_f64_e32 v[65:66], -1.0, v[35:36]
	s_wait_alu 0xfffe
	v_cmp_gt_f64_e64 s0, s[0:1], v[63:64]
	s_delay_alu instid0(VALU_DEP_2) | instskip(SKIP_2) | instid1(VALU_DEP_3)
	v_add_f64_e64 v[63:64], v[65:66], -v[35:36]
	v_add_f64_e64 v[65:66], v[29:30], -v[65:66]
	s_wait_alu 0xf1ff
	v_subrev_co_ci_u32_e64 v0, null, 0, v0, s0
	s_delay_alu instid0(VALU_DEP_3) | instskip(SKIP_2) | instid1(VALU_DEP_2)
	v_add_f64_e32 v[63:64], 1.0, v[63:64]
	s_mov_b32 s0, 0x55555780
	s_wait_dscnt 0x1
	v_sub_nc_u32_e32 v69, 0, v0
	s_delay_alu instid0(VALU_DEP_1) | instskip(NEXT) | instid1(VALU_DEP_3)
	v_ldexp_f64 v[35:36], v[35:36], v69
	v_add_f64_e32 v[63:64], v[65:66], v[63:64]
	s_delay_alu instid0(VALU_DEP_2) | instskip(SKIP_1) | instid1(VALU_DEP_3)
	v_add_f64_e32 v[67:68], 1.0, v[35:36]
	v_add_f64_e32 v[73:74], -1.0, v[35:36]
	v_ldexp_f64 v[63:64], v[63:64], v69
	s_delay_alu instid0(VALU_DEP_3) | instskip(NEXT) | instid1(VALU_DEP_3)
	v_add_f64_e32 v[65:66], -1.0, v[67:68]
	v_add_f64_e32 v[75:76], 1.0, v[73:74]
	s_delay_alu instid0(VALU_DEP_2) | instskip(NEXT) | instid1(VALU_DEP_2)
	v_add_f64_e64 v[65:66], v[35:36], -v[65:66]
	v_add_f64_e64 v[35:36], v[35:36], -v[75:76]
	s_delay_alu instid0(VALU_DEP_2) | instskip(NEXT) | instid1(VALU_DEP_2)
	v_add_f64_e32 v[65:66], v[63:64], v[65:66]
	v_add_f64_e32 v[35:36], v[63:64], v[35:36]
	s_wait_dscnt 0x0
	s_delay_alu instid0(VALU_DEP_2) | instskip(NEXT) | instid1(VALU_DEP_2)
	v_add_f64_e32 v[69:70], v[67:68], v[65:66]
	v_add_f64_e32 v[75:76], v[73:74], v[35:36]
	s_delay_alu instid0(VALU_DEP_2) | instskip(SKIP_1) | instid1(VALU_DEP_2)
	v_rcp_f64_e32 v[71:72], v[69:70]
	v_add_f64_e64 v[67:68], v[69:70], -v[67:68]
	v_add_f64_e64 v[73:74], v[75:76], -v[73:74]
	s_delay_alu instid0(VALU_DEP_2) | instskip(NEXT) | instid1(TRANS32_DEP_1)
	v_add_f64_e64 v[65:66], v[65:66], -v[67:68]
	v_fma_f64 v[95:96], -v[69:70], v[71:72], 1.0
	s_delay_alu instid0(VALU_DEP_3) | instskip(NEXT) | instid1(VALU_DEP_2)
	v_add_f64_e64 v[35:36], v[35:36], -v[73:74]
	v_fma_f64 v[71:72], v[95:96], v[71:72], v[71:72]
	s_delay_alu instid0(VALU_DEP_1) | instskip(NEXT) | instid1(VALU_DEP_1)
	v_fma_f64 v[63:64], -v[69:70], v[71:72], 1.0
	v_fma_f64 v[63:64], v[63:64], v[71:72], v[71:72]
	s_delay_alu instid0(VALU_DEP_1) | instskip(NEXT) | instid1(VALU_DEP_1)
	v_mul_f64_e32 v[71:72], v[75:76], v[63:64]
	v_mul_f64_e32 v[95:96], v[69:70], v[71:72]
	s_delay_alu instid0(VALU_DEP_1) | instskip(NEXT) | instid1(VALU_DEP_1)
	v_fma_f64 v[67:68], v[71:72], v[69:70], -v[95:96]
	v_fma_f64 v[67:68], v[71:72], v[65:66], v[67:68]
	s_delay_alu instid0(VALU_DEP_1) | instskip(NEXT) | instid1(VALU_DEP_1)
	v_add_f64_e32 v[97:98], v[95:96], v[67:68]
	v_add_f64_e64 v[99:100], v[75:76], -v[97:98]
	v_add_f64_e64 v[73:74], v[97:98], -v[95:96]
	s_delay_alu instid0(VALU_DEP_2) | instskip(NEXT) | instid1(VALU_DEP_2)
	v_add_f64_e64 v[75:76], v[75:76], -v[99:100]
	v_add_f64_e64 v[67:68], v[73:74], -v[67:68]
	s_delay_alu instid0(VALU_DEP_2) | instskip(NEXT) | instid1(VALU_DEP_1)
	v_add_f64_e64 v[75:76], v[75:76], -v[97:98]
	v_add_f64_e32 v[35:36], v[35:36], v[75:76]
	s_delay_alu instid0(VALU_DEP_1) | instskip(NEXT) | instid1(VALU_DEP_1)
	v_add_f64_e32 v[35:36], v[67:68], v[35:36]
	v_add_f64_e32 v[67:68], v[99:100], v[35:36]
	s_delay_alu instid0(VALU_DEP_1) | instskip(SKIP_1) | instid1(VALU_DEP_2)
	v_mul_f64_e32 v[73:74], v[63:64], v[67:68]
	v_add_f64_e64 v[97:98], v[99:100], -v[67:68]
	v_mul_f64_e32 v[75:76], v[69:70], v[73:74]
	s_delay_alu instid0(VALU_DEP_2) | instskip(NEXT) | instid1(VALU_DEP_2)
	v_add_f64_e32 v[35:36], v[35:36], v[97:98]
	v_fma_f64 v[69:70], v[73:74], v[69:70], -v[75:76]
	s_delay_alu instid0(VALU_DEP_1) | instskip(NEXT) | instid1(VALU_DEP_1)
	v_fma_f64 v[65:66], v[73:74], v[65:66], v[69:70]
	v_add_f64_e32 v[69:70], v[75:76], v[65:66]
	s_delay_alu instid0(VALU_DEP_1) | instskip(SKIP_1) | instid1(VALU_DEP_2)
	v_add_f64_e64 v[95:96], v[67:68], -v[69:70]
	v_add_f64_e64 v[75:76], v[69:70], -v[75:76]
	;; [unrolled: 1-line block ×3, first 2 shown]
	s_delay_alu instid0(VALU_DEP_2) | instskip(NEXT) | instid1(VALU_DEP_2)
	v_add_f64_e64 v[65:66], v[75:76], -v[65:66]
	v_add_f64_e64 v[67:68], v[67:68], -v[69:70]
	s_delay_alu instid0(VALU_DEP_1) | instskip(SKIP_1) | instid1(VALU_DEP_2)
	v_add_f64_e32 v[35:36], v[35:36], v[67:68]
	v_add_f64_e32 v[67:68], v[71:72], v[73:74]
	;; [unrolled: 1-line block ×3, first 2 shown]
	s_delay_alu instid0(VALU_DEP_2) | instskip(NEXT) | instid1(VALU_DEP_2)
	v_add_f64_e64 v[65:66], v[67:68], -v[71:72]
	v_add_f64_e32 v[35:36], v[95:96], v[35:36]
	s_delay_alu instid0(VALU_DEP_2) | instskip(NEXT) | instid1(VALU_DEP_2)
	v_add_f64_e64 v[65:66], v[73:74], -v[65:66]
	v_mul_f64_e32 v[35:36], v[63:64], v[35:36]
	s_delay_alu instid0(VALU_DEP_1) | instskip(NEXT) | instid1(VALU_DEP_1)
	v_add_f64_e32 v[35:36], v[65:66], v[35:36]
	v_add_f64_e32 v[63:64], v[67:68], v[35:36]
	s_delay_alu instid0(VALU_DEP_1) | instskip(NEXT) | instid1(VALU_DEP_1)
	v_mul_f64_e32 v[65:66], v[63:64], v[63:64]
	v_fma_f64 v[69:70], v[65:66], s[42:43], s[40:41]
	s_mov_b32 s40, 0xd7f4df2e
	s_mov_b32 s41, 0x3fc7474d
	v_mul_f64_e32 v[71:72], v[63:64], v[65:66]
	s_wait_alu 0xfffe
	s_delay_alu instid0(VALU_DEP_2) | instskip(SKIP_3) | instid1(VALU_DEP_1)
	v_fma_f64 v[69:70], v[65:66], v[69:70], s[40:41]
	s_mov_b32 s40, 0x16291751
	s_mov_b32 s41, 0x3fcc71c0
	s_wait_alu 0xfffe
	v_fma_f64 v[69:70], v[65:66], v[69:70], s[40:41]
	s_mov_b32 s40, 0x9b27acf1
	s_mov_b32 s41, 0x3fd24924
	s_wait_alu 0xfffe
	s_delay_alu instid0(VALU_DEP_1) | instskip(SKIP_3) | instid1(VALU_DEP_1)
	v_fma_f64 v[69:70], v[65:66], v[69:70], s[40:41]
	s_mov_b32 s40, 0x998ef7b6
	s_mov_b32 s41, 0x3fd99999
	s_wait_alu 0xfffe
	v_fma_f64 v[69:70], v[65:66], v[69:70], s[40:41]
	s_delay_alu instid0(VALU_DEP_1)
	v_fma_f64 v[65:66], v[65:66], v[69:70], s[0:1]
	v_ldexp_f64 v[69:70], v[63:64], 1
	v_add_f64_e64 v[63:64], v[63:64], -v[67:68]
	v_cmp_nge_f64_e64 s0, -1.0, v[29:30]
	v_cmp_neq_f64_e64 s1, 0x7ff00000, v[29:30]
	v_mul_f64_e32 v[65:66], v[71:72], v[65:66]
	v_cvt_f64_i32_e32 v[71:72], v0
	v_add_f64_e64 v[35:36], v[35:36], -v[63:64]
	s_and_b32 s0, s0, s1
	s_delay_alu instid0(VALU_DEP_3) | instskip(NEXT) | instid1(VALU_DEP_3)
	v_add_f64_e32 v[67:68], v[69:70], v[65:66]
	v_mul_f64_e32 v[73:74], s[34:35], v[71:72]
	s_delay_alu instid0(VALU_DEP_3) | instskip(NEXT) | instid1(VALU_DEP_3)
	v_ldexp_f64 v[35:36], v[35:36], 1
	v_add_f64_e64 v[63:64], v[67:68], -v[69:70]
	s_delay_alu instid0(VALU_DEP_3) | instskip(NEXT) | instid1(VALU_DEP_2)
	v_fma_f64 v[69:70], v[71:72], s[34:35], -v[73:74]
	v_add_f64_e64 v[63:64], v[65:66], -v[63:64]
	s_delay_alu instid0(VALU_DEP_2) | instskip(NEXT) | instid1(VALU_DEP_2)
	v_fma_f64 v[65:66], v[71:72], s[38:39], v[69:70]
	v_add_f64_e32 v[35:36], v[35:36], v[63:64]
	s_delay_alu instid0(VALU_DEP_2) | instskip(NEXT) | instid1(VALU_DEP_2)
	v_add_f64_e32 v[63:64], v[73:74], v[65:66]
	v_add_f64_e32 v[69:70], v[67:68], v[35:36]
	s_delay_alu instid0(VALU_DEP_2) | instskip(NEXT) | instid1(VALU_DEP_2)
	v_add_f64_e64 v[73:74], v[63:64], -v[73:74]
	v_add_f64_e32 v[71:72], v[63:64], v[69:70]
	v_add_f64_e64 v[67:68], v[69:70], -v[67:68]
	s_delay_alu instid0(VALU_DEP_3) | instskip(NEXT) | instid1(VALU_DEP_3)
	v_add_f64_e64 v[65:66], v[65:66], -v[73:74]
	v_add_f64_e64 v[75:76], v[71:72], -v[63:64]
	s_delay_alu instid0(VALU_DEP_3) | instskip(NEXT) | instid1(VALU_DEP_2)
	v_add_f64_e64 v[35:36], v[35:36], -v[67:68]
	v_add_f64_e64 v[95:96], v[71:72], -v[75:76]
	;; [unrolled: 1-line block ×3, first 2 shown]
	s_delay_alu instid0(VALU_DEP_3) | instskip(NEXT) | instid1(VALU_DEP_3)
	v_add_f64_e32 v[69:70], v[65:66], v[35:36]
	v_add_f64_e64 v[63:64], v[63:64], -v[95:96]
	s_delay_alu instid0(VALU_DEP_1) | instskip(NEXT) | instid1(VALU_DEP_3)
	v_add_f64_e32 v[63:64], v[67:68], v[63:64]
	v_add_f64_e64 v[67:68], v[69:70], -v[65:66]
	s_delay_alu instid0(VALU_DEP_2) | instskip(NEXT) | instid1(VALU_DEP_2)
	v_add_f64_e32 v[63:64], v[69:70], v[63:64]
	v_add_f64_e64 v[69:70], v[69:70], -v[67:68]
	v_add_f64_e64 v[35:36], v[35:36], -v[67:68]
	s_delay_alu instid0(VALU_DEP_3) | instskip(NEXT) | instid1(VALU_DEP_3)
	v_add_f64_e32 v[73:74], v[71:72], v[63:64]
	v_add_f64_e64 v[65:66], v[65:66], -v[69:70]
	s_delay_alu instid0(VALU_DEP_2) | instskip(NEXT) | instid1(VALU_DEP_2)
	v_add_f64_e64 v[67:68], v[73:74], -v[71:72]
	v_add_f64_e32 v[35:36], v[35:36], v[65:66]
	s_delay_alu instid0(VALU_DEP_2) | instskip(NEXT) | instid1(VALU_DEP_1)
	v_add_f64_e64 v[63:64], v[63:64], -v[67:68]
	v_add_f64_e32 v[35:36], v[35:36], v[63:64]
	s_delay_alu instid0(VALU_DEP_1) | instskip(SKIP_1) | instid1(VALU_DEP_1)
	v_add_f64_e32 v[35:36], v[73:74], v[35:36]
	s_wait_alu 0xfffe
	v_cndmask_b32_e64 v35, 0, v35, s0
	v_cmp_neq_f64_e64 s0, -1.0, v[29:30]
	s_delay_alu instid0(VALU_DEP_3) | instskip(NEXT) | instid1(VALU_DEP_1)
	v_cndmask_b32_e64 v0, 0x7ff00000, v36, s1
	v_cndmask_b32_e64 v0, 0x7ff80000, v0, s17
	s_wait_alu 0xf1ff
	s_delay_alu instid0(VALU_DEP_1) | instskip(NEXT) | instid1(VALU_DEP_1)
	v_cndmask_b32_e64 v36, 0xfff00000, v0, s0
	v_add_f64_e32 v[29:30], v[33:34], v[35:36]
.LBB42_110:
	s_wait_alu 0xfffe
	s_or_b32 exec_lo, exec_lo, s18
	s_delay_alu instid0(VALU_DEP_1) | instskip(SKIP_1) | instid1(VALU_DEP_2)
	v_max_num_f64_e32 v[33:34], v[29:30], v[29:30]
	v_cmp_u_f64_e64 s0, v[29:30], v[29:30]
	v_min_num_f64_e32 v[35:36], v[33:34], v[37:38]
	v_max_num_f64_e32 v[33:34], v[33:34], v[37:38]
	s_wait_alu 0xf1ff
	s_delay_alu instid0(VALU_DEP_2) | instskip(NEXT) | instid1(VALU_DEP_3)
	v_cndmask_b32_e64 v0, v35, v29, s0
	v_cndmask_b32_e64 v35, v36, v30, s0
	s_delay_alu instid0(VALU_DEP_3) | instskip(NEXT) | instid1(VALU_DEP_4)
	v_cndmask_b32_e64 v34, v34, v30, s0
	v_cndmask_b32_e64 v33, v33, v29, s0
	s_delay_alu instid0(VALU_DEP_3) | instskip(SKIP_1) | instid1(VALU_DEP_4)
	v_cndmask_b32_e64 v36, v35, v32, s19
	v_cndmask_b32_e64 v35, v0, v31, s19
	;; [unrolled: 1-line block ×3, first 2 shown]
	s_delay_alu instid0(VALU_DEP_4) | instskip(SKIP_1) | instid1(VALU_DEP_4)
	v_cndmask_b32_e64 v33, v33, v31, s19
	v_dual_mov_b32 v32, v30 :: v_dual_mov_b32 v31, v29
	v_cmp_class_f64_e64 s1, v[35:36], 0x1f8
	s_delay_alu instid0(VALU_DEP_3)
	v_cmp_neq_f64_e64 s0, v[35:36], v[33:34]
	s_or_b32 s0, s0, s1
	s_wait_alu 0xfffe
	s_and_saveexec_b32 s33, s0
	s_cbranch_execz .LBB42_112
; %bb.111:
	v_add_f64_e64 v[31:32], v[35:36], -v[33:34]
	s_mov_b32 s0, 0x652b82fe
	s_mov_b32 s1, 0x3ff71547
	;; [unrolled: 1-line block ×10, first 2 shown]
	s_wait_alu 0xfffe
	s_delay_alu instid0(VALU_DEP_1) | instskip(SKIP_2) | instid1(VALU_DEP_1)
	v_mul_f64_e32 v[35:36], s[0:1], v[31:32]
	s_mov_b32 s0, 0xfca7ab0c
	s_mov_b32 s1, 0x3e928af3
	v_rndne_f64_e32 v[35:36], v[35:36]
	s_delay_alu instid0(VALU_DEP_1) | instskip(SKIP_2) | instid1(VALU_DEP_2)
	v_fma_f64 v[37:38], v[35:36], s[18:19], v[31:32]
	v_cvt_i32_f64_e32 v0, v[35:36]
	s_mov_b32 s19, 0x3fe62e42
	v_fma_f64 v[37:38], v[35:36], s[34:35], v[37:38]
	s_mov_b32 s35, 0x3c7abc9e
	s_wait_alu 0xfffe
	s_delay_alu instid0(VALU_DEP_1)
	v_fma_f64 v[63:64], v[37:38], s[38:39], s[0:1]
	s_mov_b32 s0, 0x623fde64
	s_mov_b32 s1, 0x3ec71dee
	;; [unrolled: 1-line block ×4, first 2 shown]
	s_wait_alu 0xfffe
	s_delay_alu instid0(VALU_DEP_1) | instskip(SKIP_3) | instid1(VALU_DEP_1)
	v_fma_f64 v[63:64], v[37:38], v[63:64], s[0:1]
	s_mov_b32 s0, 0x7c89e6b0
	s_mov_b32 s1, 0x3efa0199
	s_wait_alu 0xfffe
	v_fma_f64 v[63:64], v[37:38], v[63:64], s[0:1]
	s_mov_b32 s0, 0x14761f6e
	s_mov_b32 s1, 0x3f2a01a0
	s_wait_alu 0xfffe
	s_delay_alu instid0(VALU_DEP_1) | instskip(SKIP_3) | instid1(VALU_DEP_1)
	v_fma_f64 v[63:64], v[37:38], v[63:64], s[0:1]
	s_mov_b32 s0, 0x1852b7b0
	s_mov_b32 s1, 0x3f56c16c
	s_wait_alu 0xfffe
	v_fma_f64 v[63:64], v[37:38], v[63:64], s[0:1]
	s_mov_b32 s0, 0x11122322
	s_mov_b32 s1, 0x3f811111
	;; [unrolled: 9-line block ×3, first 2 shown]
	s_wait_alu 0xfffe
	s_delay_alu instid0(VALU_DEP_1) | instskip(SKIP_3) | instid1(VALU_DEP_1)
	v_fma_f64 v[63:64], v[37:38], v[63:64], s[0:1]
	s_mov_b32 s0, 11
	s_mov_b32 s1, 0x3fe00000
	s_wait_alu 0xfffe
	v_fma_f64 v[63:64], v[37:38], v[63:64], s[0:1]
	v_cmp_nlt_f64_e64 s0, 0x40900000, v[31:32]
	v_cmp_ngt_f64_e64 s1, 0xc090cc00, v[31:32]
	s_delay_alu instid0(VALU_DEP_3) | instskip(NEXT) | instid1(VALU_DEP_1)
	v_fma_f64 v[63:64], v[37:38], v[63:64], 1.0
	v_fma_f64 v[35:36], v[37:38], v[63:64], 1.0
	s_delay_alu instid0(VALU_DEP_1) | instskip(SKIP_1) | instid1(VALU_DEP_1)
	v_ldexp_f64 v[35:36], v[35:36], v0
	s_wait_alu 0xf1ff
	v_cndmask_b32_e64 v0, 0x7ff00000, v36, s0
	s_and_b32 s0, s1, s0
	s_wait_alu 0xfffe
	s_delay_alu instid0(VALU_DEP_2) | instskip(SKIP_3) | instid1(VALU_DEP_1)
	v_cndmask_b32_e64 v31, 0, v35, s0
	s_mov_b32 s0, 0x55555555
	v_cndmask_b32_e64 v32, 0, v0, s1
	s_mov_b32 s1, 0x3fe55555
	v_add_f64_e32 v[35:36], 1.0, v[31:32]
	v_cmp_ngt_f64_e64 s17, -1.0, v[31:32]
	s_delay_alu instid0(VALU_DEP_2) | instskip(SKIP_3) | instid1(VALU_DEP_3)
	v_frexp_mant_f64_e32 v[37:38], v[35:36]
	v_frexp_exp_i32_f64_e32 v0, v[35:36]
	v_add_f64_e32 v[63:64], -1.0, v[35:36]
	s_wait_alu 0xfffe
	v_cmp_gt_f64_e64 s0, s[0:1], v[37:38]
	s_delay_alu instid0(VALU_DEP_2) | instskip(SKIP_2) | instid1(VALU_DEP_3)
	v_add_f64_e64 v[37:38], v[63:64], -v[35:36]
	v_add_f64_e64 v[63:64], v[31:32], -v[63:64]
	s_wait_alu 0xf1ff
	v_subrev_co_ci_u32_e64 v0, null, 0, v0, s0
	s_delay_alu instid0(VALU_DEP_3) | instskip(SKIP_1) | instid1(VALU_DEP_2)
	v_add_f64_e32 v[37:38], 1.0, v[37:38]
	s_mov_b32 s0, 0x55555780
	v_sub_nc_u32_e32 v67, 0, v0
	s_delay_alu instid0(VALU_DEP_1) | instskip(NEXT) | instid1(VALU_DEP_3)
	v_ldexp_f64 v[35:36], v[35:36], v67
	v_add_f64_e32 v[37:38], v[63:64], v[37:38]
	s_delay_alu instid0(VALU_DEP_2) | instskip(SKIP_1) | instid1(VALU_DEP_3)
	v_add_f64_e32 v[65:66], 1.0, v[35:36]
	v_add_f64_e32 v[71:72], -1.0, v[35:36]
	v_ldexp_f64 v[37:38], v[37:38], v67
	s_delay_alu instid0(VALU_DEP_3) | instskip(NEXT) | instid1(VALU_DEP_3)
	v_add_f64_e32 v[63:64], -1.0, v[65:66]
	v_add_f64_e32 v[73:74], 1.0, v[71:72]
	s_delay_alu instid0(VALU_DEP_2) | instskip(NEXT) | instid1(VALU_DEP_2)
	v_add_f64_e64 v[63:64], v[35:36], -v[63:64]
	v_add_f64_e64 v[35:36], v[35:36], -v[73:74]
	s_delay_alu instid0(VALU_DEP_2) | instskip(NEXT) | instid1(VALU_DEP_2)
	v_add_f64_e32 v[63:64], v[37:38], v[63:64]
	v_add_f64_e32 v[35:36], v[37:38], v[35:36]
	s_delay_alu instid0(VALU_DEP_2) | instskip(NEXT) | instid1(VALU_DEP_2)
	v_add_f64_e32 v[67:68], v[65:66], v[63:64]
	v_add_f64_e32 v[73:74], v[71:72], v[35:36]
	s_wait_dscnt 0x0
	s_delay_alu instid0(VALU_DEP_2) | instskip(SKIP_1) | instid1(VALU_DEP_2)
	v_rcp_f64_e32 v[69:70], v[67:68]
	v_add_f64_e64 v[65:66], v[67:68], -v[65:66]
	v_add_f64_e64 v[71:72], v[73:74], -v[71:72]
	s_delay_alu instid0(VALU_DEP_2) | instskip(NEXT) | instid1(TRANS32_DEP_1)
	v_add_f64_e64 v[63:64], v[63:64], -v[65:66]
	v_fma_f64 v[75:76], -v[67:68], v[69:70], 1.0
	s_delay_alu instid0(VALU_DEP_3) | instskip(NEXT) | instid1(VALU_DEP_2)
	v_add_f64_e64 v[35:36], v[35:36], -v[71:72]
	v_fma_f64 v[69:70], v[75:76], v[69:70], v[69:70]
	s_delay_alu instid0(VALU_DEP_1) | instskip(NEXT) | instid1(VALU_DEP_1)
	v_fma_f64 v[37:38], -v[67:68], v[69:70], 1.0
	v_fma_f64 v[37:38], v[37:38], v[69:70], v[69:70]
	s_delay_alu instid0(VALU_DEP_1) | instskip(NEXT) | instid1(VALU_DEP_1)
	v_mul_f64_e32 v[69:70], v[73:74], v[37:38]
	v_mul_f64_e32 v[75:76], v[67:68], v[69:70]
	s_delay_alu instid0(VALU_DEP_1) | instskip(NEXT) | instid1(VALU_DEP_1)
	v_fma_f64 v[65:66], v[69:70], v[67:68], -v[75:76]
	v_fma_f64 v[65:66], v[69:70], v[63:64], v[65:66]
	s_delay_alu instid0(VALU_DEP_1) | instskip(NEXT) | instid1(VALU_DEP_1)
	v_add_f64_e32 v[95:96], v[75:76], v[65:66]
	v_add_f64_e64 v[97:98], v[73:74], -v[95:96]
	v_add_f64_e64 v[71:72], v[95:96], -v[75:76]
	s_delay_alu instid0(VALU_DEP_2) | instskip(NEXT) | instid1(VALU_DEP_2)
	v_add_f64_e64 v[73:74], v[73:74], -v[97:98]
	v_add_f64_e64 v[65:66], v[71:72], -v[65:66]
	s_delay_alu instid0(VALU_DEP_2) | instskip(NEXT) | instid1(VALU_DEP_1)
	v_add_f64_e64 v[73:74], v[73:74], -v[95:96]
	v_add_f64_e32 v[35:36], v[35:36], v[73:74]
	s_delay_alu instid0(VALU_DEP_1) | instskip(NEXT) | instid1(VALU_DEP_1)
	v_add_f64_e32 v[35:36], v[65:66], v[35:36]
	v_add_f64_e32 v[65:66], v[97:98], v[35:36]
	s_delay_alu instid0(VALU_DEP_1) | instskip(SKIP_1) | instid1(VALU_DEP_2)
	v_mul_f64_e32 v[71:72], v[37:38], v[65:66]
	v_add_f64_e64 v[95:96], v[97:98], -v[65:66]
	v_mul_f64_e32 v[73:74], v[67:68], v[71:72]
	s_delay_alu instid0(VALU_DEP_2) | instskip(NEXT) | instid1(VALU_DEP_2)
	v_add_f64_e32 v[35:36], v[35:36], v[95:96]
	v_fma_f64 v[67:68], v[71:72], v[67:68], -v[73:74]
	s_delay_alu instid0(VALU_DEP_1) | instskip(NEXT) | instid1(VALU_DEP_1)
	v_fma_f64 v[63:64], v[71:72], v[63:64], v[67:68]
	v_add_f64_e32 v[67:68], v[73:74], v[63:64]
	s_delay_alu instid0(VALU_DEP_1) | instskip(SKIP_1) | instid1(VALU_DEP_2)
	v_add_f64_e64 v[75:76], v[65:66], -v[67:68]
	v_add_f64_e64 v[73:74], v[67:68], -v[73:74]
	;; [unrolled: 1-line block ×3, first 2 shown]
	s_delay_alu instid0(VALU_DEP_2) | instskip(NEXT) | instid1(VALU_DEP_2)
	v_add_f64_e64 v[63:64], v[73:74], -v[63:64]
	v_add_f64_e64 v[65:66], v[65:66], -v[67:68]
	s_delay_alu instid0(VALU_DEP_1) | instskip(SKIP_1) | instid1(VALU_DEP_2)
	v_add_f64_e32 v[35:36], v[35:36], v[65:66]
	v_add_f64_e32 v[65:66], v[69:70], v[71:72]
	;; [unrolled: 1-line block ×3, first 2 shown]
	s_delay_alu instid0(VALU_DEP_2) | instskip(NEXT) | instid1(VALU_DEP_2)
	v_add_f64_e64 v[63:64], v[65:66], -v[69:70]
	v_add_f64_e32 v[35:36], v[75:76], v[35:36]
	s_delay_alu instid0(VALU_DEP_2) | instskip(NEXT) | instid1(VALU_DEP_2)
	v_add_f64_e64 v[63:64], v[71:72], -v[63:64]
	v_mul_f64_e32 v[35:36], v[37:38], v[35:36]
	s_delay_alu instid0(VALU_DEP_1) | instskip(NEXT) | instid1(VALU_DEP_1)
	v_add_f64_e32 v[35:36], v[63:64], v[35:36]
	v_add_f64_e32 v[37:38], v[65:66], v[35:36]
	s_delay_alu instid0(VALU_DEP_1) | instskip(NEXT) | instid1(VALU_DEP_1)
	v_mul_f64_e32 v[63:64], v[37:38], v[37:38]
	v_fma_f64 v[67:68], v[63:64], s[40:41], s[38:39]
	s_mov_b32 s38, 0xd7f4df2e
	s_mov_b32 s39, 0x3fc7474d
	v_mul_f64_e32 v[69:70], v[37:38], v[63:64]
	s_wait_alu 0xfffe
	s_delay_alu instid0(VALU_DEP_2) | instskip(SKIP_3) | instid1(VALU_DEP_1)
	v_fma_f64 v[67:68], v[63:64], v[67:68], s[38:39]
	s_mov_b32 s38, 0x16291751
	s_mov_b32 s39, 0x3fcc71c0
	s_wait_alu 0xfffe
	v_fma_f64 v[67:68], v[63:64], v[67:68], s[38:39]
	s_mov_b32 s38, 0x9b27acf1
	s_mov_b32 s39, 0x3fd24924
	s_wait_alu 0xfffe
	s_delay_alu instid0(VALU_DEP_1) | instskip(SKIP_3) | instid1(VALU_DEP_1)
	v_fma_f64 v[67:68], v[63:64], v[67:68], s[38:39]
	s_mov_b32 s38, 0x998ef7b6
	s_mov_b32 s39, 0x3fd99999
	s_wait_alu 0xfffe
	v_fma_f64 v[67:68], v[63:64], v[67:68], s[38:39]
	s_delay_alu instid0(VALU_DEP_1)
	v_fma_f64 v[63:64], v[63:64], v[67:68], s[0:1]
	v_ldexp_f64 v[67:68], v[37:38], 1
	v_add_f64_e64 v[37:38], v[37:38], -v[65:66]
	v_cmp_nge_f64_e64 s0, -1.0, v[31:32]
	v_cmp_neq_f64_e64 s1, 0x7ff00000, v[31:32]
	v_mul_f64_e32 v[63:64], v[69:70], v[63:64]
	v_cvt_f64_i32_e32 v[69:70], v0
	v_add_f64_e64 v[35:36], v[35:36], -v[37:38]
	s_and_b32 s0, s0, s1
	s_delay_alu instid0(VALU_DEP_3) | instskip(NEXT) | instid1(VALU_DEP_3)
	v_add_f64_e32 v[65:66], v[67:68], v[63:64]
	v_mul_f64_e32 v[71:72], s[18:19], v[69:70]
	s_delay_alu instid0(VALU_DEP_3) | instskip(NEXT) | instid1(VALU_DEP_3)
	v_ldexp_f64 v[35:36], v[35:36], 1
	v_add_f64_e64 v[37:38], v[65:66], -v[67:68]
	s_delay_alu instid0(VALU_DEP_3) | instskip(NEXT) | instid1(VALU_DEP_2)
	v_fma_f64 v[67:68], v[69:70], s[18:19], -v[71:72]
	v_add_f64_e64 v[37:38], v[63:64], -v[37:38]
	s_delay_alu instid0(VALU_DEP_2) | instskip(NEXT) | instid1(VALU_DEP_2)
	v_fma_f64 v[63:64], v[69:70], s[34:35], v[67:68]
	v_add_f64_e32 v[35:36], v[35:36], v[37:38]
	s_delay_alu instid0(VALU_DEP_2) | instskip(NEXT) | instid1(VALU_DEP_2)
	v_add_f64_e32 v[37:38], v[71:72], v[63:64]
	v_add_f64_e32 v[67:68], v[65:66], v[35:36]
	s_delay_alu instid0(VALU_DEP_2) | instskip(NEXT) | instid1(VALU_DEP_2)
	v_add_f64_e64 v[71:72], v[37:38], -v[71:72]
	v_add_f64_e32 v[69:70], v[37:38], v[67:68]
	v_add_f64_e64 v[65:66], v[67:68], -v[65:66]
	s_delay_alu instid0(VALU_DEP_3) | instskip(NEXT) | instid1(VALU_DEP_3)
	v_add_f64_e64 v[63:64], v[63:64], -v[71:72]
	v_add_f64_e64 v[73:74], v[69:70], -v[37:38]
	s_delay_alu instid0(VALU_DEP_3) | instskip(NEXT) | instid1(VALU_DEP_2)
	v_add_f64_e64 v[35:36], v[35:36], -v[65:66]
	v_add_f64_e64 v[75:76], v[69:70], -v[73:74]
	;; [unrolled: 1-line block ×3, first 2 shown]
	s_delay_alu instid0(VALU_DEP_3) | instskip(NEXT) | instid1(VALU_DEP_3)
	v_add_f64_e32 v[67:68], v[63:64], v[35:36]
	v_add_f64_e64 v[37:38], v[37:38], -v[75:76]
	s_delay_alu instid0(VALU_DEP_1) | instskip(NEXT) | instid1(VALU_DEP_3)
	v_add_f64_e32 v[37:38], v[65:66], v[37:38]
	v_add_f64_e64 v[65:66], v[67:68], -v[63:64]
	s_delay_alu instid0(VALU_DEP_2) | instskip(NEXT) | instid1(VALU_DEP_2)
	v_add_f64_e32 v[37:38], v[67:68], v[37:38]
	v_add_f64_e64 v[67:68], v[67:68], -v[65:66]
	v_add_f64_e64 v[35:36], v[35:36], -v[65:66]
	s_delay_alu instid0(VALU_DEP_3) | instskip(NEXT) | instid1(VALU_DEP_3)
	v_add_f64_e32 v[71:72], v[69:70], v[37:38]
	v_add_f64_e64 v[63:64], v[63:64], -v[67:68]
	s_delay_alu instid0(VALU_DEP_2) | instskip(NEXT) | instid1(VALU_DEP_2)
	v_add_f64_e64 v[65:66], v[71:72], -v[69:70]
	v_add_f64_e32 v[35:36], v[35:36], v[63:64]
	s_delay_alu instid0(VALU_DEP_2) | instskip(NEXT) | instid1(VALU_DEP_1)
	v_add_f64_e64 v[37:38], v[37:38], -v[65:66]
	v_add_f64_e32 v[35:36], v[35:36], v[37:38]
	s_delay_alu instid0(VALU_DEP_1) | instskip(SKIP_1) | instid1(VALU_DEP_1)
	v_add_f64_e32 v[35:36], v[71:72], v[35:36]
	s_wait_alu 0xfffe
	v_cndmask_b32_e64 v35, 0, v35, s0
	v_cmp_neq_f64_e64 s0, -1.0, v[31:32]
	s_delay_alu instid0(VALU_DEP_3) | instskip(NEXT) | instid1(VALU_DEP_1)
	v_cndmask_b32_e64 v0, 0x7ff00000, v36, s1
	v_cndmask_b32_e64 v0, 0x7ff80000, v0, s17
	s_wait_alu 0xf1ff
	s_delay_alu instid0(VALU_DEP_1) | instskip(NEXT) | instid1(VALU_DEP_1)
	v_cndmask_b32_e64 v36, 0xfff00000, v0, s0
	v_add_f64_e32 v[31:32], v[33:34], v[35:36]
.LBB42_112:
	s_wait_alu 0xfffe
	s_or_b32 exec_lo, exec_lo, s33
	s_delay_alu instid0(VALU_DEP_1) | instskip(SKIP_1) | instid1(VALU_DEP_2)
	v_max_num_f64_e32 v[33:34], v[31:32], v[31:32]
	v_cmp_u_f64_e64 s0, v[31:32], v[31:32]
	v_min_num_f64_e32 v[35:36], v[33:34], v[39:40]
	v_max_num_f64_e32 v[33:34], v[33:34], v[39:40]
	s_wait_alu 0xf1ff
	s_delay_alu instid0(VALU_DEP_2) | instskip(NEXT) | instid1(VALU_DEP_3)
	v_cndmask_b32_e64 v0, v35, v31, s0
	v_cndmask_b32_e64 v35, v36, v32, s0
	s_delay_alu instid0(VALU_DEP_3) | instskip(NEXT) | instid1(VALU_DEP_4)
	v_cndmask_b32_e64 v34, v34, v32, s0
	v_cndmask_b32_e64 v33, v33, v31, s0
	s_delay_alu instid0(VALU_DEP_3) | instskip(SKIP_1) | instid1(VALU_DEP_4)
	v_cndmask_b32_e64 v36, v35, v26, s20
	v_cndmask_b32_e64 v35, v0, v25, s20
	;; [unrolled: 1-line block ×3, first 2 shown]
	s_delay_alu instid0(VALU_DEP_4) | instskip(SKIP_1) | instid1(VALU_DEP_4)
	v_cndmask_b32_e64 v33, v33, v25, s20
	v_dual_mov_b32 v25, v31 :: v_dual_mov_b32 v26, v32
	v_cmp_class_f64_e64 s1, v[35:36], 0x1f8
	s_delay_alu instid0(VALU_DEP_3)
	v_cmp_neq_f64_e64 s0, v[35:36], v[33:34]
	s_or_b32 s0, s0, s1
	s_wait_alu 0xfffe
	s_and_saveexec_b32 s20, s0
	s_cbranch_execz .LBB42_114
; %bb.113:
	v_add_f64_e64 v[25:26], v[35:36], -v[33:34]
	s_mov_b32 s0, 0x652b82fe
	s_mov_b32 s1, 0x3ff71547
	;; [unrolled: 1-line block ×10, first 2 shown]
	s_wait_alu 0xfffe
	s_delay_alu instid0(VALU_DEP_1) | instskip(SKIP_2) | instid1(VALU_DEP_1)
	v_mul_f64_e32 v[35:36], s[0:1], v[25:26]
	s_mov_b32 s0, 0xfca7ab0c
	s_mov_b32 s1, 0x3e928af3
	v_rndne_f64_e32 v[35:36], v[35:36]
	s_delay_alu instid0(VALU_DEP_1) | instskip(SKIP_2) | instid1(VALU_DEP_2)
	v_fma_f64 v[37:38], v[35:36], s[18:19], v[25:26]
	v_cvt_i32_f64_e32 v0, v[35:36]
	s_mov_b32 s19, 0x3fe62e42
	v_fma_f64 v[37:38], v[35:36], s[34:35], v[37:38]
	s_mov_b32 s35, 0x3c7abc9e
	s_wait_alu 0xfffe
	s_delay_alu instid0(VALU_DEP_1)
	v_fma_f64 v[39:40], v[37:38], s[38:39], s[0:1]
	s_mov_b32 s0, 0x623fde64
	s_mov_b32 s1, 0x3ec71dee
	;; [unrolled: 1-line block ×4, first 2 shown]
	s_wait_alu 0xfffe
	s_delay_alu instid0(VALU_DEP_1) | instskip(SKIP_3) | instid1(VALU_DEP_1)
	v_fma_f64 v[39:40], v[37:38], v[39:40], s[0:1]
	s_mov_b32 s0, 0x7c89e6b0
	s_mov_b32 s1, 0x3efa0199
	s_wait_alu 0xfffe
	v_fma_f64 v[39:40], v[37:38], v[39:40], s[0:1]
	s_mov_b32 s0, 0x14761f6e
	s_mov_b32 s1, 0x3f2a01a0
	s_wait_alu 0xfffe
	s_delay_alu instid0(VALU_DEP_1) | instskip(SKIP_3) | instid1(VALU_DEP_1)
	v_fma_f64 v[39:40], v[37:38], v[39:40], s[0:1]
	s_mov_b32 s0, 0x1852b7b0
	s_mov_b32 s1, 0x3f56c16c
	s_wait_alu 0xfffe
	v_fma_f64 v[39:40], v[37:38], v[39:40], s[0:1]
	s_mov_b32 s0, 0x11122322
	s_mov_b32 s1, 0x3f811111
	;; [unrolled: 9-line block ×3, first 2 shown]
	s_wait_alu 0xfffe
	s_delay_alu instid0(VALU_DEP_1) | instskip(SKIP_3) | instid1(VALU_DEP_1)
	v_fma_f64 v[39:40], v[37:38], v[39:40], s[0:1]
	s_mov_b32 s0, 11
	s_mov_b32 s1, 0x3fe00000
	s_wait_alu 0xfffe
	v_fma_f64 v[39:40], v[37:38], v[39:40], s[0:1]
	v_cmp_nlt_f64_e64 s0, 0x40900000, v[25:26]
	v_cmp_ngt_f64_e64 s1, 0xc090cc00, v[25:26]
	s_delay_alu instid0(VALU_DEP_3) | instskip(NEXT) | instid1(VALU_DEP_1)
	v_fma_f64 v[39:40], v[37:38], v[39:40], 1.0
	v_fma_f64 v[35:36], v[37:38], v[39:40], 1.0
	s_delay_alu instid0(VALU_DEP_1) | instskip(SKIP_1) | instid1(VALU_DEP_1)
	v_ldexp_f64 v[35:36], v[35:36], v0
	s_wait_alu 0xf1ff
	v_cndmask_b32_e64 v0, 0x7ff00000, v36, s0
	s_and_b32 s0, s1, s0
	s_wait_alu 0xfffe
	s_delay_alu instid0(VALU_DEP_2) | instskip(SKIP_3) | instid1(VALU_DEP_1)
	v_cndmask_b32_e64 v25, 0, v35, s0
	s_mov_b32 s0, 0x55555555
	v_cndmask_b32_e64 v26, 0, v0, s1
	s_mov_b32 s1, 0x3fe55555
	v_add_f64_e32 v[35:36], 1.0, v[25:26]
	v_cmp_ngt_f64_e64 s17, -1.0, v[25:26]
	s_delay_alu instid0(VALU_DEP_2) | instskip(SKIP_3) | instid1(VALU_DEP_3)
	v_frexp_mant_f64_e32 v[37:38], v[35:36]
	v_frexp_exp_i32_f64_e32 v0, v[35:36]
	v_add_f64_e32 v[39:40], -1.0, v[35:36]
	s_wait_alu 0xfffe
	v_cmp_gt_f64_e64 s0, s[0:1], v[37:38]
	s_delay_alu instid0(VALU_DEP_2) | instskip(SKIP_2) | instid1(VALU_DEP_3)
	v_add_f64_e64 v[37:38], v[39:40], -v[35:36]
	v_add_f64_e64 v[39:40], v[25:26], -v[39:40]
	s_wait_alu 0xf1ff
	v_subrev_co_ci_u32_e64 v0, null, 0, v0, s0
	s_delay_alu instid0(VALU_DEP_3) | instskip(SKIP_1) | instid1(VALU_DEP_2)
	v_add_f64_e32 v[37:38], 1.0, v[37:38]
	s_mov_b32 s0, 0x55555780
	v_sub_nc_u32_e32 v65, 0, v0
	s_delay_alu instid0(VALU_DEP_1) | instskip(NEXT) | instid1(VALU_DEP_3)
	v_ldexp_f64 v[35:36], v[35:36], v65
	v_add_f64_e32 v[37:38], v[39:40], v[37:38]
	s_delay_alu instid0(VALU_DEP_2) | instskip(SKIP_2) | instid1(VALU_DEP_3)
	v_add_f64_e32 v[63:64], 1.0, v[35:36]
	s_wait_dscnt 0x0
	v_add_f64_e32 v[69:70], -1.0, v[35:36]
	v_ldexp_f64 v[37:38], v[37:38], v65
	s_delay_alu instid0(VALU_DEP_3) | instskip(NEXT) | instid1(VALU_DEP_3)
	v_add_f64_e32 v[39:40], -1.0, v[63:64]
	v_add_f64_e32 v[71:72], 1.0, v[69:70]
	s_delay_alu instid0(VALU_DEP_2) | instskip(NEXT) | instid1(VALU_DEP_2)
	v_add_f64_e64 v[39:40], v[35:36], -v[39:40]
	v_add_f64_e64 v[35:36], v[35:36], -v[71:72]
	s_delay_alu instid0(VALU_DEP_2) | instskip(NEXT) | instid1(VALU_DEP_2)
	v_add_f64_e32 v[39:40], v[37:38], v[39:40]
	v_add_f64_e32 v[35:36], v[37:38], v[35:36]
	s_delay_alu instid0(VALU_DEP_2) | instskip(NEXT) | instid1(VALU_DEP_2)
	v_add_f64_e32 v[65:66], v[63:64], v[39:40]
	v_add_f64_e32 v[71:72], v[69:70], v[35:36]
	s_delay_alu instid0(VALU_DEP_2) | instskip(SKIP_1) | instid1(VALU_DEP_2)
	v_rcp_f64_e32 v[67:68], v[65:66]
	v_add_f64_e64 v[63:64], v[65:66], -v[63:64]
	v_add_f64_e64 v[69:70], v[71:72], -v[69:70]
	s_delay_alu instid0(VALU_DEP_2) | instskip(NEXT) | instid1(TRANS32_DEP_1)
	v_add_f64_e64 v[39:40], v[39:40], -v[63:64]
	v_fma_f64 v[73:74], -v[65:66], v[67:68], 1.0
	s_delay_alu instid0(VALU_DEP_3) | instskip(NEXT) | instid1(VALU_DEP_2)
	v_add_f64_e64 v[35:36], v[35:36], -v[69:70]
	v_fma_f64 v[67:68], v[73:74], v[67:68], v[67:68]
	s_delay_alu instid0(VALU_DEP_1) | instskip(NEXT) | instid1(VALU_DEP_1)
	v_fma_f64 v[37:38], -v[65:66], v[67:68], 1.0
	v_fma_f64 v[37:38], v[37:38], v[67:68], v[67:68]
	s_delay_alu instid0(VALU_DEP_1) | instskip(NEXT) | instid1(VALU_DEP_1)
	v_mul_f64_e32 v[67:68], v[71:72], v[37:38]
	v_mul_f64_e32 v[73:74], v[65:66], v[67:68]
	s_delay_alu instid0(VALU_DEP_1) | instskip(NEXT) | instid1(VALU_DEP_1)
	v_fma_f64 v[63:64], v[67:68], v[65:66], -v[73:74]
	v_fma_f64 v[63:64], v[67:68], v[39:40], v[63:64]
	s_delay_alu instid0(VALU_DEP_1) | instskip(NEXT) | instid1(VALU_DEP_1)
	v_add_f64_e32 v[75:76], v[73:74], v[63:64]
	v_add_f64_e64 v[95:96], v[71:72], -v[75:76]
	v_add_f64_e64 v[69:70], v[75:76], -v[73:74]
	s_delay_alu instid0(VALU_DEP_2) | instskip(NEXT) | instid1(VALU_DEP_2)
	v_add_f64_e64 v[71:72], v[71:72], -v[95:96]
	v_add_f64_e64 v[63:64], v[69:70], -v[63:64]
	s_delay_alu instid0(VALU_DEP_2) | instskip(NEXT) | instid1(VALU_DEP_1)
	v_add_f64_e64 v[71:72], v[71:72], -v[75:76]
	v_add_f64_e32 v[35:36], v[35:36], v[71:72]
	s_delay_alu instid0(VALU_DEP_1) | instskip(NEXT) | instid1(VALU_DEP_1)
	v_add_f64_e32 v[35:36], v[63:64], v[35:36]
	v_add_f64_e32 v[63:64], v[95:96], v[35:36]
	s_delay_alu instid0(VALU_DEP_1) | instskip(SKIP_1) | instid1(VALU_DEP_2)
	v_mul_f64_e32 v[69:70], v[37:38], v[63:64]
	v_add_f64_e64 v[75:76], v[95:96], -v[63:64]
	v_mul_f64_e32 v[71:72], v[65:66], v[69:70]
	s_delay_alu instid0(VALU_DEP_2) | instskip(NEXT) | instid1(VALU_DEP_2)
	v_add_f64_e32 v[35:36], v[35:36], v[75:76]
	v_fma_f64 v[65:66], v[69:70], v[65:66], -v[71:72]
	s_delay_alu instid0(VALU_DEP_1) | instskip(NEXT) | instid1(VALU_DEP_1)
	v_fma_f64 v[39:40], v[69:70], v[39:40], v[65:66]
	v_add_f64_e32 v[65:66], v[71:72], v[39:40]
	s_delay_alu instid0(VALU_DEP_1) | instskip(SKIP_1) | instid1(VALU_DEP_2)
	v_add_f64_e64 v[73:74], v[63:64], -v[65:66]
	v_add_f64_e64 v[71:72], v[65:66], -v[71:72]
	;; [unrolled: 1-line block ×3, first 2 shown]
	s_delay_alu instid0(VALU_DEP_2) | instskip(NEXT) | instid1(VALU_DEP_2)
	v_add_f64_e64 v[39:40], v[71:72], -v[39:40]
	v_add_f64_e64 v[63:64], v[63:64], -v[65:66]
	s_delay_alu instid0(VALU_DEP_1) | instskip(SKIP_1) | instid1(VALU_DEP_2)
	v_add_f64_e32 v[35:36], v[35:36], v[63:64]
	v_add_f64_e32 v[63:64], v[67:68], v[69:70]
	;; [unrolled: 1-line block ×3, first 2 shown]
	s_delay_alu instid0(VALU_DEP_2) | instskip(NEXT) | instid1(VALU_DEP_2)
	v_add_f64_e64 v[39:40], v[63:64], -v[67:68]
	v_add_f64_e32 v[35:36], v[73:74], v[35:36]
	s_delay_alu instid0(VALU_DEP_2) | instskip(NEXT) | instid1(VALU_DEP_2)
	v_add_f64_e64 v[39:40], v[69:70], -v[39:40]
	v_mul_f64_e32 v[35:36], v[37:38], v[35:36]
	s_delay_alu instid0(VALU_DEP_1) | instskip(NEXT) | instid1(VALU_DEP_1)
	v_add_f64_e32 v[35:36], v[39:40], v[35:36]
	v_add_f64_e32 v[37:38], v[63:64], v[35:36]
	s_delay_alu instid0(VALU_DEP_1) | instskip(NEXT) | instid1(VALU_DEP_1)
	v_mul_f64_e32 v[39:40], v[37:38], v[37:38]
	v_fma_f64 v[65:66], v[39:40], s[40:41], s[38:39]
	s_mov_b32 s38, 0xd7f4df2e
	s_mov_b32 s39, 0x3fc7474d
	v_mul_f64_e32 v[67:68], v[37:38], v[39:40]
	s_wait_alu 0xfffe
	s_delay_alu instid0(VALU_DEP_2) | instskip(SKIP_3) | instid1(VALU_DEP_1)
	v_fma_f64 v[65:66], v[39:40], v[65:66], s[38:39]
	s_mov_b32 s38, 0x16291751
	s_mov_b32 s39, 0x3fcc71c0
	s_wait_alu 0xfffe
	v_fma_f64 v[65:66], v[39:40], v[65:66], s[38:39]
	s_mov_b32 s38, 0x9b27acf1
	s_mov_b32 s39, 0x3fd24924
	s_wait_alu 0xfffe
	s_delay_alu instid0(VALU_DEP_1) | instskip(SKIP_3) | instid1(VALU_DEP_1)
	v_fma_f64 v[65:66], v[39:40], v[65:66], s[38:39]
	s_mov_b32 s38, 0x998ef7b6
	s_mov_b32 s39, 0x3fd99999
	s_wait_alu 0xfffe
	v_fma_f64 v[65:66], v[39:40], v[65:66], s[38:39]
	s_delay_alu instid0(VALU_DEP_1)
	v_fma_f64 v[39:40], v[39:40], v[65:66], s[0:1]
	v_ldexp_f64 v[65:66], v[37:38], 1
	v_add_f64_e64 v[37:38], v[37:38], -v[63:64]
	v_cmp_nge_f64_e64 s0, -1.0, v[25:26]
	v_cmp_neq_f64_e64 s1, 0x7ff00000, v[25:26]
	v_mul_f64_e32 v[39:40], v[67:68], v[39:40]
	v_cvt_f64_i32_e32 v[67:68], v0
	v_add_f64_e64 v[35:36], v[35:36], -v[37:38]
	s_and_b32 s0, s0, s1
	s_delay_alu instid0(VALU_DEP_3) | instskip(NEXT) | instid1(VALU_DEP_3)
	v_add_f64_e32 v[63:64], v[65:66], v[39:40]
	v_mul_f64_e32 v[69:70], s[18:19], v[67:68]
	s_delay_alu instid0(VALU_DEP_3) | instskip(NEXT) | instid1(VALU_DEP_3)
	v_ldexp_f64 v[35:36], v[35:36], 1
	v_add_f64_e64 v[37:38], v[63:64], -v[65:66]
	s_delay_alu instid0(VALU_DEP_3) | instskip(NEXT) | instid1(VALU_DEP_2)
	v_fma_f64 v[65:66], v[67:68], s[18:19], -v[69:70]
	v_add_f64_e64 v[37:38], v[39:40], -v[37:38]
	s_delay_alu instid0(VALU_DEP_2) | instskip(NEXT) | instid1(VALU_DEP_2)
	v_fma_f64 v[39:40], v[67:68], s[34:35], v[65:66]
	v_add_f64_e32 v[35:36], v[35:36], v[37:38]
	s_delay_alu instid0(VALU_DEP_2) | instskip(NEXT) | instid1(VALU_DEP_2)
	v_add_f64_e32 v[37:38], v[69:70], v[39:40]
	v_add_f64_e32 v[65:66], v[63:64], v[35:36]
	s_delay_alu instid0(VALU_DEP_2) | instskip(NEXT) | instid1(VALU_DEP_2)
	v_add_f64_e64 v[69:70], v[37:38], -v[69:70]
	v_add_f64_e32 v[67:68], v[37:38], v[65:66]
	v_add_f64_e64 v[63:64], v[65:66], -v[63:64]
	s_delay_alu instid0(VALU_DEP_3) | instskip(NEXT) | instid1(VALU_DEP_3)
	v_add_f64_e64 v[39:40], v[39:40], -v[69:70]
	v_add_f64_e64 v[71:72], v[67:68], -v[37:38]
	s_delay_alu instid0(VALU_DEP_3) | instskip(NEXT) | instid1(VALU_DEP_2)
	v_add_f64_e64 v[35:36], v[35:36], -v[63:64]
	v_add_f64_e64 v[73:74], v[67:68], -v[71:72]
	;; [unrolled: 1-line block ×3, first 2 shown]
	s_delay_alu instid0(VALU_DEP_3) | instskip(NEXT) | instid1(VALU_DEP_3)
	v_add_f64_e32 v[65:66], v[39:40], v[35:36]
	v_add_f64_e64 v[37:38], v[37:38], -v[73:74]
	s_delay_alu instid0(VALU_DEP_1) | instskip(NEXT) | instid1(VALU_DEP_3)
	v_add_f64_e32 v[37:38], v[63:64], v[37:38]
	v_add_f64_e64 v[63:64], v[65:66], -v[39:40]
	s_delay_alu instid0(VALU_DEP_2) | instskip(NEXT) | instid1(VALU_DEP_2)
	v_add_f64_e32 v[37:38], v[65:66], v[37:38]
	v_add_f64_e64 v[65:66], v[65:66], -v[63:64]
	v_add_f64_e64 v[35:36], v[35:36], -v[63:64]
	s_delay_alu instid0(VALU_DEP_3) | instskip(NEXT) | instid1(VALU_DEP_3)
	v_add_f64_e32 v[69:70], v[67:68], v[37:38]
	v_add_f64_e64 v[39:40], v[39:40], -v[65:66]
	s_delay_alu instid0(VALU_DEP_2) | instskip(NEXT) | instid1(VALU_DEP_2)
	v_add_f64_e64 v[63:64], v[69:70], -v[67:68]
	v_add_f64_e32 v[35:36], v[35:36], v[39:40]
	s_delay_alu instid0(VALU_DEP_2) | instskip(NEXT) | instid1(VALU_DEP_1)
	v_add_f64_e64 v[37:38], v[37:38], -v[63:64]
	v_add_f64_e32 v[35:36], v[35:36], v[37:38]
	s_delay_alu instid0(VALU_DEP_1) | instskip(SKIP_1) | instid1(VALU_DEP_1)
	v_add_f64_e32 v[35:36], v[69:70], v[35:36]
	s_wait_alu 0xfffe
	v_cndmask_b32_e64 v35, 0, v35, s0
	v_cmp_neq_f64_e64 s0, -1.0, v[25:26]
	s_delay_alu instid0(VALU_DEP_3) | instskip(NEXT) | instid1(VALU_DEP_1)
	v_cndmask_b32_e64 v0, 0x7ff00000, v36, s1
	v_cndmask_b32_e64 v0, 0x7ff80000, v0, s17
	s_wait_alu 0xf1ff
	s_delay_alu instid0(VALU_DEP_1) | instskip(NEXT) | instid1(VALU_DEP_1)
	v_cndmask_b32_e64 v36, 0xfff00000, v0, s0
	v_add_f64_e32 v[25:26], v[33:34], v[35:36]
.LBB42_114:
	s_wait_alu 0xfffe
	s_or_b32 exec_lo, exec_lo, s20
	s_delay_alu instid0(VALU_DEP_1) | instskip(SKIP_1) | instid1(VALU_DEP_2)
	v_max_num_f64_e32 v[33:34], v[25:26], v[25:26]
	v_cmp_u_f64_e64 s0, v[25:26], v[25:26]
	v_min_num_f64_e32 v[35:36], v[33:34], v[41:42]
	v_max_num_f64_e32 v[33:34], v[33:34], v[41:42]
	s_wait_alu 0xf1ff
	s_delay_alu instid0(VALU_DEP_2) | instskip(NEXT) | instid1(VALU_DEP_3)
	v_cndmask_b32_e64 v0, v35, v25, s0
	v_cndmask_b32_e64 v35, v36, v26, s0
	s_delay_alu instid0(VALU_DEP_3) | instskip(NEXT) | instid1(VALU_DEP_4)
	v_cndmask_b32_e64 v34, v34, v26, s0
	v_cndmask_b32_e64 v33, v33, v25, s0
	s_delay_alu instid0(VALU_DEP_3) | instskip(SKIP_1) | instid1(VALU_DEP_4)
	v_cndmask_b32_e64 v36, v35, v28, s21
	v_cndmask_b32_e64 v35, v0, v27, s21
	;; [unrolled: 1-line block ×3, first 2 shown]
	s_delay_alu instid0(VALU_DEP_4) | instskip(SKIP_1) | instid1(VALU_DEP_4)
	v_cndmask_b32_e64 v33, v33, v27, s21
	v_dual_mov_b32 v28, v26 :: v_dual_mov_b32 v27, v25
	v_cmp_class_f64_e64 s1, v[35:36], 0x1f8
	s_delay_alu instid0(VALU_DEP_3)
	v_cmp_neq_f64_e64 s0, v[35:36], v[33:34]
	s_or_b32 s0, s0, s1
	s_wait_alu 0xfffe
	s_and_saveexec_b32 s33, s0
	s_cbranch_execz .LBB42_116
; %bb.115:
	v_add_f64_e64 v[27:28], v[35:36], -v[33:34]
	s_mov_b32 s0, 0x652b82fe
	s_mov_b32 s1, 0x3ff71547
	;; [unrolled: 1-line block ×10, first 2 shown]
	s_wait_alu 0xfffe
	s_delay_alu instid0(VALU_DEP_1) | instskip(SKIP_2) | instid1(VALU_DEP_1)
	v_mul_f64_e32 v[35:36], s[0:1], v[27:28]
	s_mov_b32 s0, 0xfca7ab0c
	s_mov_b32 s1, 0x3e928af3
	v_rndne_f64_e32 v[35:36], v[35:36]
	s_delay_alu instid0(VALU_DEP_1) | instskip(SKIP_2) | instid1(VALU_DEP_2)
	v_fma_f64 v[37:38], v[35:36], s[18:19], v[27:28]
	v_cvt_i32_f64_e32 v0, v[35:36]
	s_mov_b32 s19, 0x3fe62e42
	v_fma_f64 v[37:38], v[35:36], s[20:21], v[37:38]
	s_mov_b32 s21, 0x3c7abc9e
	s_wait_alu 0xfffe
	s_delay_alu instid0(VALU_DEP_1)
	v_fma_f64 v[39:40], v[37:38], s[34:35], s[0:1]
	s_mov_b32 s0, 0x623fde64
	s_mov_b32 s1, 0x3ec71dee
	;; [unrolled: 1-line block ×4, first 2 shown]
	s_wait_alu 0xfffe
	s_delay_alu instid0(VALU_DEP_1) | instskip(SKIP_3) | instid1(VALU_DEP_1)
	v_fma_f64 v[39:40], v[37:38], v[39:40], s[0:1]
	s_mov_b32 s0, 0x7c89e6b0
	s_mov_b32 s1, 0x3efa0199
	s_wait_alu 0xfffe
	v_fma_f64 v[39:40], v[37:38], v[39:40], s[0:1]
	s_mov_b32 s0, 0x14761f6e
	s_mov_b32 s1, 0x3f2a01a0
	s_wait_alu 0xfffe
	s_delay_alu instid0(VALU_DEP_1) | instskip(SKIP_3) | instid1(VALU_DEP_1)
	v_fma_f64 v[39:40], v[37:38], v[39:40], s[0:1]
	s_mov_b32 s0, 0x1852b7b0
	s_mov_b32 s1, 0x3f56c16c
	s_wait_alu 0xfffe
	v_fma_f64 v[39:40], v[37:38], v[39:40], s[0:1]
	s_mov_b32 s0, 0x11122322
	s_mov_b32 s1, 0x3f811111
	;; [unrolled: 9-line block ×3, first 2 shown]
	s_wait_alu 0xfffe
	s_delay_alu instid0(VALU_DEP_1) | instskip(SKIP_3) | instid1(VALU_DEP_1)
	v_fma_f64 v[39:40], v[37:38], v[39:40], s[0:1]
	s_mov_b32 s0, 11
	s_mov_b32 s1, 0x3fe00000
	s_wait_alu 0xfffe
	v_fma_f64 v[39:40], v[37:38], v[39:40], s[0:1]
	v_cmp_nlt_f64_e64 s0, 0x40900000, v[27:28]
	v_cmp_ngt_f64_e64 s1, 0xc090cc00, v[27:28]
	s_delay_alu instid0(VALU_DEP_3) | instskip(NEXT) | instid1(VALU_DEP_1)
	v_fma_f64 v[39:40], v[37:38], v[39:40], 1.0
	v_fma_f64 v[35:36], v[37:38], v[39:40], 1.0
	s_delay_alu instid0(VALU_DEP_1) | instskip(SKIP_1) | instid1(VALU_DEP_1)
	v_ldexp_f64 v[35:36], v[35:36], v0
	s_wait_alu 0xf1ff
	v_cndmask_b32_e64 v0, 0x7ff00000, v36, s0
	s_and_b32 s0, s1, s0
	s_wait_alu 0xfffe
	s_delay_alu instid0(VALU_DEP_2) | instskip(SKIP_3) | instid1(VALU_DEP_1)
	v_cndmask_b32_e64 v27, 0, v35, s0
	s_mov_b32 s0, 0x55555555
	v_cndmask_b32_e64 v28, 0, v0, s1
	s_mov_b32 s1, 0x3fe55555
	v_add_f64_e32 v[35:36], 1.0, v[27:28]
	v_cmp_ngt_f64_e64 s17, -1.0, v[27:28]
	s_delay_alu instid0(VALU_DEP_2) | instskip(SKIP_3) | instid1(VALU_DEP_3)
	v_frexp_mant_f64_e32 v[37:38], v[35:36]
	v_frexp_exp_i32_f64_e32 v0, v[35:36]
	v_add_f64_e32 v[39:40], -1.0, v[35:36]
	s_wait_alu 0xfffe
	v_cmp_gt_f64_e64 s0, s[0:1], v[37:38]
	s_delay_alu instid0(VALU_DEP_2) | instskip(SKIP_2) | instid1(VALU_DEP_3)
	v_add_f64_e64 v[37:38], v[39:40], -v[35:36]
	v_add_f64_e64 v[39:40], v[27:28], -v[39:40]
	s_wait_alu 0xf1ff
	v_subrev_co_ci_u32_e64 v0, null, 0, v0, s0
	s_delay_alu instid0(VALU_DEP_3) | instskip(SKIP_1) | instid1(VALU_DEP_2)
	v_add_f64_e32 v[37:38], 1.0, v[37:38]
	s_mov_b32 s0, 0x55555780
	v_sub_nc_u32_e32 v63, 0, v0
	s_delay_alu instid0(VALU_DEP_1) | instskip(NEXT) | instid1(VALU_DEP_3)
	v_ldexp_f64 v[35:36], v[35:36], v63
	v_add_f64_e32 v[37:38], v[39:40], v[37:38]
	s_delay_alu instid0(VALU_DEP_2) | instskip(SKIP_1) | instid1(VALU_DEP_3)
	v_add_f64_e32 v[41:42], 1.0, v[35:36]
	v_add_f64_e32 v[67:68], -1.0, v[35:36]
	v_ldexp_f64 v[37:38], v[37:38], v63
	s_delay_alu instid0(VALU_DEP_3) | instskip(SKIP_1) | instid1(VALU_DEP_3)
	v_add_f64_e32 v[39:40], -1.0, v[41:42]
	s_wait_dscnt 0x0
	v_add_f64_e32 v[69:70], 1.0, v[67:68]
	s_delay_alu instid0(VALU_DEP_2) | instskip(NEXT) | instid1(VALU_DEP_2)
	v_add_f64_e64 v[39:40], v[35:36], -v[39:40]
	v_add_f64_e64 v[35:36], v[35:36], -v[69:70]
	s_delay_alu instid0(VALU_DEP_2) | instskip(NEXT) | instid1(VALU_DEP_2)
	v_add_f64_e32 v[39:40], v[37:38], v[39:40]
	v_add_f64_e32 v[35:36], v[37:38], v[35:36]
	s_delay_alu instid0(VALU_DEP_2) | instskip(NEXT) | instid1(VALU_DEP_2)
	v_add_f64_e32 v[63:64], v[41:42], v[39:40]
	v_add_f64_e32 v[69:70], v[67:68], v[35:36]
	s_delay_alu instid0(VALU_DEP_2) | instskip(SKIP_1) | instid1(VALU_DEP_2)
	v_rcp_f64_e32 v[65:66], v[63:64]
	v_add_f64_e64 v[41:42], v[63:64], -v[41:42]
	v_add_f64_e64 v[67:68], v[69:70], -v[67:68]
	s_delay_alu instid0(VALU_DEP_2) | instskip(NEXT) | instid1(TRANS32_DEP_1)
	v_add_f64_e64 v[39:40], v[39:40], -v[41:42]
	v_fma_f64 v[71:72], -v[63:64], v[65:66], 1.0
	s_delay_alu instid0(VALU_DEP_3) | instskip(NEXT) | instid1(VALU_DEP_2)
	v_add_f64_e64 v[35:36], v[35:36], -v[67:68]
	v_fma_f64 v[65:66], v[71:72], v[65:66], v[65:66]
	s_delay_alu instid0(VALU_DEP_1) | instskip(NEXT) | instid1(VALU_DEP_1)
	v_fma_f64 v[37:38], -v[63:64], v[65:66], 1.0
	v_fma_f64 v[37:38], v[37:38], v[65:66], v[65:66]
	s_delay_alu instid0(VALU_DEP_1) | instskip(NEXT) | instid1(VALU_DEP_1)
	v_mul_f64_e32 v[65:66], v[69:70], v[37:38]
	v_mul_f64_e32 v[71:72], v[63:64], v[65:66]
	s_delay_alu instid0(VALU_DEP_1) | instskip(NEXT) | instid1(VALU_DEP_1)
	v_fma_f64 v[41:42], v[65:66], v[63:64], -v[71:72]
	v_fma_f64 v[41:42], v[65:66], v[39:40], v[41:42]
	s_delay_alu instid0(VALU_DEP_1) | instskip(NEXT) | instid1(VALU_DEP_1)
	v_add_f64_e32 v[73:74], v[71:72], v[41:42]
	v_add_f64_e64 v[75:76], v[69:70], -v[73:74]
	v_add_f64_e64 v[67:68], v[73:74], -v[71:72]
	s_delay_alu instid0(VALU_DEP_2) | instskip(NEXT) | instid1(VALU_DEP_2)
	v_add_f64_e64 v[69:70], v[69:70], -v[75:76]
	v_add_f64_e64 v[41:42], v[67:68], -v[41:42]
	s_delay_alu instid0(VALU_DEP_2) | instskip(NEXT) | instid1(VALU_DEP_1)
	v_add_f64_e64 v[69:70], v[69:70], -v[73:74]
	v_add_f64_e32 v[35:36], v[35:36], v[69:70]
	s_delay_alu instid0(VALU_DEP_1) | instskip(NEXT) | instid1(VALU_DEP_1)
	v_add_f64_e32 v[35:36], v[41:42], v[35:36]
	v_add_f64_e32 v[41:42], v[75:76], v[35:36]
	s_delay_alu instid0(VALU_DEP_1) | instskip(SKIP_1) | instid1(VALU_DEP_2)
	v_mul_f64_e32 v[67:68], v[37:38], v[41:42]
	v_add_f64_e64 v[73:74], v[75:76], -v[41:42]
	v_mul_f64_e32 v[69:70], v[63:64], v[67:68]
	s_delay_alu instid0(VALU_DEP_2) | instskip(NEXT) | instid1(VALU_DEP_2)
	v_add_f64_e32 v[35:36], v[35:36], v[73:74]
	v_fma_f64 v[63:64], v[67:68], v[63:64], -v[69:70]
	s_delay_alu instid0(VALU_DEP_1) | instskip(NEXT) | instid1(VALU_DEP_1)
	v_fma_f64 v[39:40], v[67:68], v[39:40], v[63:64]
	v_add_f64_e32 v[63:64], v[69:70], v[39:40]
	s_delay_alu instid0(VALU_DEP_1) | instskip(SKIP_1) | instid1(VALU_DEP_2)
	v_add_f64_e64 v[71:72], v[41:42], -v[63:64]
	v_add_f64_e64 v[69:70], v[63:64], -v[69:70]
	;; [unrolled: 1-line block ×3, first 2 shown]
	s_delay_alu instid0(VALU_DEP_2) | instskip(NEXT) | instid1(VALU_DEP_2)
	v_add_f64_e64 v[39:40], v[69:70], -v[39:40]
	v_add_f64_e64 v[41:42], v[41:42], -v[63:64]
	s_delay_alu instid0(VALU_DEP_1) | instskip(SKIP_1) | instid1(VALU_DEP_2)
	v_add_f64_e32 v[35:36], v[35:36], v[41:42]
	v_add_f64_e32 v[41:42], v[65:66], v[67:68]
	;; [unrolled: 1-line block ×3, first 2 shown]
	s_delay_alu instid0(VALU_DEP_2) | instskip(NEXT) | instid1(VALU_DEP_2)
	v_add_f64_e64 v[39:40], v[41:42], -v[65:66]
	v_add_f64_e32 v[35:36], v[71:72], v[35:36]
	s_delay_alu instid0(VALU_DEP_2) | instskip(NEXT) | instid1(VALU_DEP_2)
	v_add_f64_e64 v[39:40], v[67:68], -v[39:40]
	v_mul_f64_e32 v[35:36], v[37:38], v[35:36]
	s_delay_alu instid0(VALU_DEP_1) | instskip(NEXT) | instid1(VALU_DEP_1)
	v_add_f64_e32 v[35:36], v[39:40], v[35:36]
	v_add_f64_e32 v[37:38], v[41:42], v[35:36]
	s_delay_alu instid0(VALU_DEP_1) | instskip(NEXT) | instid1(VALU_DEP_1)
	v_mul_f64_e32 v[39:40], v[37:38], v[37:38]
	v_fma_f64 v[63:64], v[39:40], s[38:39], s[34:35]
	s_mov_b32 s34, 0xd7f4df2e
	s_mov_b32 s35, 0x3fc7474d
	v_mul_f64_e32 v[65:66], v[37:38], v[39:40]
	s_wait_alu 0xfffe
	s_delay_alu instid0(VALU_DEP_2) | instskip(SKIP_3) | instid1(VALU_DEP_1)
	v_fma_f64 v[63:64], v[39:40], v[63:64], s[34:35]
	s_mov_b32 s34, 0x16291751
	s_mov_b32 s35, 0x3fcc71c0
	s_wait_alu 0xfffe
	v_fma_f64 v[63:64], v[39:40], v[63:64], s[34:35]
	s_mov_b32 s34, 0x9b27acf1
	s_mov_b32 s35, 0x3fd24924
	s_wait_alu 0xfffe
	s_delay_alu instid0(VALU_DEP_1) | instskip(SKIP_3) | instid1(VALU_DEP_1)
	v_fma_f64 v[63:64], v[39:40], v[63:64], s[34:35]
	s_mov_b32 s34, 0x998ef7b6
	s_mov_b32 s35, 0x3fd99999
	s_wait_alu 0xfffe
	v_fma_f64 v[63:64], v[39:40], v[63:64], s[34:35]
	s_delay_alu instid0(VALU_DEP_1)
	v_fma_f64 v[39:40], v[39:40], v[63:64], s[0:1]
	v_ldexp_f64 v[63:64], v[37:38], 1
	v_add_f64_e64 v[37:38], v[37:38], -v[41:42]
	v_cmp_nge_f64_e64 s0, -1.0, v[27:28]
	v_cmp_neq_f64_e64 s1, 0x7ff00000, v[27:28]
	v_mul_f64_e32 v[39:40], v[65:66], v[39:40]
	v_cvt_f64_i32_e32 v[65:66], v0
	v_add_f64_e64 v[35:36], v[35:36], -v[37:38]
	s_and_b32 s0, s0, s1
	s_delay_alu instid0(VALU_DEP_3) | instskip(NEXT) | instid1(VALU_DEP_3)
	v_add_f64_e32 v[41:42], v[63:64], v[39:40]
	v_mul_f64_e32 v[67:68], s[18:19], v[65:66]
	s_delay_alu instid0(VALU_DEP_3) | instskip(NEXT) | instid1(VALU_DEP_3)
	v_ldexp_f64 v[35:36], v[35:36], 1
	v_add_f64_e64 v[37:38], v[41:42], -v[63:64]
	s_delay_alu instid0(VALU_DEP_3) | instskip(NEXT) | instid1(VALU_DEP_2)
	v_fma_f64 v[63:64], v[65:66], s[18:19], -v[67:68]
	v_add_f64_e64 v[37:38], v[39:40], -v[37:38]
	s_delay_alu instid0(VALU_DEP_2) | instskip(NEXT) | instid1(VALU_DEP_2)
	v_fma_f64 v[39:40], v[65:66], s[20:21], v[63:64]
	v_add_f64_e32 v[35:36], v[35:36], v[37:38]
	s_delay_alu instid0(VALU_DEP_2) | instskip(NEXT) | instid1(VALU_DEP_2)
	v_add_f64_e32 v[37:38], v[67:68], v[39:40]
	v_add_f64_e32 v[63:64], v[41:42], v[35:36]
	s_delay_alu instid0(VALU_DEP_2) | instskip(NEXT) | instid1(VALU_DEP_2)
	v_add_f64_e64 v[67:68], v[37:38], -v[67:68]
	v_add_f64_e32 v[65:66], v[37:38], v[63:64]
	v_add_f64_e64 v[41:42], v[63:64], -v[41:42]
	s_delay_alu instid0(VALU_DEP_3) | instskip(NEXT) | instid1(VALU_DEP_3)
	v_add_f64_e64 v[39:40], v[39:40], -v[67:68]
	v_add_f64_e64 v[69:70], v[65:66], -v[37:38]
	s_delay_alu instid0(VALU_DEP_3) | instskip(NEXT) | instid1(VALU_DEP_2)
	v_add_f64_e64 v[35:36], v[35:36], -v[41:42]
	v_add_f64_e64 v[71:72], v[65:66], -v[69:70]
	;; [unrolled: 1-line block ×3, first 2 shown]
	s_delay_alu instid0(VALU_DEP_3) | instskip(NEXT) | instid1(VALU_DEP_3)
	v_add_f64_e32 v[63:64], v[39:40], v[35:36]
	v_add_f64_e64 v[37:38], v[37:38], -v[71:72]
	s_delay_alu instid0(VALU_DEP_1) | instskip(NEXT) | instid1(VALU_DEP_3)
	v_add_f64_e32 v[37:38], v[41:42], v[37:38]
	v_add_f64_e64 v[41:42], v[63:64], -v[39:40]
	s_delay_alu instid0(VALU_DEP_2) | instskip(NEXT) | instid1(VALU_DEP_2)
	v_add_f64_e32 v[37:38], v[63:64], v[37:38]
	v_add_f64_e64 v[63:64], v[63:64], -v[41:42]
	v_add_f64_e64 v[35:36], v[35:36], -v[41:42]
	s_delay_alu instid0(VALU_DEP_3) | instskip(NEXT) | instid1(VALU_DEP_3)
	v_add_f64_e32 v[67:68], v[65:66], v[37:38]
	v_add_f64_e64 v[39:40], v[39:40], -v[63:64]
	s_delay_alu instid0(VALU_DEP_2) | instskip(NEXT) | instid1(VALU_DEP_2)
	v_add_f64_e64 v[41:42], v[67:68], -v[65:66]
	v_add_f64_e32 v[35:36], v[35:36], v[39:40]
	s_delay_alu instid0(VALU_DEP_2) | instskip(NEXT) | instid1(VALU_DEP_1)
	v_add_f64_e64 v[37:38], v[37:38], -v[41:42]
	v_add_f64_e32 v[35:36], v[35:36], v[37:38]
	s_delay_alu instid0(VALU_DEP_1) | instskip(SKIP_1) | instid1(VALU_DEP_1)
	v_add_f64_e32 v[35:36], v[67:68], v[35:36]
	s_wait_alu 0xfffe
	v_cndmask_b32_e64 v35, 0, v35, s0
	v_cmp_neq_f64_e64 s0, -1.0, v[27:28]
	s_delay_alu instid0(VALU_DEP_3) | instskip(NEXT) | instid1(VALU_DEP_1)
	v_cndmask_b32_e64 v0, 0x7ff00000, v36, s1
	v_cndmask_b32_e64 v0, 0x7ff80000, v0, s17
	s_wait_alu 0xf1ff
	s_delay_alu instid0(VALU_DEP_1) | instskip(NEXT) | instid1(VALU_DEP_1)
	v_cndmask_b32_e64 v36, 0xfff00000, v0, s0
	v_add_f64_e32 v[27:28], v[33:34], v[35:36]
.LBB42_116:
	s_wait_alu 0xfffe
	s_or_b32 exec_lo, exec_lo, s33
	s_delay_alu instid0(VALU_DEP_1) | instskip(SKIP_1) | instid1(VALU_DEP_2)
	v_max_num_f64_e32 v[33:34], v[27:28], v[27:28]
	v_cmp_u_f64_e64 s0, v[27:28], v[27:28]
	v_min_num_f64_e32 v[35:36], v[33:34], v[43:44]
	v_max_num_f64_e32 v[33:34], v[33:34], v[43:44]
	s_wait_alu 0xf1ff
	s_delay_alu instid0(VALU_DEP_2) | instskip(NEXT) | instid1(VALU_DEP_3)
	v_cndmask_b32_e64 v0, v35, v27, s0
	v_cndmask_b32_e64 v35, v36, v28, s0
	s_delay_alu instid0(VALU_DEP_3) | instskip(NEXT) | instid1(VALU_DEP_4)
	v_cndmask_b32_e64 v34, v34, v28, s0
	v_cndmask_b32_e64 v33, v33, v27, s0
	s_delay_alu instid0(VALU_DEP_3) | instskip(SKIP_1) | instid1(VALU_DEP_4)
	v_cndmask_b32_e64 v36, v35, v22, s22
	v_cndmask_b32_e64 v35, v0, v21, s22
	;; [unrolled: 1-line block ×3, first 2 shown]
	s_delay_alu instid0(VALU_DEP_4) | instskip(SKIP_1) | instid1(VALU_DEP_4)
	v_cndmask_b32_e64 v33, v33, v21, s22
	v_dual_mov_b32 v21, v27 :: v_dual_mov_b32 v22, v28
	v_cmp_class_f64_e64 s1, v[35:36], 0x1f8
	s_delay_alu instid0(VALU_DEP_3)
	v_cmp_neq_f64_e64 s0, v[35:36], v[33:34]
	s_or_b32 s0, s0, s1
	s_wait_alu 0xfffe
	s_and_saveexec_b32 s22, s0
	s_cbranch_execz .LBB42_118
; %bb.117:
	v_add_f64_e64 v[21:22], v[35:36], -v[33:34]
	s_mov_b32 s0, 0x652b82fe
	s_mov_b32 s1, 0x3ff71547
	;; [unrolled: 1-line block ×10, first 2 shown]
	s_wait_alu 0xfffe
	s_delay_alu instid0(VALU_DEP_1) | instskip(SKIP_2) | instid1(VALU_DEP_1)
	v_mul_f64_e32 v[35:36], s[0:1], v[21:22]
	s_mov_b32 s0, 0xfca7ab0c
	s_mov_b32 s1, 0x3e928af3
	v_rndne_f64_e32 v[35:36], v[35:36]
	s_delay_alu instid0(VALU_DEP_1) | instskip(SKIP_2) | instid1(VALU_DEP_2)
	v_fma_f64 v[37:38], v[35:36], s[18:19], v[21:22]
	v_cvt_i32_f64_e32 v0, v[35:36]
	s_mov_b32 s19, 0x3fe62e42
	v_fma_f64 v[37:38], v[35:36], s[20:21], v[37:38]
	s_mov_b32 s21, 0x3c7abc9e
	s_wait_alu 0xfffe
	s_delay_alu instid0(VALU_DEP_1)
	v_fma_f64 v[39:40], v[37:38], s[34:35], s[0:1]
	s_mov_b32 s0, 0x623fde64
	s_mov_b32 s1, 0x3ec71dee
	;; [unrolled: 1-line block ×4, first 2 shown]
	s_wait_alu 0xfffe
	s_delay_alu instid0(VALU_DEP_1) | instskip(SKIP_3) | instid1(VALU_DEP_1)
	v_fma_f64 v[39:40], v[37:38], v[39:40], s[0:1]
	s_mov_b32 s0, 0x7c89e6b0
	s_mov_b32 s1, 0x3efa0199
	s_wait_alu 0xfffe
	v_fma_f64 v[39:40], v[37:38], v[39:40], s[0:1]
	s_mov_b32 s0, 0x14761f6e
	s_mov_b32 s1, 0x3f2a01a0
	s_wait_alu 0xfffe
	s_delay_alu instid0(VALU_DEP_1) | instskip(SKIP_3) | instid1(VALU_DEP_1)
	v_fma_f64 v[39:40], v[37:38], v[39:40], s[0:1]
	s_mov_b32 s0, 0x1852b7b0
	s_mov_b32 s1, 0x3f56c16c
	s_wait_alu 0xfffe
	v_fma_f64 v[39:40], v[37:38], v[39:40], s[0:1]
	s_mov_b32 s0, 0x11122322
	s_mov_b32 s1, 0x3f811111
	;; [unrolled: 9-line block ×3, first 2 shown]
	s_wait_alu 0xfffe
	s_delay_alu instid0(VALU_DEP_1) | instskip(SKIP_3) | instid1(VALU_DEP_1)
	v_fma_f64 v[39:40], v[37:38], v[39:40], s[0:1]
	s_mov_b32 s0, 11
	s_mov_b32 s1, 0x3fe00000
	s_wait_alu 0xfffe
	v_fma_f64 v[39:40], v[37:38], v[39:40], s[0:1]
	v_cmp_nlt_f64_e64 s0, 0x40900000, v[21:22]
	v_cmp_ngt_f64_e64 s1, 0xc090cc00, v[21:22]
	s_delay_alu instid0(VALU_DEP_3) | instskip(NEXT) | instid1(VALU_DEP_1)
	v_fma_f64 v[39:40], v[37:38], v[39:40], 1.0
	v_fma_f64 v[35:36], v[37:38], v[39:40], 1.0
	s_delay_alu instid0(VALU_DEP_1) | instskip(SKIP_1) | instid1(VALU_DEP_1)
	v_ldexp_f64 v[35:36], v[35:36], v0
	s_wait_alu 0xf1ff
	v_cndmask_b32_e64 v0, 0x7ff00000, v36, s0
	s_and_b32 s0, s1, s0
	s_wait_alu 0xfffe
	s_delay_alu instid0(VALU_DEP_2) | instskip(SKIP_3) | instid1(VALU_DEP_1)
	v_cndmask_b32_e64 v21, 0, v35, s0
	s_mov_b32 s0, 0x55555555
	v_cndmask_b32_e64 v22, 0, v0, s1
	s_mov_b32 s1, 0x3fe55555
	v_add_f64_e32 v[35:36], 1.0, v[21:22]
	v_cmp_ngt_f64_e64 s17, -1.0, v[21:22]
	s_delay_alu instid0(VALU_DEP_2) | instskip(SKIP_3) | instid1(VALU_DEP_3)
	v_frexp_mant_f64_e32 v[37:38], v[35:36]
	v_frexp_exp_i32_f64_e32 v0, v[35:36]
	v_add_f64_e32 v[39:40], -1.0, v[35:36]
	s_wait_alu 0xfffe
	v_cmp_gt_f64_e64 s0, s[0:1], v[37:38]
	s_delay_alu instid0(VALU_DEP_2) | instskip(SKIP_2) | instid1(VALU_DEP_3)
	v_add_f64_e64 v[37:38], v[39:40], -v[35:36]
	v_add_f64_e64 v[39:40], v[21:22], -v[39:40]
	s_wait_alu 0xf1ff
	v_subrev_co_ci_u32_e64 v0, null, 0, v0, s0
	s_delay_alu instid0(VALU_DEP_3) | instskip(SKIP_1) | instid1(VALU_DEP_2)
	v_add_f64_e32 v[37:38], 1.0, v[37:38]
	s_mov_b32 s0, 0x55555780
	v_sub_nc_u32_e32 v43, 0, v0
	s_delay_alu instid0(VALU_DEP_1) | instskip(NEXT) | instid1(VALU_DEP_3)
	v_ldexp_f64 v[35:36], v[35:36], v43
	v_add_f64_e32 v[37:38], v[39:40], v[37:38]
	s_delay_alu instid0(VALU_DEP_2) | instskip(SKIP_1) | instid1(VALU_DEP_3)
	v_add_f64_e32 v[41:42], 1.0, v[35:36]
	v_add_f64_e32 v[65:66], -1.0, v[35:36]
	v_ldexp_f64 v[37:38], v[37:38], v43
	s_delay_alu instid0(VALU_DEP_3) | instskip(NEXT) | instid1(VALU_DEP_3)
	v_add_f64_e32 v[39:40], -1.0, v[41:42]
	v_add_f64_e32 v[67:68], 1.0, v[65:66]
	s_delay_alu instid0(VALU_DEP_2) | instskip(NEXT) | instid1(VALU_DEP_2)
	v_add_f64_e64 v[39:40], v[35:36], -v[39:40]
	v_add_f64_e64 v[35:36], v[35:36], -v[67:68]
	s_delay_alu instid0(VALU_DEP_2) | instskip(NEXT) | instid1(VALU_DEP_2)
	v_add_f64_e32 v[39:40], v[37:38], v[39:40]
	v_add_f64_e32 v[35:36], v[37:38], v[35:36]
	s_delay_alu instid0(VALU_DEP_2) | instskip(NEXT) | instid1(VALU_DEP_2)
	v_add_f64_e32 v[43:44], v[41:42], v[39:40]
	v_add_f64_e32 v[67:68], v[65:66], v[35:36]
	s_delay_alu instid0(VALU_DEP_2) | instskip(SKIP_1) | instid1(VALU_DEP_2)
	v_rcp_f64_e32 v[63:64], v[43:44]
	v_add_f64_e64 v[41:42], v[43:44], -v[41:42]
	v_add_f64_e64 v[65:66], v[67:68], -v[65:66]
	s_delay_alu instid0(VALU_DEP_2) | instskip(SKIP_1) | instid1(TRANS32_DEP_1)
	v_add_f64_e64 v[39:40], v[39:40], -v[41:42]
	s_wait_dscnt 0x0
	v_fma_f64 v[69:70], -v[43:44], v[63:64], 1.0
	s_delay_alu instid0(VALU_DEP_3) | instskip(NEXT) | instid1(VALU_DEP_2)
	v_add_f64_e64 v[35:36], v[35:36], -v[65:66]
	v_fma_f64 v[63:64], v[69:70], v[63:64], v[63:64]
	s_delay_alu instid0(VALU_DEP_1) | instskip(NEXT) | instid1(VALU_DEP_1)
	v_fma_f64 v[37:38], -v[43:44], v[63:64], 1.0
	v_fma_f64 v[37:38], v[37:38], v[63:64], v[63:64]
	s_delay_alu instid0(VALU_DEP_1) | instskip(NEXT) | instid1(VALU_DEP_1)
	v_mul_f64_e32 v[63:64], v[67:68], v[37:38]
	v_mul_f64_e32 v[69:70], v[43:44], v[63:64]
	s_delay_alu instid0(VALU_DEP_1) | instskip(NEXT) | instid1(VALU_DEP_1)
	v_fma_f64 v[41:42], v[63:64], v[43:44], -v[69:70]
	v_fma_f64 v[41:42], v[63:64], v[39:40], v[41:42]
	s_delay_alu instid0(VALU_DEP_1) | instskip(NEXT) | instid1(VALU_DEP_1)
	v_add_f64_e32 v[71:72], v[69:70], v[41:42]
	v_add_f64_e64 v[73:74], v[67:68], -v[71:72]
	v_add_f64_e64 v[65:66], v[71:72], -v[69:70]
	s_delay_alu instid0(VALU_DEP_2) | instskip(NEXT) | instid1(VALU_DEP_2)
	v_add_f64_e64 v[67:68], v[67:68], -v[73:74]
	v_add_f64_e64 v[41:42], v[65:66], -v[41:42]
	s_delay_alu instid0(VALU_DEP_2) | instskip(NEXT) | instid1(VALU_DEP_1)
	v_add_f64_e64 v[67:68], v[67:68], -v[71:72]
	v_add_f64_e32 v[35:36], v[35:36], v[67:68]
	s_delay_alu instid0(VALU_DEP_1) | instskip(NEXT) | instid1(VALU_DEP_1)
	v_add_f64_e32 v[35:36], v[41:42], v[35:36]
	v_add_f64_e32 v[41:42], v[73:74], v[35:36]
	s_delay_alu instid0(VALU_DEP_1) | instskip(SKIP_1) | instid1(VALU_DEP_2)
	v_mul_f64_e32 v[65:66], v[37:38], v[41:42]
	v_add_f64_e64 v[71:72], v[73:74], -v[41:42]
	v_mul_f64_e32 v[67:68], v[43:44], v[65:66]
	s_delay_alu instid0(VALU_DEP_2) | instskip(NEXT) | instid1(VALU_DEP_2)
	v_add_f64_e32 v[35:36], v[35:36], v[71:72]
	v_fma_f64 v[43:44], v[65:66], v[43:44], -v[67:68]
	s_delay_alu instid0(VALU_DEP_1) | instskip(NEXT) | instid1(VALU_DEP_1)
	v_fma_f64 v[39:40], v[65:66], v[39:40], v[43:44]
	v_add_f64_e32 v[43:44], v[67:68], v[39:40]
	s_delay_alu instid0(VALU_DEP_1) | instskip(SKIP_1) | instid1(VALU_DEP_2)
	v_add_f64_e64 v[69:70], v[41:42], -v[43:44]
	v_add_f64_e64 v[67:68], v[43:44], -v[67:68]
	;; [unrolled: 1-line block ×3, first 2 shown]
	s_delay_alu instid0(VALU_DEP_2) | instskip(NEXT) | instid1(VALU_DEP_2)
	v_add_f64_e64 v[39:40], v[67:68], -v[39:40]
	v_add_f64_e64 v[41:42], v[41:42], -v[43:44]
	s_delay_alu instid0(VALU_DEP_1) | instskip(SKIP_1) | instid1(VALU_DEP_2)
	v_add_f64_e32 v[35:36], v[35:36], v[41:42]
	v_add_f64_e32 v[41:42], v[63:64], v[65:66]
	;; [unrolled: 1-line block ×3, first 2 shown]
	s_delay_alu instid0(VALU_DEP_2) | instskip(NEXT) | instid1(VALU_DEP_2)
	v_add_f64_e64 v[39:40], v[41:42], -v[63:64]
	v_add_f64_e32 v[35:36], v[69:70], v[35:36]
	s_delay_alu instid0(VALU_DEP_2) | instskip(NEXT) | instid1(VALU_DEP_2)
	v_add_f64_e64 v[39:40], v[65:66], -v[39:40]
	v_mul_f64_e32 v[35:36], v[37:38], v[35:36]
	s_delay_alu instid0(VALU_DEP_1) | instskip(NEXT) | instid1(VALU_DEP_1)
	v_add_f64_e32 v[35:36], v[39:40], v[35:36]
	v_add_f64_e32 v[37:38], v[41:42], v[35:36]
	s_delay_alu instid0(VALU_DEP_1) | instskip(NEXT) | instid1(VALU_DEP_1)
	v_mul_f64_e32 v[39:40], v[37:38], v[37:38]
	v_fma_f64 v[43:44], v[39:40], s[38:39], s[34:35]
	s_mov_b32 s34, 0xd7f4df2e
	s_mov_b32 s35, 0x3fc7474d
	v_mul_f64_e32 v[63:64], v[37:38], v[39:40]
	s_wait_alu 0xfffe
	s_delay_alu instid0(VALU_DEP_2) | instskip(SKIP_3) | instid1(VALU_DEP_1)
	v_fma_f64 v[43:44], v[39:40], v[43:44], s[34:35]
	s_mov_b32 s34, 0x16291751
	s_mov_b32 s35, 0x3fcc71c0
	s_wait_alu 0xfffe
	v_fma_f64 v[43:44], v[39:40], v[43:44], s[34:35]
	s_mov_b32 s34, 0x9b27acf1
	s_mov_b32 s35, 0x3fd24924
	s_wait_alu 0xfffe
	s_delay_alu instid0(VALU_DEP_1) | instskip(SKIP_3) | instid1(VALU_DEP_1)
	v_fma_f64 v[43:44], v[39:40], v[43:44], s[34:35]
	s_mov_b32 s34, 0x998ef7b6
	s_mov_b32 s35, 0x3fd99999
	s_wait_alu 0xfffe
	v_fma_f64 v[43:44], v[39:40], v[43:44], s[34:35]
	s_delay_alu instid0(VALU_DEP_1)
	v_fma_f64 v[39:40], v[39:40], v[43:44], s[0:1]
	v_ldexp_f64 v[43:44], v[37:38], 1
	v_add_f64_e64 v[37:38], v[37:38], -v[41:42]
	v_cmp_nge_f64_e64 s0, -1.0, v[21:22]
	v_cmp_neq_f64_e64 s1, 0x7ff00000, v[21:22]
	v_mul_f64_e32 v[39:40], v[63:64], v[39:40]
	v_cvt_f64_i32_e32 v[63:64], v0
	v_add_f64_e64 v[35:36], v[35:36], -v[37:38]
	s_and_b32 s0, s0, s1
	s_delay_alu instid0(VALU_DEP_3) | instskip(NEXT) | instid1(VALU_DEP_3)
	v_add_f64_e32 v[41:42], v[43:44], v[39:40]
	v_mul_f64_e32 v[65:66], s[18:19], v[63:64]
	s_delay_alu instid0(VALU_DEP_3) | instskip(NEXT) | instid1(VALU_DEP_3)
	v_ldexp_f64 v[35:36], v[35:36], 1
	v_add_f64_e64 v[37:38], v[41:42], -v[43:44]
	s_delay_alu instid0(VALU_DEP_3) | instskip(NEXT) | instid1(VALU_DEP_2)
	v_fma_f64 v[43:44], v[63:64], s[18:19], -v[65:66]
	v_add_f64_e64 v[37:38], v[39:40], -v[37:38]
	s_delay_alu instid0(VALU_DEP_2) | instskip(NEXT) | instid1(VALU_DEP_2)
	v_fma_f64 v[39:40], v[63:64], s[20:21], v[43:44]
	v_add_f64_e32 v[35:36], v[35:36], v[37:38]
	s_delay_alu instid0(VALU_DEP_2) | instskip(NEXT) | instid1(VALU_DEP_2)
	v_add_f64_e32 v[37:38], v[65:66], v[39:40]
	v_add_f64_e32 v[43:44], v[41:42], v[35:36]
	s_delay_alu instid0(VALU_DEP_2) | instskip(NEXT) | instid1(VALU_DEP_2)
	v_add_f64_e64 v[65:66], v[37:38], -v[65:66]
	v_add_f64_e32 v[63:64], v[37:38], v[43:44]
	v_add_f64_e64 v[41:42], v[43:44], -v[41:42]
	s_delay_alu instid0(VALU_DEP_3) | instskip(NEXT) | instid1(VALU_DEP_3)
	v_add_f64_e64 v[39:40], v[39:40], -v[65:66]
	v_add_f64_e64 v[67:68], v[63:64], -v[37:38]
	s_delay_alu instid0(VALU_DEP_3) | instskip(NEXT) | instid1(VALU_DEP_2)
	v_add_f64_e64 v[35:36], v[35:36], -v[41:42]
	v_add_f64_e64 v[69:70], v[63:64], -v[67:68]
	;; [unrolled: 1-line block ×3, first 2 shown]
	s_delay_alu instid0(VALU_DEP_3) | instskip(NEXT) | instid1(VALU_DEP_3)
	v_add_f64_e32 v[43:44], v[39:40], v[35:36]
	v_add_f64_e64 v[37:38], v[37:38], -v[69:70]
	s_delay_alu instid0(VALU_DEP_1) | instskip(NEXT) | instid1(VALU_DEP_3)
	v_add_f64_e32 v[37:38], v[41:42], v[37:38]
	v_add_f64_e64 v[41:42], v[43:44], -v[39:40]
	s_delay_alu instid0(VALU_DEP_2) | instskip(NEXT) | instid1(VALU_DEP_2)
	v_add_f64_e32 v[37:38], v[43:44], v[37:38]
	v_add_f64_e64 v[43:44], v[43:44], -v[41:42]
	v_add_f64_e64 v[35:36], v[35:36], -v[41:42]
	s_delay_alu instid0(VALU_DEP_3) | instskip(NEXT) | instid1(VALU_DEP_3)
	v_add_f64_e32 v[65:66], v[63:64], v[37:38]
	v_add_f64_e64 v[39:40], v[39:40], -v[43:44]
	s_delay_alu instid0(VALU_DEP_2) | instskip(NEXT) | instid1(VALU_DEP_2)
	v_add_f64_e64 v[41:42], v[65:66], -v[63:64]
	v_add_f64_e32 v[35:36], v[35:36], v[39:40]
	s_delay_alu instid0(VALU_DEP_2) | instskip(NEXT) | instid1(VALU_DEP_1)
	v_add_f64_e64 v[37:38], v[37:38], -v[41:42]
	v_add_f64_e32 v[35:36], v[35:36], v[37:38]
	s_delay_alu instid0(VALU_DEP_1) | instskip(SKIP_1) | instid1(VALU_DEP_1)
	v_add_f64_e32 v[35:36], v[65:66], v[35:36]
	s_wait_alu 0xfffe
	v_cndmask_b32_e64 v35, 0, v35, s0
	v_cmp_neq_f64_e64 s0, -1.0, v[21:22]
	s_delay_alu instid0(VALU_DEP_3) | instskip(NEXT) | instid1(VALU_DEP_1)
	v_cndmask_b32_e64 v0, 0x7ff00000, v36, s1
	v_cndmask_b32_e64 v0, 0x7ff80000, v0, s17
	s_wait_alu 0xf1ff
	s_delay_alu instid0(VALU_DEP_1) | instskip(NEXT) | instid1(VALU_DEP_1)
	v_cndmask_b32_e64 v36, 0xfff00000, v0, s0
	v_add_f64_e32 v[21:22], v[33:34], v[35:36]
.LBB42_118:
	s_wait_alu 0xfffe
	s_or_b32 exec_lo, exec_lo, s22
	s_delay_alu instid0(VALU_DEP_1) | instskip(SKIP_1) | instid1(VALU_DEP_2)
	v_max_num_f64_e32 v[33:34], v[21:22], v[21:22]
	v_cmp_u_f64_e64 s0, v[21:22], v[21:22]
	v_min_num_f64_e32 v[35:36], v[33:34], v[45:46]
	v_max_num_f64_e32 v[33:34], v[33:34], v[45:46]
	s_wait_alu 0xf1ff
	s_delay_alu instid0(VALU_DEP_2) | instskip(NEXT) | instid1(VALU_DEP_3)
	v_cndmask_b32_e64 v0, v35, v21, s0
	v_cndmask_b32_e64 v35, v36, v22, s0
	s_delay_alu instid0(VALU_DEP_3) | instskip(NEXT) | instid1(VALU_DEP_4)
	v_cndmask_b32_e64 v34, v34, v22, s0
	v_cndmask_b32_e64 v33, v33, v21, s0
	s_delay_alu instid0(VALU_DEP_3) | instskip(SKIP_1) | instid1(VALU_DEP_4)
	v_cndmask_b32_e64 v36, v35, v24, s23
	v_cndmask_b32_e64 v35, v0, v23, s23
	;; [unrolled: 1-line block ×3, first 2 shown]
	s_delay_alu instid0(VALU_DEP_4) | instskip(SKIP_1) | instid1(VALU_DEP_4)
	v_cndmask_b32_e64 v33, v33, v23, s23
	v_dual_mov_b32 v24, v22 :: v_dual_mov_b32 v23, v21
	v_cmp_class_f64_e64 s1, v[35:36], 0x1f8
	s_delay_alu instid0(VALU_DEP_3)
	v_cmp_neq_f64_e64 s0, v[35:36], v[33:34]
	s_or_b32 s0, s0, s1
	s_wait_alu 0xfffe
	s_and_saveexec_b32 s22, s0
	s_cbranch_execz .LBB42_120
; %bb.119:
	v_add_f64_e64 v[23:24], v[35:36], -v[33:34]
	s_mov_b32 s0, 0x652b82fe
	s_mov_b32 s1, 0x3ff71547
	;; [unrolled: 1-line block ×10, first 2 shown]
	s_wait_alu 0xfffe
	s_delay_alu instid0(VALU_DEP_1) | instskip(SKIP_2) | instid1(VALU_DEP_1)
	v_mul_f64_e32 v[35:36], s[0:1], v[23:24]
	s_mov_b32 s0, 0xfca7ab0c
	s_mov_b32 s1, 0x3e928af3
	v_rndne_f64_e32 v[35:36], v[35:36]
	s_delay_alu instid0(VALU_DEP_1) | instskip(SKIP_2) | instid1(VALU_DEP_2)
	v_fma_f64 v[37:38], v[35:36], s[18:19], v[23:24]
	v_cvt_i32_f64_e32 v0, v[35:36]
	s_mov_b32 s19, 0x3fe62e42
	v_fma_f64 v[37:38], v[35:36], s[20:21], v[37:38]
	s_mov_b32 s21, 0x3c7abc9e
	s_wait_alu 0xfffe
	s_delay_alu instid0(VALU_DEP_1)
	v_fma_f64 v[39:40], v[37:38], s[34:35], s[0:1]
	s_mov_b32 s0, 0x623fde64
	s_mov_b32 s1, 0x3ec71dee
	s_mov_b32 s34, 0x6b47b09a
	s_mov_b32 s35, 0x3fc38538
	s_wait_alu 0xfffe
	s_delay_alu instid0(VALU_DEP_1) | instskip(SKIP_3) | instid1(VALU_DEP_1)
	v_fma_f64 v[39:40], v[37:38], v[39:40], s[0:1]
	s_mov_b32 s0, 0x7c89e6b0
	s_mov_b32 s1, 0x3efa0199
	s_wait_alu 0xfffe
	v_fma_f64 v[39:40], v[37:38], v[39:40], s[0:1]
	s_mov_b32 s0, 0x14761f6e
	s_mov_b32 s1, 0x3f2a01a0
	s_wait_alu 0xfffe
	s_delay_alu instid0(VALU_DEP_1) | instskip(SKIP_3) | instid1(VALU_DEP_1)
	v_fma_f64 v[39:40], v[37:38], v[39:40], s[0:1]
	s_mov_b32 s0, 0x1852b7b0
	s_mov_b32 s1, 0x3f56c16c
	s_wait_alu 0xfffe
	v_fma_f64 v[39:40], v[37:38], v[39:40], s[0:1]
	s_mov_b32 s0, 0x11122322
	s_mov_b32 s1, 0x3f811111
	;; [unrolled: 9-line block ×3, first 2 shown]
	s_wait_alu 0xfffe
	s_delay_alu instid0(VALU_DEP_1) | instskip(SKIP_3) | instid1(VALU_DEP_1)
	v_fma_f64 v[39:40], v[37:38], v[39:40], s[0:1]
	s_mov_b32 s0, 11
	s_mov_b32 s1, 0x3fe00000
	s_wait_alu 0xfffe
	v_fma_f64 v[39:40], v[37:38], v[39:40], s[0:1]
	v_cmp_nlt_f64_e64 s0, 0x40900000, v[23:24]
	v_cmp_ngt_f64_e64 s1, 0xc090cc00, v[23:24]
	s_delay_alu instid0(VALU_DEP_3) | instskip(NEXT) | instid1(VALU_DEP_1)
	v_fma_f64 v[39:40], v[37:38], v[39:40], 1.0
	v_fma_f64 v[35:36], v[37:38], v[39:40], 1.0
	s_delay_alu instid0(VALU_DEP_1) | instskip(SKIP_1) | instid1(VALU_DEP_1)
	v_ldexp_f64 v[35:36], v[35:36], v0
	s_wait_alu 0xf1ff
	v_cndmask_b32_e64 v0, 0x7ff00000, v36, s0
	s_and_b32 s0, s1, s0
	s_wait_alu 0xfffe
	s_delay_alu instid0(VALU_DEP_2) | instskip(SKIP_3) | instid1(VALU_DEP_1)
	v_cndmask_b32_e64 v23, 0, v35, s0
	s_mov_b32 s0, 0x55555555
	v_cndmask_b32_e64 v24, 0, v0, s1
	s_mov_b32 s1, 0x3fe55555
	v_add_f64_e32 v[35:36], 1.0, v[23:24]
	v_cmp_ngt_f64_e64 s17, -1.0, v[23:24]
	s_delay_alu instid0(VALU_DEP_2) | instskip(SKIP_3) | instid1(VALU_DEP_3)
	v_frexp_mant_f64_e32 v[37:38], v[35:36]
	v_frexp_exp_i32_f64_e32 v0, v[35:36]
	v_add_f64_e32 v[39:40], -1.0, v[35:36]
	s_wait_alu 0xfffe
	v_cmp_gt_f64_e64 s0, s[0:1], v[37:38]
	s_delay_alu instid0(VALU_DEP_2) | instskip(SKIP_2) | instid1(VALU_DEP_3)
	v_add_f64_e64 v[37:38], v[39:40], -v[35:36]
	v_add_f64_e64 v[39:40], v[23:24], -v[39:40]
	s_wait_alu 0xf1ff
	v_subrev_co_ci_u32_e64 v0, null, 0, v0, s0
	s_delay_alu instid0(VALU_DEP_3) | instskip(SKIP_1) | instid1(VALU_DEP_2)
	v_add_f64_e32 v[37:38], 1.0, v[37:38]
	s_mov_b32 s0, 0x55555780
	v_sub_nc_u32_e32 v43, 0, v0
	s_delay_alu instid0(VALU_DEP_1) | instskip(NEXT) | instid1(VALU_DEP_3)
	v_ldexp_f64 v[35:36], v[35:36], v43
	v_add_f64_e32 v[37:38], v[39:40], v[37:38]
	s_delay_alu instid0(VALU_DEP_2) | instskip(SKIP_1) | instid1(VALU_DEP_3)
	v_add_f64_e32 v[41:42], 1.0, v[35:36]
	v_add_f64_e32 v[63:64], -1.0, v[35:36]
	v_ldexp_f64 v[37:38], v[37:38], v43
	s_delay_alu instid0(VALU_DEP_3) | instskip(NEXT) | instid1(VALU_DEP_3)
	v_add_f64_e32 v[39:40], -1.0, v[41:42]
	v_add_f64_e32 v[65:66], 1.0, v[63:64]
	s_delay_alu instid0(VALU_DEP_2) | instskip(NEXT) | instid1(VALU_DEP_2)
	v_add_f64_e64 v[39:40], v[35:36], -v[39:40]
	v_add_f64_e64 v[35:36], v[35:36], -v[65:66]
	s_delay_alu instid0(VALU_DEP_2) | instskip(NEXT) | instid1(VALU_DEP_2)
	v_add_f64_e32 v[39:40], v[37:38], v[39:40]
	v_add_f64_e32 v[35:36], v[37:38], v[35:36]
	s_delay_alu instid0(VALU_DEP_2) | instskip(NEXT) | instid1(VALU_DEP_2)
	v_add_f64_e32 v[43:44], v[41:42], v[39:40]
	v_add_f64_e32 v[65:66], v[63:64], v[35:36]
	s_delay_alu instid0(VALU_DEP_2) | instskip(SKIP_1) | instid1(VALU_DEP_2)
	v_rcp_f64_e32 v[45:46], v[43:44]
	v_add_f64_e64 v[41:42], v[43:44], -v[41:42]
	v_add_f64_e64 v[63:64], v[65:66], -v[63:64]
	s_delay_alu instid0(VALU_DEP_2) | instskip(NEXT) | instid1(TRANS32_DEP_1)
	v_add_f64_e64 v[39:40], v[39:40], -v[41:42]
	v_fma_f64 v[67:68], -v[43:44], v[45:46], 1.0
	s_delay_alu instid0(VALU_DEP_3) | instskip(NEXT) | instid1(VALU_DEP_2)
	v_add_f64_e64 v[35:36], v[35:36], -v[63:64]
	v_fma_f64 v[45:46], v[67:68], v[45:46], v[45:46]
	s_delay_alu instid0(VALU_DEP_1) | instskip(NEXT) | instid1(VALU_DEP_1)
	v_fma_f64 v[37:38], -v[43:44], v[45:46], 1.0
	v_fma_f64 v[37:38], v[37:38], v[45:46], v[45:46]
	s_delay_alu instid0(VALU_DEP_1) | instskip(NEXT) | instid1(VALU_DEP_1)
	v_mul_f64_e32 v[45:46], v[65:66], v[37:38]
	v_mul_f64_e32 v[67:68], v[43:44], v[45:46]
	s_delay_alu instid0(VALU_DEP_1) | instskip(NEXT) | instid1(VALU_DEP_1)
	v_fma_f64 v[41:42], v[45:46], v[43:44], -v[67:68]
	v_fma_f64 v[41:42], v[45:46], v[39:40], v[41:42]
	s_wait_dscnt 0x0
	s_delay_alu instid0(VALU_DEP_1) | instskip(NEXT) | instid1(VALU_DEP_1)
	v_add_f64_e32 v[69:70], v[67:68], v[41:42]
	v_add_f64_e64 v[71:72], v[65:66], -v[69:70]
	v_add_f64_e64 v[63:64], v[69:70], -v[67:68]
	s_delay_alu instid0(VALU_DEP_2) | instskip(NEXT) | instid1(VALU_DEP_2)
	v_add_f64_e64 v[65:66], v[65:66], -v[71:72]
	v_add_f64_e64 v[41:42], v[63:64], -v[41:42]
	s_delay_alu instid0(VALU_DEP_2) | instskip(NEXT) | instid1(VALU_DEP_1)
	v_add_f64_e64 v[65:66], v[65:66], -v[69:70]
	v_add_f64_e32 v[35:36], v[35:36], v[65:66]
	s_delay_alu instid0(VALU_DEP_1) | instskip(NEXT) | instid1(VALU_DEP_1)
	v_add_f64_e32 v[35:36], v[41:42], v[35:36]
	v_add_f64_e32 v[41:42], v[71:72], v[35:36]
	s_delay_alu instid0(VALU_DEP_1) | instskip(SKIP_1) | instid1(VALU_DEP_2)
	v_mul_f64_e32 v[63:64], v[37:38], v[41:42]
	v_add_f64_e64 v[69:70], v[71:72], -v[41:42]
	v_mul_f64_e32 v[65:66], v[43:44], v[63:64]
	s_delay_alu instid0(VALU_DEP_2) | instskip(NEXT) | instid1(VALU_DEP_2)
	v_add_f64_e32 v[35:36], v[35:36], v[69:70]
	v_fma_f64 v[43:44], v[63:64], v[43:44], -v[65:66]
	s_delay_alu instid0(VALU_DEP_1) | instskip(NEXT) | instid1(VALU_DEP_1)
	v_fma_f64 v[39:40], v[63:64], v[39:40], v[43:44]
	v_add_f64_e32 v[43:44], v[65:66], v[39:40]
	s_delay_alu instid0(VALU_DEP_1) | instskip(SKIP_1) | instid1(VALU_DEP_2)
	v_add_f64_e64 v[67:68], v[41:42], -v[43:44]
	v_add_f64_e64 v[65:66], v[43:44], -v[65:66]
	;; [unrolled: 1-line block ×3, first 2 shown]
	s_delay_alu instid0(VALU_DEP_2) | instskip(NEXT) | instid1(VALU_DEP_2)
	v_add_f64_e64 v[39:40], v[65:66], -v[39:40]
	v_add_f64_e64 v[41:42], v[41:42], -v[43:44]
	s_delay_alu instid0(VALU_DEP_1) | instskip(SKIP_1) | instid1(VALU_DEP_2)
	v_add_f64_e32 v[35:36], v[35:36], v[41:42]
	v_add_f64_e32 v[41:42], v[45:46], v[63:64]
	;; [unrolled: 1-line block ×3, first 2 shown]
	s_delay_alu instid0(VALU_DEP_2) | instskip(NEXT) | instid1(VALU_DEP_2)
	v_add_f64_e64 v[39:40], v[41:42], -v[45:46]
	v_add_f64_e32 v[35:36], v[67:68], v[35:36]
	s_delay_alu instid0(VALU_DEP_2) | instskip(NEXT) | instid1(VALU_DEP_2)
	v_add_f64_e64 v[39:40], v[63:64], -v[39:40]
	v_mul_f64_e32 v[35:36], v[37:38], v[35:36]
	s_delay_alu instid0(VALU_DEP_1) | instskip(NEXT) | instid1(VALU_DEP_1)
	v_add_f64_e32 v[35:36], v[39:40], v[35:36]
	v_add_f64_e32 v[37:38], v[41:42], v[35:36]
	s_delay_alu instid0(VALU_DEP_1) | instskip(NEXT) | instid1(VALU_DEP_1)
	v_mul_f64_e32 v[39:40], v[37:38], v[37:38]
	v_fma_f64 v[43:44], v[39:40], s[38:39], s[34:35]
	s_mov_b32 s34, 0xd7f4df2e
	s_mov_b32 s35, 0x3fc7474d
	v_mul_f64_e32 v[45:46], v[37:38], v[39:40]
	s_wait_alu 0xfffe
	s_delay_alu instid0(VALU_DEP_2) | instskip(SKIP_3) | instid1(VALU_DEP_1)
	v_fma_f64 v[43:44], v[39:40], v[43:44], s[34:35]
	s_mov_b32 s34, 0x16291751
	s_mov_b32 s35, 0x3fcc71c0
	s_wait_alu 0xfffe
	v_fma_f64 v[43:44], v[39:40], v[43:44], s[34:35]
	s_mov_b32 s34, 0x9b27acf1
	s_mov_b32 s35, 0x3fd24924
	s_wait_alu 0xfffe
	s_delay_alu instid0(VALU_DEP_1) | instskip(SKIP_3) | instid1(VALU_DEP_1)
	v_fma_f64 v[43:44], v[39:40], v[43:44], s[34:35]
	s_mov_b32 s34, 0x998ef7b6
	s_mov_b32 s35, 0x3fd99999
	s_wait_alu 0xfffe
	v_fma_f64 v[43:44], v[39:40], v[43:44], s[34:35]
	s_delay_alu instid0(VALU_DEP_1)
	v_fma_f64 v[39:40], v[39:40], v[43:44], s[0:1]
	v_ldexp_f64 v[43:44], v[37:38], 1
	v_add_f64_e64 v[37:38], v[37:38], -v[41:42]
	v_cmp_nge_f64_e64 s0, -1.0, v[23:24]
	v_cmp_neq_f64_e64 s1, 0x7ff00000, v[23:24]
	v_mul_f64_e32 v[39:40], v[45:46], v[39:40]
	v_cvt_f64_i32_e32 v[45:46], v0
	v_add_f64_e64 v[35:36], v[35:36], -v[37:38]
	s_and_b32 s0, s0, s1
	s_delay_alu instid0(VALU_DEP_3) | instskip(NEXT) | instid1(VALU_DEP_3)
	v_add_f64_e32 v[41:42], v[43:44], v[39:40]
	v_mul_f64_e32 v[63:64], s[18:19], v[45:46]
	s_delay_alu instid0(VALU_DEP_3) | instskip(NEXT) | instid1(VALU_DEP_3)
	v_ldexp_f64 v[35:36], v[35:36], 1
	v_add_f64_e64 v[37:38], v[41:42], -v[43:44]
	s_delay_alu instid0(VALU_DEP_3) | instskip(NEXT) | instid1(VALU_DEP_2)
	v_fma_f64 v[43:44], v[45:46], s[18:19], -v[63:64]
	v_add_f64_e64 v[37:38], v[39:40], -v[37:38]
	s_delay_alu instid0(VALU_DEP_2) | instskip(NEXT) | instid1(VALU_DEP_2)
	v_fma_f64 v[39:40], v[45:46], s[20:21], v[43:44]
	v_add_f64_e32 v[35:36], v[35:36], v[37:38]
	s_delay_alu instid0(VALU_DEP_2) | instskip(NEXT) | instid1(VALU_DEP_2)
	v_add_f64_e32 v[37:38], v[63:64], v[39:40]
	v_add_f64_e32 v[43:44], v[41:42], v[35:36]
	s_delay_alu instid0(VALU_DEP_2) | instskip(NEXT) | instid1(VALU_DEP_2)
	v_add_f64_e64 v[63:64], v[37:38], -v[63:64]
	v_add_f64_e32 v[45:46], v[37:38], v[43:44]
	v_add_f64_e64 v[41:42], v[43:44], -v[41:42]
	s_delay_alu instid0(VALU_DEP_3) | instskip(NEXT) | instid1(VALU_DEP_3)
	v_add_f64_e64 v[39:40], v[39:40], -v[63:64]
	v_add_f64_e64 v[65:66], v[45:46], -v[37:38]
	s_delay_alu instid0(VALU_DEP_3) | instskip(NEXT) | instid1(VALU_DEP_2)
	v_add_f64_e64 v[35:36], v[35:36], -v[41:42]
	v_add_f64_e64 v[67:68], v[45:46], -v[65:66]
	;; [unrolled: 1-line block ×3, first 2 shown]
	s_delay_alu instid0(VALU_DEP_3) | instskip(NEXT) | instid1(VALU_DEP_3)
	v_add_f64_e32 v[43:44], v[39:40], v[35:36]
	v_add_f64_e64 v[37:38], v[37:38], -v[67:68]
	s_delay_alu instid0(VALU_DEP_1) | instskip(NEXT) | instid1(VALU_DEP_3)
	v_add_f64_e32 v[37:38], v[41:42], v[37:38]
	v_add_f64_e64 v[41:42], v[43:44], -v[39:40]
	s_delay_alu instid0(VALU_DEP_2) | instskip(NEXT) | instid1(VALU_DEP_2)
	v_add_f64_e32 v[37:38], v[43:44], v[37:38]
	v_add_f64_e64 v[43:44], v[43:44], -v[41:42]
	v_add_f64_e64 v[35:36], v[35:36], -v[41:42]
	s_delay_alu instid0(VALU_DEP_3) | instskip(NEXT) | instid1(VALU_DEP_3)
	v_add_f64_e32 v[63:64], v[45:46], v[37:38]
	v_add_f64_e64 v[39:40], v[39:40], -v[43:44]
	s_delay_alu instid0(VALU_DEP_2) | instskip(NEXT) | instid1(VALU_DEP_2)
	v_add_f64_e64 v[41:42], v[63:64], -v[45:46]
	v_add_f64_e32 v[35:36], v[35:36], v[39:40]
	s_delay_alu instid0(VALU_DEP_2) | instskip(NEXT) | instid1(VALU_DEP_1)
	v_add_f64_e64 v[37:38], v[37:38], -v[41:42]
	v_add_f64_e32 v[35:36], v[35:36], v[37:38]
	s_delay_alu instid0(VALU_DEP_1) | instskip(SKIP_1) | instid1(VALU_DEP_1)
	v_add_f64_e32 v[35:36], v[63:64], v[35:36]
	s_wait_alu 0xfffe
	v_cndmask_b32_e64 v35, 0, v35, s0
	v_cmp_neq_f64_e64 s0, -1.0, v[23:24]
	s_delay_alu instid0(VALU_DEP_3) | instskip(NEXT) | instid1(VALU_DEP_1)
	v_cndmask_b32_e64 v0, 0x7ff00000, v36, s1
	v_cndmask_b32_e64 v0, 0x7ff80000, v0, s17
	s_wait_alu 0xf1ff
	s_delay_alu instid0(VALU_DEP_1) | instskip(NEXT) | instid1(VALU_DEP_1)
	v_cndmask_b32_e64 v36, 0xfff00000, v0, s0
	v_add_f64_e32 v[23:24], v[33:34], v[35:36]
.LBB42_120:
	s_wait_alu 0xfffe
	s_or_b32 exec_lo, exec_lo, s22
	s_delay_alu instid0(VALU_DEP_1) | instskip(SKIP_1) | instid1(VALU_DEP_2)
	v_max_num_f64_e32 v[33:34], v[23:24], v[23:24]
	v_cmp_u_f64_e64 s0, v[23:24], v[23:24]
	v_min_num_f64_e32 v[35:36], v[33:34], v[47:48]
	v_max_num_f64_e32 v[33:34], v[33:34], v[47:48]
	s_wait_alu 0xf1ff
	s_delay_alu instid0(VALU_DEP_2) | instskip(NEXT) | instid1(VALU_DEP_3)
	v_cndmask_b32_e64 v0, v35, v23, s0
	v_cndmask_b32_e64 v35, v36, v24, s0
	s_delay_alu instid0(VALU_DEP_3) | instskip(NEXT) | instid1(VALU_DEP_4)
	v_cndmask_b32_e64 v34, v34, v24, s0
	v_cndmask_b32_e64 v33, v33, v23, s0
	s_delay_alu instid0(VALU_DEP_3) | instskip(SKIP_1) | instid1(VALU_DEP_4)
	v_cndmask_b32_e64 v36, v35, v18, s24
	v_cndmask_b32_e64 v35, v0, v17, s24
	v_cndmask_b32_e64 v34, v34, v18, s24
	s_delay_alu instid0(VALU_DEP_4) | instskip(SKIP_1) | instid1(VALU_DEP_4)
	v_cndmask_b32_e64 v33, v33, v17, s24
	v_dual_mov_b32 v17, v23 :: v_dual_mov_b32 v18, v24
	v_cmp_class_f64_e64 s1, v[35:36], 0x1f8
	s_delay_alu instid0(VALU_DEP_3)
	v_cmp_neq_f64_e64 s0, v[35:36], v[33:34]
	s_or_b32 s0, s0, s1
	s_wait_alu 0xfffe
	s_and_saveexec_b32 s22, s0
	s_cbranch_execz .LBB42_122
; %bb.121:
	v_add_f64_e64 v[17:18], v[35:36], -v[33:34]
	s_mov_b32 s0, 0x652b82fe
	s_mov_b32 s1, 0x3ff71547
	;; [unrolled: 1-line block ×10, first 2 shown]
	s_wait_alu 0xfffe
	s_delay_alu instid0(VALU_DEP_1) | instskip(SKIP_2) | instid1(VALU_DEP_1)
	v_mul_f64_e32 v[35:36], s[0:1], v[17:18]
	s_mov_b32 s0, 0xfca7ab0c
	s_mov_b32 s1, 0x3e928af3
	v_rndne_f64_e32 v[35:36], v[35:36]
	s_delay_alu instid0(VALU_DEP_1) | instskip(SKIP_2) | instid1(VALU_DEP_2)
	v_fma_f64 v[37:38], v[35:36], s[18:19], v[17:18]
	v_cvt_i32_f64_e32 v0, v[35:36]
	s_mov_b32 s19, 0x3fe62e42
	v_fma_f64 v[37:38], v[35:36], s[20:21], v[37:38]
	s_mov_b32 s21, 0x3c7abc9e
	s_wait_alu 0xfffe
	s_delay_alu instid0(VALU_DEP_1)
	v_fma_f64 v[39:40], v[37:38], s[34:35], s[0:1]
	s_mov_b32 s0, 0x623fde64
	s_mov_b32 s1, 0x3ec71dee
	;; [unrolled: 1-line block ×4, first 2 shown]
	s_wait_alu 0xfffe
	s_delay_alu instid0(VALU_DEP_1) | instskip(SKIP_3) | instid1(VALU_DEP_1)
	v_fma_f64 v[39:40], v[37:38], v[39:40], s[0:1]
	s_mov_b32 s0, 0x7c89e6b0
	s_mov_b32 s1, 0x3efa0199
	s_wait_alu 0xfffe
	v_fma_f64 v[39:40], v[37:38], v[39:40], s[0:1]
	s_mov_b32 s0, 0x14761f6e
	s_mov_b32 s1, 0x3f2a01a0
	s_wait_alu 0xfffe
	s_delay_alu instid0(VALU_DEP_1) | instskip(SKIP_3) | instid1(VALU_DEP_1)
	v_fma_f64 v[39:40], v[37:38], v[39:40], s[0:1]
	s_mov_b32 s0, 0x1852b7b0
	s_mov_b32 s1, 0x3f56c16c
	s_wait_alu 0xfffe
	v_fma_f64 v[39:40], v[37:38], v[39:40], s[0:1]
	s_mov_b32 s0, 0x11122322
	s_mov_b32 s1, 0x3f811111
	;; [unrolled: 9-line block ×3, first 2 shown]
	s_wait_alu 0xfffe
	s_delay_alu instid0(VALU_DEP_1) | instskip(SKIP_3) | instid1(VALU_DEP_1)
	v_fma_f64 v[39:40], v[37:38], v[39:40], s[0:1]
	s_mov_b32 s0, 11
	s_mov_b32 s1, 0x3fe00000
	s_wait_alu 0xfffe
	v_fma_f64 v[39:40], v[37:38], v[39:40], s[0:1]
	v_cmp_nlt_f64_e64 s0, 0x40900000, v[17:18]
	v_cmp_ngt_f64_e64 s1, 0xc090cc00, v[17:18]
	s_delay_alu instid0(VALU_DEP_3) | instskip(NEXT) | instid1(VALU_DEP_1)
	v_fma_f64 v[39:40], v[37:38], v[39:40], 1.0
	v_fma_f64 v[35:36], v[37:38], v[39:40], 1.0
	s_delay_alu instid0(VALU_DEP_1) | instskip(SKIP_1) | instid1(VALU_DEP_1)
	v_ldexp_f64 v[35:36], v[35:36], v0
	s_wait_alu 0xf1ff
	v_cndmask_b32_e64 v0, 0x7ff00000, v36, s0
	s_and_b32 s0, s1, s0
	s_wait_alu 0xfffe
	s_delay_alu instid0(VALU_DEP_2) | instskip(SKIP_3) | instid1(VALU_DEP_1)
	v_cndmask_b32_e64 v17, 0, v35, s0
	s_mov_b32 s0, 0x55555555
	v_cndmask_b32_e64 v18, 0, v0, s1
	s_mov_b32 s1, 0x3fe55555
	v_add_f64_e32 v[35:36], 1.0, v[17:18]
	v_cmp_ngt_f64_e64 s17, -1.0, v[17:18]
	s_delay_alu instid0(VALU_DEP_2) | instskip(SKIP_3) | instid1(VALU_DEP_3)
	v_frexp_mant_f64_e32 v[37:38], v[35:36]
	v_frexp_exp_i32_f64_e32 v0, v[35:36]
	v_add_f64_e32 v[39:40], -1.0, v[35:36]
	s_wait_alu 0xfffe
	v_cmp_gt_f64_e64 s0, s[0:1], v[37:38]
	s_delay_alu instid0(VALU_DEP_2) | instskip(SKIP_2) | instid1(VALU_DEP_3)
	v_add_f64_e64 v[37:38], v[39:40], -v[35:36]
	v_add_f64_e64 v[39:40], v[17:18], -v[39:40]
	s_wait_alu 0xf1ff
	v_subrev_co_ci_u32_e64 v0, null, 0, v0, s0
	s_delay_alu instid0(VALU_DEP_3) | instskip(SKIP_1) | instid1(VALU_DEP_2)
	v_add_f64_e32 v[37:38], 1.0, v[37:38]
	s_mov_b32 s0, 0x55555780
	v_sub_nc_u32_e32 v43, 0, v0
	s_delay_alu instid0(VALU_DEP_1) | instskip(NEXT) | instid1(VALU_DEP_3)
	v_ldexp_f64 v[35:36], v[35:36], v43
	v_add_f64_e32 v[37:38], v[39:40], v[37:38]
	s_delay_alu instid0(VALU_DEP_2) | instskip(SKIP_1) | instid1(VALU_DEP_3)
	v_add_f64_e32 v[41:42], 1.0, v[35:36]
	v_add_f64_e32 v[47:48], -1.0, v[35:36]
	v_ldexp_f64 v[37:38], v[37:38], v43
	s_delay_alu instid0(VALU_DEP_3) | instskip(NEXT) | instid1(VALU_DEP_3)
	v_add_f64_e32 v[39:40], -1.0, v[41:42]
	v_add_f64_e32 v[63:64], 1.0, v[47:48]
	s_delay_alu instid0(VALU_DEP_2) | instskip(NEXT) | instid1(VALU_DEP_2)
	v_add_f64_e64 v[39:40], v[35:36], -v[39:40]
	v_add_f64_e64 v[35:36], v[35:36], -v[63:64]
	s_delay_alu instid0(VALU_DEP_2) | instskip(NEXT) | instid1(VALU_DEP_2)
	v_add_f64_e32 v[39:40], v[37:38], v[39:40]
	v_add_f64_e32 v[35:36], v[37:38], v[35:36]
	s_delay_alu instid0(VALU_DEP_2) | instskip(NEXT) | instid1(VALU_DEP_2)
	v_add_f64_e32 v[43:44], v[41:42], v[39:40]
	v_add_f64_e32 v[63:64], v[47:48], v[35:36]
	s_delay_alu instid0(VALU_DEP_2) | instskip(SKIP_1) | instid1(VALU_DEP_2)
	v_rcp_f64_e32 v[45:46], v[43:44]
	v_add_f64_e64 v[41:42], v[43:44], -v[41:42]
	v_add_f64_e64 v[47:48], v[63:64], -v[47:48]
	s_delay_alu instid0(VALU_DEP_2) | instskip(NEXT) | instid1(TRANS32_DEP_1)
	v_add_f64_e64 v[39:40], v[39:40], -v[41:42]
	v_fma_f64 v[65:66], -v[43:44], v[45:46], 1.0
	s_delay_alu instid0(VALU_DEP_3) | instskip(NEXT) | instid1(VALU_DEP_2)
	v_add_f64_e64 v[35:36], v[35:36], -v[47:48]
	v_fma_f64 v[45:46], v[65:66], v[45:46], v[45:46]
	s_delay_alu instid0(VALU_DEP_1) | instskip(NEXT) | instid1(VALU_DEP_1)
	v_fma_f64 v[37:38], -v[43:44], v[45:46], 1.0
	v_fma_f64 v[37:38], v[37:38], v[45:46], v[45:46]
	s_delay_alu instid0(VALU_DEP_1) | instskip(NEXT) | instid1(VALU_DEP_1)
	v_mul_f64_e32 v[45:46], v[63:64], v[37:38]
	v_mul_f64_e32 v[65:66], v[43:44], v[45:46]
	s_delay_alu instid0(VALU_DEP_1) | instskip(NEXT) | instid1(VALU_DEP_1)
	v_fma_f64 v[41:42], v[45:46], v[43:44], -v[65:66]
	v_fma_f64 v[41:42], v[45:46], v[39:40], v[41:42]
	s_delay_alu instid0(VALU_DEP_1) | instskip(SKIP_1) | instid1(VALU_DEP_1)
	v_add_f64_e32 v[67:68], v[65:66], v[41:42]
	s_wait_dscnt 0x0
	v_add_f64_e64 v[69:70], v[63:64], -v[67:68]
	v_add_f64_e64 v[47:48], v[67:68], -v[65:66]
	s_delay_alu instid0(VALU_DEP_2) | instskip(NEXT) | instid1(VALU_DEP_2)
	v_add_f64_e64 v[63:64], v[63:64], -v[69:70]
	v_add_f64_e64 v[41:42], v[47:48], -v[41:42]
	s_delay_alu instid0(VALU_DEP_2) | instskip(NEXT) | instid1(VALU_DEP_1)
	v_add_f64_e64 v[63:64], v[63:64], -v[67:68]
	v_add_f64_e32 v[35:36], v[35:36], v[63:64]
	s_delay_alu instid0(VALU_DEP_1) | instskip(NEXT) | instid1(VALU_DEP_1)
	v_add_f64_e32 v[35:36], v[41:42], v[35:36]
	v_add_f64_e32 v[41:42], v[69:70], v[35:36]
	s_delay_alu instid0(VALU_DEP_1) | instskip(SKIP_1) | instid1(VALU_DEP_2)
	v_mul_f64_e32 v[47:48], v[37:38], v[41:42]
	v_add_f64_e64 v[67:68], v[69:70], -v[41:42]
	v_mul_f64_e32 v[63:64], v[43:44], v[47:48]
	s_delay_alu instid0(VALU_DEP_2) | instskip(NEXT) | instid1(VALU_DEP_2)
	v_add_f64_e32 v[35:36], v[35:36], v[67:68]
	v_fma_f64 v[43:44], v[47:48], v[43:44], -v[63:64]
	s_delay_alu instid0(VALU_DEP_1) | instskip(NEXT) | instid1(VALU_DEP_1)
	v_fma_f64 v[39:40], v[47:48], v[39:40], v[43:44]
	v_add_f64_e32 v[43:44], v[63:64], v[39:40]
	s_delay_alu instid0(VALU_DEP_1) | instskip(SKIP_1) | instid1(VALU_DEP_2)
	v_add_f64_e64 v[65:66], v[41:42], -v[43:44]
	v_add_f64_e64 v[63:64], v[43:44], -v[63:64]
	;; [unrolled: 1-line block ×3, first 2 shown]
	s_delay_alu instid0(VALU_DEP_2) | instskip(NEXT) | instid1(VALU_DEP_2)
	v_add_f64_e64 v[39:40], v[63:64], -v[39:40]
	v_add_f64_e64 v[41:42], v[41:42], -v[43:44]
	s_delay_alu instid0(VALU_DEP_1) | instskip(SKIP_1) | instid1(VALU_DEP_2)
	v_add_f64_e32 v[35:36], v[35:36], v[41:42]
	v_add_f64_e32 v[41:42], v[45:46], v[47:48]
	;; [unrolled: 1-line block ×3, first 2 shown]
	s_delay_alu instid0(VALU_DEP_2) | instskip(NEXT) | instid1(VALU_DEP_2)
	v_add_f64_e64 v[39:40], v[41:42], -v[45:46]
	v_add_f64_e32 v[35:36], v[65:66], v[35:36]
	s_delay_alu instid0(VALU_DEP_2) | instskip(NEXT) | instid1(VALU_DEP_2)
	v_add_f64_e64 v[39:40], v[47:48], -v[39:40]
	v_mul_f64_e32 v[35:36], v[37:38], v[35:36]
	s_delay_alu instid0(VALU_DEP_1) | instskip(NEXT) | instid1(VALU_DEP_1)
	v_add_f64_e32 v[35:36], v[39:40], v[35:36]
	v_add_f64_e32 v[37:38], v[41:42], v[35:36]
	s_delay_alu instid0(VALU_DEP_1) | instskip(NEXT) | instid1(VALU_DEP_1)
	v_mul_f64_e32 v[39:40], v[37:38], v[37:38]
	v_fma_f64 v[43:44], v[39:40], s[38:39], s[34:35]
	s_mov_b32 s34, 0xd7f4df2e
	s_mov_b32 s35, 0x3fc7474d
	v_mul_f64_e32 v[45:46], v[37:38], v[39:40]
	s_wait_alu 0xfffe
	s_delay_alu instid0(VALU_DEP_2) | instskip(SKIP_3) | instid1(VALU_DEP_1)
	v_fma_f64 v[43:44], v[39:40], v[43:44], s[34:35]
	s_mov_b32 s34, 0x16291751
	s_mov_b32 s35, 0x3fcc71c0
	s_wait_alu 0xfffe
	v_fma_f64 v[43:44], v[39:40], v[43:44], s[34:35]
	s_mov_b32 s34, 0x9b27acf1
	s_mov_b32 s35, 0x3fd24924
	s_wait_alu 0xfffe
	s_delay_alu instid0(VALU_DEP_1) | instskip(SKIP_3) | instid1(VALU_DEP_1)
	v_fma_f64 v[43:44], v[39:40], v[43:44], s[34:35]
	s_mov_b32 s34, 0x998ef7b6
	s_mov_b32 s35, 0x3fd99999
	s_wait_alu 0xfffe
	v_fma_f64 v[43:44], v[39:40], v[43:44], s[34:35]
	s_delay_alu instid0(VALU_DEP_1)
	v_fma_f64 v[39:40], v[39:40], v[43:44], s[0:1]
	v_ldexp_f64 v[43:44], v[37:38], 1
	v_add_f64_e64 v[37:38], v[37:38], -v[41:42]
	v_cmp_nge_f64_e64 s0, -1.0, v[17:18]
	v_cmp_neq_f64_e64 s1, 0x7ff00000, v[17:18]
	v_mul_f64_e32 v[39:40], v[45:46], v[39:40]
	v_cvt_f64_i32_e32 v[45:46], v0
	v_add_f64_e64 v[35:36], v[35:36], -v[37:38]
	s_and_b32 s0, s0, s1
	s_delay_alu instid0(VALU_DEP_3) | instskip(NEXT) | instid1(VALU_DEP_3)
	v_add_f64_e32 v[41:42], v[43:44], v[39:40]
	v_mul_f64_e32 v[47:48], s[18:19], v[45:46]
	s_delay_alu instid0(VALU_DEP_3) | instskip(NEXT) | instid1(VALU_DEP_3)
	v_ldexp_f64 v[35:36], v[35:36], 1
	v_add_f64_e64 v[37:38], v[41:42], -v[43:44]
	s_delay_alu instid0(VALU_DEP_3) | instskip(NEXT) | instid1(VALU_DEP_2)
	v_fma_f64 v[43:44], v[45:46], s[18:19], -v[47:48]
	v_add_f64_e64 v[37:38], v[39:40], -v[37:38]
	s_delay_alu instid0(VALU_DEP_2) | instskip(NEXT) | instid1(VALU_DEP_2)
	v_fma_f64 v[39:40], v[45:46], s[20:21], v[43:44]
	v_add_f64_e32 v[35:36], v[35:36], v[37:38]
	s_delay_alu instid0(VALU_DEP_2) | instskip(NEXT) | instid1(VALU_DEP_2)
	v_add_f64_e32 v[37:38], v[47:48], v[39:40]
	v_add_f64_e32 v[43:44], v[41:42], v[35:36]
	s_delay_alu instid0(VALU_DEP_2) | instskip(NEXT) | instid1(VALU_DEP_2)
	v_add_f64_e64 v[47:48], v[37:38], -v[47:48]
	v_add_f64_e32 v[45:46], v[37:38], v[43:44]
	v_add_f64_e64 v[41:42], v[43:44], -v[41:42]
	s_delay_alu instid0(VALU_DEP_3) | instskip(NEXT) | instid1(VALU_DEP_3)
	v_add_f64_e64 v[39:40], v[39:40], -v[47:48]
	v_add_f64_e64 v[63:64], v[45:46], -v[37:38]
	s_delay_alu instid0(VALU_DEP_3) | instskip(NEXT) | instid1(VALU_DEP_2)
	v_add_f64_e64 v[35:36], v[35:36], -v[41:42]
	v_add_f64_e64 v[65:66], v[45:46], -v[63:64]
	;; [unrolled: 1-line block ×3, first 2 shown]
	s_delay_alu instid0(VALU_DEP_3) | instskip(NEXT) | instid1(VALU_DEP_3)
	v_add_f64_e32 v[43:44], v[39:40], v[35:36]
	v_add_f64_e64 v[37:38], v[37:38], -v[65:66]
	s_delay_alu instid0(VALU_DEP_1) | instskip(NEXT) | instid1(VALU_DEP_3)
	v_add_f64_e32 v[37:38], v[41:42], v[37:38]
	v_add_f64_e64 v[41:42], v[43:44], -v[39:40]
	s_delay_alu instid0(VALU_DEP_2) | instskip(NEXT) | instid1(VALU_DEP_2)
	v_add_f64_e32 v[37:38], v[43:44], v[37:38]
	v_add_f64_e64 v[43:44], v[43:44], -v[41:42]
	v_add_f64_e64 v[35:36], v[35:36], -v[41:42]
	s_delay_alu instid0(VALU_DEP_3) | instskip(NEXT) | instid1(VALU_DEP_3)
	v_add_f64_e32 v[47:48], v[45:46], v[37:38]
	v_add_f64_e64 v[39:40], v[39:40], -v[43:44]
	s_delay_alu instid0(VALU_DEP_2) | instskip(NEXT) | instid1(VALU_DEP_2)
	v_add_f64_e64 v[41:42], v[47:48], -v[45:46]
	v_add_f64_e32 v[35:36], v[35:36], v[39:40]
	s_delay_alu instid0(VALU_DEP_2) | instskip(NEXT) | instid1(VALU_DEP_1)
	v_add_f64_e64 v[37:38], v[37:38], -v[41:42]
	v_add_f64_e32 v[35:36], v[35:36], v[37:38]
	s_delay_alu instid0(VALU_DEP_1) | instskip(SKIP_1) | instid1(VALU_DEP_1)
	v_add_f64_e32 v[35:36], v[47:48], v[35:36]
	s_wait_alu 0xfffe
	v_cndmask_b32_e64 v35, 0, v35, s0
	v_cmp_neq_f64_e64 s0, -1.0, v[17:18]
	s_delay_alu instid0(VALU_DEP_3) | instskip(NEXT) | instid1(VALU_DEP_1)
	v_cndmask_b32_e64 v0, 0x7ff00000, v36, s1
	v_cndmask_b32_e64 v0, 0x7ff80000, v0, s17
	s_wait_alu 0xf1ff
	s_delay_alu instid0(VALU_DEP_1) | instskip(NEXT) | instid1(VALU_DEP_1)
	v_cndmask_b32_e64 v36, 0xfff00000, v0, s0
	v_add_f64_e32 v[17:18], v[33:34], v[35:36]
.LBB42_122:
	s_wait_alu 0xfffe
	s_or_b32 exec_lo, exec_lo, s22
	s_delay_alu instid0(VALU_DEP_1) | instskip(SKIP_1) | instid1(VALU_DEP_2)
	v_max_num_f64_e32 v[33:34], v[17:18], v[17:18]
	v_cmp_u_f64_e64 s0, v[17:18], v[17:18]
	v_min_num_f64_e32 v[35:36], v[33:34], v[49:50]
	v_max_num_f64_e32 v[33:34], v[33:34], v[49:50]
	s_wait_alu 0xf1ff
	s_delay_alu instid0(VALU_DEP_2) | instskip(NEXT) | instid1(VALU_DEP_3)
	v_cndmask_b32_e64 v0, v35, v17, s0
	v_cndmask_b32_e64 v35, v36, v18, s0
	s_delay_alu instid0(VALU_DEP_3) | instskip(NEXT) | instid1(VALU_DEP_4)
	v_cndmask_b32_e64 v34, v34, v18, s0
	v_cndmask_b32_e64 v33, v33, v17, s0
	s_delay_alu instid0(VALU_DEP_3) | instskip(SKIP_1) | instid1(VALU_DEP_4)
	v_cndmask_b32_e64 v36, v35, v20, s25
	v_cndmask_b32_e64 v35, v0, v19, s25
	;; [unrolled: 1-line block ×3, first 2 shown]
	s_delay_alu instid0(VALU_DEP_4) | instskip(SKIP_1) | instid1(VALU_DEP_4)
	v_cndmask_b32_e64 v33, v33, v19, s25
	v_dual_mov_b32 v20, v18 :: v_dual_mov_b32 v19, v17
	v_cmp_class_f64_e64 s1, v[35:36], 0x1f8
	s_delay_alu instid0(VALU_DEP_3)
	v_cmp_neq_f64_e64 s0, v[35:36], v[33:34]
	s_or_b32 s0, s0, s1
	s_wait_alu 0xfffe
	s_and_saveexec_b32 s22, s0
	s_cbranch_execz .LBB42_124
; %bb.123:
	v_add_f64_e64 v[19:20], v[35:36], -v[33:34]
	s_mov_b32 s0, 0x652b82fe
	s_mov_b32 s1, 0x3ff71547
	;; [unrolled: 1-line block ×10, first 2 shown]
	s_wait_alu 0xfffe
	s_delay_alu instid0(VALU_DEP_1) | instskip(SKIP_2) | instid1(VALU_DEP_1)
	v_mul_f64_e32 v[35:36], s[0:1], v[19:20]
	s_mov_b32 s0, 0xfca7ab0c
	s_mov_b32 s1, 0x3e928af3
	v_rndne_f64_e32 v[35:36], v[35:36]
	s_delay_alu instid0(VALU_DEP_1) | instskip(SKIP_2) | instid1(VALU_DEP_2)
	v_fma_f64 v[37:38], v[35:36], s[18:19], v[19:20]
	v_cvt_i32_f64_e32 v0, v[35:36]
	s_mov_b32 s19, 0x3fe62e42
	v_fma_f64 v[37:38], v[35:36], s[20:21], v[37:38]
	s_mov_b32 s21, 0x3c7abc9e
	s_wait_alu 0xfffe
	s_delay_alu instid0(VALU_DEP_1)
	v_fma_f64 v[39:40], v[37:38], s[24:25], s[0:1]
	s_mov_b32 s0, 0x623fde64
	s_mov_b32 s1, 0x3ec71dee
	;; [unrolled: 1-line block ×4, first 2 shown]
	s_wait_alu 0xfffe
	s_delay_alu instid0(VALU_DEP_1) | instskip(SKIP_3) | instid1(VALU_DEP_1)
	v_fma_f64 v[39:40], v[37:38], v[39:40], s[0:1]
	s_mov_b32 s0, 0x7c89e6b0
	s_mov_b32 s1, 0x3efa0199
	s_wait_alu 0xfffe
	v_fma_f64 v[39:40], v[37:38], v[39:40], s[0:1]
	s_mov_b32 s0, 0x14761f6e
	s_mov_b32 s1, 0x3f2a01a0
	s_wait_alu 0xfffe
	s_delay_alu instid0(VALU_DEP_1) | instskip(SKIP_3) | instid1(VALU_DEP_1)
	v_fma_f64 v[39:40], v[37:38], v[39:40], s[0:1]
	s_mov_b32 s0, 0x1852b7b0
	s_mov_b32 s1, 0x3f56c16c
	s_wait_alu 0xfffe
	v_fma_f64 v[39:40], v[37:38], v[39:40], s[0:1]
	s_mov_b32 s0, 0x11122322
	s_mov_b32 s1, 0x3f811111
	;; [unrolled: 9-line block ×3, first 2 shown]
	s_wait_alu 0xfffe
	s_delay_alu instid0(VALU_DEP_1) | instskip(SKIP_3) | instid1(VALU_DEP_1)
	v_fma_f64 v[39:40], v[37:38], v[39:40], s[0:1]
	s_mov_b32 s0, 11
	s_mov_b32 s1, 0x3fe00000
	s_wait_alu 0xfffe
	v_fma_f64 v[39:40], v[37:38], v[39:40], s[0:1]
	v_cmp_nlt_f64_e64 s0, 0x40900000, v[19:20]
	v_cmp_ngt_f64_e64 s1, 0xc090cc00, v[19:20]
	s_delay_alu instid0(VALU_DEP_3) | instskip(NEXT) | instid1(VALU_DEP_1)
	v_fma_f64 v[39:40], v[37:38], v[39:40], 1.0
	v_fma_f64 v[35:36], v[37:38], v[39:40], 1.0
	s_delay_alu instid0(VALU_DEP_1) | instskip(SKIP_1) | instid1(VALU_DEP_1)
	v_ldexp_f64 v[35:36], v[35:36], v0
	s_wait_alu 0xf1ff
	v_cndmask_b32_e64 v0, 0x7ff00000, v36, s0
	s_and_b32 s0, s1, s0
	s_wait_alu 0xfffe
	s_delay_alu instid0(VALU_DEP_2) | instskip(SKIP_3) | instid1(VALU_DEP_1)
	v_cndmask_b32_e64 v19, 0, v35, s0
	s_mov_b32 s0, 0x55555555
	v_cndmask_b32_e64 v20, 0, v0, s1
	s_mov_b32 s1, 0x3fe55555
	v_add_f64_e32 v[35:36], 1.0, v[19:20]
	v_cmp_ngt_f64_e64 s17, -1.0, v[19:20]
	s_delay_alu instid0(VALU_DEP_2) | instskip(SKIP_3) | instid1(VALU_DEP_3)
	v_frexp_mant_f64_e32 v[37:38], v[35:36]
	v_frexp_exp_i32_f64_e32 v0, v[35:36]
	v_add_f64_e32 v[39:40], -1.0, v[35:36]
	s_wait_alu 0xfffe
	v_cmp_gt_f64_e64 s0, s[0:1], v[37:38]
	s_delay_alu instid0(VALU_DEP_2) | instskip(SKIP_2) | instid1(VALU_DEP_3)
	v_add_f64_e64 v[37:38], v[39:40], -v[35:36]
	v_add_f64_e64 v[39:40], v[19:20], -v[39:40]
	s_wait_alu 0xf1ff
	v_subrev_co_ci_u32_e64 v0, null, 0, v0, s0
	s_delay_alu instid0(VALU_DEP_3) | instskip(SKIP_1) | instid1(VALU_DEP_2)
	v_add_f64_e32 v[37:38], 1.0, v[37:38]
	s_mov_b32 s0, 0x55555780
	v_sub_nc_u32_e32 v43, 0, v0
	s_delay_alu instid0(VALU_DEP_1) | instskip(NEXT) | instid1(VALU_DEP_3)
	v_ldexp_f64 v[35:36], v[35:36], v43
	v_add_f64_e32 v[37:38], v[39:40], v[37:38]
	s_delay_alu instid0(VALU_DEP_2) | instskip(SKIP_1) | instid1(VALU_DEP_3)
	v_add_f64_e32 v[41:42], 1.0, v[35:36]
	v_add_f64_e32 v[47:48], -1.0, v[35:36]
	v_ldexp_f64 v[37:38], v[37:38], v43
	s_delay_alu instid0(VALU_DEP_3) | instskip(NEXT) | instid1(VALU_DEP_3)
	v_add_f64_e32 v[39:40], -1.0, v[41:42]
	v_add_f64_e32 v[49:50], 1.0, v[47:48]
	s_delay_alu instid0(VALU_DEP_2) | instskip(NEXT) | instid1(VALU_DEP_2)
	v_add_f64_e64 v[39:40], v[35:36], -v[39:40]
	v_add_f64_e64 v[35:36], v[35:36], -v[49:50]
	s_delay_alu instid0(VALU_DEP_2) | instskip(NEXT) | instid1(VALU_DEP_2)
	v_add_f64_e32 v[39:40], v[37:38], v[39:40]
	v_add_f64_e32 v[35:36], v[37:38], v[35:36]
	s_delay_alu instid0(VALU_DEP_2) | instskip(NEXT) | instid1(VALU_DEP_2)
	v_add_f64_e32 v[43:44], v[41:42], v[39:40]
	v_add_f64_e32 v[49:50], v[47:48], v[35:36]
	s_delay_alu instid0(VALU_DEP_2) | instskip(SKIP_1) | instid1(VALU_DEP_2)
	v_rcp_f64_e32 v[45:46], v[43:44]
	v_add_f64_e64 v[41:42], v[43:44], -v[41:42]
	v_add_f64_e64 v[47:48], v[49:50], -v[47:48]
	s_delay_alu instid0(VALU_DEP_2) | instskip(NEXT) | instid1(TRANS32_DEP_1)
	v_add_f64_e64 v[39:40], v[39:40], -v[41:42]
	v_fma_f64 v[63:64], -v[43:44], v[45:46], 1.0
	s_delay_alu instid0(VALU_DEP_3) | instskip(NEXT) | instid1(VALU_DEP_2)
	v_add_f64_e64 v[35:36], v[35:36], -v[47:48]
	v_fma_f64 v[45:46], v[63:64], v[45:46], v[45:46]
	s_delay_alu instid0(VALU_DEP_1) | instskip(NEXT) | instid1(VALU_DEP_1)
	v_fma_f64 v[37:38], -v[43:44], v[45:46], 1.0
	v_fma_f64 v[37:38], v[37:38], v[45:46], v[45:46]
	s_delay_alu instid0(VALU_DEP_1) | instskip(NEXT) | instid1(VALU_DEP_1)
	v_mul_f64_e32 v[45:46], v[49:50], v[37:38]
	v_mul_f64_e32 v[63:64], v[43:44], v[45:46]
	s_delay_alu instid0(VALU_DEP_1) | instskip(NEXT) | instid1(VALU_DEP_1)
	v_fma_f64 v[41:42], v[45:46], v[43:44], -v[63:64]
	v_fma_f64 v[41:42], v[45:46], v[39:40], v[41:42]
	s_delay_alu instid0(VALU_DEP_1) | instskip(NEXT) | instid1(VALU_DEP_1)
	v_add_f64_e32 v[65:66], v[63:64], v[41:42]
	v_add_f64_e64 v[67:68], v[49:50], -v[65:66]
	v_add_f64_e64 v[47:48], v[65:66], -v[63:64]
	s_delay_alu instid0(VALU_DEP_2) | instskip(NEXT) | instid1(VALU_DEP_2)
	v_add_f64_e64 v[49:50], v[49:50], -v[67:68]
	v_add_f64_e64 v[41:42], v[47:48], -v[41:42]
	s_delay_alu instid0(VALU_DEP_2) | instskip(NEXT) | instid1(VALU_DEP_1)
	v_add_f64_e64 v[49:50], v[49:50], -v[65:66]
	v_add_f64_e32 v[35:36], v[35:36], v[49:50]
	s_delay_alu instid0(VALU_DEP_1) | instskip(NEXT) | instid1(VALU_DEP_1)
	v_add_f64_e32 v[35:36], v[41:42], v[35:36]
	v_add_f64_e32 v[41:42], v[67:68], v[35:36]
	s_delay_alu instid0(VALU_DEP_1) | instskip(SKIP_1) | instid1(VALU_DEP_2)
	v_mul_f64_e32 v[47:48], v[37:38], v[41:42]
	v_add_f64_e64 v[65:66], v[67:68], -v[41:42]
	v_mul_f64_e32 v[49:50], v[43:44], v[47:48]
	s_delay_alu instid0(VALU_DEP_2) | instskip(NEXT) | instid1(VALU_DEP_2)
	v_add_f64_e32 v[35:36], v[35:36], v[65:66]
	v_fma_f64 v[43:44], v[47:48], v[43:44], -v[49:50]
	s_delay_alu instid0(VALU_DEP_1) | instskip(NEXT) | instid1(VALU_DEP_1)
	v_fma_f64 v[39:40], v[47:48], v[39:40], v[43:44]
	v_add_f64_e32 v[43:44], v[49:50], v[39:40]
	s_delay_alu instid0(VALU_DEP_1) | instskip(SKIP_1) | instid1(VALU_DEP_2)
	v_add_f64_e64 v[63:64], v[41:42], -v[43:44]
	v_add_f64_e64 v[49:50], v[43:44], -v[49:50]
	;; [unrolled: 1-line block ×3, first 2 shown]
	s_delay_alu instid0(VALU_DEP_2) | instskip(NEXT) | instid1(VALU_DEP_2)
	v_add_f64_e64 v[39:40], v[49:50], -v[39:40]
	v_add_f64_e64 v[41:42], v[41:42], -v[43:44]
	s_delay_alu instid0(VALU_DEP_1) | instskip(SKIP_1) | instid1(VALU_DEP_2)
	v_add_f64_e32 v[35:36], v[35:36], v[41:42]
	v_add_f64_e32 v[41:42], v[45:46], v[47:48]
	;; [unrolled: 1-line block ×3, first 2 shown]
	s_delay_alu instid0(VALU_DEP_2) | instskip(NEXT) | instid1(VALU_DEP_2)
	v_add_f64_e64 v[39:40], v[41:42], -v[45:46]
	v_add_f64_e32 v[35:36], v[63:64], v[35:36]
	s_delay_alu instid0(VALU_DEP_2) | instskip(NEXT) | instid1(VALU_DEP_2)
	v_add_f64_e64 v[39:40], v[47:48], -v[39:40]
	v_mul_f64_e32 v[35:36], v[37:38], v[35:36]
	s_delay_alu instid0(VALU_DEP_1) | instskip(NEXT) | instid1(VALU_DEP_1)
	v_add_f64_e32 v[35:36], v[39:40], v[35:36]
	v_add_f64_e32 v[37:38], v[41:42], v[35:36]
	s_delay_alu instid0(VALU_DEP_1) | instskip(NEXT) | instid1(VALU_DEP_1)
	v_mul_f64_e32 v[39:40], v[37:38], v[37:38]
	v_fma_f64 v[43:44], v[39:40], s[34:35], s[24:25]
	s_mov_b32 s24, 0xd7f4df2e
	s_mov_b32 s25, 0x3fc7474d
	v_mul_f64_e32 v[45:46], v[37:38], v[39:40]
	s_wait_alu 0xfffe
	s_delay_alu instid0(VALU_DEP_2) | instskip(SKIP_3) | instid1(VALU_DEP_1)
	v_fma_f64 v[43:44], v[39:40], v[43:44], s[24:25]
	s_mov_b32 s24, 0x16291751
	s_mov_b32 s25, 0x3fcc71c0
	s_wait_alu 0xfffe
	v_fma_f64 v[43:44], v[39:40], v[43:44], s[24:25]
	s_mov_b32 s24, 0x9b27acf1
	s_mov_b32 s25, 0x3fd24924
	s_wait_alu 0xfffe
	s_delay_alu instid0(VALU_DEP_1) | instskip(SKIP_3) | instid1(VALU_DEP_1)
	v_fma_f64 v[43:44], v[39:40], v[43:44], s[24:25]
	s_mov_b32 s24, 0x998ef7b6
	s_mov_b32 s25, 0x3fd99999
	s_wait_alu 0xfffe
	v_fma_f64 v[43:44], v[39:40], v[43:44], s[24:25]
	s_delay_alu instid0(VALU_DEP_1)
	v_fma_f64 v[39:40], v[39:40], v[43:44], s[0:1]
	v_ldexp_f64 v[43:44], v[37:38], 1
	v_add_f64_e64 v[37:38], v[37:38], -v[41:42]
	v_cmp_nge_f64_e64 s0, -1.0, v[19:20]
	v_cmp_neq_f64_e64 s1, 0x7ff00000, v[19:20]
	v_mul_f64_e32 v[39:40], v[45:46], v[39:40]
	v_cvt_f64_i32_e32 v[45:46], v0
	v_add_f64_e64 v[35:36], v[35:36], -v[37:38]
	s_and_b32 s0, s0, s1
	s_delay_alu instid0(VALU_DEP_3) | instskip(NEXT) | instid1(VALU_DEP_3)
	v_add_f64_e32 v[41:42], v[43:44], v[39:40]
	v_mul_f64_e32 v[47:48], s[18:19], v[45:46]
	s_delay_alu instid0(VALU_DEP_3) | instskip(NEXT) | instid1(VALU_DEP_3)
	v_ldexp_f64 v[35:36], v[35:36], 1
	v_add_f64_e64 v[37:38], v[41:42], -v[43:44]
	s_delay_alu instid0(VALU_DEP_3) | instskip(NEXT) | instid1(VALU_DEP_2)
	v_fma_f64 v[43:44], v[45:46], s[18:19], -v[47:48]
	v_add_f64_e64 v[37:38], v[39:40], -v[37:38]
	s_delay_alu instid0(VALU_DEP_2) | instskip(NEXT) | instid1(VALU_DEP_2)
	v_fma_f64 v[39:40], v[45:46], s[20:21], v[43:44]
	v_add_f64_e32 v[35:36], v[35:36], v[37:38]
	s_delay_alu instid0(VALU_DEP_2) | instskip(NEXT) | instid1(VALU_DEP_2)
	v_add_f64_e32 v[37:38], v[47:48], v[39:40]
	v_add_f64_e32 v[43:44], v[41:42], v[35:36]
	s_delay_alu instid0(VALU_DEP_2) | instskip(NEXT) | instid1(VALU_DEP_2)
	v_add_f64_e64 v[47:48], v[37:38], -v[47:48]
	v_add_f64_e32 v[45:46], v[37:38], v[43:44]
	v_add_f64_e64 v[41:42], v[43:44], -v[41:42]
	s_delay_alu instid0(VALU_DEP_3) | instskip(NEXT) | instid1(VALU_DEP_3)
	v_add_f64_e64 v[39:40], v[39:40], -v[47:48]
	v_add_f64_e64 v[49:50], v[45:46], -v[37:38]
	s_delay_alu instid0(VALU_DEP_3) | instskip(NEXT) | instid1(VALU_DEP_2)
	v_add_f64_e64 v[35:36], v[35:36], -v[41:42]
	v_add_f64_e64 v[63:64], v[45:46], -v[49:50]
	;; [unrolled: 1-line block ×3, first 2 shown]
	s_delay_alu instid0(VALU_DEP_3) | instskip(NEXT) | instid1(VALU_DEP_3)
	v_add_f64_e32 v[43:44], v[39:40], v[35:36]
	v_add_f64_e64 v[37:38], v[37:38], -v[63:64]
	s_delay_alu instid0(VALU_DEP_1) | instskip(NEXT) | instid1(VALU_DEP_3)
	v_add_f64_e32 v[37:38], v[41:42], v[37:38]
	v_add_f64_e64 v[41:42], v[43:44], -v[39:40]
	s_delay_alu instid0(VALU_DEP_2) | instskip(NEXT) | instid1(VALU_DEP_2)
	v_add_f64_e32 v[37:38], v[43:44], v[37:38]
	v_add_f64_e64 v[43:44], v[43:44], -v[41:42]
	v_add_f64_e64 v[35:36], v[35:36], -v[41:42]
	s_delay_alu instid0(VALU_DEP_3) | instskip(NEXT) | instid1(VALU_DEP_3)
	v_add_f64_e32 v[47:48], v[45:46], v[37:38]
	v_add_f64_e64 v[39:40], v[39:40], -v[43:44]
	s_delay_alu instid0(VALU_DEP_2) | instskip(NEXT) | instid1(VALU_DEP_2)
	v_add_f64_e64 v[41:42], v[47:48], -v[45:46]
	v_add_f64_e32 v[35:36], v[35:36], v[39:40]
	s_delay_alu instid0(VALU_DEP_2) | instskip(NEXT) | instid1(VALU_DEP_1)
	v_add_f64_e64 v[37:38], v[37:38], -v[41:42]
	v_add_f64_e32 v[35:36], v[35:36], v[37:38]
	s_delay_alu instid0(VALU_DEP_1) | instskip(SKIP_1) | instid1(VALU_DEP_1)
	v_add_f64_e32 v[35:36], v[47:48], v[35:36]
	s_wait_alu 0xfffe
	v_cndmask_b32_e64 v35, 0, v35, s0
	v_cmp_neq_f64_e64 s0, -1.0, v[19:20]
	s_delay_alu instid0(VALU_DEP_3) | instskip(NEXT) | instid1(VALU_DEP_1)
	v_cndmask_b32_e64 v0, 0x7ff00000, v36, s1
	v_cndmask_b32_e64 v0, 0x7ff80000, v0, s17
	s_wait_alu 0xf1ff
	s_delay_alu instid0(VALU_DEP_1) | instskip(NEXT) | instid1(VALU_DEP_1)
	v_cndmask_b32_e64 v36, 0xfff00000, v0, s0
	v_add_f64_e32 v[19:20], v[33:34], v[35:36]
.LBB42_124:
	s_wait_alu 0xfffe
	s_or_b32 exec_lo, exec_lo, s22
	s_delay_alu instid0(VALU_DEP_1) | instskip(SKIP_1) | instid1(VALU_DEP_2)
	v_max_num_f64_e32 v[33:34], v[19:20], v[19:20]
	v_cmp_u_f64_e64 s0, v[19:20], v[19:20]
	v_min_num_f64_e32 v[35:36], v[33:34], v[51:52]
	v_max_num_f64_e32 v[33:34], v[33:34], v[51:52]
	s_wait_alu 0xf1ff
	s_delay_alu instid0(VALU_DEP_2) | instskip(NEXT) | instid1(VALU_DEP_3)
	v_cndmask_b32_e64 v0, v35, v19, s0
	v_cndmask_b32_e64 v35, v36, v20, s0
	s_delay_alu instid0(VALU_DEP_3) | instskip(NEXT) | instid1(VALU_DEP_4)
	v_cndmask_b32_e64 v34, v34, v20, s0
	v_cndmask_b32_e64 v33, v33, v19, s0
	s_delay_alu instid0(VALU_DEP_3) | instskip(SKIP_1) | instid1(VALU_DEP_4)
	v_cndmask_b32_e64 v36, v35, v14, s26
	v_cndmask_b32_e64 v35, v0, v13, s26
	;; [unrolled: 1-line block ×3, first 2 shown]
	s_delay_alu instid0(VALU_DEP_4) | instskip(SKIP_1) | instid1(VALU_DEP_4)
	v_cndmask_b32_e64 v33, v33, v13, s26
	v_dual_mov_b32 v13, v19 :: v_dual_mov_b32 v14, v20
	v_cmp_class_f64_e64 s1, v[35:36], 0x1f8
	s_delay_alu instid0(VALU_DEP_3)
	v_cmp_neq_f64_e64 s0, v[35:36], v[33:34]
	s_or_b32 s0, s0, s1
	s_wait_alu 0xfffe
	s_and_saveexec_b32 s22, s0
	s_cbranch_execz .LBB42_126
; %bb.125:
	v_add_f64_e64 v[13:14], v[35:36], -v[33:34]
	s_mov_b32 s0, 0x652b82fe
	s_mov_b32 s1, 0x3ff71547
	;; [unrolled: 1-line block ×10, first 2 shown]
	s_wait_alu 0xfffe
	s_delay_alu instid0(VALU_DEP_1) | instskip(SKIP_2) | instid1(VALU_DEP_1)
	v_mul_f64_e32 v[35:36], s[0:1], v[13:14]
	s_mov_b32 s0, 0xfca7ab0c
	s_mov_b32 s1, 0x3e928af3
	v_rndne_f64_e32 v[35:36], v[35:36]
	s_delay_alu instid0(VALU_DEP_1) | instskip(SKIP_2) | instid1(VALU_DEP_2)
	v_fma_f64 v[37:38], v[35:36], s[18:19], v[13:14]
	v_cvt_i32_f64_e32 v0, v[35:36]
	s_mov_b32 s19, 0x3fe62e42
	v_fma_f64 v[37:38], v[35:36], s[20:21], v[37:38]
	s_mov_b32 s21, 0x3c7abc9e
	s_wait_alu 0xfffe
	s_delay_alu instid0(VALU_DEP_1)
	v_fma_f64 v[39:40], v[37:38], s[24:25], s[0:1]
	s_mov_b32 s0, 0x623fde64
	s_mov_b32 s1, 0x3ec71dee
	;; [unrolled: 1-line block ×4, first 2 shown]
	s_wait_alu 0xfffe
	s_delay_alu instid0(VALU_DEP_1) | instskip(SKIP_3) | instid1(VALU_DEP_1)
	v_fma_f64 v[39:40], v[37:38], v[39:40], s[0:1]
	s_mov_b32 s0, 0x7c89e6b0
	s_mov_b32 s1, 0x3efa0199
	s_wait_alu 0xfffe
	v_fma_f64 v[39:40], v[37:38], v[39:40], s[0:1]
	s_mov_b32 s0, 0x14761f6e
	s_mov_b32 s1, 0x3f2a01a0
	s_wait_alu 0xfffe
	s_delay_alu instid0(VALU_DEP_1) | instskip(SKIP_3) | instid1(VALU_DEP_1)
	v_fma_f64 v[39:40], v[37:38], v[39:40], s[0:1]
	s_mov_b32 s0, 0x1852b7b0
	s_mov_b32 s1, 0x3f56c16c
	s_wait_alu 0xfffe
	v_fma_f64 v[39:40], v[37:38], v[39:40], s[0:1]
	s_mov_b32 s0, 0x11122322
	s_mov_b32 s1, 0x3f811111
	;; [unrolled: 9-line block ×3, first 2 shown]
	s_wait_alu 0xfffe
	s_delay_alu instid0(VALU_DEP_1) | instskip(SKIP_3) | instid1(VALU_DEP_1)
	v_fma_f64 v[39:40], v[37:38], v[39:40], s[0:1]
	s_mov_b32 s0, 11
	s_mov_b32 s1, 0x3fe00000
	s_wait_alu 0xfffe
	v_fma_f64 v[39:40], v[37:38], v[39:40], s[0:1]
	v_cmp_nlt_f64_e64 s0, 0x40900000, v[13:14]
	v_cmp_ngt_f64_e64 s1, 0xc090cc00, v[13:14]
	s_delay_alu instid0(VALU_DEP_3) | instskip(NEXT) | instid1(VALU_DEP_1)
	v_fma_f64 v[39:40], v[37:38], v[39:40], 1.0
	v_fma_f64 v[35:36], v[37:38], v[39:40], 1.0
	s_delay_alu instid0(VALU_DEP_1) | instskip(SKIP_1) | instid1(VALU_DEP_1)
	v_ldexp_f64 v[35:36], v[35:36], v0
	s_wait_alu 0xf1ff
	v_cndmask_b32_e64 v0, 0x7ff00000, v36, s0
	s_and_b32 s0, s1, s0
	s_wait_alu 0xfffe
	s_delay_alu instid0(VALU_DEP_2) | instskip(SKIP_3) | instid1(VALU_DEP_1)
	v_cndmask_b32_e64 v13, 0, v35, s0
	s_mov_b32 s0, 0x55555555
	v_cndmask_b32_e64 v14, 0, v0, s1
	s_mov_b32 s1, 0x3fe55555
	v_add_f64_e32 v[35:36], 1.0, v[13:14]
	v_cmp_ngt_f64_e64 s17, -1.0, v[13:14]
	s_delay_alu instid0(VALU_DEP_2) | instskip(SKIP_3) | instid1(VALU_DEP_3)
	v_frexp_mant_f64_e32 v[37:38], v[35:36]
	v_frexp_exp_i32_f64_e32 v0, v[35:36]
	v_add_f64_e32 v[39:40], -1.0, v[35:36]
	s_wait_alu 0xfffe
	v_cmp_gt_f64_e64 s0, s[0:1], v[37:38]
	s_delay_alu instid0(VALU_DEP_2) | instskip(SKIP_2) | instid1(VALU_DEP_3)
	v_add_f64_e64 v[37:38], v[39:40], -v[35:36]
	v_add_f64_e64 v[39:40], v[13:14], -v[39:40]
	s_wait_alu 0xf1ff
	v_subrev_co_ci_u32_e64 v0, null, 0, v0, s0
	s_delay_alu instid0(VALU_DEP_3) | instskip(SKIP_1) | instid1(VALU_DEP_2)
	v_add_f64_e32 v[37:38], 1.0, v[37:38]
	s_mov_b32 s0, 0x55555780
	v_sub_nc_u32_e32 v43, 0, v0
	s_delay_alu instid0(VALU_DEP_1) | instskip(NEXT) | instid1(VALU_DEP_3)
	v_ldexp_f64 v[35:36], v[35:36], v43
	v_add_f64_e32 v[37:38], v[39:40], v[37:38]
	s_delay_alu instid0(VALU_DEP_2) | instskip(SKIP_1) | instid1(VALU_DEP_3)
	v_add_f64_e32 v[41:42], 1.0, v[35:36]
	v_add_f64_e32 v[47:48], -1.0, v[35:36]
	v_ldexp_f64 v[37:38], v[37:38], v43
	s_delay_alu instid0(VALU_DEP_3) | instskip(NEXT) | instid1(VALU_DEP_3)
	v_add_f64_e32 v[39:40], -1.0, v[41:42]
	v_add_f64_e32 v[49:50], 1.0, v[47:48]
	s_delay_alu instid0(VALU_DEP_2) | instskip(NEXT) | instid1(VALU_DEP_2)
	v_add_f64_e64 v[39:40], v[35:36], -v[39:40]
	v_add_f64_e64 v[35:36], v[35:36], -v[49:50]
	s_delay_alu instid0(VALU_DEP_2) | instskip(NEXT) | instid1(VALU_DEP_2)
	v_add_f64_e32 v[39:40], v[37:38], v[39:40]
	v_add_f64_e32 v[35:36], v[37:38], v[35:36]
	s_delay_alu instid0(VALU_DEP_2) | instskip(NEXT) | instid1(VALU_DEP_2)
	v_add_f64_e32 v[43:44], v[41:42], v[39:40]
	v_add_f64_e32 v[49:50], v[47:48], v[35:36]
	s_delay_alu instid0(VALU_DEP_2) | instskip(SKIP_1) | instid1(VALU_DEP_2)
	v_rcp_f64_e32 v[45:46], v[43:44]
	v_add_f64_e64 v[41:42], v[43:44], -v[41:42]
	v_add_f64_e64 v[47:48], v[49:50], -v[47:48]
	s_delay_alu instid0(VALU_DEP_2) | instskip(NEXT) | instid1(TRANS32_DEP_1)
	v_add_f64_e64 v[39:40], v[39:40], -v[41:42]
	v_fma_f64 v[51:52], -v[43:44], v[45:46], 1.0
	s_delay_alu instid0(VALU_DEP_3) | instskip(NEXT) | instid1(VALU_DEP_2)
	v_add_f64_e64 v[35:36], v[35:36], -v[47:48]
	v_fma_f64 v[45:46], v[51:52], v[45:46], v[45:46]
	s_delay_alu instid0(VALU_DEP_1) | instskip(NEXT) | instid1(VALU_DEP_1)
	v_fma_f64 v[37:38], -v[43:44], v[45:46], 1.0
	v_fma_f64 v[37:38], v[37:38], v[45:46], v[45:46]
	s_delay_alu instid0(VALU_DEP_1) | instskip(NEXT) | instid1(VALU_DEP_1)
	v_mul_f64_e32 v[45:46], v[49:50], v[37:38]
	v_mul_f64_e32 v[51:52], v[43:44], v[45:46]
	s_delay_alu instid0(VALU_DEP_1) | instskip(NEXT) | instid1(VALU_DEP_1)
	v_fma_f64 v[41:42], v[45:46], v[43:44], -v[51:52]
	v_fma_f64 v[41:42], v[45:46], v[39:40], v[41:42]
	s_delay_alu instid0(VALU_DEP_1) | instskip(NEXT) | instid1(VALU_DEP_1)
	v_add_f64_e32 v[63:64], v[51:52], v[41:42]
	v_add_f64_e64 v[65:66], v[49:50], -v[63:64]
	v_add_f64_e64 v[47:48], v[63:64], -v[51:52]
	s_delay_alu instid0(VALU_DEP_2) | instskip(NEXT) | instid1(VALU_DEP_2)
	v_add_f64_e64 v[49:50], v[49:50], -v[65:66]
	v_add_f64_e64 v[41:42], v[47:48], -v[41:42]
	s_delay_alu instid0(VALU_DEP_2) | instskip(NEXT) | instid1(VALU_DEP_1)
	v_add_f64_e64 v[49:50], v[49:50], -v[63:64]
	v_add_f64_e32 v[35:36], v[35:36], v[49:50]
	s_delay_alu instid0(VALU_DEP_1) | instskip(NEXT) | instid1(VALU_DEP_1)
	v_add_f64_e32 v[35:36], v[41:42], v[35:36]
	v_add_f64_e32 v[41:42], v[65:66], v[35:36]
	s_delay_alu instid0(VALU_DEP_1) | instskip(SKIP_1) | instid1(VALU_DEP_2)
	v_mul_f64_e32 v[47:48], v[37:38], v[41:42]
	v_add_f64_e64 v[63:64], v[65:66], -v[41:42]
	v_mul_f64_e32 v[49:50], v[43:44], v[47:48]
	s_delay_alu instid0(VALU_DEP_2) | instskip(NEXT) | instid1(VALU_DEP_2)
	v_add_f64_e32 v[35:36], v[35:36], v[63:64]
	v_fma_f64 v[43:44], v[47:48], v[43:44], -v[49:50]
	s_delay_alu instid0(VALU_DEP_1) | instskip(NEXT) | instid1(VALU_DEP_1)
	v_fma_f64 v[39:40], v[47:48], v[39:40], v[43:44]
	v_add_f64_e32 v[43:44], v[49:50], v[39:40]
	s_delay_alu instid0(VALU_DEP_1) | instskip(SKIP_1) | instid1(VALU_DEP_2)
	v_add_f64_e64 v[51:52], v[41:42], -v[43:44]
	v_add_f64_e64 v[49:50], v[43:44], -v[49:50]
	;; [unrolled: 1-line block ×3, first 2 shown]
	s_delay_alu instid0(VALU_DEP_2) | instskip(NEXT) | instid1(VALU_DEP_2)
	v_add_f64_e64 v[39:40], v[49:50], -v[39:40]
	v_add_f64_e64 v[41:42], v[41:42], -v[43:44]
	s_delay_alu instid0(VALU_DEP_1) | instskip(SKIP_1) | instid1(VALU_DEP_2)
	v_add_f64_e32 v[35:36], v[35:36], v[41:42]
	v_add_f64_e32 v[41:42], v[45:46], v[47:48]
	;; [unrolled: 1-line block ×3, first 2 shown]
	s_delay_alu instid0(VALU_DEP_2) | instskip(NEXT) | instid1(VALU_DEP_2)
	v_add_f64_e64 v[39:40], v[41:42], -v[45:46]
	v_add_f64_e32 v[35:36], v[51:52], v[35:36]
	s_delay_alu instid0(VALU_DEP_2) | instskip(NEXT) | instid1(VALU_DEP_2)
	v_add_f64_e64 v[39:40], v[47:48], -v[39:40]
	v_mul_f64_e32 v[35:36], v[37:38], v[35:36]
	s_delay_alu instid0(VALU_DEP_1) | instskip(NEXT) | instid1(VALU_DEP_1)
	v_add_f64_e32 v[35:36], v[39:40], v[35:36]
	v_add_f64_e32 v[37:38], v[41:42], v[35:36]
	s_delay_alu instid0(VALU_DEP_1) | instskip(NEXT) | instid1(VALU_DEP_1)
	v_mul_f64_e32 v[39:40], v[37:38], v[37:38]
	v_fma_f64 v[43:44], v[39:40], s[34:35], s[24:25]
	s_mov_b32 s24, 0xd7f4df2e
	s_mov_b32 s25, 0x3fc7474d
	v_mul_f64_e32 v[45:46], v[37:38], v[39:40]
	s_wait_alu 0xfffe
	s_delay_alu instid0(VALU_DEP_2) | instskip(SKIP_3) | instid1(VALU_DEP_1)
	v_fma_f64 v[43:44], v[39:40], v[43:44], s[24:25]
	s_mov_b32 s24, 0x16291751
	s_mov_b32 s25, 0x3fcc71c0
	s_wait_alu 0xfffe
	v_fma_f64 v[43:44], v[39:40], v[43:44], s[24:25]
	s_mov_b32 s24, 0x9b27acf1
	s_mov_b32 s25, 0x3fd24924
	s_wait_alu 0xfffe
	s_delay_alu instid0(VALU_DEP_1) | instskip(SKIP_3) | instid1(VALU_DEP_1)
	v_fma_f64 v[43:44], v[39:40], v[43:44], s[24:25]
	s_mov_b32 s24, 0x998ef7b6
	s_mov_b32 s25, 0x3fd99999
	s_wait_alu 0xfffe
	v_fma_f64 v[43:44], v[39:40], v[43:44], s[24:25]
	s_delay_alu instid0(VALU_DEP_1)
	v_fma_f64 v[39:40], v[39:40], v[43:44], s[0:1]
	v_ldexp_f64 v[43:44], v[37:38], 1
	v_add_f64_e64 v[37:38], v[37:38], -v[41:42]
	v_cmp_nge_f64_e64 s0, -1.0, v[13:14]
	v_cmp_neq_f64_e64 s1, 0x7ff00000, v[13:14]
	v_mul_f64_e32 v[39:40], v[45:46], v[39:40]
	v_cvt_f64_i32_e32 v[45:46], v0
	v_add_f64_e64 v[35:36], v[35:36], -v[37:38]
	s_and_b32 s0, s0, s1
	s_delay_alu instid0(VALU_DEP_3) | instskip(NEXT) | instid1(VALU_DEP_3)
	v_add_f64_e32 v[41:42], v[43:44], v[39:40]
	v_mul_f64_e32 v[47:48], s[18:19], v[45:46]
	s_delay_alu instid0(VALU_DEP_3) | instskip(NEXT) | instid1(VALU_DEP_3)
	v_ldexp_f64 v[35:36], v[35:36], 1
	v_add_f64_e64 v[37:38], v[41:42], -v[43:44]
	s_delay_alu instid0(VALU_DEP_3) | instskip(NEXT) | instid1(VALU_DEP_2)
	v_fma_f64 v[43:44], v[45:46], s[18:19], -v[47:48]
	v_add_f64_e64 v[37:38], v[39:40], -v[37:38]
	s_delay_alu instid0(VALU_DEP_2) | instskip(NEXT) | instid1(VALU_DEP_2)
	v_fma_f64 v[39:40], v[45:46], s[20:21], v[43:44]
	v_add_f64_e32 v[35:36], v[35:36], v[37:38]
	s_delay_alu instid0(VALU_DEP_2) | instskip(NEXT) | instid1(VALU_DEP_2)
	v_add_f64_e32 v[37:38], v[47:48], v[39:40]
	v_add_f64_e32 v[43:44], v[41:42], v[35:36]
	s_delay_alu instid0(VALU_DEP_2) | instskip(NEXT) | instid1(VALU_DEP_2)
	v_add_f64_e64 v[47:48], v[37:38], -v[47:48]
	v_add_f64_e32 v[45:46], v[37:38], v[43:44]
	v_add_f64_e64 v[41:42], v[43:44], -v[41:42]
	s_delay_alu instid0(VALU_DEP_3) | instskip(NEXT) | instid1(VALU_DEP_3)
	v_add_f64_e64 v[39:40], v[39:40], -v[47:48]
	v_add_f64_e64 v[49:50], v[45:46], -v[37:38]
	s_delay_alu instid0(VALU_DEP_3) | instskip(NEXT) | instid1(VALU_DEP_2)
	v_add_f64_e64 v[35:36], v[35:36], -v[41:42]
	v_add_f64_e64 v[51:52], v[45:46], -v[49:50]
	;; [unrolled: 1-line block ×3, first 2 shown]
	s_delay_alu instid0(VALU_DEP_3) | instskip(NEXT) | instid1(VALU_DEP_3)
	v_add_f64_e32 v[43:44], v[39:40], v[35:36]
	v_add_f64_e64 v[37:38], v[37:38], -v[51:52]
	s_delay_alu instid0(VALU_DEP_1) | instskip(NEXT) | instid1(VALU_DEP_3)
	v_add_f64_e32 v[37:38], v[41:42], v[37:38]
	v_add_f64_e64 v[41:42], v[43:44], -v[39:40]
	s_delay_alu instid0(VALU_DEP_2) | instskip(NEXT) | instid1(VALU_DEP_2)
	v_add_f64_e32 v[37:38], v[43:44], v[37:38]
	v_add_f64_e64 v[43:44], v[43:44], -v[41:42]
	v_add_f64_e64 v[35:36], v[35:36], -v[41:42]
	s_delay_alu instid0(VALU_DEP_3) | instskip(NEXT) | instid1(VALU_DEP_3)
	v_add_f64_e32 v[47:48], v[45:46], v[37:38]
	v_add_f64_e64 v[39:40], v[39:40], -v[43:44]
	s_delay_alu instid0(VALU_DEP_2) | instskip(NEXT) | instid1(VALU_DEP_2)
	v_add_f64_e64 v[41:42], v[47:48], -v[45:46]
	v_add_f64_e32 v[35:36], v[35:36], v[39:40]
	s_delay_alu instid0(VALU_DEP_2) | instskip(NEXT) | instid1(VALU_DEP_1)
	v_add_f64_e64 v[37:38], v[37:38], -v[41:42]
	v_add_f64_e32 v[35:36], v[35:36], v[37:38]
	s_delay_alu instid0(VALU_DEP_1) | instskip(SKIP_1) | instid1(VALU_DEP_1)
	v_add_f64_e32 v[35:36], v[47:48], v[35:36]
	s_wait_alu 0xfffe
	v_cndmask_b32_e64 v35, 0, v35, s0
	v_cmp_neq_f64_e64 s0, -1.0, v[13:14]
	s_delay_alu instid0(VALU_DEP_3) | instskip(NEXT) | instid1(VALU_DEP_1)
	v_cndmask_b32_e64 v0, 0x7ff00000, v36, s1
	v_cndmask_b32_e64 v0, 0x7ff80000, v0, s17
	s_wait_alu 0xf1ff
	s_delay_alu instid0(VALU_DEP_1) | instskip(NEXT) | instid1(VALU_DEP_1)
	v_cndmask_b32_e64 v36, 0xfff00000, v0, s0
	v_add_f64_e32 v[13:14], v[33:34], v[35:36]
.LBB42_126:
	s_wait_alu 0xfffe
	s_or_b32 exec_lo, exec_lo, s22
	s_delay_alu instid0(VALU_DEP_1) | instskip(SKIP_1) | instid1(VALU_DEP_2)
	v_max_num_f64_e32 v[33:34], v[13:14], v[13:14]
	v_cmp_u_f64_e64 s0, v[13:14], v[13:14]
	v_min_num_f64_e32 v[35:36], v[33:34], v[53:54]
	v_max_num_f64_e32 v[33:34], v[33:34], v[53:54]
	s_wait_alu 0xf1ff
	s_delay_alu instid0(VALU_DEP_2) | instskip(NEXT) | instid1(VALU_DEP_3)
	v_cndmask_b32_e64 v0, v35, v13, s0
	v_cndmask_b32_e64 v35, v36, v14, s0
	s_delay_alu instid0(VALU_DEP_3) | instskip(NEXT) | instid1(VALU_DEP_4)
	v_cndmask_b32_e64 v34, v34, v14, s0
	v_cndmask_b32_e64 v33, v33, v13, s0
	s_delay_alu instid0(VALU_DEP_3) | instskip(SKIP_1) | instid1(VALU_DEP_4)
	v_cndmask_b32_e64 v36, v35, v16, s27
	v_cndmask_b32_e64 v35, v0, v15, s27
	;; [unrolled: 1-line block ×3, first 2 shown]
	s_delay_alu instid0(VALU_DEP_4) | instskip(SKIP_1) | instid1(VALU_DEP_4)
	v_cndmask_b32_e64 v33, v33, v15, s27
	v_dual_mov_b32 v16, v14 :: v_dual_mov_b32 v15, v13
	v_cmp_class_f64_e64 s1, v[35:36], 0x1f8
	s_delay_alu instid0(VALU_DEP_3)
	v_cmp_neq_f64_e64 s0, v[35:36], v[33:34]
	s_or_b32 s0, s0, s1
	s_wait_alu 0xfffe
	s_and_saveexec_b32 s22, s0
	s_cbranch_execz .LBB42_128
; %bb.127:
	v_add_f64_e64 v[15:16], v[35:36], -v[33:34]
	s_mov_b32 s0, 0x652b82fe
	s_mov_b32 s1, 0x3ff71547
	;; [unrolled: 1-line block ×10, first 2 shown]
	s_wait_alu 0xfffe
	s_delay_alu instid0(VALU_DEP_1) | instskip(SKIP_2) | instid1(VALU_DEP_1)
	v_mul_f64_e32 v[35:36], s[0:1], v[15:16]
	s_mov_b32 s0, 0xfca7ab0c
	s_mov_b32 s1, 0x3e928af3
	v_rndne_f64_e32 v[35:36], v[35:36]
	s_delay_alu instid0(VALU_DEP_1) | instskip(SKIP_2) | instid1(VALU_DEP_2)
	v_fma_f64 v[37:38], v[35:36], s[18:19], v[15:16]
	v_cvt_i32_f64_e32 v0, v[35:36]
	s_mov_b32 s19, 0x3fe62e42
	v_fma_f64 v[37:38], v[35:36], s[20:21], v[37:38]
	s_mov_b32 s21, 0x3c7abc9e
	s_wait_alu 0xfffe
	s_delay_alu instid0(VALU_DEP_1)
	v_fma_f64 v[39:40], v[37:38], s[24:25], s[0:1]
	s_mov_b32 s0, 0x623fde64
	s_mov_b32 s1, 0x3ec71dee
	;; [unrolled: 1-line block ×4, first 2 shown]
	s_wait_alu 0xfffe
	s_delay_alu instid0(VALU_DEP_1) | instskip(SKIP_3) | instid1(VALU_DEP_1)
	v_fma_f64 v[39:40], v[37:38], v[39:40], s[0:1]
	s_mov_b32 s0, 0x7c89e6b0
	s_mov_b32 s1, 0x3efa0199
	s_wait_alu 0xfffe
	v_fma_f64 v[39:40], v[37:38], v[39:40], s[0:1]
	s_mov_b32 s0, 0x14761f6e
	s_mov_b32 s1, 0x3f2a01a0
	s_wait_alu 0xfffe
	s_delay_alu instid0(VALU_DEP_1) | instskip(SKIP_3) | instid1(VALU_DEP_1)
	v_fma_f64 v[39:40], v[37:38], v[39:40], s[0:1]
	s_mov_b32 s0, 0x1852b7b0
	s_mov_b32 s1, 0x3f56c16c
	s_wait_alu 0xfffe
	v_fma_f64 v[39:40], v[37:38], v[39:40], s[0:1]
	s_mov_b32 s0, 0x11122322
	s_mov_b32 s1, 0x3f811111
	;; [unrolled: 9-line block ×3, first 2 shown]
	s_wait_alu 0xfffe
	s_delay_alu instid0(VALU_DEP_1) | instskip(SKIP_3) | instid1(VALU_DEP_1)
	v_fma_f64 v[39:40], v[37:38], v[39:40], s[0:1]
	s_mov_b32 s0, 11
	s_mov_b32 s1, 0x3fe00000
	s_wait_alu 0xfffe
	v_fma_f64 v[39:40], v[37:38], v[39:40], s[0:1]
	v_cmp_nlt_f64_e64 s0, 0x40900000, v[15:16]
	v_cmp_ngt_f64_e64 s1, 0xc090cc00, v[15:16]
	s_delay_alu instid0(VALU_DEP_3) | instskip(NEXT) | instid1(VALU_DEP_1)
	v_fma_f64 v[39:40], v[37:38], v[39:40], 1.0
	v_fma_f64 v[35:36], v[37:38], v[39:40], 1.0
	s_delay_alu instid0(VALU_DEP_1) | instskip(SKIP_1) | instid1(VALU_DEP_1)
	v_ldexp_f64 v[35:36], v[35:36], v0
	s_wait_alu 0xf1ff
	v_cndmask_b32_e64 v0, 0x7ff00000, v36, s0
	s_and_b32 s0, s1, s0
	s_wait_alu 0xfffe
	s_delay_alu instid0(VALU_DEP_2) | instskip(SKIP_3) | instid1(VALU_DEP_1)
	v_cndmask_b32_e64 v15, 0, v35, s0
	s_mov_b32 s0, 0x55555555
	v_cndmask_b32_e64 v16, 0, v0, s1
	s_mov_b32 s1, 0x3fe55555
	v_add_f64_e32 v[35:36], 1.0, v[15:16]
	v_cmp_ngt_f64_e64 s17, -1.0, v[15:16]
	s_delay_alu instid0(VALU_DEP_2) | instskip(SKIP_3) | instid1(VALU_DEP_3)
	v_frexp_mant_f64_e32 v[37:38], v[35:36]
	v_frexp_exp_i32_f64_e32 v0, v[35:36]
	v_add_f64_e32 v[39:40], -1.0, v[35:36]
	s_wait_alu 0xfffe
	v_cmp_gt_f64_e64 s0, s[0:1], v[37:38]
	s_delay_alu instid0(VALU_DEP_2) | instskip(SKIP_2) | instid1(VALU_DEP_3)
	v_add_f64_e64 v[37:38], v[39:40], -v[35:36]
	v_add_f64_e64 v[39:40], v[15:16], -v[39:40]
	s_wait_alu 0xf1ff
	v_subrev_co_ci_u32_e64 v0, null, 0, v0, s0
	s_delay_alu instid0(VALU_DEP_3) | instskip(SKIP_1) | instid1(VALU_DEP_2)
	v_add_f64_e32 v[37:38], 1.0, v[37:38]
	s_mov_b32 s0, 0x55555780
	v_sub_nc_u32_e32 v43, 0, v0
	s_delay_alu instid0(VALU_DEP_1) | instskip(NEXT) | instid1(VALU_DEP_3)
	v_ldexp_f64 v[35:36], v[35:36], v43
	v_add_f64_e32 v[37:38], v[39:40], v[37:38]
	s_delay_alu instid0(VALU_DEP_2) | instskip(SKIP_1) | instid1(VALU_DEP_3)
	v_add_f64_e32 v[41:42], 1.0, v[35:36]
	v_add_f64_e32 v[47:48], -1.0, v[35:36]
	v_ldexp_f64 v[37:38], v[37:38], v43
	s_delay_alu instid0(VALU_DEP_3) | instskip(NEXT) | instid1(VALU_DEP_3)
	v_add_f64_e32 v[39:40], -1.0, v[41:42]
	v_add_f64_e32 v[49:50], 1.0, v[47:48]
	s_delay_alu instid0(VALU_DEP_2) | instskip(NEXT) | instid1(VALU_DEP_2)
	v_add_f64_e64 v[39:40], v[35:36], -v[39:40]
	v_add_f64_e64 v[35:36], v[35:36], -v[49:50]
	s_delay_alu instid0(VALU_DEP_2) | instskip(NEXT) | instid1(VALU_DEP_2)
	v_add_f64_e32 v[39:40], v[37:38], v[39:40]
	v_add_f64_e32 v[35:36], v[37:38], v[35:36]
	s_delay_alu instid0(VALU_DEP_2) | instskip(NEXT) | instid1(VALU_DEP_2)
	v_add_f64_e32 v[43:44], v[41:42], v[39:40]
	v_add_f64_e32 v[49:50], v[47:48], v[35:36]
	s_delay_alu instid0(VALU_DEP_2) | instskip(SKIP_1) | instid1(VALU_DEP_2)
	v_rcp_f64_e32 v[45:46], v[43:44]
	v_add_f64_e64 v[41:42], v[43:44], -v[41:42]
	v_add_f64_e64 v[47:48], v[49:50], -v[47:48]
	s_delay_alu instid0(VALU_DEP_2) | instskip(NEXT) | instid1(TRANS32_DEP_1)
	v_add_f64_e64 v[39:40], v[39:40], -v[41:42]
	v_fma_f64 v[51:52], -v[43:44], v[45:46], 1.0
	s_delay_alu instid0(VALU_DEP_3) | instskip(NEXT) | instid1(VALU_DEP_2)
	v_add_f64_e64 v[35:36], v[35:36], -v[47:48]
	v_fma_f64 v[45:46], v[51:52], v[45:46], v[45:46]
	s_delay_alu instid0(VALU_DEP_1) | instskip(NEXT) | instid1(VALU_DEP_1)
	v_fma_f64 v[37:38], -v[43:44], v[45:46], 1.0
	v_fma_f64 v[37:38], v[37:38], v[45:46], v[45:46]
	s_delay_alu instid0(VALU_DEP_1) | instskip(NEXT) | instid1(VALU_DEP_1)
	v_mul_f64_e32 v[45:46], v[49:50], v[37:38]
	v_mul_f64_e32 v[51:52], v[43:44], v[45:46]
	s_delay_alu instid0(VALU_DEP_1) | instskip(NEXT) | instid1(VALU_DEP_1)
	v_fma_f64 v[41:42], v[45:46], v[43:44], -v[51:52]
	v_fma_f64 v[41:42], v[45:46], v[39:40], v[41:42]
	s_delay_alu instid0(VALU_DEP_1) | instskip(NEXT) | instid1(VALU_DEP_1)
	v_add_f64_e32 v[53:54], v[51:52], v[41:42]
	v_add_f64_e64 v[63:64], v[49:50], -v[53:54]
	v_add_f64_e64 v[47:48], v[53:54], -v[51:52]
	s_delay_alu instid0(VALU_DEP_2) | instskip(NEXT) | instid1(VALU_DEP_2)
	v_add_f64_e64 v[49:50], v[49:50], -v[63:64]
	v_add_f64_e64 v[41:42], v[47:48], -v[41:42]
	s_delay_alu instid0(VALU_DEP_2) | instskip(NEXT) | instid1(VALU_DEP_1)
	v_add_f64_e64 v[49:50], v[49:50], -v[53:54]
	v_add_f64_e32 v[35:36], v[35:36], v[49:50]
	s_delay_alu instid0(VALU_DEP_1) | instskip(NEXT) | instid1(VALU_DEP_1)
	v_add_f64_e32 v[35:36], v[41:42], v[35:36]
	v_add_f64_e32 v[41:42], v[63:64], v[35:36]
	s_delay_alu instid0(VALU_DEP_1) | instskip(SKIP_1) | instid1(VALU_DEP_2)
	v_mul_f64_e32 v[47:48], v[37:38], v[41:42]
	v_add_f64_e64 v[53:54], v[63:64], -v[41:42]
	v_mul_f64_e32 v[49:50], v[43:44], v[47:48]
	s_delay_alu instid0(VALU_DEP_2) | instskip(NEXT) | instid1(VALU_DEP_2)
	v_add_f64_e32 v[35:36], v[35:36], v[53:54]
	v_fma_f64 v[43:44], v[47:48], v[43:44], -v[49:50]
	s_delay_alu instid0(VALU_DEP_1) | instskip(NEXT) | instid1(VALU_DEP_1)
	v_fma_f64 v[39:40], v[47:48], v[39:40], v[43:44]
	v_add_f64_e32 v[43:44], v[49:50], v[39:40]
	s_delay_alu instid0(VALU_DEP_1) | instskip(SKIP_1) | instid1(VALU_DEP_2)
	v_add_f64_e64 v[51:52], v[41:42], -v[43:44]
	v_add_f64_e64 v[49:50], v[43:44], -v[49:50]
	;; [unrolled: 1-line block ×3, first 2 shown]
	s_delay_alu instid0(VALU_DEP_2) | instskip(NEXT) | instid1(VALU_DEP_2)
	v_add_f64_e64 v[39:40], v[49:50], -v[39:40]
	v_add_f64_e64 v[41:42], v[41:42], -v[43:44]
	s_delay_alu instid0(VALU_DEP_1) | instskip(SKIP_1) | instid1(VALU_DEP_2)
	v_add_f64_e32 v[35:36], v[35:36], v[41:42]
	v_add_f64_e32 v[41:42], v[45:46], v[47:48]
	;; [unrolled: 1-line block ×3, first 2 shown]
	s_delay_alu instid0(VALU_DEP_2) | instskip(NEXT) | instid1(VALU_DEP_2)
	v_add_f64_e64 v[39:40], v[41:42], -v[45:46]
	v_add_f64_e32 v[35:36], v[51:52], v[35:36]
	s_delay_alu instid0(VALU_DEP_2) | instskip(NEXT) | instid1(VALU_DEP_2)
	v_add_f64_e64 v[39:40], v[47:48], -v[39:40]
	v_mul_f64_e32 v[35:36], v[37:38], v[35:36]
	s_delay_alu instid0(VALU_DEP_1) | instskip(NEXT) | instid1(VALU_DEP_1)
	v_add_f64_e32 v[35:36], v[39:40], v[35:36]
	v_add_f64_e32 v[37:38], v[41:42], v[35:36]
	s_delay_alu instid0(VALU_DEP_1) | instskip(NEXT) | instid1(VALU_DEP_1)
	v_mul_f64_e32 v[39:40], v[37:38], v[37:38]
	v_fma_f64 v[43:44], v[39:40], s[26:27], s[24:25]
	s_mov_b32 s24, 0xd7f4df2e
	s_mov_b32 s25, 0x3fc7474d
	v_mul_f64_e32 v[45:46], v[37:38], v[39:40]
	s_wait_alu 0xfffe
	s_delay_alu instid0(VALU_DEP_2) | instskip(SKIP_3) | instid1(VALU_DEP_1)
	v_fma_f64 v[43:44], v[39:40], v[43:44], s[24:25]
	s_mov_b32 s24, 0x16291751
	s_mov_b32 s25, 0x3fcc71c0
	s_wait_alu 0xfffe
	v_fma_f64 v[43:44], v[39:40], v[43:44], s[24:25]
	s_mov_b32 s24, 0x9b27acf1
	s_mov_b32 s25, 0x3fd24924
	s_wait_alu 0xfffe
	s_delay_alu instid0(VALU_DEP_1) | instskip(SKIP_3) | instid1(VALU_DEP_1)
	v_fma_f64 v[43:44], v[39:40], v[43:44], s[24:25]
	s_mov_b32 s24, 0x998ef7b6
	s_mov_b32 s25, 0x3fd99999
	s_wait_alu 0xfffe
	v_fma_f64 v[43:44], v[39:40], v[43:44], s[24:25]
	s_delay_alu instid0(VALU_DEP_1)
	v_fma_f64 v[39:40], v[39:40], v[43:44], s[0:1]
	v_ldexp_f64 v[43:44], v[37:38], 1
	v_add_f64_e64 v[37:38], v[37:38], -v[41:42]
	v_cmp_nge_f64_e64 s0, -1.0, v[15:16]
	v_cmp_neq_f64_e64 s1, 0x7ff00000, v[15:16]
	v_mul_f64_e32 v[39:40], v[45:46], v[39:40]
	v_cvt_f64_i32_e32 v[45:46], v0
	v_add_f64_e64 v[35:36], v[35:36], -v[37:38]
	s_and_b32 s0, s0, s1
	s_delay_alu instid0(VALU_DEP_3) | instskip(NEXT) | instid1(VALU_DEP_3)
	v_add_f64_e32 v[41:42], v[43:44], v[39:40]
	v_mul_f64_e32 v[47:48], s[18:19], v[45:46]
	s_delay_alu instid0(VALU_DEP_3) | instskip(NEXT) | instid1(VALU_DEP_3)
	v_ldexp_f64 v[35:36], v[35:36], 1
	v_add_f64_e64 v[37:38], v[41:42], -v[43:44]
	s_delay_alu instid0(VALU_DEP_3) | instskip(NEXT) | instid1(VALU_DEP_2)
	v_fma_f64 v[43:44], v[45:46], s[18:19], -v[47:48]
	v_add_f64_e64 v[37:38], v[39:40], -v[37:38]
	s_delay_alu instid0(VALU_DEP_2) | instskip(NEXT) | instid1(VALU_DEP_2)
	v_fma_f64 v[39:40], v[45:46], s[20:21], v[43:44]
	v_add_f64_e32 v[35:36], v[35:36], v[37:38]
	s_delay_alu instid0(VALU_DEP_2) | instskip(NEXT) | instid1(VALU_DEP_2)
	v_add_f64_e32 v[37:38], v[47:48], v[39:40]
	v_add_f64_e32 v[43:44], v[41:42], v[35:36]
	s_delay_alu instid0(VALU_DEP_2) | instskip(NEXT) | instid1(VALU_DEP_2)
	v_add_f64_e64 v[47:48], v[37:38], -v[47:48]
	v_add_f64_e32 v[45:46], v[37:38], v[43:44]
	v_add_f64_e64 v[41:42], v[43:44], -v[41:42]
	s_delay_alu instid0(VALU_DEP_3) | instskip(NEXT) | instid1(VALU_DEP_3)
	v_add_f64_e64 v[39:40], v[39:40], -v[47:48]
	v_add_f64_e64 v[49:50], v[45:46], -v[37:38]
	s_delay_alu instid0(VALU_DEP_3) | instskip(NEXT) | instid1(VALU_DEP_2)
	v_add_f64_e64 v[35:36], v[35:36], -v[41:42]
	v_add_f64_e64 v[51:52], v[45:46], -v[49:50]
	;; [unrolled: 1-line block ×3, first 2 shown]
	s_delay_alu instid0(VALU_DEP_3) | instskip(NEXT) | instid1(VALU_DEP_3)
	v_add_f64_e32 v[43:44], v[39:40], v[35:36]
	v_add_f64_e64 v[37:38], v[37:38], -v[51:52]
	s_delay_alu instid0(VALU_DEP_1) | instskip(NEXT) | instid1(VALU_DEP_3)
	v_add_f64_e32 v[37:38], v[41:42], v[37:38]
	v_add_f64_e64 v[41:42], v[43:44], -v[39:40]
	s_delay_alu instid0(VALU_DEP_2) | instskip(NEXT) | instid1(VALU_DEP_2)
	v_add_f64_e32 v[37:38], v[43:44], v[37:38]
	v_add_f64_e64 v[43:44], v[43:44], -v[41:42]
	v_add_f64_e64 v[35:36], v[35:36], -v[41:42]
	s_delay_alu instid0(VALU_DEP_3) | instskip(NEXT) | instid1(VALU_DEP_3)
	v_add_f64_e32 v[47:48], v[45:46], v[37:38]
	v_add_f64_e64 v[39:40], v[39:40], -v[43:44]
	s_delay_alu instid0(VALU_DEP_2) | instskip(NEXT) | instid1(VALU_DEP_2)
	v_add_f64_e64 v[41:42], v[47:48], -v[45:46]
	v_add_f64_e32 v[35:36], v[35:36], v[39:40]
	s_delay_alu instid0(VALU_DEP_2) | instskip(NEXT) | instid1(VALU_DEP_1)
	v_add_f64_e64 v[37:38], v[37:38], -v[41:42]
	v_add_f64_e32 v[35:36], v[35:36], v[37:38]
	s_delay_alu instid0(VALU_DEP_1) | instskip(SKIP_1) | instid1(VALU_DEP_1)
	v_add_f64_e32 v[35:36], v[47:48], v[35:36]
	s_wait_alu 0xfffe
	v_cndmask_b32_e64 v35, 0, v35, s0
	v_cmp_neq_f64_e64 s0, -1.0, v[15:16]
	s_delay_alu instid0(VALU_DEP_3) | instskip(NEXT) | instid1(VALU_DEP_1)
	v_cndmask_b32_e64 v0, 0x7ff00000, v36, s1
	v_cndmask_b32_e64 v0, 0x7ff80000, v0, s17
	s_wait_alu 0xf1ff
	s_delay_alu instid0(VALU_DEP_1) | instskip(NEXT) | instid1(VALU_DEP_1)
	v_cndmask_b32_e64 v36, 0xfff00000, v0, s0
	v_add_f64_e32 v[15:16], v[33:34], v[35:36]
.LBB42_128:
	s_wait_alu 0xfffe
	s_or_b32 exec_lo, exec_lo, s22
	s_delay_alu instid0(VALU_DEP_1) | instskip(SKIP_1) | instid1(VALU_DEP_2)
	v_max_num_f64_e32 v[33:34], v[15:16], v[15:16]
	v_cmp_u_f64_e64 s0, v[15:16], v[15:16]
	v_min_num_f64_e32 v[35:36], v[33:34], v[55:56]
	v_max_num_f64_e32 v[33:34], v[33:34], v[55:56]
	s_wait_alu 0xf1ff
	s_delay_alu instid0(VALU_DEP_2) | instskip(NEXT) | instid1(VALU_DEP_3)
	v_cndmask_b32_e64 v0, v35, v15, s0
	v_cndmask_b32_e64 v35, v36, v16, s0
	s_delay_alu instid0(VALU_DEP_3) | instskip(NEXT) | instid1(VALU_DEP_4)
	v_cndmask_b32_e64 v34, v34, v16, s0
	v_cndmask_b32_e64 v33, v33, v15, s0
	s_delay_alu instid0(VALU_DEP_3) | instskip(SKIP_1) | instid1(VALU_DEP_4)
	v_cndmask_b32_e64 v36, v35, v10, s28
	v_cndmask_b32_e64 v35, v0, v9, s28
	;; [unrolled: 1-line block ×3, first 2 shown]
	s_delay_alu instid0(VALU_DEP_4) | instskip(SKIP_1) | instid1(VALU_DEP_4)
	v_cndmask_b32_e64 v33, v33, v9, s28
	v_dual_mov_b32 v9, v15 :: v_dual_mov_b32 v10, v16
	v_cmp_class_f64_e64 s1, v[35:36], 0x1f8
	s_delay_alu instid0(VALU_DEP_3)
	v_cmp_neq_f64_e64 s0, v[35:36], v[33:34]
	s_or_b32 s0, s0, s1
	s_wait_alu 0xfffe
	s_and_saveexec_b32 s22, s0
	s_cbranch_execz .LBB42_130
; %bb.129:
	v_add_f64_e64 v[9:10], v[35:36], -v[33:34]
	s_mov_b32 s0, 0x652b82fe
	s_mov_b32 s1, 0x3ff71547
	;; [unrolled: 1-line block ×10, first 2 shown]
	s_wait_alu 0xfffe
	s_delay_alu instid0(VALU_DEP_1) | instskip(SKIP_2) | instid1(VALU_DEP_1)
	v_mul_f64_e32 v[35:36], s[0:1], v[9:10]
	s_mov_b32 s0, 0xfca7ab0c
	s_mov_b32 s1, 0x3e928af3
	v_rndne_f64_e32 v[35:36], v[35:36]
	s_delay_alu instid0(VALU_DEP_1) | instskip(SKIP_2) | instid1(VALU_DEP_2)
	v_fma_f64 v[37:38], v[35:36], s[18:19], v[9:10]
	v_cvt_i32_f64_e32 v0, v[35:36]
	s_mov_b32 s19, 0x3fe62e42
	v_fma_f64 v[37:38], v[35:36], s[20:21], v[37:38]
	s_mov_b32 s21, 0x3c7abc9e
	s_wait_alu 0xfffe
	s_delay_alu instid0(VALU_DEP_1)
	v_fma_f64 v[39:40], v[37:38], s[24:25], s[0:1]
	s_mov_b32 s0, 0x623fde64
	s_mov_b32 s1, 0x3ec71dee
	;; [unrolled: 1-line block ×4, first 2 shown]
	s_wait_alu 0xfffe
	s_delay_alu instid0(VALU_DEP_1) | instskip(SKIP_3) | instid1(VALU_DEP_1)
	v_fma_f64 v[39:40], v[37:38], v[39:40], s[0:1]
	s_mov_b32 s0, 0x7c89e6b0
	s_mov_b32 s1, 0x3efa0199
	s_wait_alu 0xfffe
	v_fma_f64 v[39:40], v[37:38], v[39:40], s[0:1]
	s_mov_b32 s0, 0x14761f6e
	s_mov_b32 s1, 0x3f2a01a0
	s_wait_alu 0xfffe
	s_delay_alu instid0(VALU_DEP_1) | instskip(SKIP_3) | instid1(VALU_DEP_1)
	v_fma_f64 v[39:40], v[37:38], v[39:40], s[0:1]
	s_mov_b32 s0, 0x1852b7b0
	s_mov_b32 s1, 0x3f56c16c
	s_wait_alu 0xfffe
	v_fma_f64 v[39:40], v[37:38], v[39:40], s[0:1]
	s_mov_b32 s0, 0x11122322
	s_mov_b32 s1, 0x3f811111
	;; [unrolled: 9-line block ×3, first 2 shown]
	s_wait_alu 0xfffe
	s_delay_alu instid0(VALU_DEP_1) | instskip(SKIP_3) | instid1(VALU_DEP_1)
	v_fma_f64 v[39:40], v[37:38], v[39:40], s[0:1]
	s_mov_b32 s0, 11
	s_mov_b32 s1, 0x3fe00000
	s_wait_alu 0xfffe
	v_fma_f64 v[39:40], v[37:38], v[39:40], s[0:1]
	v_cmp_nlt_f64_e64 s0, 0x40900000, v[9:10]
	v_cmp_ngt_f64_e64 s1, 0xc090cc00, v[9:10]
	s_delay_alu instid0(VALU_DEP_3) | instskip(NEXT) | instid1(VALU_DEP_1)
	v_fma_f64 v[39:40], v[37:38], v[39:40], 1.0
	v_fma_f64 v[35:36], v[37:38], v[39:40], 1.0
	s_delay_alu instid0(VALU_DEP_1) | instskip(SKIP_1) | instid1(VALU_DEP_1)
	v_ldexp_f64 v[35:36], v[35:36], v0
	s_wait_alu 0xf1ff
	v_cndmask_b32_e64 v0, 0x7ff00000, v36, s0
	s_and_b32 s0, s1, s0
	s_wait_alu 0xfffe
	s_delay_alu instid0(VALU_DEP_2) | instskip(SKIP_3) | instid1(VALU_DEP_1)
	v_cndmask_b32_e64 v9, 0, v35, s0
	s_mov_b32 s0, 0x55555555
	v_cndmask_b32_e64 v10, 0, v0, s1
	s_mov_b32 s1, 0x3fe55555
	v_add_f64_e32 v[35:36], 1.0, v[9:10]
	v_cmp_ngt_f64_e64 s17, -1.0, v[9:10]
	s_delay_alu instid0(VALU_DEP_2) | instskip(SKIP_3) | instid1(VALU_DEP_3)
	v_frexp_mant_f64_e32 v[37:38], v[35:36]
	v_frexp_exp_i32_f64_e32 v0, v[35:36]
	v_add_f64_e32 v[39:40], -1.0, v[35:36]
	s_wait_alu 0xfffe
	v_cmp_gt_f64_e64 s0, s[0:1], v[37:38]
	s_delay_alu instid0(VALU_DEP_2) | instskip(SKIP_2) | instid1(VALU_DEP_3)
	v_add_f64_e64 v[37:38], v[39:40], -v[35:36]
	v_add_f64_e64 v[39:40], v[9:10], -v[39:40]
	s_wait_alu 0xf1ff
	v_subrev_co_ci_u32_e64 v0, null, 0, v0, s0
	s_delay_alu instid0(VALU_DEP_3) | instskip(SKIP_1) | instid1(VALU_DEP_2)
	v_add_f64_e32 v[37:38], 1.0, v[37:38]
	s_mov_b32 s0, 0x55555780
	v_sub_nc_u32_e32 v43, 0, v0
	s_delay_alu instid0(VALU_DEP_1) | instskip(NEXT) | instid1(VALU_DEP_3)
	v_ldexp_f64 v[35:36], v[35:36], v43
	v_add_f64_e32 v[37:38], v[39:40], v[37:38]
	s_delay_alu instid0(VALU_DEP_2) | instskip(SKIP_1) | instid1(VALU_DEP_3)
	v_add_f64_e32 v[41:42], 1.0, v[35:36]
	v_add_f64_e32 v[47:48], -1.0, v[35:36]
	v_ldexp_f64 v[37:38], v[37:38], v43
	s_delay_alu instid0(VALU_DEP_3) | instskip(NEXT) | instid1(VALU_DEP_3)
	v_add_f64_e32 v[39:40], -1.0, v[41:42]
	v_add_f64_e32 v[49:50], 1.0, v[47:48]
	s_delay_alu instid0(VALU_DEP_2) | instskip(NEXT) | instid1(VALU_DEP_2)
	v_add_f64_e64 v[39:40], v[35:36], -v[39:40]
	v_add_f64_e64 v[35:36], v[35:36], -v[49:50]
	s_delay_alu instid0(VALU_DEP_2) | instskip(NEXT) | instid1(VALU_DEP_2)
	v_add_f64_e32 v[39:40], v[37:38], v[39:40]
	v_add_f64_e32 v[35:36], v[37:38], v[35:36]
	s_delay_alu instid0(VALU_DEP_2) | instskip(NEXT) | instid1(VALU_DEP_2)
	v_add_f64_e32 v[43:44], v[41:42], v[39:40]
	v_add_f64_e32 v[49:50], v[47:48], v[35:36]
	s_delay_alu instid0(VALU_DEP_2) | instskip(SKIP_1) | instid1(VALU_DEP_2)
	v_rcp_f64_e32 v[45:46], v[43:44]
	v_add_f64_e64 v[41:42], v[43:44], -v[41:42]
	v_add_f64_e64 v[47:48], v[49:50], -v[47:48]
	s_delay_alu instid0(VALU_DEP_2) | instskip(NEXT) | instid1(TRANS32_DEP_1)
	v_add_f64_e64 v[39:40], v[39:40], -v[41:42]
	v_fma_f64 v[51:52], -v[43:44], v[45:46], 1.0
	s_delay_alu instid0(VALU_DEP_3) | instskip(NEXT) | instid1(VALU_DEP_2)
	v_add_f64_e64 v[35:36], v[35:36], -v[47:48]
	v_fma_f64 v[45:46], v[51:52], v[45:46], v[45:46]
	s_delay_alu instid0(VALU_DEP_1) | instskip(NEXT) | instid1(VALU_DEP_1)
	v_fma_f64 v[37:38], -v[43:44], v[45:46], 1.0
	v_fma_f64 v[37:38], v[37:38], v[45:46], v[45:46]
	s_delay_alu instid0(VALU_DEP_1) | instskip(NEXT) | instid1(VALU_DEP_1)
	v_mul_f64_e32 v[45:46], v[49:50], v[37:38]
	v_mul_f64_e32 v[51:52], v[43:44], v[45:46]
	s_delay_alu instid0(VALU_DEP_1) | instskip(NEXT) | instid1(VALU_DEP_1)
	v_fma_f64 v[41:42], v[45:46], v[43:44], -v[51:52]
	v_fma_f64 v[41:42], v[45:46], v[39:40], v[41:42]
	s_delay_alu instid0(VALU_DEP_1) | instskip(NEXT) | instid1(VALU_DEP_1)
	v_add_f64_e32 v[53:54], v[51:52], v[41:42]
	v_add_f64_e64 v[55:56], v[49:50], -v[53:54]
	v_add_f64_e64 v[47:48], v[53:54], -v[51:52]
	s_delay_alu instid0(VALU_DEP_2) | instskip(NEXT) | instid1(VALU_DEP_2)
	v_add_f64_e64 v[49:50], v[49:50], -v[55:56]
	v_add_f64_e64 v[41:42], v[47:48], -v[41:42]
	s_delay_alu instid0(VALU_DEP_2) | instskip(NEXT) | instid1(VALU_DEP_1)
	v_add_f64_e64 v[49:50], v[49:50], -v[53:54]
	v_add_f64_e32 v[35:36], v[35:36], v[49:50]
	s_delay_alu instid0(VALU_DEP_1) | instskip(NEXT) | instid1(VALU_DEP_1)
	v_add_f64_e32 v[35:36], v[41:42], v[35:36]
	v_add_f64_e32 v[41:42], v[55:56], v[35:36]
	s_delay_alu instid0(VALU_DEP_1) | instskip(SKIP_1) | instid1(VALU_DEP_2)
	v_mul_f64_e32 v[47:48], v[37:38], v[41:42]
	v_add_f64_e64 v[53:54], v[55:56], -v[41:42]
	v_mul_f64_e32 v[49:50], v[43:44], v[47:48]
	s_delay_alu instid0(VALU_DEP_2) | instskip(NEXT) | instid1(VALU_DEP_2)
	v_add_f64_e32 v[35:36], v[35:36], v[53:54]
	v_fma_f64 v[43:44], v[47:48], v[43:44], -v[49:50]
	s_delay_alu instid0(VALU_DEP_1) | instskip(NEXT) | instid1(VALU_DEP_1)
	v_fma_f64 v[39:40], v[47:48], v[39:40], v[43:44]
	v_add_f64_e32 v[43:44], v[49:50], v[39:40]
	s_delay_alu instid0(VALU_DEP_1) | instskip(SKIP_1) | instid1(VALU_DEP_2)
	v_add_f64_e64 v[51:52], v[41:42], -v[43:44]
	v_add_f64_e64 v[49:50], v[43:44], -v[49:50]
	;; [unrolled: 1-line block ×3, first 2 shown]
	s_delay_alu instid0(VALU_DEP_2) | instskip(NEXT) | instid1(VALU_DEP_2)
	v_add_f64_e64 v[39:40], v[49:50], -v[39:40]
	v_add_f64_e64 v[41:42], v[41:42], -v[43:44]
	s_delay_alu instid0(VALU_DEP_1) | instskip(SKIP_1) | instid1(VALU_DEP_2)
	v_add_f64_e32 v[35:36], v[35:36], v[41:42]
	v_add_f64_e32 v[41:42], v[45:46], v[47:48]
	;; [unrolled: 1-line block ×3, first 2 shown]
	s_delay_alu instid0(VALU_DEP_2) | instskip(NEXT) | instid1(VALU_DEP_2)
	v_add_f64_e64 v[39:40], v[41:42], -v[45:46]
	v_add_f64_e32 v[35:36], v[51:52], v[35:36]
	s_delay_alu instid0(VALU_DEP_2) | instskip(NEXT) | instid1(VALU_DEP_2)
	v_add_f64_e64 v[39:40], v[47:48], -v[39:40]
	v_mul_f64_e32 v[35:36], v[37:38], v[35:36]
	s_delay_alu instid0(VALU_DEP_1) | instskip(NEXT) | instid1(VALU_DEP_1)
	v_add_f64_e32 v[35:36], v[39:40], v[35:36]
	v_add_f64_e32 v[37:38], v[41:42], v[35:36]
	s_delay_alu instid0(VALU_DEP_1) | instskip(NEXT) | instid1(VALU_DEP_1)
	v_mul_f64_e32 v[39:40], v[37:38], v[37:38]
	v_fma_f64 v[43:44], v[39:40], s[26:27], s[24:25]
	s_mov_b32 s24, 0xd7f4df2e
	s_mov_b32 s25, 0x3fc7474d
	v_mul_f64_e32 v[45:46], v[37:38], v[39:40]
	s_wait_alu 0xfffe
	s_delay_alu instid0(VALU_DEP_2) | instskip(SKIP_3) | instid1(VALU_DEP_1)
	v_fma_f64 v[43:44], v[39:40], v[43:44], s[24:25]
	s_mov_b32 s24, 0x16291751
	s_mov_b32 s25, 0x3fcc71c0
	s_wait_alu 0xfffe
	v_fma_f64 v[43:44], v[39:40], v[43:44], s[24:25]
	s_mov_b32 s24, 0x9b27acf1
	s_mov_b32 s25, 0x3fd24924
	s_wait_alu 0xfffe
	s_delay_alu instid0(VALU_DEP_1) | instskip(SKIP_3) | instid1(VALU_DEP_1)
	v_fma_f64 v[43:44], v[39:40], v[43:44], s[24:25]
	s_mov_b32 s24, 0x998ef7b6
	s_mov_b32 s25, 0x3fd99999
	s_wait_alu 0xfffe
	v_fma_f64 v[43:44], v[39:40], v[43:44], s[24:25]
	s_delay_alu instid0(VALU_DEP_1)
	v_fma_f64 v[39:40], v[39:40], v[43:44], s[0:1]
	v_ldexp_f64 v[43:44], v[37:38], 1
	v_add_f64_e64 v[37:38], v[37:38], -v[41:42]
	v_cmp_nge_f64_e64 s0, -1.0, v[9:10]
	v_cmp_neq_f64_e64 s1, 0x7ff00000, v[9:10]
	v_mul_f64_e32 v[39:40], v[45:46], v[39:40]
	v_cvt_f64_i32_e32 v[45:46], v0
	v_add_f64_e64 v[35:36], v[35:36], -v[37:38]
	s_and_b32 s0, s0, s1
	s_delay_alu instid0(VALU_DEP_3) | instskip(NEXT) | instid1(VALU_DEP_3)
	v_add_f64_e32 v[41:42], v[43:44], v[39:40]
	v_mul_f64_e32 v[47:48], s[18:19], v[45:46]
	s_delay_alu instid0(VALU_DEP_3) | instskip(NEXT) | instid1(VALU_DEP_3)
	v_ldexp_f64 v[35:36], v[35:36], 1
	v_add_f64_e64 v[37:38], v[41:42], -v[43:44]
	s_delay_alu instid0(VALU_DEP_3) | instskip(NEXT) | instid1(VALU_DEP_2)
	v_fma_f64 v[43:44], v[45:46], s[18:19], -v[47:48]
	v_add_f64_e64 v[37:38], v[39:40], -v[37:38]
	s_delay_alu instid0(VALU_DEP_2) | instskip(NEXT) | instid1(VALU_DEP_2)
	v_fma_f64 v[39:40], v[45:46], s[20:21], v[43:44]
	v_add_f64_e32 v[35:36], v[35:36], v[37:38]
	s_delay_alu instid0(VALU_DEP_2) | instskip(NEXT) | instid1(VALU_DEP_2)
	v_add_f64_e32 v[37:38], v[47:48], v[39:40]
	v_add_f64_e32 v[43:44], v[41:42], v[35:36]
	s_delay_alu instid0(VALU_DEP_2) | instskip(NEXT) | instid1(VALU_DEP_2)
	v_add_f64_e64 v[47:48], v[37:38], -v[47:48]
	v_add_f64_e32 v[45:46], v[37:38], v[43:44]
	v_add_f64_e64 v[41:42], v[43:44], -v[41:42]
	s_delay_alu instid0(VALU_DEP_3) | instskip(NEXT) | instid1(VALU_DEP_3)
	v_add_f64_e64 v[39:40], v[39:40], -v[47:48]
	v_add_f64_e64 v[49:50], v[45:46], -v[37:38]
	s_delay_alu instid0(VALU_DEP_3) | instskip(NEXT) | instid1(VALU_DEP_2)
	v_add_f64_e64 v[35:36], v[35:36], -v[41:42]
	v_add_f64_e64 v[51:52], v[45:46], -v[49:50]
	v_add_f64_e64 v[41:42], v[43:44], -v[49:50]
	s_delay_alu instid0(VALU_DEP_3) | instskip(NEXT) | instid1(VALU_DEP_3)
	v_add_f64_e32 v[43:44], v[39:40], v[35:36]
	v_add_f64_e64 v[37:38], v[37:38], -v[51:52]
	s_delay_alu instid0(VALU_DEP_1) | instskip(NEXT) | instid1(VALU_DEP_3)
	v_add_f64_e32 v[37:38], v[41:42], v[37:38]
	v_add_f64_e64 v[41:42], v[43:44], -v[39:40]
	s_delay_alu instid0(VALU_DEP_2) | instskip(NEXT) | instid1(VALU_DEP_2)
	v_add_f64_e32 v[37:38], v[43:44], v[37:38]
	v_add_f64_e64 v[43:44], v[43:44], -v[41:42]
	v_add_f64_e64 v[35:36], v[35:36], -v[41:42]
	s_delay_alu instid0(VALU_DEP_3) | instskip(NEXT) | instid1(VALU_DEP_3)
	v_add_f64_e32 v[47:48], v[45:46], v[37:38]
	v_add_f64_e64 v[39:40], v[39:40], -v[43:44]
	s_delay_alu instid0(VALU_DEP_2) | instskip(NEXT) | instid1(VALU_DEP_2)
	v_add_f64_e64 v[41:42], v[47:48], -v[45:46]
	v_add_f64_e32 v[35:36], v[35:36], v[39:40]
	s_delay_alu instid0(VALU_DEP_2) | instskip(NEXT) | instid1(VALU_DEP_1)
	v_add_f64_e64 v[37:38], v[37:38], -v[41:42]
	v_add_f64_e32 v[35:36], v[35:36], v[37:38]
	s_delay_alu instid0(VALU_DEP_1) | instskip(SKIP_1) | instid1(VALU_DEP_1)
	v_add_f64_e32 v[35:36], v[47:48], v[35:36]
	s_wait_alu 0xfffe
	v_cndmask_b32_e64 v35, 0, v35, s0
	v_cmp_neq_f64_e64 s0, -1.0, v[9:10]
	s_delay_alu instid0(VALU_DEP_3) | instskip(NEXT) | instid1(VALU_DEP_1)
	v_cndmask_b32_e64 v0, 0x7ff00000, v36, s1
	v_cndmask_b32_e64 v0, 0x7ff80000, v0, s17
	s_wait_alu 0xf1ff
	s_delay_alu instid0(VALU_DEP_1) | instskip(NEXT) | instid1(VALU_DEP_1)
	v_cndmask_b32_e64 v36, 0xfff00000, v0, s0
	v_add_f64_e32 v[9:10], v[33:34], v[35:36]
.LBB42_130:
	s_wait_alu 0xfffe
	s_or_b32 exec_lo, exec_lo, s22
	s_delay_alu instid0(VALU_DEP_1) | instskip(SKIP_1) | instid1(VALU_DEP_2)
	v_max_num_f64_e32 v[33:34], v[9:10], v[9:10]
	v_cmp_u_f64_e64 s0, v[9:10], v[9:10]
	v_min_num_f64_e32 v[35:36], v[33:34], v[57:58]
	v_max_num_f64_e32 v[33:34], v[33:34], v[57:58]
	s_wait_alu 0xf1ff
	s_delay_alu instid0(VALU_DEP_2) | instskip(NEXT) | instid1(VALU_DEP_3)
	v_cndmask_b32_e64 v0, v35, v9, s0
	v_cndmask_b32_e64 v35, v36, v10, s0
	s_delay_alu instid0(VALU_DEP_3) | instskip(NEXT) | instid1(VALU_DEP_4)
	v_cndmask_b32_e64 v34, v34, v10, s0
	v_cndmask_b32_e64 v33, v33, v9, s0
	s_delay_alu instid0(VALU_DEP_3) | instskip(SKIP_1) | instid1(VALU_DEP_4)
	v_cndmask_b32_e64 v36, v35, v12, s29
	v_cndmask_b32_e64 v35, v0, v11, s29
	;; [unrolled: 1-line block ×3, first 2 shown]
	s_delay_alu instid0(VALU_DEP_4) | instskip(SKIP_1) | instid1(VALU_DEP_4)
	v_cndmask_b32_e64 v33, v33, v11, s29
	v_dual_mov_b32 v12, v10 :: v_dual_mov_b32 v11, v9
	v_cmp_class_f64_e64 s1, v[35:36], 0x1f8
	s_delay_alu instid0(VALU_DEP_3)
	v_cmp_neq_f64_e64 s0, v[35:36], v[33:34]
	s_or_b32 s0, s0, s1
	s_wait_alu 0xfffe
	s_and_saveexec_b32 s22, s0
	s_cbranch_execz .LBB42_132
; %bb.131:
	v_add_f64_e64 v[11:12], v[35:36], -v[33:34]
	s_mov_b32 s0, 0x652b82fe
	s_mov_b32 s1, 0x3ff71547
	;; [unrolled: 1-line block ×10, first 2 shown]
	s_wait_alu 0xfffe
	s_delay_alu instid0(VALU_DEP_1) | instskip(SKIP_2) | instid1(VALU_DEP_1)
	v_mul_f64_e32 v[35:36], s[0:1], v[11:12]
	s_mov_b32 s0, 0xfca7ab0c
	s_mov_b32 s1, 0x3e928af3
	v_rndne_f64_e32 v[35:36], v[35:36]
	s_delay_alu instid0(VALU_DEP_1) | instskip(SKIP_2) | instid1(VALU_DEP_2)
	v_fma_f64 v[37:38], v[35:36], s[18:19], v[11:12]
	v_cvt_i32_f64_e32 v0, v[35:36]
	s_mov_b32 s19, 0x3fe62e42
	v_fma_f64 v[37:38], v[35:36], s[20:21], v[37:38]
	s_mov_b32 s21, 0x3c7abc9e
	s_wait_alu 0xfffe
	s_delay_alu instid0(VALU_DEP_1)
	v_fma_f64 v[39:40], v[37:38], s[24:25], s[0:1]
	s_mov_b32 s0, 0x623fde64
	s_mov_b32 s1, 0x3ec71dee
	;; [unrolled: 1-line block ×4, first 2 shown]
	s_wait_alu 0xfffe
	s_delay_alu instid0(VALU_DEP_1) | instskip(SKIP_3) | instid1(VALU_DEP_1)
	v_fma_f64 v[39:40], v[37:38], v[39:40], s[0:1]
	s_mov_b32 s0, 0x7c89e6b0
	s_mov_b32 s1, 0x3efa0199
	s_wait_alu 0xfffe
	v_fma_f64 v[39:40], v[37:38], v[39:40], s[0:1]
	s_mov_b32 s0, 0x14761f6e
	s_mov_b32 s1, 0x3f2a01a0
	s_wait_alu 0xfffe
	s_delay_alu instid0(VALU_DEP_1) | instskip(SKIP_3) | instid1(VALU_DEP_1)
	v_fma_f64 v[39:40], v[37:38], v[39:40], s[0:1]
	s_mov_b32 s0, 0x1852b7b0
	s_mov_b32 s1, 0x3f56c16c
	s_wait_alu 0xfffe
	v_fma_f64 v[39:40], v[37:38], v[39:40], s[0:1]
	s_mov_b32 s0, 0x11122322
	s_mov_b32 s1, 0x3f811111
	;; [unrolled: 9-line block ×3, first 2 shown]
	s_wait_alu 0xfffe
	s_delay_alu instid0(VALU_DEP_1) | instskip(SKIP_3) | instid1(VALU_DEP_1)
	v_fma_f64 v[39:40], v[37:38], v[39:40], s[0:1]
	s_mov_b32 s0, 11
	s_mov_b32 s1, 0x3fe00000
	s_wait_alu 0xfffe
	v_fma_f64 v[39:40], v[37:38], v[39:40], s[0:1]
	v_cmp_nlt_f64_e64 s0, 0x40900000, v[11:12]
	v_cmp_ngt_f64_e64 s1, 0xc090cc00, v[11:12]
	s_delay_alu instid0(VALU_DEP_3) | instskip(NEXT) | instid1(VALU_DEP_1)
	v_fma_f64 v[39:40], v[37:38], v[39:40], 1.0
	v_fma_f64 v[35:36], v[37:38], v[39:40], 1.0
	s_delay_alu instid0(VALU_DEP_1) | instskip(SKIP_1) | instid1(VALU_DEP_1)
	v_ldexp_f64 v[35:36], v[35:36], v0
	s_wait_alu 0xf1ff
	v_cndmask_b32_e64 v0, 0x7ff00000, v36, s0
	s_and_b32 s0, s1, s0
	s_wait_alu 0xfffe
	s_delay_alu instid0(VALU_DEP_2) | instskip(SKIP_3) | instid1(VALU_DEP_1)
	v_cndmask_b32_e64 v11, 0, v35, s0
	s_mov_b32 s0, 0x55555555
	v_cndmask_b32_e64 v12, 0, v0, s1
	s_mov_b32 s1, 0x3fe55555
	v_add_f64_e32 v[35:36], 1.0, v[11:12]
	v_cmp_ngt_f64_e64 s17, -1.0, v[11:12]
	s_delay_alu instid0(VALU_DEP_2) | instskip(SKIP_3) | instid1(VALU_DEP_3)
	v_frexp_mant_f64_e32 v[37:38], v[35:36]
	v_frexp_exp_i32_f64_e32 v0, v[35:36]
	v_add_f64_e32 v[39:40], -1.0, v[35:36]
	s_wait_alu 0xfffe
	v_cmp_gt_f64_e64 s0, s[0:1], v[37:38]
	s_delay_alu instid0(VALU_DEP_2) | instskip(SKIP_2) | instid1(VALU_DEP_3)
	v_add_f64_e64 v[37:38], v[39:40], -v[35:36]
	v_add_f64_e64 v[39:40], v[11:12], -v[39:40]
	s_wait_alu 0xf1ff
	v_subrev_co_ci_u32_e64 v0, null, 0, v0, s0
	s_delay_alu instid0(VALU_DEP_3) | instskip(SKIP_1) | instid1(VALU_DEP_2)
	v_add_f64_e32 v[37:38], 1.0, v[37:38]
	s_mov_b32 s0, 0x55555780
	v_sub_nc_u32_e32 v43, 0, v0
	s_delay_alu instid0(VALU_DEP_1) | instskip(NEXT) | instid1(VALU_DEP_3)
	v_ldexp_f64 v[35:36], v[35:36], v43
	v_add_f64_e32 v[37:38], v[39:40], v[37:38]
	s_delay_alu instid0(VALU_DEP_2) | instskip(SKIP_1) | instid1(VALU_DEP_3)
	v_add_f64_e32 v[41:42], 1.0, v[35:36]
	v_add_f64_e32 v[47:48], -1.0, v[35:36]
	v_ldexp_f64 v[37:38], v[37:38], v43
	s_delay_alu instid0(VALU_DEP_3) | instskip(NEXT) | instid1(VALU_DEP_3)
	v_add_f64_e32 v[39:40], -1.0, v[41:42]
	v_add_f64_e32 v[49:50], 1.0, v[47:48]
	s_delay_alu instid0(VALU_DEP_2) | instskip(NEXT) | instid1(VALU_DEP_2)
	v_add_f64_e64 v[39:40], v[35:36], -v[39:40]
	v_add_f64_e64 v[35:36], v[35:36], -v[49:50]
	s_delay_alu instid0(VALU_DEP_2) | instskip(NEXT) | instid1(VALU_DEP_2)
	v_add_f64_e32 v[39:40], v[37:38], v[39:40]
	v_add_f64_e32 v[35:36], v[37:38], v[35:36]
	s_delay_alu instid0(VALU_DEP_2) | instskip(NEXT) | instid1(VALU_DEP_2)
	v_add_f64_e32 v[43:44], v[41:42], v[39:40]
	v_add_f64_e32 v[49:50], v[47:48], v[35:36]
	s_delay_alu instid0(VALU_DEP_2) | instskip(SKIP_1) | instid1(VALU_DEP_2)
	v_rcp_f64_e32 v[45:46], v[43:44]
	v_add_f64_e64 v[41:42], v[43:44], -v[41:42]
	v_add_f64_e64 v[47:48], v[49:50], -v[47:48]
	s_delay_alu instid0(VALU_DEP_2) | instskip(NEXT) | instid1(TRANS32_DEP_1)
	v_add_f64_e64 v[39:40], v[39:40], -v[41:42]
	v_fma_f64 v[51:52], -v[43:44], v[45:46], 1.0
	s_delay_alu instid0(VALU_DEP_3) | instskip(NEXT) | instid1(VALU_DEP_2)
	v_add_f64_e64 v[35:36], v[35:36], -v[47:48]
	v_fma_f64 v[45:46], v[51:52], v[45:46], v[45:46]
	s_delay_alu instid0(VALU_DEP_1) | instskip(NEXT) | instid1(VALU_DEP_1)
	v_fma_f64 v[37:38], -v[43:44], v[45:46], 1.0
	v_fma_f64 v[37:38], v[37:38], v[45:46], v[45:46]
	s_delay_alu instid0(VALU_DEP_1) | instskip(NEXT) | instid1(VALU_DEP_1)
	v_mul_f64_e32 v[45:46], v[49:50], v[37:38]
	v_mul_f64_e32 v[51:52], v[43:44], v[45:46]
	s_delay_alu instid0(VALU_DEP_1) | instskip(NEXT) | instid1(VALU_DEP_1)
	v_fma_f64 v[41:42], v[45:46], v[43:44], -v[51:52]
	v_fma_f64 v[41:42], v[45:46], v[39:40], v[41:42]
	s_delay_alu instid0(VALU_DEP_1) | instskip(NEXT) | instid1(VALU_DEP_1)
	v_add_f64_e32 v[53:54], v[51:52], v[41:42]
	v_add_f64_e64 v[55:56], v[49:50], -v[53:54]
	v_add_f64_e64 v[47:48], v[53:54], -v[51:52]
	s_delay_alu instid0(VALU_DEP_2) | instskip(NEXT) | instid1(VALU_DEP_2)
	v_add_f64_e64 v[49:50], v[49:50], -v[55:56]
	v_add_f64_e64 v[41:42], v[47:48], -v[41:42]
	s_delay_alu instid0(VALU_DEP_2) | instskip(NEXT) | instid1(VALU_DEP_1)
	v_add_f64_e64 v[49:50], v[49:50], -v[53:54]
	v_add_f64_e32 v[35:36], v[35:36], v[49:50]
	s_delay_alu instid0(VALU_DEP_1) | instskip(NEXT) | instid1(VALU_DEP_1)
	v_add_f64_e32 v[35:36], v[41:42], v[35:36]
	v_add_f64_e32 v[41:42], v[55:56], v[35:36]
	s_delay_alu instid0(VALU_DEP_1) | instskip(SKIP_1) | instid1(VALU_DEP_2)
	v_mul_f64_e32 v[47:48], v[37:38], v[41:42]
	v_add_f64_e64 v[53:54], v[55:56], -v[41:42]
	v_mul_f64_e32 v[49:50], v[43:44], v[47:48]
	s_delay_alu instid0(VALU_DEP_2) | instskip(NEXT) | instid1(VALU_DEP_2)
	v_add_f64_e32 v[35:36], v[35:36], v[53:54]
	v_fma_f64 v[43:44], v[47:48], v[43:44], -v[49:50]
	s_delay_alu instid0(VALU_DEP_1) | instskip(NEXT) | instid1(VALU_DEP_1)
	v_fma_f64 v[39:40], v[47:48], v[39:40], v[43:44]
	v_add_f64_e32 v[43:44], v[49:50], v[39:40]
	s_delay_alu instid0(VALU_DEP_1) | instskip(SKIP_1) | instid1(VALU_DEP_2)
	v_add_f64_e64 v[51:52], v[41:42], -v[43:44]
	v_add_f64_e64 v[49:50], v[43:44], -v[49:50]
	;; [unrolled: 1-line block ×3, first 2 shown]
	s_delay_alu instid0(VALU_DEP_2) | instskip(NEXT) | instid1(VALU_DEP_2)
	v_add_f64_e64 v[39:40], v[49:50], -v[39:40]
	v_add_f64_e64 v[41:42], v[41:42], -v[43:44]
	s_delay_alu instid0(VALU_DEP_1) | instskip(SKIP_1) | instid1(VALU_DEP_2)
	v_add_f64_e32 v[35:36], v[35:36], v[41:42]
	v_add_f64_e32 v[41:42], v[45:46], v[47:48]
	;; [unrolled: 1-line block ×3, first 2 shown]
	s_delay_alu instid0(VALU_DEP_2) | instskip(NEXT) | instid1(VALU_DEP_2)
	v_add_f64_e64 v[39:40], v[41:42], -v[45:46]
	v_add_f64_e32 v[35:36], v[51:52], v[35:36]
	s_delay_alu instid0(VALU_DEP_2) | instskip(NEXT) | instid1(VALU_DEP_2)
	v_add_f64_e64 v[39:40], v[47:48], -v[39:40]
	v_mul_f64_e32 v[35:36], v[37:38], v[35:36]
	s_delay_alu instid0(VALU_DEP_1) | instskip(NEXT) | instid1(VALU_DEP_1)
	v_add_f64_e32 v[35:36], v[39:40], v[35:36]
	v_add_f64_e32 v[37:38], v[41:42], v[35:36]
	s_delay_alu instid0(VALU_DEP_1) | instskip(NEXT) | instid1(VALU_DEP_1)
	v_mul_f64_e32 v[39:40], v[37:38], v[37:38]
	v_fma_f64 v[43:44], v[39:40], s[26:27], s[24:25]
	s_mov_b32 s24, 0xd7f4df2e
	s_mov_b32 s25, 0x3fc7474d
	v_mul_f64_e32 v[45:46], v[37:38], v[39:40]
	s_wait_alu 0xfffe
	s_delay_alu instid0(VALU_DEP_2) | instskip(SKIP_3) | instid1(VALU_DEP_1)
	v_fma_f64 v[43:44], v[39:40], v[43:44], s[24:25]
	s_mov_b32 s24, 0x16291751
	s_mov_b32 s25, 0x3fcc71c0
	s_wait_alu 0xfffe
	v_fma_f64 v[43:44], v[39:40], v[43:44], s[24:25]
	s_mov_b32 s24, 0x9b27acf1
	s_mov_b32 s25, 0x3fd24924
	s_wait_alu 0xfffe
	s_delay_alu instid0(VALU_DEP_1) | instskip(SKIP_3) | instid1(VALU_DEP_1)
	v_fma_f64 v[43:44], v[39:40], v[43:44], s[24:25]
	s_mov_b32 s24, 0x998ef7b6
	s_mov_b32 s25, 0x3fd99999
	s_wait_alu 0xfffe
	v_fma_f64 v[43:44], v[39:40], v[43:44], s[24:25]
	s_delay_alu instid0(VALU_DEP_1)
	v_fma_f64 v[39:40], v[39:40], v[43:44], s[0:1]
	v_ldexp_f64 v[43:44], v[37:38], 1
	v_add_f64_e64 v[37:38], v[37:38], -v[41:42]
	v_cmp_nge_f64_e64 s0, -1.0, v[11:12]
	v_cmp_neq_f64_e64 s1, 0x7ff00000, v[11:12]
	v_mul_f64_e32 v[39:40], v[45:46], v[39:40]
	v_cvt_f64_i32_e32 v[45:46], v0
	v_add_f64_e64 v[35:36], v[35:36], -v[37:38]
	s_and_b32 s0, s0, s1
	s_delay_alu instid0(VALU_DEP_3) | instskip(NEXT) | instid1(VALU_DEP_3)
	v_add_f64_e32 v[41:42], v[43:44], v[39:40]
	v_mul_f64_e32 v[47:48], s[18:19], v[45:46]
	s_delay_alu instid0(VALU_DEP_3) | instskip(NEXT) | instid1(VALU_DEP_3)
	v_ldexp_f64 v[35:36], v[35:36], 1
	v_add_f64_e64 v[37:38], v[41:42], -v[43:44]
	s_delay_alu instid0(VALU_DEP_3) | instskip(NEXT) | instid1(VALU_DEP_2)
	v_fma_f64 v[43:44], v[45:46], s[18:19], -v[47:48]
	v_add_f64_e64 v[37:38], v[39:40], -v[37:38]
	s_delay_alu instid0(VALU_DEP_2) | instskip(NEXT) | instid1(VALU_DEP_2)
	v_fma_f64 v[39:40], v[45:46], s[20:21], v[43:44]
	v_add_f64_e32 v[35:36], v[35:36], v[37:38]
	s_delay_alu instid0(VALU_DEP_2) | instskip(NEXT) | instid1(VALU_DEP_2)
	v_add_f64_e32 v[37:38], v[47:48], v[39:40]
	v_add_f64_e32 v[43:44], v[41:42], v[35:36]
	s_delay_alu instid0(VALU_DEP_2) | instskip(NEXT) | instid1(VALU_DEP_2)
	v_add_f64_e64 v[47:48], v[37:38], -v[47:48]
	v_add_f64_e32 v[45:46], v[37:38], v[43:44]
	v_add_f64_e64 v[41:42], v[43:44], -v[41:42]
	s_delay_alu instid0(VALU_DEP_3) | instskip(NEXT) | instid1(VALU_DEP_3)
	v_add_f64_e64 v[39:40], v[39:40], -v[47:48]
	v_add_f64_e64 v[49:50], v[45:46], -v[37:38]
	s_delay_alu instid0(VALU_DEP_3) | instskip(NEXT) | instid1(VALU_DEP_2)
	v_add_f64_e64 v[35:36], v[35:36], -v[41:42]
	v_add_f64_e64 v[51:52], v[45:46], -v[49:50]
	;; [unrolled: 1-line block ×3, first 2 shown]
	s_delay_alu instid0(VALU_DEP_3) | instskip(NEXT) | instid1(VALU_DEP_3)
	v_add_f64_e32 v[43:44], v[39:40], v[35:36]
	v_add_f64_e64 v[37:38], v[37:38], -v[51:52]
	s_delay_alu instid0(VALU_DEP_1) | instskip(NEXT) | instid1(VALU_DEP_3)
	v_add_f64_e32 v[37:38], v[41:42], v[37:38]
	v_add_f64_e64 v[41:42], v[43:44], -v[39:40]
	s_delay_alu instid0(VALU_DEP_2) | instskip(NEXT) | instid1(VALU_DEP_2)
	v_add_f64_e32 v[37:38], v[43:44], v[37:38]
	v_add_f64_e64 v[43:44], v[43:44], -v[41:42]
	v_add_f64_e64 v[35:36], v[35:36], -v[41:42]
	s_delay_alu instid0(VALU_DEP_3) | instskip(NEXT) | instid1(VALU_DEP_3)
	v_add_f64_e32 v[47:48], v[45:46], v[37:38]
	v_add_f64_e64 v[39:40], v[39:40], -v[43:44]
	s_delay_alu instid0(VALU_DEP_2) | instskip(NEXT) | instid1(VALU_DEP_2)
	v_add_f64_e64 v[41:42], v[47:48], -v[45:46]
	v_add_f64_e32 v[35:36], v[35:36], v[39:40]
	s_delay_alu instid0(VALU_DEP_2) | instskip(NEXT) | instid1(VALU_DEP_1)
	v_add_f64_e64 v[37:38], v[37:38], -v[41:42]
	v_add_f64_e32 v[35:36], v[35:36], v[37:38]
	s_delay_alu instid0(VALU_DEP_1) | instskip(SKIP_1) | instid1(VALU_DEP_1)
	v_add_f64_e32 v[35:36], v[47:48], v[35:36]
	s_wait_alu 0xfffe
	v_cndmask_b32_e64 v35, 0, v35, s0
	v_cmp_neq_f64_e64 s0, -1.0, v[11:12]
	s_delay_alu instid0(VALU_DEP_3) | instskip(NEXT) | instid1(VALU_DEP_1)
	v_cndmask_b32_e64 v0, 0x7ff00000, v36, s1
	v_cndmask_b32_e64 v0, 0x7ff80000, v0, s17
	s_wait_alu 0xf1ff
	s_delay_alu instid0(VALU_DEP_1) | instskip(NEXT) | instid1(VALU_DEP_1)
	v_cndmask_b32_e64 v36, 0xfff00000, v0, s0
	v_add_f64_e32 v[11:12], v[33:34], v[35:36]
.LBB42_132:
	s_wait_alu 0xfffe
	s_or_b32 exec_lo, exec_lo, s22
	s_delay_alu instid0(VALU_DEP_1) | instskip(SKIP_1) | instid1(VALU_DEP_2)
	v_max_num_f64_e32 v[33:34], v[11:12], v[11:12]
	v_cmp_u_f64_e64 s0, v[11:12], v[11:12]
	v_min_num_f64_e32 v[35:36], v[33:34], v[59:60]
	v_max_num_f64_e32 v[33:34], v[33:34], v[59:60]
	s_wait_alu 0xf1ff
	s_delay_alu instid0(VALU_DEP_2) | instskip(NEXT) | instid1(VALU_DEP_3)
	v_cndmask_b32_e64 v0, v35, v11, s0
	v_cndmask_b32_e64 v35, v36, v12, s0
	s_delay_alu instid0(VALU_DEP_3) | instskip(NEXT) | instid1(VALU_DEP_4)
	v_cndmask_b32_e64 v34, v34, v12, s0
	v_cndmask_b32_e64 v33, v33, v11, s0
	s_delay_alu instid0(VALU_DEP_3) | instskip(SKIP_1) | instid1(VALU_DEP_4)
	v_cndmask_b32_e64 v36, v35, v6, s30
	v_cndmask_b32_e64 v35, v0, v5, s30
	;; [unrolled: 1-line block ×3, first 2 shown]
	s_delay_alu instid0(VALU_DEP_4) | instskip(SKIP_1) | instid1(VALU_DEP_4)
	v_cndmask_b32_e64 v33, v33, v5, s30
	v_dual_mov_b32 v5, v11 :: v_dual_mov_b32 v6, v12
	v_cmp_class_f64_e64 s1, v[35:36], 0x1f8
	s_delay_alu instid0(VALU_DEP_3)
	v_cmp_neq_f64_e64 s0, v[35:36], v[33:34]
	s_or_b32 s0, s0, s1
	s_wait_alu 0xfffe
	s_and_saveexec_b32 s22, s0
	s_cbranch_execz .LBB42_134
; %bb.133:
	v_add_f64_e64 v[5:6], v[35:36], -v[33:34]
	s_mov_b32 s0, 0x652b82fe
	s_mov_b32 s1, 0x3ff71547
	;; [unrolled: 1-line block ×10, first 2 shown]
	s_wait_alu 0xfffe
	s_delay_alu instid0(VALU_DEP_1) | instskip(SKIP_2) | instid1(VALU_DEP_1)
	v_mul_f64_e32 v[35:36], s[0:1], v[5:6]
	s_mov_b32 s0, 0xfca7ab0c
	s_mov_b32 s1, 0x3e928af3
	v_rndne_f64_e32 v[35:36], v[35:36]
	s_delay_alu instid0(VALU_DEP_1) | instskip(SKIP_2) | instid1(VALU_DEP_2)
	v_fma_f64 v[37:38], v[35:36], s[18:19], v[5:6]
	v_cvt_i32_f64_e32 v0, v[35:36]
	s_mov_b32 s19, 0x3fe62e42
	v_fma_f64 v[37:38], v[35:36], s[20:21], v[37:38]
	s_mov_b32 s21, 0x3c7abc9e
	s_wait_alu 0xfffe
	s_delay_alu instid0(VALU_DEP_1)
	v_fma_f64 v[39:40], v[37:38], s[24:25], s[0:1]
	s_mov_b32 s0, 0x623fde64
	s_mov_b32 s1, 0x3ec71dee
	;; [unrolled: 1-line block ×4, first 2 shown]
	s_wait_alu 0xfffe
	s_delay_alu instid0(VALU_DEP_1) | instskip(SKIP_3) | instid1(VALU_DEP_1)
	v_fma_f64 v[39:40], v[37:38], v[39:40], s[0:1]
	s_mov_b32 s0, 0x7c89e6b0
	s_mov_b32 s1, 0x3efa0199
	s_wait_alu 0xfffe
	v_fma_f64 v[39:40], v[37:38], v[39:40], s[0:1]
	s_mov_b32 s0, 0x14761f6e
	s_mov_b32 s1, 0x3f2a01a0
	s_wait_alu 0xfffe
	s_delay_alu instid0(VALU_DEP_1) | instskip(SKIP_3) | instid1(VALU_DEP_1)
	v_fma_f64 v[39:40], v[37:38], v[39:40], s[0:1]
	s_mov_b32 s0, 0x1852b7b0
	s_mov_b32 s1, 0x3f56c16c
	s_wait_alu 0xfffe
	v_fma_f64 v[39:40], v[37:38], v[39:40], s[0:1]
	s_mov_b32 s0, 0x11122322
	s_mov_b32 s1, 0x3f811111
	;; [unrolled: 9-line block ×3, first 2 shown]
	s_wait_alu 0xfffe
	s_delay_alu instid0(VALU_DEP_1) | instskip(SKIP_3) | instid1(VALU_DEP_1)
	v_fma_f64 v[39:40], v[37:38], v[39:40], s[0:1]
	s_mov_b32 s0, 11
	s_mov_b32 s1, 0x3fe00000
	s_wait_alu 0xfffe
	v_fma_f64 v[39:40], v[37:38], v[39:40], s[0:1]
	v_cmp_nlt_f64_e64 s0, 0x40900000, v[5:6]
	v_cmp_ngt_f64_e64 s1, 0xc090cc00, v[5:6]
	s_delay_alu instid0(VALU_DEP_3) | instskip(NEXT) | instid1(VALU_DEP_1)
	v_fma_f64 v[39:40], v[37:38], v[39:40], 1.0
	v_fma_f64 v[35:36], v[37:38], v[39:40], 1.0
	s_delay_alu instid0(VALU_DEP_1) | instskip(SKIP_1) | instid1(VALU_DEP_1)
	v_ldexp_f64 v[35:36], v[35:36], v0
	s_wait_alu 0xf1ff
	v_cndmask_b32_e64 v0, 0x7ff00000, v36, s0
	s_and_b32 s0, s1, s0
	s_wait_alu 0xfffe
	s_delay_alu instid0(VALU_DEP_2) | instskip(SKIP_3) | instid1(VALU_DEP_1)
	v_cndmask_b32_e64 v5, 0, v35, s0
	s_mov_b32 s0, 0x55555555
	v_cndmask_b32_e64 v6, 0, v0, s1
	s_mov_b32 s1, 0x3fe55555
	v_add_f64_e32 v[35:36], 1.0, v[5:6]
	v_cmp_ngt_f64_e64 s17, -1.0, v[5:6]
	s_delay_alu instid0(VALU_DEP_2) | instskip(SKIP_3) | instid1(VALU_DEP_3)
	v_frexp_mant_f64_e32 v[37:38], v[35:36]
	v_frexp_exp_i32_f64_e32 v0, v[35:36]
	v_add_f64_e32 v[39:40], -1.0, v[35:36]
	s_wait_alu 0xfffe
	v_cmp_gt_f64_e64 s0, s[0:1], v[37:38]
	s_delay_alu instid0(VALU_DEP_2) | instskip(SKIP_2) | instid1(VALU_DEP_3)
	v_add_f64_e64 v[37:38], v[39:40], -v[35:36]
	v_add_f64_e64 v[39:40], v[5:6], -v[39:40]
	s_wait_alu 0xf1ff
	v_subrev_co_ci_u32_e64 v0, null, 0, v0, s0
	s_delay_alu instid0(VALU_DEP_3) | instskip(SKIP_1) | instid1(VALU_DEP_2)
	v_add_f64_e32 v[37:38], 1.0, v[37:38]
	s_mov_b32 s0, 0x55555780
	v_sub_nc_u32_e32 v43, 0, v0
	s_delay_alu instid0(VALU_DEP_1) | instskip(NEXT) | instid1(VALU_DEP_3)
	v_ldexp_f64 v[35:36], v[35:36], v43
	v_add_f64_e32 v[37:38], v[39:40], v[37:38]
	s_delay_alu instid0(VALU_DEP_2) | instskip(SKIP_1) | instid1(VALU_DEP_3)
	v_add_f64_e32 v[41:42], 1.0, v[35:36]
	v_add_f64_e32 v[47:48], -1.0, v[35:36]
	v_ldexp_f64 v[37:38], v[37:38], v43
	s_delay_alu instid0(VALU_DEP_3) | instskip(NEXT) | instid1(VALU_DEP_3)
	v_add_f64_e32 v[39:40], -1.0, v[41:42]
	v_add_f64_e32 v[49:50], 1.0, v[47:48]
	s_delay_alu instid0(VALU_DEP_2) | instskip(NEXT) | instid1(VALU_DEP_2)
	v_add_f64_e64 v[39:40], v[35:36], -v[39:40]
	v_add_f64_e64 v[35:36], v[35:36], -v[49:50]
	s_delay_alu instid0(VALU_DEP_2) | instskip(NEXT) | instid1(VALU_DEP_2)
	v_add_f64_e32 v[39:40], v[37:38], v[39:40]
	v_add_f64_e32 v[35:36], v[37:38], v[35:36]
	s_delay_alu instid0(VALU_DEP_2) | instskip(NEXT) | instid1(VALU_DEP_2)
	v_add_f64_e32 v[43:44], v[41:42], v[39:40]
	v_add_f64_e32 v[49:50], v[47:48], v[35:36]
	s_delay_alu instid0(VALU_DEP_2) | instskip(SKIP_1) | instid1(VALU_DEP_2)
	v_rcp_f64_e32 v[45:46], v[43:44]
	v_add_f64_e64 v[41:42], v[43:44], -v[41:42]
	v_add_f64_e64 v[47:48], v[49:50], -v[47:48]
	s_delay_alu instid0(VALU_DEP_2) | instskip(NEXT) | instid1(TRANS32_DEP_1)
	v_add_f64_e64 v[39:40], v[39:40], -v[41:42]
	v_fma_f64 v[51:52], -v[43:44], v[45:46], 1.0
	s_delay_alu instid0(VALU_DEP_3) | instskip(NEXT) | instid1(VALU_DEP_2)
	v_add_f64_e64 v[35:36], v[35:36], -v[47:48]
	v_fma_f64 v[45:46], v[51:52], v[45:46], v[45:46]
	s_delay_alu instid0(VALU_DEP_1) | instskip(NEXT) | instid1(VALU_DEP_1)
	v_fma_f64 v[37:38], -v[43:44], v[45:46], 1.0
	v_fma_f64 v[37:38], v[37:38], v[45:46], v[45:46]
	s_delay_alu instid0(VALU_DEP_1) | instskip(NEXT) | instid1(VALU_DEP_1)
	v_mul_f64_e32 v[45:46], v[49:50], v[37:38]
	v_mul_f64_e32 v[51:52], v[43:44], v[45:46]
	s_delay_alu instid0(VALU_DEP_1) | instskip(NEXT) | instid1(VALU_DEP_1)
	v_fma_f64 v[41:42], v[45:46], v[43:44], -v[51:52]
	v_fma_f64 v[41:42], v[45:46], v[39:40], v[41:42]
	s_delay_alu instid0(VALU_DEP_1) | instskip(NEXT) | instid1(VALU_DEP_1)
	v_add_f64_e32 v[53:54], v[51:52], v[41:42]
	v_add_f64_e64 v[55:56], v[49:50], -v[53:54]
	v_add_f64_e64 v[47:48], v[53:54], -v[51:52]
	s_delay_alu instid0(VALU_DEP_2) | instskip(NEXT) | instid1(VALU_DEP_2)
	v_add_f64_e64 v[49:50], v[49:50], -v[55:56]
	v_add_f64_e64 v[41:42], v[47:48], -v[41:42]
	s_delay_alu instid0(VALU_DEP_2) | instskip(NEXT) | instid1(VALU_DEP_1)
	v_add_f64_e64 v[49:50], v[49:50], -v[53:54]
	v_add_f64_e32 v[35:36], v[35:36], v[49:50]
	s_delay_alu instid0(VALU_DEP_1) | instskip(NEXT) | instid1(VALU_DEP_1)
	v_add_f64_e32 v[35:36], v[41:42], v[35:36]
	v_add_f64_e32 v[41:42], v[55:56], v[35:36]
	s_delay_alu instid0(VALU_DEP_1) | instskip(SKIP_1) | instid1(VALU_DEP_2)
	v_mul_f64_e32 v[47:48], v[37:38], v[41:42]
	v_add_f64_e64 v[53:54], v[55:56], -v[41:42]
	v_mul_f64_e32 v[49:50], v[43:44], v[47:48]
	s_delay_alu instid0(VALU_DEP_2) | instskip(NEXT) | instid1(VALU_DEP_2)
	v_add_f64_e32 v[35:36], v[35:36], v[53:54]
	v_fma_f64 v[43:44], v[47:48], v[43:44], -v[49:50]
	s_delay_alu instid0(VALU_DEP_1) | instskip(NEXT) | instid1(VALU_DEP_1)
	v_fma_f64 v[39:40], v[47:48], v[39:40], v[43:44]
	v_add_f64_e32 v[43:44], v[49:50], v[39:40]
	s_delay_alu instid0(VALU_DEP_1) | instskip(SKIP_1) | instid1(VALU_DEP_2)
	v_add_f64_e64 v[51:52], v[41:42], -v[43:44]
	v_add_f64_e64 v[49:50], v[43:44], -v[49:50]
	;; [unrolled: 1-line block ×3, first 2 shown]
	s_delay_alu instid0(VALU_DEP_2) | instskip(NEXT) | instid1(VALU_DEP_2)
	v_add_f64_e64 v[39:40], v[49:50], -v[39:40]
	v_add_f64_e64 v[41:42], v[41:42], -v[43:44]
	s_delay_alu instid0(VALU_DEP_1) | instskip(SKIP_1) | instid1(VALU_DEP_2)
	v_add_f64_e32 v[35:36], v[35:36], v[41:42]
	v_add_f64_e32 v[41:42], v[45:46], v[47:48]
	v_add_f64_e32 v[35:36], v[39:40], v[35:36]
	s_delay_alu instid0(VALU_DEP_2) | instskip(NEXT) | instid1(VALU_DEP_2)
	v_add_f64_e64 v[39:40], v[41:42], -v[45:46]
	v_add_f64_e32 v[35:36], v[51:52], v[35:36]
	s_delay_alu instid0(VALU_DEP_2) | instskip(NEXT) | instid1(VALU_DEP_2)
	v_add_f64_e64 v[39:40], v[47:48], -v[39:40]
	v_mul_f64_e32 v[35:36], v[37:38], v[35:36]
	s_delay_alu instid0(VALU_DEP_1) | instskip(NEXT) | instid1(VALU_DEP_1)
	v_add_f64_e32 v[35:36], v[39:40], v[35:36]
	v_add_f64_e32 v[37:38], v[41:42], v[35:36]
	s_delay_alu instid0(VALU_DEP_1) | instskip(NEXT) | instid1(VALU_DEP_1)
	v_mul_f64_e32 v[39:40], v[37:38], v[37:38]
	v_fma_f64 v[43:44], v[39:40], s[26:27], s[24:25]
	s_mov_b32 s24, 0xd7f4df2e
	s_mov_b32 s25, 0x3fc7474d
	v_mul_f64_e32 v[45:46], v[37:38], v[39:40]
	s_wait_alu 0xfffe
	s_delay_alu instid0(VALU_DEP_2) | instskip(SKIP_3) | instid1(VALU_DEP_1)
	v_fma_f64 v[43:44], v[39:40], v[43:44], s[24:25]
	s_mov_b32 s24, 0x16291751
	s_mov_b32 s25, 0x3fcc71c0
	s_wait_alu 0xfffe
	v_fma_f64 v[43:44], v[39:40], v[43:44], s[24:25]
	s_mov_b32 s24, 0x9b27acf1
	s_mov_b32 s25, 0x3fd24924
	s_wait_alu 0xfffe
	s_delay_alu instid0(VALU_DEP_1) | instskip(SKIP_3) | instid1(VALU_DEP_1)
	v_fma_f64 v[43:44], v[39:40], v[43:44], s[24:25]
	s_mov_b32 s24, 0x998ef7b6
	s_mov_b32 s25, 0x3fd99999
	s_wait_alu 0xfffe
	v_fma_f64 v[43:44], v[39:40], v[43:44], s[24:25]
	s_delay_alu instid0(VALU_DEP_1)
	v_fma_f64 v[39:40], v[39:40], v[43:44], s[0:1]
	v_ldexp_f64 v[43:44], v[37:38], 1
	v_add_f64_e64 v[37:38], v[37:38], -v[41:42]
	v_cmp_nge_f64_e64 s0, -1.0, v[5:6]
	v_cmp_neq_f64_e64 s1, 0x7ff00000, v[5:6]
	v_mul_f64_e32 v[39:40], v[45:46], v[39:40]
	v_cvt_f64_i32_e32 v[45:46], v0
	v_add_f64_e64 v[35:36], v[35:36], -v[37:38]
	s_and_b32 s0, s0, s1
	s_delay_alu instid0(VALU_DEP_3) | instskip(NEXT) | instid1(VALU_DEP_3)
	v_add_f64_e32 v[41:42], v[43:44], v[39:40]
	v_mul_f64_e32 v[47:48], s[18:19], v[45:46]
	s_delay_alu instid0(VALU_DEP_3) | instskip(NEXT) | instid1(VALU_DEP_3)
	v_ldexp_f64 v[35:36], v[35:36], 1
	v_add_f64_e64 v[37:38], v[41:42], -v[43:44]
	s_delay_alu instid0(VALU_DEP_3) | instskip(NEXT) | instid1(VALU_DEP_2)
	v_fma_f64 v[43:44], v[45:46], s[18:19], -v[47:48]
	v_add_f64_e64 v[37:38], v[39:40], -v[37:38]
	s_delay_alu instid0(VALU_DEP_2) | instskip(NEXT) | instid1(VALU_DEP_2)
	v_fma_f64 v[39:40], v[45:46], s[20:21], v[43:44]
	v_add_f64_e32 v[35:36], v[35:36], v[37:38]
	s_delay_alu instid0(VALU_DEP_2) | instskip(NEXT) | instid1(VALU_DEP_2)
	v_add_f64_e32 v[37:38], v[47:48], v[39:40]
	v_add_f64_e32 v[43:44], v[41:42], v[35:36]
	s_delay_alu instid0(VALU_DEP_2) | instskip(NEXT) | instid1(VALU_DEP_2)
	v_add_f64_e64 v[47:48], v[37:38], -v[47:48]
	v_add_f64_e32 v[45:46], v[37:38], v[43:44]
	v_add_f64_e64 v[41:42], v[43:44], -v[41:42]
	s_delay_alu instid0(VALU_DEP_3) | instskip(NEXT) | instid1(VALU_DEP_3)
	v_add_f64_e64 v[39:40], v[39:40], -v[47:48]
	v_add_f64_e64 v[49:50], v[45:46], -v[37:38]
	s_delay_alu instid0(VALU_DEP_3) | instskip(NEXT) | instid1(VALU_DEP_2)
	v_add_f64_e64 v[35:36], v[35:36], -v[41:42]
	v_add_f64_e64 v[51:52], v[45:46], -v[49:50]
	;; [unrolled: 1-line block ×3, first 2 shown]
	s_delay_alu instid0(VALU_DEP_3) | instskip(NEXT) | instid1(VALU_DEP_3)
	v_add_f64_e32 v[43:44], v[39:40], v[35:36]
	v_add_f64_e64 v[37:38], v[37:38], -v[51:52]
	s_delay_alu instid0(VALU_DEP_1) | instskip(NEXT) | instid1(VALU_DEP_3)
	v_add_f64_e32 v[37:38], v[41:42], v[37:38]
	v_add_f64_e64 v[41:42], v[43:44], -v[39:40]
	s_delay_alu instid0(VALU_DEP_2) | instskip(NEXT) | instid1(VALU_DEP_2)
	v_add_f64_e32 v[37:38], v[43:44], v[37:38]
	v_add_f64_e64 v[43:44], v[43:44], -v[41:42]
	v_add_f64_e64 v[35:36], v[35:36], -v[41:42]
	s_delay_alu instid0(VALU_DEP_3) | instskip(NEXT) | instid1(VALU_DEP_3)
	v_add_f64_e32 v[47:48], v[45:46], v[37:38]
	v_add_f64_e64 v[39:40], v[39:40], -v[43:44]
	s_delay_alu instid0(VALU_DEP_2) | instskip(NEXT) | instid1(VALU_DEP_2)
	v_add_f64_e64 v[41:42], v[47:48], -v[45:46]
	v_add_f64_e32 v[35:36], v[35:36], v[39:40]
	s_delay_alu instid0(VALU_DEP_2) | instskip(NEXT) | instid1(VALU_DEP_1)
	v_add_f64_e64 v[37:38], v[37:38], -v[41:42]
	v_add_f64_e32 v[35:36], v[35:36], v[37:38]
	s_delay_alu instid0(VALU_DEP_1) | instskip(SKIP_1) | instid1(VALU_DEP_1)
	v_add_f64_e32 v[35:36], v[47:48], v[35:36]
	s_wait_alu 0xfffe
	v_cndmask_b32_e64 v35, 0, v35, s0
	v_cmp_neq_f64_e64 s0, -1.0, v[5:6]
	s_delay_alu instid0(VALU_DEP_3) | instskip(NEXT) | instid1(VALU_DEP_1)
	v_cndmask_b32_e64 v0, 0x7ff00000, v36, s1
	v_cndmask_b32_e64 v0, 0x7ff80000, v0, s17
	s_wait_alu 0xf1ff
	s_delay_alu instid0(VALU_DEP_1) | instskip(NEXT) | instid1(VALU_DEP_1)
	v_cndmask_b32_e64 v36, 0xfff00000, v0, s0
	v_add_f64_e32 v[5:6], v[33:34], v[35:36]
.LBB42_134:
	s_wait_alu 0xfffe
	s_or_b32 exec_lo, exec_lo, s22
	s_delay_alu instid0(VALU_DEP_1) | instskip(SKIP_1) | instid1(VALU_DEP_2)
	v_max_num_f64_e32 v[33:34], v[5:6], v[5:6]
	v_cmp_u_f64_e64 s0, v[5:6], v[5:6]
	v_min_num_f64_e32 v[35:36], v[33:34], v[61:62]
	v_max_num_f64_e32 v[33:34], v[33:34], v[61:62]
	s_wait_alu 0xf1ff
	s_delay_alu instid0(VALU_DEP_2) | instskip(NEXT) | instid1(VALU_DEP_3)
	v_cndmask_b32_e64 v0, v35, v5, s0
	v_cndmask_b32_e64 v35, v36, v6, s0
	s_delay_alu instid0(VALU_DEP_3) | instskip(NEXT) | instid1(VALU_DEP_4)
	v_cndmask_b32_e64 v34, v34, v6, s0
	v_cndmask_b32_e64 v33, v33, v5, s0
	s_delay_alu instid0(VALU_DEP_3) | instskip(SKIP_1) | instid1(VALU_DEP_4)
	v_cndmask_b32_e64 v36, v35, v8, s31
	v_cndmask_b32_e64 v35, v0, v7, s31
	;; [unrolled: 1-line block ×3, first 2 shown]
	s_delay_alu instid0(VALU_DEP_4) | instskip(SKIP_1) | instid1(VALU_DEP_4)
	v_cndmask_b32_e64 v7, v33, v7, s31
	v_dual_mov_b32 v34, v6 :: v_dual_mov_b32 v33, v5
	v_cmp_class_f64_e64 s1, v[35:36], 0x1f8
	s_delay_alu instid0(VALU_DEP_3)
	v_cmp_neq_f64_e64 s0, v[35:36], v[7:8]
	s_or_b32 s0, s0, s1
	s_wait_alu 0xfffe
	s_and_saveexec_b32 s22, s0
	s_cbranch_execz .LBB42_136
; %bb.135:
	v_add_f64_e64 v[33:34], v[35:36], -v[7:8]
	s_mov_b32 s0, 0x652b82fe
	s_mov_b32 s1, 0x3ff71547
	;; [unrolled: 1-line block ×10, first 2 shown]
	s_wait_alu 0xfffe
	s_delay_alu instid0(VALU_DEP_1) | instskip(SKIP_2) | instid1(VALU_DEP_1)
	v_mul_f64_e32 v[35:36], s[0:1], v[33:34]
	s_mov_b32 s0, 0xfca7ab0c
	s_mov_b32 s1, 0x3e928af3
	v_rndne_f64_e32 v[35:36], v[35:36]
	s_delay_alu instid0(VALU_DEP_1) | instskip(SKIP_2) | instid1(VALU_DEP_2)
	v_fma_f64 v[37:38], v[35:36], s[18:19], v[33:34]
	v_cvt_i32_f64_e32 v0, v[35:36]
	s_mov_b32 s19, 0x3fe62e42
	v_fma_f64 v[37:38], v[35:36], s[20:21], v[37:38]
	s_mov_b32 s21, 0x3c7abc9e
	s_wait_alu 0xfffe
	s_delay_alu instid0(VALU_DEP_1)
	v_fma_f64 v[39:40], v[37:38], s[24:25], s[0:1]
	s_mov_b32 s0, 0x623fde64
	s_mov_b32 s1, 0x3ec71dee
	;; [unrolled: 1-line block ×4, first 2 shown]
	s_wait_alu 0xfffe
	s_delay_alu instid0(VALU_DEP_1) | instskip(SKIP_3) | instid1(VALU_DEP_1)
	v_fma_f64 v[39:40], v[37:38], v[39:40], s[0:1]
	s_mov_b32 s0, 0x7c89e6b0
	s_mov_b32 s1, 0x3efa0199
	s_wait_alu 0xfffe
	v_fma_f64 v[39:40], v[37:38], v[39:40], s[0:1]
	s_mov_b32 s0, 0x14761f6e
	s_mov_b32 s1, 0x3f2a01a0
	s_wait_alu 0xfffe
	s_delay_alu instid0(VALU_DEP_1) | instskip(SKIP_3) | instid1(VALU_DEP_1)
	v_fma_f64 v[39:40], v[37:38], v[39:40], s[0:1]
	s_mov_b32 s0, 0x1852b7b0
	s_mov_b32 s1, 0x3f56c16c
	s_wait_alu 0xfffe
	v_fma_f64 v[39:40], v[37:38], v[39:40], s[0:1]
	s_mov_b32 s0, 0x11122322
	s_mov_b32 s1, 0x3f811111
	;; [unrolled: 9-line block ×3, first 2 shown]
	s_wait_alu 0xfffe
	s_delay_alu instid0(VALU_DEP_1) | instskip(SKIP_3) | instid1(VALU_DEP_1)
	v_fma_f64 v[39:40], v[37:38], v[39:40], s[0:1]
	s_mov_b32 s0, 11
	s_mov_b32 s1, 0x3fe00000
	s_wait_alu 0xfffe
	v_fma_f64 v[39:40], v[37:38], v[39:40], s[0:1]
	v_cmp_nlt_f64_e64 s0, 0x40900000, v[33:34]
	v_cmp_ngt_f64_e64 s1, 0xc090cc00, v[33:34]
	s_delay_alu instid0(VALU_DEP_3) | instskip(NEXT) | instid1(VALU_DEP_1)
	v_fma_f64 v[39:40], v[37:38], v[39:40], 1.0
	v_fma_f64 v[35:36], v[37:38], v[39:40], 1.0
	s_delay_alu instid0(VALU_DEP_1) | instskip(SKIP_1) | instid1(VALU_DEP_1)
	v_ldexp_f64 v[35:36], v[35:36], v0
	s_wait_alu 0xf1ff
	v_cndmask_b32_e64 v0, 0x7ff00000, v36, s0
	s_and_b32 s0, s1, s0
	s_wait_alu 0xfffe
	s_delay_alu instid0(VALU_DEP_2) | instskip(SKIP_3) | instid1(VALU_DEP_1)
	v_cndmask_b32_e64 v33, 0, v35, s0
	s_mov_b32 s0, 0x55555555
	v_cndmask_b32_e64 v34, 0, v0, s1
	s_mov_b32 s1, 0x3fe55555
	v_add_f64_e32 v[35:36], 1.0, v[33:34]
	v_cmp_ngt_f64_e64 s17, -1.0, v[33:34]
	s_delay_alu instid0(VALU_DEP_2) | instskip(SKIP_3) | instid1(VALU_DEP_3)
	v_frexp_mant_f64_e32 v[37:38], v[35:36]
	v_frexp_exp_i32_f64_e32 v0, v[35:36]
	v_add_f64_e32 v[39:40], -1.0, v[35:36]
	s_wait_alu 0xfffe
	v_cmp_gt_f64_e64 s0, s[0:1], v[37:38]
	s_delay_alu instid0(VALU_DEP_2) | instskip(SKIP_2) | instid1(VALU_DEP_3)
	v_add_f64_e64 v[37:38], v[39:40], -v[35:36]
	v_add_f64_e64 v[39:40], v[33:34], -v[39:40]
	s_wait_alu 0xf1ff
	v_subrev_co_ci_u32_e64 v0, null, 0, v0, s0
	s_delay_alu instid0(VALU_DEP_3) | instskip(SKIP_1) | instid1(VALU_DEP_2)
	v_add_f64_e32 v[37:38], 1.0, v[37:38]
	s_mov_b32 s0, 0x55555780
	v_sub_nc_u32_e32 v43, 0, v0
	s_delay_alu instid0(VALU_DEP_1) | instskip(NEXT) | instid1(VALU_DEP_3)
	v_ldexp_f64 v[35:36], v[35:36], v43
	v_add_f64_e32 v[37:38], v[39:40], v[37:38]
	s_delay_alu instid0(VALU_DEP_2) | instskip(SKIP_1) | instid1(VALU_DEP_3)
	v_add_f64_e32 v[41:42], 1.0, v[35:36]
	v_add_f64_e32 v[47:48], -1.0, v[35:36]
	v_ldexp_f64 v[37:38], v[37:38], v43
	s_delay_alu instid0(VALU_DEP_3) | instskip(NEXT) | instid1(VALU_DEP_3)
	v_add_f64_e32 v[39:40], -1.0, v[41:42]
	v_add_f64_e32 v[49:50], 1.0, v[47:48]
	s_delay_alu instid0(VALU_DEP_2) | instskip(NEXT) | instid1(VALU_DEP_2)
	v_add_f64_e64 v[39:40], v[35:36], -v[39:40]
	v_add_f64_e64 v[35:36], v[35:36], -v[49:50]
	s_delay_alu instid0(VALU_DEP_2) | instskip(NEXT) | instid1(VALU_DEP_2)
	v_add_f64_e32 v[39:40], v[37:38], v[39:40]
	v_add_f64_e32 v[35:36], v[37:38], v[35:36]
	s_delay_alu instid0(VALU_DEP_2) | instskip(NEXT) | instid1(VALU_DEP_2)
	v_add_f64_e32 v[43:44], v[41:42], v[39:40]
	v_add_f64_e32 v[49:50], v[47:48], v[35:36]
	s_delay_alu instid0(VALU_DEP_2) | instskip(SKIP_1) | instid1(VALU_DEP_2)
	v_rcp_f64_e32 v[45:46], v[43:44]
	v_add_f64_e64 v[41:42], v[43:44], -v[41:42]
	v_add_f64_e64 v[47:48], v[49:50], -v[47:48]
	s_delay_alu instid0(VALU_DEP_2) | instskip(NEXT) | instid1(TRANS32_DEP_1)
	v_add_f64_e64 v[39:40], v[39:40], -v[41:42]
	v_fma_f64 v[51:52], -v[43:44], v[45:46], 1.0
	s_delay_alu instid0(VALU_DEP_3) | instskip(NEXT) | instid1(VALU_DEP_2)
	v_add_f64_e64 v[35:36], v[35:36], -v[47:48]
	v_fma_f64 v[45:46], v[51:52], v[45:46], v[45:46]
	s_delay_alu instid0(VALU_DEP_1) | instskip(NEXT) | instid1(VALU_DEP_1)
	v_fma_f64 v[37:38], -v[43:44], v[45:46], 1.0
	v_fma_f64 v[37:38], v[37:38], v[45:46], v[45:46]
	s_delay_alu instid0(VALU_DEP_1) | instskip(NEXT) | instid1(VALU_DEP_1)
	v_mul_f64_e32 v[45:46], v[49:50], v[37:38]
	v_mul_f64_e32 v[51:52], v[43:44], v[45:46]
	s_delay_alu instid0(VALU_DEP_1) | instskip(NEXT) | instid1(VALU_DEP_1)
	v_fma_f64 v[41:42], v[45:46], v[43:44], -v[51:52]
	v_fma_f64 v[41:42], v[45:46], v[39:40], v[41:42]
	s_delay_alu instid0(VALU_DEP_1) | instskip(NEXT) | instid1(VALU_DEP_1)
	v_add_f64_e32 v[53:54], v[51:52], v[41:42]
	v_add_f64_e64 v[55:56], v[49:50], -v[53:54]
	v_add_f64_e64 v[47:48], v[53:54], -v[51:52]
	s_delay_alu instid0(VALU_DEP_2) | instskip(NEXT) | instid1(VALU_DEP_2)
	v_add_f64_e64 v[49:50], v[49:50], -v[55:56]
	v_add_f64_e64 v[41:42], v[47:48], -v[41:42]
	s_delay_alu instid0(VALU_DEP_2) | instskip(NEXT) | instid1(VALU_DEP_1)
	v_add_f64_e64 v[49:50], v[49:50], -v[53:54]
	v_add_f64_e32 v[35:36], v[35:36], v[49:50]
	s_delay_alu instid0(VALU_DEP_1) | instskip(NEXT) | instid1(VALU_DEP_1)
	v_add_f64_e32 v[35:36], v[41:42], v[35:36]
	v_add_f64_e32 v[41:42], v[55:56], v[35:36]
	s_delay_alu instid0(VALU_DEP_1) | instskip(SKIP_1) | instid1(VALU_DEP_2)
	v_mul_f64_e32 v[47:48], v[37:38], v[41:42]
	v_add_f64_e64 v[53:54], v[55:56], -v[41:42]
	v_mul_f64_e32 v[49:50], v[43:44], v[47:48]
	s_delay_alu instid0(VALU_DEP_2) | instskip(NEXT) | instid1(VALU_DEP_2)
	v_add_f64_e32 v[35:36], v[35:36], v[53:54]
	v_fma_f64 v[43:44], v[47:48], v[43:44], -v[49:50]
	s_delay_alu instid0(VALU_DEP_1) | instskip(NEXT) | instid1(VALU_DEP_1)
	v_fma_f64 v[39:40], v[47:48], v[39:40], v[43:44]
	v_add_f64_e32 v[43:44], v[49:50], v[39:40]
	s_delay_alu instid0(VALU_DEP_1) | instskip(SKIP_1) | instid1(VALU_DEP_2)
	v_add_f64_e64 v[51:52], v[41:42], -v[43:44]
	v_add_f64_e64 v[49:50], v[43:44], -v[49:50]
	;; [unrolled: 1-line block ×3, first 2 shown]
	s_delay_alu instid0(VALU_DEP_2) | instskip(NEXT) | instid1(VALU_DEP_2)
	v_add_f64_e64 v[39:40], v[49:50], -v[39:40]
	v_add_f64_e64 v[41:42], v[41:42], -v[43:44]
	s_delay_alu instid0(VALU_DEP_1) | instskip(SKIP_1) | instid1(VALU_DEP_2)
	v_add_f64_e32 v[35:36], v[35:36], v[41:42]
	v_add_f64_e32 v[41:42], v[45:46], v[47:48]
	;; [unrolled: 1-line block ×3, first 2 shown]
	s_delay_alu instid0(VALU_DEP_2) | instskip(NEXT) | instid1(VALU_DEP_2)
	v_add_f64_e64 v[39:40], v[41:42], -v[45:46]
	v_add_f64_e32 v[35:36], v[51:52], v[35:36]
	s_delay_alu instid0(VALU_DEP_2) | instskip(NEXT) | instid1(VALU_DEP_2)
	v_add_f64_e64 v[39:40], v[47:48], -v[39:40]
	v_mul_f64_e32 v[35:36], v[37:38], v[35:36]
	s_delay_alu instid0(VALU_DEP_1) | instskip(NEXT) | instid1(VALU_DEP_1)
	v_add_f64_e32 v[35:36], v[39:40], v[35:36]
	v_add_f64_e32 v[37:38], v[41:42], v[35:36]
	s_delay_alu instid0(VALU_DEP_1) | instskip(NEXT) | instid1(VALU_DEP_1)
	v_mul_f64_e32 v[39:40], v[37:38], v[37:38]
	v_fma_f64 v[43:44], v[39:40], s[26:27], s[24:25]
	s_mov_b32 s24, 0xd7f4df2e
	s_mov_b32 s25, 0x3fc7474d
	v_mul_f64_e32 v[45:46], v[37:38], v[39:40]
	s_wait_alu 0xfffe
	s_delay_alu instid0(VALU_DEP_2) | instskip(SKIP_3) | instid1(VALU_DEP_1)
	v_fma_f64 v[43:44], v[39:40], v[43:44], s[24:25]
	s_mov_b32 s24, 0x16291751
	s_mov_b32 s25, 0x3fcc71c0
	s_wait_alu 0xfffe
	v_fma_f64 v[43:44], v[39:40], v[43:44], s[24:25]
	s_mov_b32 s24, 0x9b27acf1
	s_mov_b32 s25, 0x3fd24924
	s_wait_alu 0xfffe
	s_delay_alu instid0(VALU_DEP_1) | instskip(SKIP_3) | instid1(VALU_DEP_1)
	v_fma_f64 v[43:44], v[39:40], v[43:44], s[24:25]
	s_mov_b32 s24, 0x998ef7b6
	s_mov_b32 s25, 0x3fd99999
	s_wait_alu 0xfffe
	v_fma_f64 v[43:44], v[39:40], v[43:44], s[24:25]
	s_delay_alu instid0(VALU_DEP_1)
	v_fma_f64 v[39:40], v[39:40], v[43:44], s[0:1]
	v_ldexp_f64 v[43:44], v[37:38], 1
	v_add_f64_e64 v[37:38], v[37:38], -v[41:42]
	v_cmp_nge_f64_e64 s0, -1.0, v[33:34]
	v_cmp_neq_f64_e64 s1, 0x7ff00000, v[33:34]
	v_mul_f64_e32 v[39:40], v[45:46], v[39:40]
	v_cvt_f64_i32_e32 v[45:46], v0
	v_add_f64_e64 v[35:36], v[35:36], -v[37:38]
	s_and_b32 s0, s0, s1
	s_delay_alu instid0(VALU_DEP_3) | instskip(NEXT) | instid1(VALU_DEP_3)
	v_add_f64_e32 v[41:42], v[43:44], v[39:40]
	v_mul_f64_e32 v[47:48], s[18:19], v[45:46]
	s_delay_alu instid0(VALU_DEP_3) | instskip(NEXT) | instid1(VALU_DEP_3)
	v_ldexp_f64 v[35:36], v[35:36], 1
	v_add_f64_e64 v[37:38], v[41:42], -v[43:44]
	s_delay_alu instid0(VALU_DEP_3) | instskip(NEXT) | instid1(VALU_DEP_2)
	v_fma_f64 v[43:44], v[45:46], s[18:19], -v[47:48]
	v_add_f64_e64 v[37:38], v[39:40], -v[37:38]
	s_delay_alu instid0(VALU_DEP_2) | instskip(NEXT) | instid1(VALU_DEP_2)
	v_fma_f64 v[39:40], v[45:46], s[20:21], v[43:44]
	v_add_f64_e32 v[35:36], v[35:36], v[37:38]
	s_delay_alu instid0(VALU_DEP_2) | instskip(NEXT) | instid1(VALU_DEP_2)
	v_add_f64_e32 v[37:38], v[47:48], v[39:40]
	v_add_f64_e32 v[43:44], v[41:42], v[35:36]
	s_delay_alu instid0(VALU_DEP_2) | instskip(NEXT) | instid1(VALU_DEP_2)
	v_add_f64_e64 v[47:48], v[37:38], -v[47:48]
	v_add_f64_e32 v[45:46], v[37:38], v[43:44]
	v_add_f64_e64 v[41:42], v[43:44], -v[41:42]
	s_delay_alu instid0(VALU_DEP_3) | instskip(NEXT) | instid1(VALU_DEP_3)
	v_add_f64_e64 v[39:40], v[39:40], -v[47:48]
	v_add_f64_e64 v[49:50], v[45:46], -v[37:38]
	s_delay_alu instid0(VALU_DEP_3) | instskip(NEXT) | instid1(VALU_DEP_2)
	v_add_f64_e64 v[35:36], v[35:36], -v[41:42]
	v_add_f64_e64 v[51:52], v[45:46], -v[49:50]
	;; [unrolled: 1-line block ×3, first 2 shown]
	s_delay_alu instid0(VALU_DEP_3) | instskip(NEXT) | instid1(VALU_DEP_3)
	v_add_f64_e32 v[43:44], v[39:40], v[35:36]
	v_add_f64_e64 v[37:38], v[37:38], -v[51:52]
	s_delay_alu instid0(VALU_DEP_1) | instskip(NEXT) | instid1(VALU_DEP_3)
	v_add_f64_e32 v[37:38], v[41:42], v[37:38]
	v_add_f64_e64 v[41:42], v[43:44], -v[39:40]
	s_delay_alu instid0(VALU_DEP_2) | instskip(NEXT) | instid1(VALU_DEP_2)
	v_add_f64_e32 v[37:38], v[43:44], v[37:38]
	v_add_f64_e64 v[43:44], v[43:44], -v[41:42]
	v_add_f64_e64 v[35:36], v[35:36], -v[41:42]
	s_delay_alu instid0(VALU_DEP_3) | instskip(NEXT) | instid1(VALU_DEP_3)
	v_add_f64_e32 v[47:48], v[45:46], v[37:38]
	v_add_f64_e64 v[39:40], v[39:40], -v[43:44]
	s_delay_alu instid0(VALU_DEP_2) | instskip(NEXT) | instid1(VALU_DEP_2)
	v_add_f64_e64 v[41:42], v[47:48], -v[45:46]
	v_add_f64_e32 v[35:36], v[35:36], v[39:40]
	s_delay_alu instid0(VALU_DEP_2) | instskip(NEXT) | instid1(VALU_DEP_1)
	v_add_f64_e64 v[37:38], v[37:38], -v[41:42]
	v_add_f64_e32 v[35:36], v[35:36], v[37:38]
	s_delay_alu instid0(VALU_DEP_1) | instskip(SKIP_1) | instid1(VALU_DEP_1)
	v_add_f64_e32 v[35:36], v[47:48], v[35:36]
	s_wait_alu 0xfffe
	v_cndmask_b32_e64 v35, 0, v35, s0
	v_cmp_neq_f64_e64 s0, -1.0, v[33:34]
	s_delay_alu instid0(VALU_DEP_3) | instskip(NEXT) | instid1(VALU_DEP_1)
	v_cndmask_b32_e64 v0, 0x7ff00000, v36, s1
	v_cndmask_b32_e64 v0, 0x7ff80000, v0, s17
	s_wait_alu 0xf1ff
	s_delay_alu instid0(VALU_DEP_1) | instskip(NEXT) | instid1(VALU_DEP_1)
	v_cndmask_b32_e64 v36, 0xfff00000, v0, s0
	v_add_f64_e32 v[33:34], v[7:8], v[35:36]
.LBB42_136:
	s_wait_alu 0xfffe
	s_or_b32 exec_lo, exec_lo, s22
	s_wait_loadcnt_dscnt 0x0
	s_barrier_signal -1
	s_barrier_wait -1
	global_inv scope:SCOPE_SE
	ds_store_2addr_b64 v94, v[1:2], v[3:4] offset1:1
	ds_store_2addr_b64 v94, v[29:30], v[31:32] offset0:2 offset1:3
	ds_store_2addr_b64 v94, v[25:26], v[27:28] offset0:4 offset1:5
	;; [unrolled: 1-line block ×7, first 2 shown]
	s_wait_loadcnt_dscnt 0x0
	s_barrier_signal -1
	s_barrier_wait -1
	global_inv scope:SCOPE_SE
	ds_load_b64 v[30:31], v79 offset:2048
	ds_load_b64 v[28:29], v80 offset:4096
	;; [unrolled: 1-line block ×15, first 2 shown]
	s_wait_kmcnt 0x0
	v_add_co_u32 v2, s0, s36, v77
	s_wait_alu 0xf1ff
	v_add_co_ci_u32_e64 v3, null, s37, 0, s0
	s_and_saveexec_b32 s0, vcc_lo
	s_cbranch_execnz .LBB42_153
; %bb.137:
	s_wait_alu 0xfffe
	s_or_b32 exec_lo, exec_lo, s0
	s_and_saveexec_b32 s0, s2
	s_cbranch_execnz .LBB42_154
.LBB42_138:
	s_wait_alu 0xfffe
	s_or_b32 exec_lo, exec_lo, s0
	s_and_saveexec_b32 s0, s3
	s_cbranch_execnz .LBB42_155
.LBB42_139:
	s_wait_alu 0xfffe
	s_or_b32 exec_lo, exec_lo, s0
	s_and_saveexec_b32 s0, s4
	s_cbranch_execnz .LBB42_156
.LBB42_140:
	s_wait_alu 0xfffe
	s_or_b32 exec_lo, exec_lo, s0
	s_and_saveexec_b32 s0, s5
	s_cbranch_execnz .LBB42_157
.LBB42_141:
	s_wait_alu 0xfffe
	s_or_b32 exec_lo, exec_lo, s0
	s_and_saveexec_b32 s0, s6
	s_cbranch_execnz .LBB42_158
.LBB42_142:
	s_wait_alu 0xfffe
	s_or_b32 exec_lo, exec_lo, s0
	s_and_saveexec_b32 s0, s7
	s_cbranch_execnz .LBB42_159
.LBB42_143:
	s_wait_alu 0xfffe
	s_or_b32 exec_lo, exec_lo, s0
	s_and_saveexec_b32 s0, s8
	s_cbranch_execnz .LBB42_160
.LBB42_144:
	s_wait_alu 0xfffe
	s_or_b32 exec_lo, exec_lo, s0
	s_and_saveexec_b32 s0, s9
	s_cbranch_execnz .LBB42_161
.LBB42_145:
	s_wait_alu 0xfffe
	s_or_b32 exec_lo, exec_lo, s0
	s_and_saveexec_b32 s0, s10
	s_cbranch_execnz .LBB42_162
.LBB42_146:
	s_wait_alu 0xfffe
	s_or_b32 exec_lo, exec_lo, s0
	s_and_saveexec_b32 s0, s11
	s_cbranch_execnz .LBB42_163
.LBB42_147:
	s_wait_alu 0xfffe
	s_or_b32 exec_lo, exec_lo, s0
	s_and_saveexec_b32 s0, s12
	s_cbranch_execnz .LBB42_164
.LBB42_148:
	s_wait_alu 0xfffe
	s_or_b32 exec_lo, exec_lo, s0
	s_and_saveexec_b32 s0, s13
	s_cbranch_execnz .LBB42_165
.LBB42_149:
	s_wait_alu 0xfffe
	s_or_b32 exec_lo, exec_lo, s0
	s_and_saveexec_b32 s0, s14
	s_cbranch_execnz .LBB42_166
.LBB42_150:
	s_wait_alu 0xfffe
	s_or_b32 exec_lo, exec_lo, s0
	s_and_saveexec_b32 s0, s15
	s_cbranch_execnz .LBB42_167
.LBB42_151:
	s_wait_alu 0xfffe
	s_or_b32 exec_lo, exec_lo, s0
	s_and_saveexec_b32 s0, s16
	s_cbranch_execnz .LBB42_168
.LBB42_152:
	s_nop 0
	s_sendmsg sendmsg(MSG_DEALLOC_VGPRS)
	s_endpgm
.LBB42_153:
	ds_load_b64 v[32:33], v78
	s_wait_dscnt 0x0
	global_store_b64 v[2:3], v[32:33], off
	s_wait_alu 0xfffe
	s_or_b32 exec_lo, exec_lo, s0
	s_and_saveexec_b32 s0, s2
	s_cbranch_execz .LBB42_138
.LBB42_154:
	s_wait_dscnt 0xe
	global_store_b64 v[2:3], v[30:31], off offset:2048
	s_wait_alu 0xfffe
	s_or_b32 exec_lo, exec_lo, s0
	s_and_saveexec_b32 s0, s3
	s_cbranch_execz .LBB42_139
.LBB42_155:
	s_wait_dscnt 0xd
	global_store_b64 v[2:3], v[28:29], off offset:4096
	s_wait_alu 0xfffe
	s_or_b32 exec_lo, exec_lo, s0
	s_and_saveexec_b32 s0, s4
	s_cbranch_execz .LBB42_140
.LBB42_156:
	s_wait_dscnt 0xc
	global_store_b64 v[2:3], v[26:27], off offset:6144
	s_wait_alu 0xfffe
	s_or_b32 exec_lo, exec_lo, s0
	s_and_saveexec_b32 s0, s5
	s_cbranch_execz .LBB42_141
.LBB42_157:
	s_wait_dscnt 0xb
	global_store_b64 v[2:3], v[24:25], off offset:8192
	s_wait_alu 0xfffe
	s_or_b32 exec_lo, exec_lo, s0
	s_and_saveexec_b32 s0, s6
	s_cbranch_execz .LBB42_142
.LBB42_158:
	s_wait_dscnt 0xa
	global_store_b64 v[2:3], v[22:23], off offset:10240
	s_wait_alu 0xfffe
	s_or_b32 exec_lo, exec_lo, s0
	s_and_saveexec_b32 s0, s7
	s_cbranch_execz .LBB42_143
.LBB42_159:
	s_wait_dscnt 0x9
	global_store_b64 v[2:3], v[20:21], off offset:12288
	s_wait_alu 0xfffe
	s_or_b32 exec_lo, exec_lo, s0
	s_and_saveexec_b32 s0, s8
	s_cbranch_execz .LBB42_144
.LBB42_160:
	s_wait_dscnt 0x8
	global_store_b64 v[2:3], v[18:19], off offset:14336
	s_wait_alu 0xfffe
	s_or_b32 exec_lo, exec_lo, s0
	s_and_saveexec_b32 s0, s9
	s_cbranch_execz .LBB42_145
.LBB42_161:
	s_wait_dscnt 0x7
	global_store_b64 v[2:3], v[16:17], off offset:16384
	s_wait_alu 0xfffe
	s_or_b32 exec_lo, exec_lo, s0
	s_and_saveexec_b32 s0, s10
	s_cbranch_execz .LBB42_146
.LBB42_162:
	s_wait_dscnt 0x6
	global_store_b64 v[2:3], v[14:15], off offset:18432
	s_wait_alu 0xfffe
	s_or_b32 exec_lo, exec_lo, s0
	s_and_saveexec_b32 s0, s11
	s_cbranch_execz .LBB42_147
.LBB42_163:
	s_wait_dscnt 0x5
	global_store_b64 v[2:3], v[12:13], off offset:20480
	s_wait_alu 0xfffe
	s_or_b32 exec_lo, exec_lo, s0
	s_and_saveexec_b32 s0, s12
	s_cbranch_execz .LBB42_148
.LBB42_164:
	s_wait_dscnt 0x4
	global_store_b64 v[2:3], v[10:11], off offset:22528
	s_wait_alu 0xfffe
	s_or_b32 exec_lo, exec_lo, s0
	s_and_saveexec_b32 s0, s13
	s_cbranch_execz .LBB42_149
.LBB42_165:
	s_wait_dscnt 0x3
	global_store_b64 v[2:3], v[8:9], off offset:24576
	s_wait_alu 0xfffe
	s_or_b32 exec_lo, exec_lo, s0
	s_and_saveexec_b32 s0, s14
	s_cbranch_execz .LBB42_150
.LBB42_166:
	s_wait_dscnt 0x2
	global_store_b64 v[2:3], v[6:7], off offset:26624
	s_wait_alu 0xfffe
	s_or_b32 exec_lo, exec_lo, s0
	s_and_saveexec_b32 s0, s15
	s_cbranch_execz .LBB42_151
.LBB42_167:
	s_wait_dscnt 0x1
	global_store_b64 v[2:3], v[4:5], off offset:28672
	s_wait_alu 0xfffe
	s_or_b32 exec_lo, exec_lo, s0
	s_and_saveexec_b32 s0, s16
	s_cbranch_execz .LBB42_152
.LBB42_168:
	s_wait_dscnt 0x0
	global_store_b64 v[2:3], v[0:1], off offset:30720
	s_nop 0
	s_sendmsg sendmsg(MSG_DEALLOC_VGPRS)
	s_endpgm
	.section	.rodata,"a",@progbits
	.p2align	6, 0x0
	.amdhsa_kernel _ZN7rocprim17ROCPRIM_400000_NS6detail17trampoline_kernelINS0_14default_configENS1_20scan_config_selectorIdEEZZNS1_9scan_implILNS1_25lookback_scan_determinismE0ELb0ELb0ES3_PKdPddZZZN2at6native31launch_logcumsumexp_cuda_kernelERKNSB_10TensorBaseESF_lENKUlvE_clEvENKUlvE_clEvEUlddE_dEEDaPvRmT3_T4_T5_mT6_P12ihipStream_tbENKUlT_T0_E_clISt17integral_constantIbLb1EESW_EEDaSR_SS_EUlSR_E0_NS1_11comp_targetILNS1_3genE10ELNS1_11target_archE1201ELNS1_3gpuE5ELNS1_3repE0EEENS1_30default_config_static_selectorELNS0_4arch9wavefront6targetE0EEEvT1_
		.amdhsa_group_segment_fixed_size 33792
		.amdhsa_private_segment_fixed_size 0
		.amdhsa_kernarg_size 40
		.amdhsa_user_sgpr_count 2
		.amdhsa_user_sgpr_dispatch_ptr 0
		.amdhsa_user_sgpr_queue_ptr 0
		.amdhsa_user_sgpr_kernarg_segment_ptr 1
		.amdhsa_user_sgpr_dispatch_id 0
		.amdhsa_user_sgpr_private_segment_size 0
		.amdhsa_wavefront_size32 1
		.amdhsa_uses_dynamic_stack 0
		.amdhsa_enable_private_segment 0
		.amdhsa_system_sgpr_workgroup_id_x 1
		.amdhsa_system_sgpr_workgroup_id_y 0
		.amdhsa_system_sgpr_workgroup_id_z 0
		.amdhsa_system_sgpr_workgroup_info 0
		.amdhsa_system_vgpr_workitem_id 0
		.amdhsa_next_free_vgpr 217
		.amdhsa_next_free_sgpr 48
		.amdhsa_reserve_vcc 1
		.amdhsa_float_round_mode_32 0
		.amdhsa_float_round_mode_16_64 0
		.amdhsa_float_denorm_mode_32 3
		.amdhsa_float_denorm_mode_16_64 3
		.amdhsa_fp16_overflow 0
		.amdhsa_workgroup_processor_mode 1
		.amdhsa_memory_ordered 1
		.amdhsa_forward_progress 1
		.amdhsa_inst_pref_size 255
		.amdhsa_round_robin_scheduling 0
		.amdhsa_exception_fp_ieee_invalid_op 0
		.amdhsa_exception_fp_denorm_src 0
		.amdhsa_exception_fp_ieee_div_zero 0
		.amdhsa_exception_fp_ieee_overflow 0
		.amdhsa_exception_fp_ieee_underflow 0
		.amdhsa_exception_fp_ieee_inexact 0
		.amdhsa_exception_int_div_zero 0
	.end_amdhsa_kernel
	.section	.text._ZN7rocprim17ROCPRIM_400000_NS6detail17trampoline_kernelINS0_14default_configENS1_20scan_config_selectorIdEEZZNS1_9scan_implILNS1_25lookback_scan_determinismE0ELb0ELb0ES3_PKdPddZZZN2at6native31launch_logcumsumexp_cuda_kernelERKNSB_10TensorBaseESF_lENKUlvE_clEvENKUlvE_clEvEUlddE_dEEDaPvRmT3_T4_T5_mT6_P12ihipStream_tbENKUlT_T0_E_clISt17integral_constantIbLb1EESW_EEDaSR_SS_EUlSR_E0_NS1_11comp_targetILNS1_3genE10ELNS1_11target_archE1201ELNS1_3gpuE5ELNS1_3repE0EEENS1_30default_config_static_selectorELNS0_4arch9wavefront6targetE0EEEvT1_,"axG",@progbits,_ZN7rocprim17ROCPRIM_400000_NS6detail17trampoline_kernelINS0_14default_configENS1_20scan_config_selectorIdEEZZNS1_9scan_implILNS1_25lookback_scan_determinismE0ELb0ELb0ES3_PKdPddZZZN2at6native31launch_logcumsumexp_cuda_kernelERKNSB_10TensorBaseESF_lENKUlvE_clEvENKUlvE_clEvEUlddE_dEEDaPvRmT3_T4_T5_mT6_P12ihipStream_tbENKUlT_T0_E_clISt17integral_constantIbLb1EESW_EEDaSR_SS_EUlSR_E0_NS1_11comp_targetILNS1_3genE10ELNS1_11target_archE1201ELNS1_3gpuE5ELNS1_3repE0EEENS1_30default_config_static_selectorELNS0_4arch9wavefront6targetE0EEEvT1_,comdat
.Lfunc_end42:
	.size	_ZN7rocprim17ROCPRIM_400000_NS6detail17trampoline_kernelINS0_14default_configENS1_20scan_config_selectorIdEEZZNS1_9scan_implILNS1_25lookback_scan_determinismE0ELb0ELb0ES3_PKdPddZZZN2at6native31launch_logcumsumexp_cuda_kernelERKNSB_10TensorBaseESF_lENKUlvE_clEvENKUlvE_clEvEUlddE_dEEDaPvRmT3_T4_T5_mT6_P12ihipStream_tbENKUlT_T0_E_clISt17integral_constantIbLb1EESW_EEDaSR_SS_EUlSR_E0_NS1_11comp_targetILNS1_3genE10ELNS1_11target_archE1201ELNS1_3gpuE5ELNS1_3repE0EEENS1_30default_config_static_selectorELNS0_4arch9wavefront6targetE0EEEvT1_, .Lfunc_end42-_ZN7rocprim17ROCPRIM_400000_NS6detail17trampoline_kernelINS0_14default_configENS1_20scan_config_selectorIdEEZZNS1_9scan_implILNS1_25lookback_scan_determinismE0ELb0ELb0ES3_PKdPddZZZN2at6native31launch_logcumsumexp_cuda_kernelERKNSB_10TensorBaseESF_lENKUlvE_clEvENKUlvE_clEvEUlddE_dEEDaPvRmT3_T4_T5_mT6_P12ihipStream_tbENKUlT_T0_E_clISt17integral_constantIbLb1EESW_EEDaSR_SS_EUlSR_E0_NS1_11comp_targetILNS1_3genE10ELNS1_11target_archE1201ELNS1_3gpuE5ELNS1_3repE0EEENS1_30default_config_static_selectorELNS0_4arch9wavefront6targetE0EEEvT1_
                                        ; -- End function
	.set _ZN7rocprim17ROCPRIM_400000_NS6detail17trampoline_kernelINS0_14default_configENS1_20scan_config_selectorIdEEZZNS1_9scan_implILNS1_25lookback_scan_determinismE0ELb0ELb0ES3_PKdPddZZZN2at6native31launch_logcumsumexp_cuda_kernelERKNSB_10TensorBaseESF_lENKUlvE_clEvENKUlvE_clEvEUlddE_dEEDaPvRmT3_T4_T5_mT6_P12ihipStream_tbENKUlT_T0_E_clISt17integral_constantIbLb1EESW_EEDaSR_SS_EUlSR_E0_NS1_11comp_targetILNS1_3genE10ELNS1_11target_archE1201ELNS1_3gpuE5ELNS1_3repE0EEENS1_30default_config_static_selectorELNS0_4arch9wavefront6targetE0EEEvT1_.num_vgpr, 119
	.set _ZN7rocprim17ROCPRIM_400000_NS6detail17trampoline_kernelINS0_14default_configENS1_20scan_config_selectorIdEEZZNS1_9scan_implILNS1_25lookback_scan_determinismE0ELb0ELb0ES3_PKdPddZZZN2at6native31launch_logcumsumexp_cuda_kernelERKNSB_10TensorBaseESF_lENKUlvE_clEvENKUlvE_clEvEUlddE_dEEDaPvRmT3_T4_T5_mT6_P12ihipStream_tbENKUlT_T0_E_clISt17integral_constantIbLb1EESW_EEDaSR_SS_EUlSR_E0_NS1_11comp_targetILNS1_3genE10ELNS1_11target_archE1201ELNS1_3gpuE5ELNS1_3repE0EEENS1_30default_config_static_selectorELNS0_4arch9wavefront6targetE0EEEvT1_.num_agpr, 0
	.set _ZN7rocprim17ROCPRIM_400000_NS6detail17trampoline_kernelINS0_14default_configENS1_20scan_config_selectorIdEEZZNS1_9scan_implILNS1_25lookback_scan_determinismE0ELb0ELb0ES3_PKdPddZZZN2at6native31launch_logcumsumexp_cuda_kernelERKNSB_10TensorBaseESF_lENKUlvE_clEvENKUlvE_clEvEUlddE_dEEDaPvRmT3_T4_T5_mT6_P12ihipStream_tbENKUlT_T0_E_clISt17integral_constantIbLb1EESW_EEDaSR_SS_EUlSR_E0_NS1_11comp_targetILNS1_3genE10ELNS1_11target_archE1201ELNS1_3gpuE5ELNS1_3repE0EEENS1_30default_config_static_selectorELNS0_4arch9wavefront6targetE0EEEvT1_.numbered_sgpr, 48
	.set _ZN7rocprim17ROCPRIM_400000_NS6detail17trampoline_kernelINS0_14default_configENS1_20scan_config_selectorIdEEZZNS1_9scan_implILNS1_25lookback_scan_determinismE0ELb0ELb0ES3_PKdPddZZZN2at6native31launch_logcumsumexp_cuda_kernelERKNSB_10TensorBaseESF_lENKUlvE_clEvENKUlvE_clEvEUlddE_dEEDaPvRmT3_T4_T5_mT6_P12ihipStream_tbENKUlT_T0_E_clISt17integral_constantIbLb1EESW_EEDaSR_SS_EUlSR_E0_NS1_11comp_targetILNS1_3genE10ELNS1_11target_archE1201ELNS1_3gpuE5ELNS1_3repE0EEENS1_30default_config_static_selectorELNS0_4arch9wavefront6targetE0EEEvT1_.num_named_barrier, 0
	.set _ZN7rocprim17ROCPRIM_400000_NS6detail17trampoline_kernelINS0_14default_configENS1_20scan_config_selectorIdEEZZNS1_9scan_implILNS1_25lookback_scan_determinismE0ELb0ELb0ES3_PKdPddZZZN2at6native31launch_logcumsumexp_cuda_kernelERKNSB_10TensorBaseESF_lENKUlvE_clEvENKUlvE_clEvEUlddE_dEEDaPvRmT3_T4_T5_mT6_P12ihipStream_tbENKUlT_T0_E_clISt17integral_constantIbLb1EESW_EEDaSR_SS_EUlSR_E0_NS1_11comp_targetILNS1_3genE10ELNS1_11target_archE1201ELNS1_3gpuE5ELNS1_3repE0EEENS1_30default_config_static_selectorELNS0_4arch9wavefront6targetE0EEEvT1_.private_seg_size, 0
	.set _ZN7rocprim17ROCPRIM_400000_NS6detail17trampoline_kernelINS0_14default_configENS1_20scan_config_selectorIdEEZZNS1_9scan_implILNS1_25lookback_scan_determinismE0ELb0ELb0ES3_PKdPddZZZN2at6native31launch_logcumsumexp_cuda_kernelERKNSB_10TensorBaseESF_lENKUlvE_clEvENKUlvE_clEvEUlddE_dEEDaPvRmT3_T4_T5_mT6_P12ihipStream_tbENKUlT_T0_E_clISt17integral_constantIbLb1EESW_EEDaSR_SS_EUlSR_E0_NS1_11comp_targetILNS1_3genE10ELNS1_11target_archE1201ELNS1_3gpuE5ELNS1_3repE0EEENS1_30default_config_static_selectorELNS0_4arch9wavefront6targetE0EEEvT1_.uses_vcc, 1
	.set _ZN7rocprim17ROCPRIM_400000_NS6detail17trampoline_kernelINS0_14default_configENS1_20scan_config_selectorIdEEZZNS1_9scan_implILNS1_25lookback_scan_determinismE0ELb0ELb0ES3_PKdPddZZZN2at6native31launch_logcumsumexp_cuda_kernelERKNSB_10TensorBaseESF_lENKUlvE_clEvENKUlvE_clEvEUlddE_dEEDaPvRmT3_T4_T5_mT6_P12ihipStream_tbENKUlT_T0_E_clISt17integral_constantIbLb1EESW_EEDaSR_SS_EUlSR_E0_NS1_11comp_targetILNS1_3genE10ELNS1_11target_archE1201ELNS1_3gpuE5ELNS1_3repE0EEENS1_30default_config_static_selectorELNS0_4arch9wavefront6targetE0EEEvT1_.uses_flat_scratch, 0
	.set _ZN7rocprim17ROCPRIM_400000_NS6detail17trampoline_kernelINS0_14default_configENS1_20scan_config_selectorIdEEZZNS1_9scan_implILNS1_25lookback_scan_determinismE0ELb0ELb0ES3_PKdPddZZZN2at6native31launch_logcumsumexp_cuda_kernelERKNSB_10TensorBaseESF_lENKUlvE_clEvENKUlvE_clEvEUlddE_dEEDaPvRmT3_T4_T5_mT6_P12ihipStream_tbENKUlT_T0_E_clISt17integral_constantIbLb1EESW_EEDaSR_SS_EUlSR_E0_NS1_11comp_targetILNS1_3genE10ELNS1_11target_archE1201ELNS1_3gpuE5ELNS1_3repE0EEENS1_30default_config_static_selectorELNS0_4arch9wavefront6targetE0EEEvT1_.has_dyn_sized_stack, 0
	.set _ZN7rocprim17ROCPRIM_400000_NS6detail17trampoline_kernelINS0_14default_configENS1_20scan_config_selectorIdEEZZNS1_9scan_implILNS1_25lookback_scan_determinismE0ELb0ELb0ES3_PKdPddZZZN2at6native31launch_logcumsumexp_cuda_kernelERKNSB_10TensorBaseESF_lENKUlvE_clEvENKUlvE_clEvEUlddE_dEEDaPvRmT3_T4_T5_mT6_P12ihipStream_tbENKUlT_T0_E_clISt17integral_constantIbLb1EESW_EEDaSR_SS_EUlSR_E0_NS1_11comp_targetILNS1_3genE10ELNS1_11target_archE1201ELNS1_3gpuE5ELNS1_3repE0EEENS1_30default_config_static_selectorELNS0_4arch9wavefront6targetE0EEEvT1_.has_recursion, 0
	.set _ZN7rocprim17ROCPRIM_400000_NS6detail17trampoline_kernelINS0_14default_configENS1_20scan_config_selectorIdEEZZNS1_9scan_implILNS1_25lookback_scan_determinismE0ELb0ELb0ES3_PKdPddZZZN2at6native31launch_logcumsumexp_cuda_kernelERKNSB_10TensorBaseESF_lENKUlvE_clEvENKUlvE_clEvEUlddE_dEEDaPvRmT3_T4_T5_mT6_P12ihipStream_tbENKUlT_T0_E_clISt17integral_constantIbLb1EESW_EEDaSR_SS_EUlSR_E0_NS1_11comp_targetILNS1_3genE10ELNS1_11target_archE1201ELNS1_3gpuE5ELNS1_3repE0EEENS1_30default_config_static_selectorELNS0_4arch9wavefront6targetE0EEEvT1_.has_indirect_call, 0
	.section	.AMDGPU.csdata,"",@progbits
; Kernel info:
; codeLenInByte = 74652
; TotalNumSgprs: 50
; NumVgprs: 119
; ScratchSize: 0
; MemoryBound: 0
; FloatMode: 240
; IeeeMode: 1
; LDSByteSize: 33792 bytes/workgroup (compile time only)
; SGPRBlocks: 0
; VGPRBlocks: 27
; NumSGPRsForWavesPerEU: 50
; NumVGPRsForWavesPerEU: 217
; Occupancy: 6
; WaveLimiterHint : 0
; COMPUTE_PGM_RSRC2:SCRATCH_EN: 0
; COMPUTE_PGM_RSRC2:USER_SGPR: 2
; COMPUTE_PGM_RSRC2:TRAP_HANDLER: 0
; COMPUTE_PGM_RSRC2:TGID_X_EN: 1
; COMPUTE_PGM_RSRC2:TGID_Y_EN: 0
; COMPUTE_PGM_RSRC2:TGID_Z_EN: 0
; COMPUTE_PGM_RSRC2:TIDIG_COMP_CNT: 0
	.section	.text._ZN7rocprim17ROCPRIM_400000_NS6detail17trampoline_kernelINS0_14default_configENS1_20scan_config_selectorIdEEZZNS1_9scan_implILNS1_25lookback_scan_determinismE0ELb0ELb0ES3_PKdPddZZZN2at6native31launch_logcumsumexp_cuda_kernelERKNSB_10TensorBaseESF_lENKUlvE_clEvENKUlvE_clEvEUlddE_dEEDaPvRmT3_T4_T5_mT6_P12ihipStream_tbENKUlT_T0_E_clISt17integral_constantIbLb1EESW_EEDaSR_SS_EUlSR_E0_NS1_11comp_targetILNS1_3genE10ELNS1_11target_archE1200ELNS1_3gpuE4ELNS1_3repE0EEENS1_30default_config_static_selectorELNS0_4arch9wavefront6targetE0EEEvT1_,"axG",@progbits,_ZN7rocprim17ROCPRIM_400000_NS6detail17trampoline_kernelINS0_14default_configENS1_20scan_config_selectorIdEEZZNS1_9scan_implILNS1_25lookback_scan_determinismE0ELb0ELb0ES3_PKdPddZZZN2at6native31launch_logcumsumexp_cuda_kernelERKNSB_10TensorBaseESF_lENKUlvE_clEvENKUlvE_clEvEUlddE_dEEDaPvRmT3_T4_T5_mT6_P12ihipStream_tbENKUlT_T0_E_clISt17integral_constantIbLb1EESW_EEDaSR_SS_EUlSR_E0_NS1_11comp_targetILNS1_3genE10ELNS1_11target_archE1200ELNS1_3gpuE4ELNS1_3repE0EEENS1_30default_config_static_selectorELNS0_4arch9wavefront6targetE0EEEvT1_,comdat
	.globl	_ZN7rocprim17ROCPRIM_400000_NS6detail17trampoline_kernelINS0_14default_configENS1_20scan_config_selectorIdEEZZNS1_9scan_implILNS1_25lookback_scan_determinismE0ELb0ELb0ES3_PKdPddZZZN2at6native31launch_logcumsumexp_cuda_kernelERKNSB_10TensorBaseESF_lENKUlvE_clEvENKUlvE_clEvEUlddE_dEEDaPvRmT3_T4_T5_mT6_P12ihipStream_tbENKUlT_T0_E_clISt17integral_constantIbLb1EESW_EEDaSR_SS_EUlSR_E0_NS1_11comp_targetILNS1_3genE10ELNS1_11target_archE1200ELNS1_3gpuE4ELNS1_3repE0EEENS1_30default_config_static_selectorELNS0_4arch9wavefront6targetE0EEEvT1_ ; -- Begin function _ZN7rocprim17ROCPRIM_400000_NS6detail17trampoline_kernelINS0_14default_configENS1_20scan_config_selectorIdEEZZNS1_9scan_implILNS1_25lookback_scan_determinismE0ELb0ELb0ES3_PKdPddZZZN2at6native31launch_logcumsumexp_cuda_kernelERKNSB_10TensorBaseESF_lENKUlvE_clEvENKUlvE_clEvEUlddE_dEEDaPvRmT3_T4_T5_mT6_P12ihipStream_tbENKUlT_T0_E_clISt17integral_constantIbLb1EESW_EEDaSR_SS_EUlSR_E0_NS1_11comp_targetILNS1_3genE10ELNS1_11target_archE1200ELNS1_3gpuE4ELNS1_3repE0EEENS1_30default_config_static_selectorELNS0_4arch9wavefront6targetE0EEEvT1_
	.p2align	8
	.type	_ZN7rocprim17ROCPRIM_400000_NS6detail17trampoline_kernelINS0_14default_configENS1_20scan_config_selectorIdEEZZNS1_9scan_implILNS1_25lookback_scan_determinismE0ELb0ELb0ES3_PKdPddZZZN2at6native31launch_logcumsumexp_cuda_kernelERKNSB_10TensorBaseESF_lENKUlvE_clEvENKUlvE_clEvEUlddE_dEEDaPvRmT3_T4_T5_mT6_P12ihipStream_tbENKUlT_T0_E_clISt17integral_constantIbLb1EESW_EEDaSR_SS_EUlSR_E0_NS1_11comp_targetILNS1_3genE10ELNS1_11target_archE1200ELNS1_3gpuE4ELNS1_3repE0EEENS1_30default_config_static_selectorELNS0_4arch9wavefront6targetE0EEEvT1_,@function
_ZN7rocprim17ROCPRIM_400000_NS6detail17trampoline_kernelINS0_14default_configENS1_20scan_config_selectorIdEEZZNS1_9scan_implILNS1_25lookback_scan_determinismE0ELb0ELb0ES3_PKdPddZZZN2at6native31launch_logcumsumexp_cuda_kernelERKNSB_10TensorBaseESF_lENKUlvE_clEvENKUlvE_clEvEUlddE_dEEDaPvRmT3_T4_T5_mT6_P12ihipStream_tbENKUlT_T0_E_clISt17integral_constantIbLb1EESW_EEDaSR_SS_EUlSR_E0_NS1_11comp_targetILNS1_3genE10ELNS1_11target_archE1200ELNS1_3gpuE4ELNS1_3repE0EEENS1_30default_config_static_selectorELNS0_4arch9wavefront6targetE0EEEvT1_: ; @_ZN7rocprim17ROCPRIM_400000_NS6detail17trampoline_kernelINS0_14default_configENS1_20scan_config_selectorIdEEZZNS1_9scan_implILNS1_25lookback_scan_determinismE0ELb0ELb0ES3_PKdPddZZZN2at6native31launch_logcumsumexp_cuda_kernelERKNSB_10TensorBaseESF_lENKUlvE_clEvENKUlvE_clEvEUlddE_dEEDaPvRmT3_T4_T5_mT6_P12ihipStream_tbENKUlT_T0_E_clISt17integral_constantIbLb1EESW_EEDaSR_SS_EUlSR_E0_NS1_11comp_targetILNS1_3genE10ELNS1_11target_archE1200ELNS1_3gpuE4ELNS1_3repE0EEENS1_30default_config_static_selectorELNS0_4arch9wavefront6targetE0EEEvT1_
; %bb.0:
	.section	.rodata,"a",@progbits
	.p2align	6, 0x0
	.amdhsa_kernel _ZN7rocprim17ROCPRIM_400000_NS6detail17trampoline_kernelINS0_14default_configENS1_20scan_config_selectorIdEEZZNS1_9scan_implILNS1_25lookback_scan_determinismE0ELb0ELb0ES3_PKdPddZZZN2at6native31launch_logcumsumexp_cuda_kernelERKNSB_10TensorBaseESF_lENKUlvE_clEvENKUlvE_clEvEUlddE_dEEDaPvRmT3_T4_T5_mT6_P12ihipStream_tbENKUlT_T0_E_clISt17integral_constantIbLb1EESW_EEDaSR_SS_EUlSR_E0_NS1_11comp_targetILNS1_3genE10ELNS1_11target_archE1200ELNS1_3gpuE4ELNS1_3repE0EEENS1_30default_config_static_selectorELNS0_4arch9wavefront6targetE0EEEvT1_
		.amdhsa_group_segment_fixed_size 0
		.amdhsa_private_segment_fixed_size 0
		.amdhsa_kernarg_size 40
		.amdhsa_user_sgpr_count 2
		.amdhsa_user_sgpr_dispatch_ptr 0
		.amdhsa_user_sgpr_queue_ptr 0
		.amdhsa_user_sgpr_kernarg_segment_ptr 1
		.amdhsa_user_sgpr_dispatch_id 0
		.amdhsa_user_sgpr_private_segment_size 0
		.amdhsa_wavefront_size32 1
		.amdhsa_uses_dynamic_stack 0
		.amdhsa_enable_private_segment 0
		.amdhsa_system_sgpr_workgroup_id_x 1
		.amdhsa_system_sgpr_workgroup_id_y 0
		.amdhsa_system_sgpr_workgroup_id_z 0
		.amdhsa_system_sgpr_workgroup_info 0
		.amdhsa_system_vgpr_workitem_id 0
		.amdhsa_next_free_vgpr 1
		.amdhsa_next_free_sgpr 1
		.amdhsa_reserve_vcc 0
		.amdhsa_float_round_mode_32 0
		.amdhsa_float_round_mode_16_64 0
		.amdhsa_float_denorm_mode_32 3
		.amdhsa_float_denorm_mode_16_64 3
		.amdhsa_fp16_overflow 0
		.amdhsa_workgroup_processor_mode 1
		.amdhsa_memory_ordered 1
		.amdhsa_forward_progress 1
		.amdhsa_inst_pref_size 0
		.amdhsa_round_robin_scheduling 0
		.amdhsa_exception_fp_ieee_invalid_op 0
		.amdhsa_exception_fp_denorm_src 0
		.amdhsa_exception_fp_ieee_div_zero 0
		.amdhsa_exception_fp_ieee_overflow 0
		.amdhsa_exception_fp_ieee_underflow 0
		.amdhsa_exception_fp_ieee_inexact 0
		.amdhsa_exception_int_div_zero 0
	.end_amdhsa_kernel
	.section	.text._ZN7rocprim17ROCPRIM_400000_NS6detail17trampoline_kernelINS0_14default_configENS1_20scan_config_selectorIdEEZZNS1_9scan_implILNS1_25lookback_scan_determinismE0ELb0ELb0ES3_PKdPddZZZN2at6native31launch_logcumsumexp_cuda_kernelERKNSB_10TensorBaseESF_lENKUlvE_clEvENKUlvE_clEvEUlddE_dEEDaPvRmT3_T4_T5_mT6_P12ihipStream_tbENKUlT_T0_E_clISt17integral_constantIbLb1EESW_EEDaSR_SS_EUlSR_E0_NS1_11comp_targetILNS1_3genE10ELNS1_11target_archE1200ELNS1_3gpuE4ELNS1_3repE0EEENS1_30default_config_static_selectorELNS0_4arch9wavefront6targetE0EEEvT1_,"axG",@progbits,_ZN7rocprim17ROCPRIM_400000_NS6detail17trampoline_kernelINS0_14default_configENS1_20scan_config_selectorIdEEZZNS1_9scan_implILNS1_25lookback_scan_determinismE0ELb0ELb0ES3_PKdPddZZZN2at6native31launch_logcumsumexp_cuda_kernelERKNSB_10TensorBaseESF_lENKUlvE_clEvENKUlvE_clEvEUlddE_dEEDaPvRmT3_T4_T5_mT6_P12ihipStream_tbENKUlT_T0_E_clISt17integral_constantIbLb1EESW_EEDaSR_SS_EUlSR_E0_NS1_11comp_targetILNS1_3genE10ELNS1_11target_archE1200ELNS1_3gpuE4ELNS1_3repE0EEENS1_30default_config_static_selectorELNS0_4arch9wavefront6targetE0EEEvT1_,comdat
.Lfunc_end43:
	.size	_ZN7rocprim17ROCPRIM_400000_NS6detail17trampoline_kernelINS0_14default_configENS1_20scan_config_selectorIdEEZZNS1_9scan_implILNS1_25lookback_scan_determinismE0ELb0ELb0ES3_PKdPddZZZN2at6native31launch_logcumsumexp_cuda_kernelERKNSB_10TensorBaseESF_lENKUlvE_clEvENKUlvE_clEvEUlddE_dEEDaPvRmT3_T4_T5_mT6_P12ihipStream_tbENKUlT_T0_E_clISt17integral_constantIbLb1EESW_EEDaSR_SS_EUlSR_E0_NS1_11comp_targetILNS1_3genE10ELNS1_11target_archE1200ELNS1_3gpuE4ELNS1_3repE0EEENS1_30default_config_static_selectorELNS0_4arch9wavefront6targetE0EEEvT1_, .Lfunc_end43-_ZN7rocprim17ROCPRIM_400000_NS6detail17trampoline_kernelINS0_14default_configENS1_20scan_config_selectorIdEEZZNS1_9scan_implILNS1_25lookback_scan_determinismE0ELb0ELb0ES3_PKdPddZZZN2at6native31launch_logcumsumexp_cuda_kernelERKNSB_10TensorBaseESF_lENKUlvE_clEvENKUlvE_clEvEUlddE_dEEDaPvRmT3_T4_T5_mT6_P12ihipStream_tbENKUlT_T0_E_clISt17integral_constantIbLb1EESW_EEDaSR_SS_EUlSR_E0_NS1_11comp_targetILNS1_3genE10ELNS1_11target_archE1200ELNS1_3gpuE4ELNS1_3repE0EEENS1_30default_config_static_selectorELNS0_4arch9wavefront6targetE0EEEvT1_
                                        ; -- End function
	.set _ZN7rocprim17ROCPRIM_400000_NS6detail17trampoline_kernelINS0_14default_configENS1_20scan_config_selectorIdEEZZNS1_9scan_implILNS1_25lookback_scan_determinismE0ELb0ELb0ES3_PKdPddZZZN2at6native31launch_logcumsumexp_cuda_kernelERKNSB_10TensorBaseESF_lENKUlvE_clEvENKUlvE_clEvEUlddE_dEEDaPvRmT3_T4_T5_mT6_P12ihipStream_tbENKUlT_T0_E_clISt17integral_constantIbLb1EESW_EEDaSR_SS_EUlSR_E0_NS1_11comp_targetILNS1_3genE10ELNS1_11target_archE1200ELNS1_3gpuE4ELNS1_3repE0EEENS1_30default_config_static_selectorELNS0_4arch9wavefront6targetE0EEEvT1_.num_vgpr, 0
	.set _ZN7rocprim17ROCPRIM_400000_NS6detail17trampoline_kernelINS0_14default_configENS1_20scan_config_selectorIdEEZZNS1_9scan_implILNS1_25lookback_scan_determinismE0ELb0ELb0ES3_PKdPddZZZN2at6native31launch_logcumsumexp_cuda_kernelERKNSB_10TensorBaseESF_lENKUlvE_clEvENKUlvE_clEvEUlddE_dEEDaPvRmT3_T4_T5_mT6_P12ihipStream_tbENKUlT_T0_E_clISt17integral_constantIbLb1EESW_EEDaSR_SS_EUlSR_E0_NS1_11comp_targetILNS1_3genE10ELNS1_11target_archE1200ELNS1_3gpuE4ELNS1_3repE0EEENS1_30default_config_static_selectorELNS0_4arch9wavefront6targetE0EEEvT1_.num_agpr, 0
	.set _ZN7rocprim17ROCPRIM_400000_NS6detail17trampoline_kernelINS0_14default_configENS1_20scan_config_selectorIdEEZZNS1_9scan_implILNS1_25lookback_scan_determinismE0ELb0ELb0ES3_PKdPddZZZN2at6native31launch_logcumsumexp_cuda_kernelERKNSB_10TensorBaseESF_lENKUlvE_clEvENKUlvE_clEvEUlddE_dEEDaPvRmT3_T4_T5_mT6_P12ihipStream_tbENKUlT_T0_E_clISt17integral_constantIbLb1EESW_EEDaSR_SS_EUlSR_E0_NS1_11comp_targetILNS1_3genE10ELNS1_11target_archE1200ELNS1_3gpuE4ELNS1_3repE0EEENS1_30default_config_static_selectorELNS0_4arch9wavefront6targetE0EEEvT1_.numbered_sgpr, 0
	.set _ZN7rocprim17ROCPRIM_400000_NS6detail17trampoline_kernelINS0_14default_configENS1_20scan_config_selectorIdEEZZNS1_9scan_implILNS1_25lookback_scan_determinismE0ELb0ELb0ES3_PKdPddZZZN2at6native31launch_logcumsumexp_cuda_kernelERKNSB_10TensorBaseESF_lENKUlvE_clEvENKUlvE_clEvEUlddE_dEEDaPvRmT3_T4_T5_mT6_P12ihipStream_tbENKUlT_T0_E_clISt17integral_constantIbLb1EESW_EEDaSR_SS_EUlSR_E0_NS1_11comp_targetILNS1_3genE10ELNS1_11target_archE1200ELNS1_3gpuE4ELNS1_3repE0EEENS1_30default_config_static_selectorELNS0_4arch9wavefront6targetE0EEEvT1_.num_named_barrier, 0
	.set _ZN7rocprim17ROCPRIM_400000_NS6detail17trampoline_kernelINS0_14default_configENS1_20scan_config_selectorIdEEZZNS1_9scan_implILNS1_25lookback_scan_determinismE0ELb0ELb0ES3_PKdPddZZZN2at6native31launch_logcumsumexp_cuda_kernelERKNSB_10TensorBaseESF_lENKUlvE_clEvENKUlvE_clEvEUlddE_dEEDaPvRmT3_T4_T5_mT6_P12ihipStream_tbENKUlT_T0_E_clISt17integral_constantIbLb1EESW_EEDaSR_SS_EUlSR_E0_NS1_11comp_targetILNS1_3genE10ELNS1_11target_archE1200ELNS1_3gpuE4ELNS1_3repE0EEENS1_30default_config_static_selectorELNS0_4arch9wavefront6targetE0EEEvT1_.private_seg_size, 0
	.set _ZN7rocprim17ROCPRIM_400000_NS6detail17trampoline_kernelINS0_14default_configENS1_20scan_config_selectorIdEEZZNS1_9scan_implILNS1_25lookback_scan_determinismE0ELb0ELb0ES3_PKdPddZZZN2at6native31launch_logcumsumexp_cuda_kernelERKNSB_10TensorBaseESF_lENKUlvE_clEvENKUlvE_clEvEUlddE_dEEDaPvRmT3_T4_T5_mT6_P12ihipStream_tbENKUlT_T0_E_clISt17integral_constantIbLb1EESW_EEDaSR_SS_EUlSR_E0_NS1_11comp_targetILNS1_3genE10ELNS1_11target_archE1200ELNS1_3gpuE4ELNS1_3repE0EEENS1_30default_config_static_selectorELNS0_4arch9wavefront6targetE0EEEvT1_.uses_vcc, 0
	.set _ZN7rocprim17ROCPRIM_400000_NS6detail17trampoline_kernelINS0_14default_configENS1_20scan_config_selectorIdEEZZNS1_9scan_implILNS1_25lookback_scan_determinismE0ELb0ELb0ES3_PKdPddZZZN2at6native31launch_logcumsumexp_cuda_kernelERKNSB_10TensorBaseESF_lENKUlvE_clEvENKUlvE_clEvEUlddE_dEEDaPvRmT3_T4_T5_mT6_P12ihipStream_tbENKUlT_T0_E_clISt17integral_constantIbLb1EESW_EEDaSR_SS_EUlSR_E0_NS1_11comp_targetILNS1_3genE10ELNS1_11target_archE1200ELNS1_3gpuE4ELNS1_3repE0EEENS1_30default_config_static_selectorELNS0_4arch9wavefront6targetE0EEEvT1_.uses_flat_scratch, 0
	.set _ZN7rocprim17ROCPRIM_400000_NS6detail17trampoline_kernelINS0_14default_configENS1_20scan_config_selectorIdEEZZNS1_9scan_implILNS1_25lookback_scan_determinismE0ELb0ELb0ES3_PKdPddZZZN2at6native31launch_logcumsumexp_cuda_kernelERKNSB_10TensorBaseESF_lENKUlvE_clEvENKUlvE_clEvEUlddE_dEEDaPvRmT3_T4_T5_mT6_P12ihipStream_tbENKUlT_T0_E_clISt17integral_constantIbLb1EESW_EEDaSR_SS_EUlSR_E0_NS1_11comp_targetILNS1_3genE10ELNS1_11target_archE1200ELNS1_3gpuE4ELNS1_3repE0EEENS1_30default_config_static_selectorELNS0_4arch9wavefront6targetE0EEEvT1_.has_dyn_sized_stack, 0
	.set _ZN7rocprim17ROCPRIM_400000_NS6detail17trampoline_kernelINS0_14default_configENS1_20scan_config_selectorIdEEZZNS1_9scan_implILNS1_25lookback_scan_determinismE0ELb0ELb0ES3_PKdPddZZZN2at6native31launch_logcumsumexp_cuda_kernelERKNSB_10TensorBaseESF_lENKUlvE_clEvENKUlvE_clEvEUlddE_dEEDaPvRmT3_T4_T5_mT6_P12ihipStream_tbENKUlT_T0_E_clISt17integral_constantIbLb1EESW_EEDaSR_SS_EUlSR_E0_NS1_11comp_targetILNS1_3genE10ELNS1_11target_archE1200ELNS1_3gpuE4ELNS1_3repE0EEENS1_30default_config_static_selectorELNS0_4arch9wavefront6targetE0EEEvT1_.has_recursion, 0
	.set _ZN7rocprim17ROCPRIM_400000_NS6detail17trampoline_kernelINS0_14default_configENS1_20scan_config_selectorIdEEZZNS1_9scan_implILNS1_25lookback_scan_determinismE0ELb0ELb0ES3_PKdPddZZZN2at6native31launch_logcumsumexp_cuda_kernelERKNSB_10TensorBaseESF_lENKUlvE_clEvENKUlvE_clEvEUlddE_dEEDaPvRmT3_T4_T5_mT6_P12ihipStream_tbENKUlT_T0_E_clISt17integral_constantIbLb1EESW_EEDaSR_SS_EUlSR_E0_NS1_11comp_targetILNS1_3genE10ELNS1_11target_archE1200ELNS1_3gpuE4ELNS1_3repE0EEENS1_30default_config_static_selectorELNS0_4arch9wavefront6targetE0EEEvT1_.has_indirect_call, 0
	.section	.AMDGPU.csdata,"",@progbits
; Kernel info:
; codeLenInByte = 0
; TotalNumSgprs: 0
; NumVgprs: 0
; ScratchSize: 0
; MemoryBound: 0
; FloatMode: 240
; IeeeMode: 1
; LDSByteSize: 0 bytes/workgroup (compile time only)
; SGPRBlocks: 0
; VGPRBlocks: 0
; NumSGPRsForWavesPerEU: 1
; NumVGPRsForWavesPerEU: 1
; Occupancy: 16
; WaveLimiterHint : 0
; COMPUTE_PGM_RSRC2:SCRATCH_EN: 0
; COMPUTE_PGM_RSRC2:USER_SGPR: 2
; COMPUTE_PGM_RSRC2:TRAP_HANDLER: 0
; COMPUTE_PGM_RSRC2:TGID_X_EN: 1
; COMPUTE_PGM_RSRC2:TGID_Y_EN: 0
; COMPUTE_PGM_RSRC2:TGID_Z_EN: 0
; COMPUTE_PGM_RSRC2:TIDIG_COMP_CNT: 0
	.section	.text._ZN7rocprim17ROCPRIM_400000_NS6detail17trampoline_kernelINS0_14default_configENS1_20scan_config_selectorIdEEZZNS1_9scan_implILNS1_25lookback_scan_determinismE0ELb0ELb0ES3_PKdPddZZZN2at6native31launch_logcumsumexp_cuda_kernelERKNSB_10TensorBaseESF_lENKUlvE_clEvENKUlvE_clEvEUlddE_dEEDaPvRmT3_T4_T5_mT6_P12ihipStream_tbENKUlT_T0_E_clISt17integral_constantIbLb1EESW_EEDaSR_SS_EUlSR_E0_NS1_11comp_targetILNS1_3genE9ELNS1_11target_archE1100ELNS1_3gpuE3ELNS1_3repE0EEENS1_30default_config_static_selectorELNS0_4arch9wavefront6targetE0EEEvT1_,"axG",@progbits,_ZN7rocprim17ROCPRIM_400000_NS6detail17trampoline_kernelINS0_14default_configENS1_20scan_config_selectorIdEEZZNS1_9scan_implILNS1_25lookback_scan_determinismE0ELb0ELb0ES3_PKdPddZZZN2at6native31launch_logcumsumexp_cuda_kernelERKNSB_10TensorBaseESF_lENKUlvE_clEvENKUlvE_clEvEUlddE_dEEDaPvRmT3_T4_T5_mT6_P12ihipStream_tbENKUlT_T0_E_clISt17integral_constantIbLb1EESW_EEDaSR_SS_EUlSR_E0_NS1_11comp_targetILNS1_3genE9ELNS1_11target_archE1100ELNS1_3gpuE3ELNS1_3repE0EEENS1_30default_config_static_selectorELNS0_4arch9wavefront6targetE0EEEvT1_,comdat
	.globl	_ZN7rocprim17ROCPRIM_400000_NS6detail17trampoline_kernelINS0_14default_configENS1_20scan_config_selectorIdEEZZNS1_9scan_implILNS1_25lookback_scan_determinismE0ELb0ELb0ES3_PKdPddZZZN2at6native31launch_logcumsumexp_cuda_kernelERKNSB_10TensorBaseESF_lENKUlvE_clEvENKUlvE_clEvEUlddE_dEEDaPvRmT3_T4_T5_mT6_P12ihipStream_tbENKUlT_T0_E_clISt17integral_constantIbLb1EESW_EEDaSR_SS_EUlSR_E0_NS1_11comp_targetILNS1_3genE9ELNS1_11target_archE1100ELNS1_3gpuE3ELNS1_3repE0EEENS1_30default_config_static_selectorELNS0_4arch9wavefront6targetE0EEEvT1_ ; -- Begin function _ZN7rocprim17ROCPRIM_400000_NS6detail17trampoline_kernelINS0_14default_configENS1_20scan_config_selectorIdEEZZNS1_9scan_implILNS1_25lookback_scan_determinismE0ELb0ELb0ES3_PKdPddZZZN2at6native31launch_logcumsumexp_cuda_kernelERKNSB_10TensorBaseESF_lENKUlvE_clEvENKUlvE_clEvEUlddE_dEEDaPvRmT3_T4_T5_mT6_P12ihipStream_tbENKUlT_T0_E_clISt17integral_constantIbLb1EESW_EEDaSR_SS_EUlSR_E0_NS1_11comp_targetILNS1_3genE9ELNS1_11target_archE1100ELNS1_3gpuE3ELNS1_3repE0EEENS1_30default_config_static_selectorELNS0_4arch9wavefront6targetE0EEEvT1_
	.p2align	8
	.type	_ZN7rocprim17ROCPRIM_400000_NS6detail17trampoline_kernelINS0_14default_configENS1_20scan_config_selectorIdEEZZNS1_9scan_implILNS1_25lookback_scan_determinismE0ELb0ELb0ES3_PKdPddZZZN2at6native31launch_logcumsumexp_cuda_kernelERKNSB_10TensorBaseESF_lENKUlvE_clEvENKUlvE_clEvEUlddE_dEEDaPvRmT3_T4_T5_mT6_P12ihipStream_tbENKUlT_T0_E_clISt17integral_constantIbLb1EESW_EEDaSR_SS_EUlSR_E0_NS1_11comp_targetILNS1_3genE9ELNS1_11target_archE1100ELNS1_3gpuE3ELNS1_3repE0EEENS1_30default_config_static_selectorELNS0_4arch9wavefront6targetE0EEEvT1_,@function
_ZN7rocprim17ROCPRIM_400000_NS6detail17trampoline_kernelINS0_14default_configENS1_20scan_config_selectorIdEEZZNS1_9scan_implILNS1_25lookback_scan_determinismE0ELb0ELb0ES3_PKdPddZZZN2at6native31launch_logcumsumexp_cuda_kernelERKNSB_10TensorBaseESF_lENKUlvE_clEvENKUlvE_clEvEUlddE_dEEDaPvRmT3_T4_T5_mT6_P12ihipStream_tbENKUlT_T0_E_clISt17integral_constantIbLb1EESW_EEDaSR_SS_EUlSR_E0_NS1_11comp_targetILNS1_3genE9ELNS1_11target_archE1100ELNS1_3gpuE3ELNS1_3repE0EEENS1_30default_config_static_selectorELNS0_4arch9wavefront6targetE0EEEvT1_: ; @_ZN7rocprim17ROCPRIM_400000_NS6detail17trampoline_kernelINS0_14default_configENS1_20scan_config_selectorIdEEZZNS1_9scan_implILNS1_25lookback_scan_determinismE0ELb0ELb0ES3_PKdPddZZZN2at6native31launch_logcumsumexp_cuda_kernelERKNSB_10TensorBaseESF_lENKUlvE_clEvENKUlvE_clEvEUlddE_dEEDaPvRmT3_T4_T5_mT6_P12ihipStream_tbENKUlT_T0_E_clISt17integral_constantIbLb1EESW_EEDaSR_SS_EUlSR_E0_NS1_11comp_targetILNS1_3genE9ELNS1_11target_archE1100ELNS1_3gpuE3ELNS1_3repE0EEENS1_30default_config_static_selectorELNS0_4arch9wavefront6targetE0EEEvT1_
; %bb.0:
	.section	.rodata,"a",@progbits
	.p2align	6, 0x0
	.amdhsa_kernel _ZN7rocprim17ROCPRIM_400000_NS6detail17trampoline_kernelINS0_14default_configENS1_20scan_config_selectorIdEEZZNS1_9scan_implILNS1_25lookback_scan_determinismE0ELb0ELb0ES3_PKdPddZZZN2at6native31launch_logcumsumexp_cuda_kernelERKNSB_10TensorBaseESF_lENKUlvE_clEvENKUlvE_clEvEUlddE_dEEDaPvRmT3_T4_T5_mT6_P12ihipStream_tbENKUlT_T0_E_clISt17integral_constantIbLb1EESW_EEDaSR_SS_EUlSR_E0_NS1_11comp_targetILNS1_3genE9ELNS1_11target_archE1100ELNS1_3gpuE3ELNS1_3repE0EEENS1_30default_config_static_selectorELNS0_4arch9wavefront6targetE0EEEvT1_
		.amdhsa_group_segment_fixed_size 0
		.amdhsa_private_segment_fixed_size 0
		.amdhsa_kernarg_size 40
		.amdhsa_user_sgpr_count 2
		.amdhsa_user_sgpr_dispatch_ptr 0
		.amdhsa_user_sgpr_queue_ptr 0
		.amdhsa_user_sgpr_kernarg_segment_ptr 1
		.amdhsa_user_sgpr_dispatch_id 0
		.amdhsa_user_sgpr_private_segment_size 0
		.amdhsa_wavefront_size32 1
		.amdhsa_uses_dynamic_stack 0
		.amdhsa_enable_private_segment 0
		.amdhsa_system_sgpr_workgroup_id_x 1
		.amdhsa_system_sgpr_workgroup_id_y 0
		.amdhsa_system_sgpr_workgroup_id_z 0
		.amdhsa_system_sgpr_workgroup_info 0
		.amdhsa_system_vgpr_workitem_id 0
		.amdhsa_next_free_vgpr 1
		.amdhsa_next_free_sgpr 1
		.amdhsa_reserve_vcc 0
		.amdhsa_float_round_mode_32 0
		.amdhsa_float_round_mode_16_64 0
		.amdhsa_float_denorm_mode_32 3
		.amdhsa_float_denorm_mode_16_64 3
		.amdhsa_fp16_overflow 0
		.amdhsa_workgroup_processor_mode 1
		.amdhsa_memory_ordered 1
		.amdhsa_forward_progress 1
		.amdhsa_inst_pref_size 0
		.amdhsa_round_robin_scheduling 0
		.amdhsa_exception_fp_ieee_invalid_op 0
		.amdhsa_exception_fp_denorm_src 0
		.amdhsa_exception_fp_ieee_div_zero 0
		.amdhsa_exception_fp_ieee_overflow 0
		.amdhsa_exception_fp_ieee_underflow 0
		.amdhsa_exception_fp_ieee_inexact 0
		.amdhsa_exception_int_div_zero 0
	.end_amdhsa_kernel
	.section	.text._ZN7rocprim17ROCPRIM_400000_NS6detail17trampoline_kernelINS0_14default_configENS1_20scan_config_selectorIdEEZZNS1_9scan_implILNS1_25lookback_scan_determinismE0ELb0ELb0ES3_PKdPddZZZN2at6native31launch_logcumsumexp_cuda_kernelERKNSB_10TensorBaseESF_lENKUlvE_clEvENKUlvE_clEvEUlddE_dEEDaPvRmT3_T4_T5_mT6_P12ihipStream_tbENKUlT_T0_E_clISt17integral_constantIbLb1EESW_EEDaSR_SS_EUlSR_E0_NS1_11comp_targetILNS1_3genE9ELNS1_11target_archE1100ELNS1_3gpuE3ELNS1_3repE0EEENS1_30default_config_static_selectorELNS0_4arch9wavefront6targetE0EEEvT1_,"axG",@progbits,_ZN7rocprim17ROCPRIM_400000_NS6detail17trampoline_kernelINS0_14default_configENS1_20scan_config_selectorIdEEZZNS1_9scan_implILNS1_25lookback_scan_determinismE0ELb0ELb0ES3_PKdPddZZZN2at6native31launch_logcumsumexp_cuda_kernelERKNSB_10TensorBaseESF_lENKUlvE_clEvENKUlvE_clEvEUlddE_dEEDaPvRmT3_T4_T5_mT6_P12ihipStream_tbENKUlT_T0_E_clISt17integral_constantIbLb1EESW_EEDaSR_SS_EUlSR_E0_NS1_11comp_targetILNS1_3genE9ELNS1_11target_archE1100ELNS1_3gpuE3ELNS1_3repE0EEENS1_30default_config_static_selectorELNS0_4arch9wavefront6targetE0EEEvT1_,comdat
.Lfunc_end44:
	.size	_ZN7rocprim17ROCPRIM_400000_NS6detail17trampoline_kernelINS0_14default_configENS1_20scan_config_selectorIdEEZZNS1_9scan_implILNS1_25lookback_scan_determinismE0ELb0ELb0ES3_PKdPddZZZN2at6native31launch_logcumsumexp_cuda_kernelERKNSB_10TensorBaseESF_lENKUlvE_clEvENKUlvE_clEvEUlddE_dEEDaPvRmT3_T4_T5_mT6_P12ihipStream_tbENKUlT_T0_E_clISt17integral_constantIbLb1EESW_EEDaSR_SS_EUlSR_E0_NS1_11comp_targetILNS1_3genE9ELNS1_11target_archE1100ELNS1_3gpuE3ELNS1_3repE0EEENS1_30default_config_static_selectorELNS0_4arch9wavefront6targetE0EEEvT1_, .Lfunc_end44-_ZN7rocprim17ROCPRIM_400000_NS6detail17trampoline_kernelINS0_14default_configENS1_20scan_config_selectorIdEEZZNS1_9scan_implILNS1_25lookback_scan_determinismE0ELb0ELb0ES3_PKdPddZZZN2at6native31launch_logcumsumexp_cuda_kernelERKNSB_10TensorBaseESF_lENKUlvE_clEvENKUlvE_clEvEUlddE_dEEDaPvRmT3_T4_T5_mT6_P12ihipStream_tbENKUlT_T0_E_clISt17integral_constantIbLb1EESW_EEDaSR_SS_EUlSR_E0_NS1_11comp_targetILNS1_3genE9ELNS1_11target_archE1100ELNS1_3gpuE3ELNS1_3repE0EEENS1_30default_config_static_selectorELNS0_4arch9wavefront6targetE0EEEvT1_
                                        ; -- End function
	.set _ZN7rocprim17ROCPRIM_400000_NS6detail17trampoline_kernelINS0_14default_configENS1_20scan_config_selectorIdEEZZNS1_9scan_implILNS1_25lookback_scan_determinismE0ELb0ELb0ES3_PKdPddZZZN2at6native31launch_logcumsumexp_cuda_kernelERKNSB_10TensorBaseESF_lENKUlvE_clEvENKUlvE_clEvEUlddE_dEEDaPvRmT3_T4_T5_mT6_P12ihipStream_tbENKUlT_T0_E_clISt17integral_constantIbLb1EESW_EEDaSR_SS_EUlSR_E0_NS1_11comp_targetILNS1_3genE9ELNS1_11target_archE1100ELNS1_3gpuE3ELNS1_3repE0EEENS1_30default_config_static_selectorELNS0_4arch9wavefront6targetE0EEEvT1_.num_vgpr, 0
	.set _ZN7rocprim17ROCPRIM_400000_NS6detail17trampoline_kernelINS0_14default_configENS1_20scan_config_selectorIdEEZZNS1_9scan_implILNS1_25lookback_scan_determinismE0ELb0ELb0ES3_PKdPddZZZN2at6native31launch_logcumsumexp_cuda_kernelERKNSB_10TensorBaseESF_lENKUlvE_clEvENKUlvE_clEvEUlddE_dEEDaPvRmT3_T4_T5_mT6_P12ihipStream_tbENKUlT_T0_E_clISt17integral_constantIbLb1EESW_EEDaSR_SS_EUlSR_E0_NS1_11comp_targetILNS1_3genE9ELNS1_11target_archE1100ELNS1_3gpuE3ELNS1_3repE0EEENS1_30default_config_static_selectorELNS0_4arch9wavefront6targetE0EEEvT1_.num_agpr, 0
	.set _ZN7rocprim17ROCPRIM_400000_NS6detail17trampoline_kernelINS0_14default_configENS1_20scan_config_selectorIdEEZZNS1_9scan_implILNS1_25lookback_scan_determinismE0ELb0ELb0ES3_PKdPddZZZN2at6native31launch_logcumsumexp_cuda_kernelERKNSB_10TensorBaseESF_lENKUlvE_clEvENKUlvE_clEvEUlddE_dEEDaPvRmT3_T4_T5_mT6_P12ihipStream_tbENKUlT_T0_E_clISt17integral_constantIbLb1EESW_EEDaSR_SS_EUlSR_E0_NS1_11comp_targetILNS1_3genE9ELNS1_11target_archE1100ELNS1_3gpuE3ELNS1_3repE0EEENS1_30default_config_static_selectorELNS0_4arch9wavefront6targetE0EEEvT1_.numbered_sgpr, 0
	.set _ZN7rocprim17ROCPRIM_400000_NS6detail17trampoline_kernelINS0_14default_configENS1_20scan_config_selectorIdEEZZNS1_9scan_implILNS1_25lookback_scan_determinismE0ELb0ELb0ES3_PKdPddZZZN2at6native31launch_logcumsumexp_cuda_kernelERKNSB_10TensorBaseESF_lENKUlvE_clEvENKUlvE_clEvEUlddE_dEEDaPvRmT3_T4_T5_mT6_P12ihipStream_tbENKUlT_T0_E_clISt17integral_constantIbLb1EESW_EEDaSR_SS_EUlSR_E0_NS1_11comp_targetILNS1_3genE9ELNS1_11target_archE1100ELNS1_3gpuE3ELNS1_3repE0EEENS1_30default_config_static_selectorELNS0_4arch9wavefront6targetE0EEEvT1_.num_named_barrier, 0
	.set _ZN7rocprim17ROCPRIM_400000_NS6detail17trampoline_kernelINS0_14default_configENS1_20scan_config_selectorIdEEZZNS1_9scan_implILNS1_25lookback_scan_determinismE0ELb0ELb0ES3_PKdPddZZZN2at6native31launch_logcumsumexp_cuda_kernelERKNSB_10TensorBaseESF_lENKUlvE_clEvENKUlvE_clEvEUlddE_dEEDaPvRmT3_T4_T5_mT6_P12ihipStream_tbENKUlT_T0_E_clISt17integral_constantIbLb1EESW_EEDaSR_SS_EUlSR_E0_NS1_11comp_targetILNS1_3genE9ELNS1_11target_archE1100ELNS1_3gpuE3ELNS1_3repE0EEENS1_30default_config_static_selectorELNS0_4arch9wavefront6targetE0EEEvT1_.private_seg_size, 0
	.set _ZN7rocprim17ROCPRIM_400000_NS6detail17trampoline_kernelINS0_14default_configENS1_20scan_config_selectorIdEEZZNS1_9scan_implILNS1_25lookback_scan_determinismE0ELb0ELb0ES3_PKdPddZZZN2at6native31launch_logcumsumexp_cuda_kernelERKNSB_10TensorBaseESF_lENKUlvE_clEvENKUlvE_clEvEUlddE_dEEDaPvRmT3_T4_T5_mT6_P12ihipStream_tbENKUlT_T0_E_clISt17integral_constantIbLb1EESW_EEDaSR_SS_EUlSR_E0_NS1_11comp_targetILNS1_3genE9ELNS1_11target_archE1100ELNS1_3gpuE3ELNS1_3repE0EEENS1_30default_config_static_selectorELNS0_4arch9wavefront6targetE0EEEvT1_.uses_vcc, 0
	.set _ZN7rocprim17ROCPRIM_400000_NS6detail17trampoline_kernelINS0_14default_configENS1_20scan_config_selectorIdEEZZNS1_9scan_implILNS1_25lookback_scan_determinismE0ELb0ELb0ES3_PKdPddZZZN2at6native31launch_logcumsumexp_cuda_kernelERKNSB_10TensorBaseESF_lENKUlvE_clEvENKUlvE_clEvEUlddE_dEEDaPvRmT3_T4_T5_mT6_P12ihipStream_tbENKUlT_T0_E_clISt17integral_constantIbLb1EESW_EEDaSR_SS_EUlSR_E0_NS1_11comp_targetILNS1_3genE9ELNS1_11target_archE1100ELNS1_3gpuE3ELNS1_3repE0EEENS1_30default_config_static_selectorELNS0_4arch9wavefront6targetE0EEEvT1_.uses_flat_scratch, 0
	.set _ZN7rocprim17ROCPRIM_400000_NS6detail17trampoline_kernelINS0_14default_configENS1_20scan_config_selectorIdEEZZNS1_9scan_implILNS1_25lookback_scan_determinismE0ELb0ELb0ES3_PKdPddZZZN2at6native31launch_logcumsumexp_cuda_kernelERKNSB_10TensorBaseESF_lENKUlvE_clEvENKUlvE_clEvEUlddE_dEEDaPvRmT3_T4_T5_mT6_P12ihipStream_tbENKUlT_T0_E_clISt17integral_constantIbLb1EESW_EEDaSR_SS_EUlSR_E0_NS1_11comp_targetILNS1_3genE9ELNS1_11target_archE1100ELNS1_3gpuE3ELNS1_3repE0EEENS1_30default_config_static_selectorELNS0_4arch9wavefront6targetE0EEEvT1_.has_dyn_sized_stack, 0
	.set _ZN7rocprim17ROCPRIM_400000_NS6detail17trampoline_kernelINS0_14default_configENS1_20scan_config_selectorIdEEZZNS1_9scan_implILNS1_25lookback_scan_determinismE0ELb0ELb0ES3_PKdPddZZZN2at6native31launch_logcumsumexp_cuda_kernelERKNSB_10TensorBaseESF_lENKUlvE_clEvENKUlvE_clEvEUlddE_dEEDaPvRmT3_T4_T5_mT6_P12ihipStream_tbENKUlT_T0_E_clISt17integral_constantIbLb1EESW_EEDaSR_SS_EUlSR_E0_NS1_11comp_targetILNS1_3genE9ELNS1_11target_archE1100ELNS1_3gpuE3ELNS1_3repE0EEENS1_30default_config_static_selectorELNS0_4arch9wavefront6targetE0EEEvT1_.has_recursion, 0
	.set _ZN7rocprim17ROCPRIM_400000_NS6detail17trampoline_kernelINS0_14default_configENS1_20scan_config_selectorIdEEZZNS1_9scan_implILNS1_25lookback_scan_determinismE0ELb0ELb0ES3_PKdPddZZZN2at6native31launch_logcumsumexp_cuda_kernelERKNSB_10TensorBaseESF_lENKUlvE_clEvENKUlvE_clEvEUlddE_dEEDaPvRmT3_T4_T5_mT6_P12ihipStream_tbENKUlT_T0_E_clISt17integral_constantIbLb1EESW_EEDaSR_SS_EUlSR_E0_NS1_11comp_targetILNS1_3genE9ELNS1_11target_archE1100ELNS1_3gpuE3ELNS1_3repE0EEENS1_30default_config_static_selectorELNS0_4arch9wavefront6targetE0EEEvT1_.has_indirect_call, 0
	.section	.AMDGPU.csdata,"",@progbits
; Kernel info:
; codeLenInByte = 0
; TotalNumSgprs: 0
; NumVgprs: 0
; ScratchSize: 0
; MemoryBound: 0
; FloatMode: 240
; IeeeMode: 1
; LDSByteSize: 0 bytes/workgroup (compile time only)
; SGPRBlocks: 0
; VGPRBlocks: 0
; NumSGPRsForWavesPerEU: 1
; NumVGPRsForWavesPerEU: 1
; Occupancy: 16
; WaveLimiterHint : 0
; COMPUTE_PGM_RSRC2:SCRATCH_EN: 0
; COMPUTE_PGM_RSRC2:USER_SGPR: 2
; COMPUTE_PGM_RSRC2:TRAP_HANDLER: 0
; COMPUTE_PGM_RSRC2:TGID_X_EN: 1
; COMPUTE_PGM_RSRC2:TGID_Y_EN: 0
; COMPUTE_PGM_RSRC2:TGID_Z_EN: 0
; COMPUTE_PGM_RSRC2:TIDIG_COMP_CNT: 0
	.section	.text._ZN7rocprim17ROCPRIM_400000_NS6detail17trampoline_kernelINS0_14default_configENS1_20scan_config_selectorIdEEZZNS1_9scan_implILNS1_25lookback_scan_determinismE0ELb0ELb0ES3_PKdPddZZZN2at6native31launch_logcumsumexp_cuda_kernelERKNSB_10TensorBaseESF_lENKUlvE_clEvENKUlvE_clEvEUlddE_dEEDaPvRmT3_T4_T5_mT6_P12ihipStream_tbENKUlT_T0_E_clISt17integral_constantIbLb1EESW_EEDaSR_SS_EUlSR_E0_NS1_11comp_targetILNS1_3genE8ELNS1_11target_archE1030ELNS1_3gpuE2ELNS1_3repE0EEENS1_30default_config_static_selectorELNS0_4arch9wavefront6targetE0EEEvT1_,"axG",@progbits,_ZN7rocprim17ROCPRIM_400000_NS6detail17trampoline_kernelINS0_14default_configENS1_20scan_config_selectorIdEEZZNS1_9scan_implILNS1_25lookback_scan_determinismE0ELb0ELb0ES3_PKdPddZZZN2at6native31launch_logcumsumexp_cuda_kernelERKNSB_10TensorBaseESF_lENKUlvE_clEvENKUlvE_clEvEUlddE_dEEDaPvRmT3_T4_T5_mT6_P12ihipStream_tbENKUlT_T0_E_clISt17integral_constantIbLb1EESW_EEDaSR_SS_EUlSR_E0_NS1_11comp_targetILNS1_3genE8ELNS1_11target_archE1030ELNS1_3gpuE2ELNS1_3repE0EEENS1_30default_config_static_selectorELNS0_4arch9wavefront6targetE0EEEvT1_,comdat
	.globl	_ZN7rocprim17ROCPRIM_400000_NS6detail17trampoline_kernelINS0_14default_configENS1_20scan_config_selectorIdEEZZNS1_9scan_implILNS1_25lookback_scan_determinismE0ELb0ELb0ES3_PKdPddZZZN2at6native31launch_logcumsumexp_cuda_kernelERKNSB_10TensorBaseESF_lENKUlvE_clEvENKUlvE_clEvEUlddE_dEEDaPvRmT3_T4_T5_mT6_P12ihipStream_tbENKUlT_T0_E_clISt17integral_constantIbLb1EESW_EEDaSR_SS_EUlSR_E0_NS1_11comp_targetILNS1_3genE8ELNS1_11target_archE1030ELNS1_3gpuE2ELNS1_3repE0EEENS1_30default_config_static_selectorELNS0_4arch9wavefront6targetE0EEEvT1_ ; -- Begin function _ZN7rocprim17ROCPRIM_400000_NS6detail17trampoline_kernelINS0_14default_configENS1_20scan_config_selectorIdEEZZNS1_9scan_implILNS1_25lookback_scan_determinismE0ELb0ELb0ES3_PKdPddZZZN2at6native31launch_logcumsumexp_cuda_kernelERKNSB_10TensorBaseESF_lENKUlvE_clEvENKUlvE_clEvEUlddE_dEEDaPvRmT3_T4_T5_mT6_P12ihipStream_tbENKUlT_T0_E_clISt17integral_constantIbLb1EESW_EEDaSR_SS_EUlSR_E0_NS1_11comp_targetILNS1_3genE8ELNS1_11target_archE1030ELNS1_3gpuE2ELNS1_3repE0EEENS1_30default_config_static_selectorELNS0_4arch9wavefront6targetE0EEEvT1_
	.p2align	8
	.type	_ZN7rocprim17ROCPRIM_400000_NS6detail17trampoline_kernelINS0_14default_configENS1_20scan_config_selectorIdEEZZNS1_9scan_implILNS1_25lookback_scan_determinismE0ELb0ELb0ES3_PKdPddZZZN2at6native31launch_logcumsumexp_cuda_kernelERKNSB_10TensorBaseESF_lENKUlvE_clEvENKUlvE_clEvEUlddE_dEEDaPvRmT3_T4_T5_mT6_P12ihipStream_tbENKUlT_T0_E_clISt17integral_constantIbLb1EESW_EEDaSR_SS_EUlSR_E0_NS1_11comp_targetILNS1_3genE8ELNS1_11target_archE1030ELNS1_3gpuE2ELNS1_3repE0EEENS1_30default_config_static_selectorELNS0_4arch9wavefront6targetE0EEEvT1_,@function
_ZN7rocprim17ROCPRIM_400000_NS6detail17trampoline_kernelINS0_14default_configENS1_20scan_config_selectorIdEEZZNS1_9scan_implILNS1_25lookback_scan_determinismE0ELb0ELb0ES3_PKdPddZZZN2at6native31launch_logcumsumexp_cuda_kernelERKNSB_10TensorBaseESF_lENKUlvE_clEvENKUlvE_clEvEUlddE_dEEDaPvRmT3_T4_T5_mT6_P12ihipStream_tbENKUlT_T0_E_clISt17integral_constantIbLb1EESW_EEDaSR_SS_EUlSR_E0_NS1_11comp_targetILNS1_3genE8ELNS1_11target_archE1030ELNS1_3gpuE2ELNS1_3repE0EEENS1_30default_config_static_selectorELNS0_4arch9wavefront6targetE0EEEvT1_: ; @_ZN7rocprim17ROCPRIM_400000_NS6detail17trampoline_kernelINS0_14default_configENS1_20scan_config_selectorIdEEZZNS1_9scan_implILNS1_25lookback_scan_determinismE0ELb0ELb0ES3_PKdPddZZZN2at6native31launch_logcumsumexp_cuda_kernelERKNSB_10TensorBaseESF_lENKUlvE_clEvENKUlvE_clEvEUlddE_dEEDaPvRmT3_T4_T5_mT6_P12ihipStream_tbENKUlT_T0_E_clISt17integral_constantIbLb1EESW_EEDaSR_SS_EUlSR_E0_NS1_11comp_targetILNS1_3genE8ELNS1_11target_archE1030ELNS1_3gpuE2ELNS1_3repE0EEENS1_30default_config_static_selectorELNS0_4arch9wavefront6targetE0EEEvT1_
; %bb.0:
	.section	.rodata,"a",@progbits
	.p2align	6, 0x0
	.amdhsa_kernel _ZN7rocprim17ROCPRIM_400000_NS6detail17trampoline_kernelINS0_14default_configENS1_20scan_config_selectorIdEEZZNS1_9scan_implILNS1_25lookback_scan_determinismE0ELb0ELb0ES3_PKdPddZZZN2at6native31launch_logcumsumexp_cuda_kernelERKNSB_10TensorBaseESF_lENKUlvE_clEvENKUlvE_clEvEUlddE_dEEDaPvRmT3_T4_T5_mT6_P12ihipStream_tbENKUlT_T0_E_clISt17integral_constantIbLb1EESW_EEDaSR_SS_EUlSR_E0_NS1_11comp_targetILNS1_3genE8ELNS1_11target_archE1030ELNS1_3gpuE2ELNS1_3repE0EEENS1_30default_config_static_selectorELNS0_4arch9wavefront6targetE0EEEvT1_
		.amdhsa_group_segment_fixed_size 0
		.amdhsa_private_segment_fixed_size 0
		.amdhsa_kernarg_size 40
		.amdhsa_user_sgpr_count 2
		.amdhsa_user_sgpr_dispatch_ptr 0
		.amdhsa_user_sgpr_queue_ptr 0
		.amdhsa_user_sgpr_kernarg_segment_ptr 1
		.amdhsa_user_sgpr_dispatch_id 0
		.amdhsa_user_sgpr_private_segment_size 0
		.amdhsa_wavefront_size32 1
		.amdhsa_uses_dynamic_stack 0
		.amdhsa_enable_private_segment 0
		.amdhsa_system_sgpr_workgroup_id_x 1
		.amdhsa_system_sgpr_workgroup_id_y 0
		.amdhsa_system_sgpr_workgroup_id_z 0
		.amdhsa_system_sgpr_workgroup_info 0
		.amdhsa_system_vgpr_workitem_id 0
		.amdhsa_next_free_vgpr 1
		.amdhsa_next_free_sgpr 1
		.amdhsa_reserve_vcc 0
		.amdhsa_float_round_mode_32 0
		.amdhsa_float_round_mode_16_64 0
		.amdhsa_float_denorm_mode_32 3
		.amdhsa_float_denorm_mode_16_64 3
		.amdhsa_fp16_overflow 0
		.amdhsa_workgroup_processor_mode 1
		.amdhsa_memory_ordered 1
		.amdhsa_forward_progress 1
		.amdhsa_inst_pref_size 0
		.amdhsa_round_robin_scheduling 0
		.amdhsa_exception_fp_ieee_invalid_op 0
		.amdhsa_exception_fp_denorm_src 0
		.amdhsa_exception_fp_ieee_div_zero 0
		.amdhsa_exception_fp_ieee_overflow 0
		.amdhsa_exception_fp_ieee_underflow 0
		.amdhsa_exception_fp_ieee_inexact 0
		.amdhsa_exception_int_div_zero 0
	.end_amdhsa_kernel
	.section	.text._ZN7rocprim17ROCPRIM_400000_NS6detail17trampoline_kernelINS0_14default_configENS1_20scan_config_selectorIdEEZZNS1_9scan_implILNS1_25lookback_scan_determinismE0ELb0ELb0ES3_PKdPddZZZN2at6native31launch_logcumsumexp_cuda_kernelERKNSB_10TensorBaseESF_lENKUlvE_clEvENKUlvE_clEvEUlddE_dEEDaPvRmT3_T4_T5_mT6_P12ihipStream_tbENKUlT_T0_E_clISt17integral_constantIbLb1EESW_EEDaSR_SS_EUlSR_E0_NS1_11comp_targetILNS1_3genE8ELNS1_11target_archE1030ELNS1_3gpuE2ELNS1_3repE0EEENS1_30default_config_static_selectorELNS0_4arch9wavefront6targetE0EEEvT1_,"axG",@progbits,_ZN7rocprim17ROCPRIM_400000_NS6detail17trampoline_kernelINS0_14default_configENS1_20scan_config_selectorIdEEZZNS1_9scan_implILNS1_25lookback_scan_determinismE0ELb0ELb0ES3_PKdPddZZZN2at6native31launch_logcumsumexp_cuda_kernelERKNSB_10TensorBaseESF_lENKUlvE_clEvENKUlvE_clEvEUlddE_dEEDaPvRmT3_T4_T5_mT6_P12ihipStream_tbENKUlT_T0_E_clISt17integral_constantIbLb1EESW_EEDaSR_SS_EUlSR_E0_NS1_11comp_targetILNS1_3genE8ELNS1_11target_archE1030ELNS1_3gpuE2ELNS1_3repE0EEENS1_30default_config_static_selectorELNS0_4arch9wavefront6targetE0EEEvT1_,comdat
.Lfunc_end45:
	.size	_ZN7rocprim17ROCPRIM_400000_NS6detail17trampoline_kernelINS0_14default_configENS1_20scan_config_selectorIdEEZZNS1_9scan_implILNS1_25lookback_scan_determinismE0ELb0ELb0ES3_PKdPddZZZN2at6native31launch_logcumsumexp_cuda_kernelERKNSB_10TensorBaseESF_lENKUlvE_clEvENKUlvE_clEvEUlddE_dEEDaPvRmT3_T4_T5_mT6_P12ihipStream_tbENKUlT_T0_E_clISt17integral_constantIbLb1EESW_EEDaSR_SS_EUlSR_E0_NS1_11comp_targetILNS1_3genE8ELNS1_11target_archE1030ELNS1_3gpuE2ELNS1_3repE0EEENS1_30default_config_static_selectorELNS0_4arch9wavefront6targetE0EEEvT1_, .Lfunc_end45-_ZN7rocprim17ROCPRIM_400000_NS6detail17trampoline_kernelINS0_14default_configENS1_20scan_config_selectorIdEEZZNS1_9scan_implILNS1_25lookback_scan_determinismE0ELb0ELb0ES3_PKdPddZZZN2at6native31launch_logcumsumexp_cuda_kernelERKNSB_10TensorBaseESF_lENKUlvE_clEvENKUlvE_clEvEUlddE_dEEDaPvRmT3_T4_T5_mT6_P12ihipStream_tbENKUlT_T0_E_clISt17integral_constantIbLb1EESW_EEDaSR_SS_EUlSR_E0_NS1_11comp_targetILNS1_3genE8ELNS1_11target_archE1030ELNS1_3gpuE2ELNS1_3repE0EEENS1_30default_config_static_selectorELNS0_4arch9wavefront6targetE0EEEvT1_
                                        ; -- End function
	.set _ZN7rocprim17ROCPRIM_400000_NS6detail17trampoline_kernelINS0_14default_configENS1_20scan_config_selectorIdEEZZNS1_9scan_implILNS1_25lookback_scan_determinismE0ELb0ELb0ES3_PKdPddZZZN2at6native31launch_logcumsumexp_cuda_kernelERKNSB_10TensorBaseESF_lENKUlvE_clEvENKUlvE_clEvEUlddE_dEEDaPvRmT3_T4_T5_mT6_P12ihipStream_tbENKUlT_T0_E_clISt17integral_constantIbLb1EESW_EEDaSR_SS_EUlSR_E0_NS1_11comp_targetILNS1_3genE8ELNS1_11target_archE1030ELNS1_3gpuE2ELNS1_3repE0EEENS1_30default_config_static_selectorELNS0_4arch9wavefront6targetE0EEEvT1_.num_vgpr, 0
	.set _ZN7rocprim17ROCPRIM_400000_NS6detail17trampoline_kernelINS0_14default_configENS1_20scan_config_selectorIdEEZZNS1_9scan_implILNS1_25lookback_scan_determinismE0ELb0ELb0ES3_PKdPddZZZN2at6native31launch_logcumsumexp_cuda_kernelERKNSB_10TensorBaseESF_lENKUlvE_clEvENKUlvE_clEvEUlddE_dEEDaPvRmT3_T4_T5_mT6_P12ihipStream_tbENKUlT_T0_E_clISt17integral_constantIbLb1EESW_EEDaSR_SS_EUlSR_E0_NS1_11comp_targetILNS1_3genE8ELNS1_11target_archE1030ELNS1_3gpuE2ELNS1_3repE0EEENS1_30default_config_static_selectorELNS0_4arch9wavefront6targetE0EEEvT1_.num_agpr, 0
	.set _ZN7rocprim17ROCPRIM_400000_NS6detail17trampoline_kernelINS0_14default_configENS1_20scan_config_selectorIdEEZZNS1_9scan_implILNS1_25lookback_scan_determinismE0ELb0ELb0ES3_PKdPddZZZN2at6native31launch_logcumsumexp_cuda_kernelERKNSB_10TensorBaseESF_lENKUlvE_clEvENKUlvE_clEvEUlddE_dEEDaPvRmT3_T4_T5_mT6_P12ihipStream_tbENKUlT_T0_E_clISt17integral_constantIbLb1EESW_EEDaSR_SS_EUlSR_E0_NS1_11comp_targetILNS1_3genE8ELNS1_11target_archE1030ELNS1_3gpuE2ELNS1_3repE0EEENS1_30default_config_static_selectorELNS0_4arch9wavefront6targetE0EEEvT1_.numbered_sgpr, 0
	.set _ZN7rocprim17ROCPRIM_400000_NS6detail17trampoline_kernelINS0_14default_configENS1_20scan_config_selectorIdEEZZNS1_9scan_implILNS1_25lookback_scan_determinismE0ELb0ELb0ES3_PKdPddZZZN2at6native31launch_logcumsumexp_cuda_kernelERKNSB_10TensorBaseESF_lENKUlvE_clEvENKUlvE_clEvEUlddE_dEEDaPvRmT3_T4_T5_mT6_P12ihipStream_tbENKUlT_T0_E_clISt17integral_constantIbLb1EESW_EEDaSR_SS_EUlSR_E0_NS1_11comp_targetILNS1_3genE8ELNS1_11target_archE1030ELNS1_3gpuE2ELNS1_3repE0EEENS1_30default_config_static_selectorELNS0_4arch9wavefront6targetE0EEEvT1_.num_named_barrier, 0
	.set _ZN7rocprim17ROCPRIM_400000_NS6detail17trampoline_kernelINS0_14default_configENS1_20scan_config_selectorIdEEZZNS1_9scan_implILNS1_25lookback_scan_determinismE0ELb0ELb0ES3_PKdPddZZZN2at6native31launch_logcumsumexp_cuda_kernelERKNSB_10TensorBaseESF_lENKUlvE_clEvENKUlvE_clEvEUlddE_dEEDaPvRmT3_T4_T5_mT6_P12ihipStream_tbENKUlT_T0_E_clISt17integral_constantIbLb1EESW_EEDaSR_SS_EUlSR_E0_NS1_11comp_targetILNS1_3genE8ELNS1_11target_archE1030ELNS1_3gpuE2ELNS1_3repE0EEENS1_30default_config_static_selectorELNS0_4arch9wavefront6targetE0EEEvT1_.private_seg_size, 0
	.set _ZN7rocprim17ROCPRIM_400000_NS6detail17trampoline_kernelINS0_14default_configENS1_20scan_config_selectorIdEEZZNS1_9scan_implILNS1_25lookback_scan_determinismE0ELb0ELb0ES3_PKdPddZZZN2at6native31launch_logcumsumexp_cuda_kernelERKNSB_10TensorBaseESF_lENKUlvE_clEvENKUlvE_clEvEUlddE_dEEDaPvRmT3_T4_T5_mT6_P12ihipStream_tbENKUlT_T0_E_clISt17integral_constantIbLb1EESW_EEDaSR_SS_EUlSR_E0_NS1_11comp_targetILNS1_3genE8ELNS1_11target_archE1030ELNS1_3gpuE2ELNS1_3repE0EEENS1_30default_config_static_selectorELNS0_4arch9wavefront6targetE0EEEvT1_.uses_vcc, 0
	.set _ZN7rocprim17ROCPRIM_400000_NS6detail17trampoline_kernelINS0_14default_configENS1_20scan_config_selectorIdEEZZNS1_9scan_implILNS1_25lookback_scan_determinismE0ELb0ELb0ES3_PKdPddZZZN2at6native31launch_logcumsumexp_cuda_kernelERKNSB_10TensorBaseESF_lENKUlvE_clEvENKUlvE_clEvEUlddE_dEEDaPvRmT3_T4_T5_mT6_P12ihipStream_tbENKUlT_T0_E_clISt17integral_constantIbLb1EESW_EEDaSR_SS_EUlSR_E0_NS1_11comp_targetILNS1_3genE8ELNS1_11target_archE1030ELNS1_3gpuE2ELNS1_3repE0EEENS1_30default_config_static_selectorELNS0_4arch9wavefront6targetE0EEEvT1_.uses_flat_scratch, 0
	.set _ZN7rocprim17ROCPRIM_400000_NS6detail17trampoline_kernelINS0_14default_configENS1_20scan_config_selectorIdEEZZNS1_9scan_implILNS1_25lookback_scan_determinismE0ELb0ELb0ES3_PKdPddZZZN2at6native31launch_logcumsumexp_cuda_kernelERKNSB_10TensorBaseESF_lENKUlvE_clEvENKUlvE_clEvEUlddE_dEEDaPvRmT3_T4_T5_mT6_P12ihipStream_tbENKUlT_T0_E_clISt17integral_constantIbLb1EESW_EEDaSR_SS_EUlSR_E0_NS1_11comp_targetILNS1_3genE8ELNS1_11target_archE1030ELNS1_3gpuE2ELNS1_3repE0EEENS1_30default_config_static_selectorELNS0_4arch9wavefront6targetE0EEEvT1_.has_dyn_sized_stack, 0
	.set _ZN7rocprim17ROCPRIM_400000_NS6detail17trampoline_kernelINS0_14default_configENS1_20scan_config_selectorIdEEZZNS1_9scan_implILNS1_25lookback_scan_determinismE0ELb0ELb0ES3_PKdPddZZZN2at6native31launch_logcumsumexp_cuda_kernelERKNSB_10TensorBaseESF_lENKUlvE_clEvENKUlvE_clEvEUlddE_dEEDaPvRmT3_T4_T5_mT6_P12ihipStream_tbENKUlT_T0_E_clISt17integral_constantIbLb1EESW_EEDaSR_SS_EUlSR_E0_NS1_11comp_targetILNS1_3genE8ELNS1_11target_archE1030ELNS1_3gpuE2ELNS1_3repE0EEENS1_30default_config_static_selectorELNS0_4arch9wavefront6targetE0EEEvT1_.has_recursion, 0
	.set _ZN7rocprim17ROCPRIM_400000_NS6detail17trampoline_kernelINS0_14default_configENS1_20scan_config_selectorIdEEZZNS1_9scan_implILNS1_25lookback_scan_determinismE0ELb0ELb0ES3_PKdPddZZZN2at6native31launch_logcumsumexp_cuda_kernelERKNSB_10TensorBaseESF_lENKUlvE_clEvENKUlvE_clEvEUlddE_dEEDaPvRmT3_T4_T5_mT6_P12ihipStream_tbENKUlT_T0_E_clISt17integral_constantIbLb1EESW_EEDaSR_SS_EUlSR_E0_NS1_11comp_targetILNS1_3genE8ELNS1_11target_archE1030ELNS1_3gpuE2ELNS1_3repE0EEENS1_30default_config_static_selectorELNS0_4arch9wavefront6targetE0EEEvT1_.has_indirect_call, 0
	.section	.AMDGPU.csdata,"",@progbits
; Kernel info:
; codeLenInByte = 0
; TotalNumSgprs: 0
; NumVgprs: 0
; ScratchSize: 0
; MemoryBound: 0
; FloatMode: 240
; IeeeMode: 1
; LDSByteSize: 0 bytes/workgroup (compile time only)
; SGPRBlocks: 0
; VGPRBlocks: 0
; NumSGPRsForWavesPerEU: 1
; NumVGPRsForWavesPerEU: 1
; Occupancy: 16
; WaveLimiterHint : 0
; COMPUTE_PGM_RSRC2:SCRATCH_EN: 0
; COMPUTE_PGM_RSRC2:USER_SGPR: 2
; COMPUTE_PGM_RSRC2:TRAP_HANDLER: 0
; COMPUTE_PGM_RSRC2:TGID_X_EN: 1
; COMPUTE_PGM_RSRC2:TGID_Y_EN: 0
; COMPUTE_PGM_RSRC2:TGID_Z_EN: 0
; COMPUTE_PGM_RSRC2:TIDIG_COMP_CNT: 0
	.section	.text._ZN7rocprim17ROCPRIM_400000_NS6detail31init_lookback_scan_state_kernelINS1_19lookback_scan_stateIdLb1ELb1EEENS1_16block_id_wrapperIjLb0EEEEEvT_jT0_jPNS7_10value_typeE,"axG",@progbits,_ZN7rocprim17ROCPRIM_400000_NS6detail31init_lookback_scan_state_kernelINS1_19lookback_scan_stateIdLb1ELb1EEENS1_16block_id_wrapperIjLb0EEEEEvT_jT0_jPNS7_10value_typeE,comdat
	.protected	_ZN7rocprim17ROCPRIM_400000_NS6detail31init_lookback_scan_state_kernelINS1_19lookback_scan_stateIdLb1ELb1EEENS1_16block_id_wrapperIjLb0EEEEEvT_jT0_jPNS7_10value_typeE ; -- Begin function _ZN7rocprim17ROCPRIM_400000_NS6detail31init_lookback_scan_state_kernelINS1_19lookback_scan_stateIdLb1ELb1EEENS1_16block_id_wrapperIjLb0EEEEEvT_jT0_jPNS7_10value_typeE
	.globl	_ZN7rocprim17ROCPRIM_400000_NS6detail31init_lookback_scan_state_kernelINS1_19lookback_scan_stateIdLb1ELb1EEENS1_16block_id_wrapperIjLb0EEEEEvT_jT0_jPNS7_10value_typeE
	.p2align	8
	.type	_ZN7rocprim17ROCPRIM_400000_NS6detail31init_lookback_scan_state_kernelINS1_19lookback_scan_stateIdLb1ELb1EEENS1_16block_id_wrapperIjLb0EEEEEvT_jT0_jPNS7_10value_typeE,@function
_ZN7rocprim17ROCPRIM_400000_NS6detail31init_lookback_scan_state_kernelINS1_19lookback_scan_stateIdLb1ELb1EEENS1_16block_id_wrapperIjLb0EEEEEvT_jT0_jPNS7_10value_typeE: ; @_ZN7rocprim17ROCPRIM_400000_NS6detail31init_lookback_scan_state_kernelINS1_19lookback_scan_stateIdLb1ELb1EEENS1_16block_id_wrapperIjLb0EEEEEvT_jT0_jPNS7_10value_typeE
; %bb.0:
	s_clause 0x2
	s_load_b32 s7, s[0:1], 0x2c
	s_load_b64 s[2:3], s[0:1], 0x18
	s_load_b96 s[4:6], s[0:1], 0x0
	s_wait_kmcnt 0x0
	s_and_b32 s7, s7, 0xffff
	s_cmp_eq_u64 s[2:3], 0
	v_mad_co_u64_u32 v[0:1], null, ttmp9, s7, v[0:1]
	s_cbranch_scc1 .LBB46_10
; %bb.1:
	s_load_b32 s0, s[0:1], 0x10
	s_wait_kmcnt 0x0
	s_cmp_lt_u32 s0, s6
	s_cselect_b32 s1, s0, 0
	s_wait_alu 0xfffe
	v_cmp_eq_u32_e32 vcc_lo, s1, v0
	s_mov_b32 s1, 0
	s_and_saveexec_b32 s7, vcc_lo
	s_cbranch_execz .LBB46_9
; %bb.2:
	s_add_co_i32 s0, s0, 32
	s_mov_b32 s8, exec_lo
	s_wait_alu 0xfffe
	s_lshl_b64 s[0:1], s[0:1], 4
	v_mov_b32_e32 v5, 0
	s_wait_alu 0xfffe
	s_add_nc_u64 s[0:1], s[4:5], s[0:1]
	s_wait_alu 0xfffe
	v_dual_mov_b32 v2, s1 :: v_dual_mov_b32 v1, s0
	;;#ASMSTART
	global_load_b128 v[1:4], v[1:2] off scope:SCOPE_DEV	
s_wait_loadcnt 0x0
	;;#ASMEND
	v_and_b32_e32 v4, 0xff, v3
	s_delay_alu instid0(VALU_DEP_1)
	v_cmpx_eq_u64_e32 0, v[4:5]
	s_cbranch_execz .LBB46_8
; %bb.3:
	v_dual_mov_b32 v7, s1 :: v_dual_mov_b32 v6, s0
	s_mov_b32 s1, 1
	s_mov_b32 s0, 0
.LBB46_4:                               ; =>This Loop Header: Depth=1
                                        ;     Child Loop BB46_5 Depth 2
	s_wait_alu 0xfffe
	s_mov_b32 s9, s1
.LBB46_5:                               ;   Parent Loop BB46_4 Depth=1
                                        ; =>  This Inner Loop Header: Depth=2
	s_delay_alu instid0(SALU_CYCLE_1)
	s_add_co_i32 s9, s9, -1
	s_sleep 1
	s_cmp_eq_u32 s9, 0
	s_cbranch_scc0 .LBB46_5
; %bb.6:                                ;   in Loop: Header=BB46_4 Depth=1
	;;#ASMSTART
	global_load_b128 v[1:4], v[6:7] off scope:SCOPE_DEV	
s_wait_loadcnt 0x0
	;;#ASMEND
	v_and_b32_e32 v4, 0xff, v3
	s_cmp_lt_u32 s1, 32
	s_cselect_b32 s9, -1, 0
	s_delay_alu instid0(SALU_CYCLE_1) | instskip(NEXT) | instid1(VALU_DEP_1)
	s_cmp_lg_u32 s9, 0
	v_cmp_ne_u64_e32 vcc_lo, 0, v[4:5]
	s_add_co_ci_u32 s1, s1, 0
	s_or_b32 s0, vcc_lo, s0
	s_wait_alu 0xfffe
	s_and_not1_b32 exec_lo, exec_lo, s0
	s_cbranch_execnz .LBB46_4
; %bb.7:
	s_or_b32 exec_lo, exec_lo, s0
.LBB46_8:
	s_delay_alu instid0(SALU_CYCLE_1)
	s_or_b32 exec_lo, exec_lo, s8
	v_mov_b32_e32 v3, 0
	global_store_b64 v3, v[1:2], s[2:3]
.LBB46_9:
	s_wait_alu 0xfffe
	s_or_b32 exec_lo, exec_lo, s7
.LBB46_10:
	s_delay_alu instid0(SALU_CYCLE_1)
	s_mov_b32 s0, exec_lo
	v_cmpx_gt_u32_e64 s6, v0
	s_cbranch_execz .LBB46_12
; %bb.11:
	v_dual_mov_b32 v2, 0 :: v_dual_add_nc_u32 v1, 32, v0
	s_delay_alu instid0(VALU_DEP_1) | instskip(SKIP_2) | instid1(VALU_DEP_3)
	v_lshlrev_b64_e32 v[4:5], 4, v[1:2]
	v_mov_b32_e32 v1, v2
	v_mov_b32_e32 v3, v2
	v_add_co_u32 v6, vcc_lo, s4, v4
	s_delay_alu instid0(VALU_DEP_1)
	v_add_co_ci_u32_e64 v7, null, s5, v5, vcc_lo
	v_mov_b32_e32 v4, v2
	global_store_b128 v[6:7], v[1:4], off
.LBB46_12:
	s_wait_alu 0xfffe
	s_or_b32 exec_lo, exec_lo, s0
	s_delay_alu instid0(SALU_CYCLE_1)
	s_mov_b32 s0, exec_lo
	v_cmpx_gt_u32_e32 32, v0
	s_cbranch_execz .LBB46_14
; %bb.13:
	v_dual_mov_b32 v1, 0 :: v_dual_mov_b32 v2, 0xff
	s_delay_alu instid0(VALU_DEP_1) | instskip(SKIP_1) | instid1(VALU_DEP_2)
	v_lshlrev_b64_e32 v[3:4], 4, v[0:1]
	v_mov_b32_e32 v0, v1
	v_add_co_u32 v5, vcc_lo, s4, v3
	s_wait_alu 0xfffd
	s_delay_alu instid0(VALU_DEP_3)
	v_add_co_ci_u32_e64 v6, null, s5, v4, vcc_lo
	v_mov_b32_e32 v3, v1
	global_store_b128 v[5:6], v[0:3], off
.LBB46_14:
	s_endpgm
	.section	.rodata,"a",@progbits
	.p2align	6, 0x0
	.amdhsa_kernel _ZN7rocprim17ROCPRIM_400000_NS6detail31init_lookback_scan_state_kernelINS1_19lookback_scan_stateIdLb1ELb1EEENS1_16block_id_wrapperIjLb0EEEEEvT_jT0_jPNS7_10value_typeE
		.amdhsa_group_segment_fixed_size 0
		.amdhsa_private_segment_fixed_size 0
		.amdhsa_kernarg_size 288
		.amdhsa_user_sgpr_count 2
		.amdhsa_user_sgpr_dispatch_ptr 0
		.amdhsa_user_sgpr_queue_ptr 0
		.amdhsa_user_sgpr_kernarg_segment_ptr 1
		.amdhsa_user_sgpr_dispatch_id 0
		.amdhsa_user_sgpr_private_segment_size 0
		.amdhsa_wavefront_size32 1
		.amdhsa_uses_dynamic_stack 0
		.amdhsa_enable_private_segment 0
		.amdhsa_system_sgpr_workgroup_id_x 1
		.amdhsa_system_sgpr_workgroup_id_y 0
		.amdhsa_system_sgpr_workgroup_id_z 0
		.amdhsa_system_sgpr_workgroup_info 0
		.amdhsa_system_vgpr_workitem_id 0
		.amdhsa_next_free_vgpr 8
		.amdhsa_next_free_sgpr 10
		.amdhsa_reserve_vcc 1
		.amdhsa_float_round_mode_32 0
		.amdhsa_float_round_mode_16_64 0
		.amdhsa_float_denorm_mode_32 3
		.amdhsa_float_denorm_mode_16_64 3
		.amdhsa_fp16_overflow 0
		.amdhsa_workgroup_processor_mode 1
		.amdhsa_memory_ordered 1
		.amdhsa_forward_progress 1
		.amdhsa_inst_pref_size 4
		.amdhsa_round_robin_scheduling 0
		.amdhsa_exception_fp_ieee_invalid_op 0
		.amdhsa_exception_fp_denorm_src 0
		.amdhsa_exception_fp_ieee_div_zero 0
		.amdhsa_exception_fp_ieee_overflow 0
		.amdhsa_exception_fp_ieee_underflow 0
		.amdhsa_exception_fp_ieee_inexact 0
		.amdhsa_exception_int_div_zero 0
	.end_amdhsa_kernel
	.section	.text._ZN7rocprim17ROCPRIM_400000_NS6detail31init_lookback_scan_state_kernelINS1_19lookback_scan_stateIdLb1ELb1EEENS1_16block_id_wrapperIjLb0EEEEEvT_jT0_jPNS7_10value_typeE,"axG",@progbits,_ZN7rocprim17ROCPRIM_400000_NS6detail31init_lookback_scan_state_kernelINS1_19lookback_scan_stateIdLb1ELb1EEENS1_16block_id_wrapperIjLb0EEEEEvT_jT0_jPNS7_10value_typeE,comdat
.Lfunc_end46:
	.size	_ZN7rocprim17ROCPRIM_400000_NS6detail31init_lookback_scan_state_kernelINS1_19lookback_scan_stateIdLb1ELb1EEENS1_16block_id_wrapperIjLb0EEEEEvT_jT0_jPNS7_10value_typeE, .Lfunc_end46-_ZN7rocprim17ROCPRIM_400000_NS6detail31init_lookback_scan_state_kernelINS1_19lookback_scan_stateIdLb1ELb1EEENS1_16block_id_wrapperIjLb0EEEEEvT_jT0_jPNS7_10value_typeE
                                        ; -- End function
	.set _ZN7rocprim17ROCPRIM_400000_NS6detail31init_lookback_scan_state_kernelINS1_19lookback_scan_stateIdLb1ELb1EEENS1_16block_id_wrapperIjLb0EEEEEvT_jT0_jPNS7_10value_typeE.num_vgpr, 8
	.set _ZN7rocprim17ROCPRIM_400000_NS6detail31init_lookback_scan_state_kernelINS1_19lookback_scan_stateIdLb1ELb1EEENS1_16block_id_wrapperIjLb0EEEEEvT_jT0_jPNS7_10value_typeE.num_agpr, 0
	.set _ZN7rocprim17ROCPRIM_400000_NS6detail31init_lookback_scan_state_kernelINS1_19lookback_scan_stateIdLb1ELb1EEENS1_16block_id_wrapperIjLb0EEEEEvT_jT0_jPNS7_10value_typeE.numbered_sgpr, 10
	.set _ZN7rocprim17ROCPRIM_400000_NS6detail31init_lookback_scan_state_kernelINS1_19lookback_scan_stateIdLb1ELb1EEENS1_16block_id_wrapperIjLb0EEEEEvT_jT0_jPNS7_10value_typeE.num_named_barrier, 0
	.set _ZN7rocprim17ROCPRIM_400000_NS6detail31init_lookback_scan_state_kernelINS1_19lookback_scan_stateIdLb1ELb1EEENS1_16block_id_wrapperIjLb0EEEEEvT_jT0_jPNS7_10value_typeE.private_seg_size, 0
	.set _ZN7rocprim17ROCPRIM_400000_NS6detail31init_lookback_scan_state_kernelINS1_19lookback_scan_stateIdLb1ELb1EEENS1_16block_id_wrapperIjLb0EEEEEvT_jT0_jPNS7_10value_typeE.uses_vcc, 1
	.set _ZN7rocprim17ROCPRIM_400000_NS6detail31init_lookback_scan_state_kernelINS1_19lookback_scan_stateIdLb1ELb1EEENS1_16block_id_wrapperIjLb0EEEEEvT_jT0_jPNS7_10value_typeE.uses_flat_scratch, 0
	.set _ZN7rocprim17ROCPRIM_400000_NS6detail31init_lookback_scan_state_kernelINS1_19lookback_scan_stateIdLb1ELb1EEENS1_16block_id_wrapperIjLb0EEEEEvT_jT0_jPNS7_10value_typeE.has_dyn_sized_stack, 0
	.set _ZN7rocprim17ROCPRIM_400000_NS6detail31init_lookback_scan_state_kernelINS1_19lookback_scan_stateIdLb1ELb1EEENS1_16block_id_wrapperIjLb0EEEEEvT_jT0_jPNS7_10value_typeE.has_recursion, 0
	.set _ZN7rocprim17ROCPRIM_400000_NS6detail31init_lookback_scan_state_kernelINS1_19lookback_scan_stateIdLb1ELb1EEENS1_16block_id_wrapperIjLb0EEEEEvT_jT0_jPNS7_10value_typeE.has_indirect_call, 0
	.section	.AMDGPU.csdata,"",@progbits
; Kernel info:
; codeLenInByte = 456
; TotalNumSgprs: 12
; NumVgprs: 8
; ScratchSize: 0
; MemoryBound: 0
; FloatMode: 240
; IeeeMode: 1
; LDSByteSize: 0 bytes/workgroup (compile time only)
; SGPRBlocks: 0
; VGPRBlocks: 0
; NumSGPRsForWavesPerEU: 12
; NumVGPRsForWavesPerEU: 8
; Occupancy: 16
; WaveLimiterHint : 0
; COMPUTE_PGM_RSRC2:SCRATCH_EN: 0
; COMPUTE_PGM_RSRC2:USER_SGPR: 2
; COMPUTE_PGM_RSRC2:TRAP_HANDLER: 0
; COMPUTE_PGM_RSRC2:TGID_X_EN: 1
; COMPUTE_PGM_RSRC2:TGID_Y_EN: 0
; COMPUTE_PGM_RSRC2:TGID_Z_EN: 0
; COMPUTE_PGM_RSRC2:TIDIG_COMP_CNT: 0
	.section	.text._ZN7rocprim17ROCPRIM_400000_NS6detail17trampoline_kernelINS0_14default_configENS1_20scan_config_selectorIdEEZZNS1_9scan_implILNS1_25lookback_scan_determinismE0ELb0ELb0ES3_PKdPddZZZN2at6native31launch_logcumsumexp_cuda_kernelERKNSB_10TensorBaseESF_lENKUlvE_clEvENKUlvE_clEvEUlddE_dEEDaPvRmT3_T4_T5_mT6_P12ihipStream_tbENKUlT_T0_E_clISt17integral_constantIbLb1EESV_IbLb0EEEEDaSR_SS_EUlSR_E_NS1_11comp_targetILNS1_3genE0ELNS1_11target_archE4294967295ELNS1_3gpuE0ELNS1_3repE0EEENS1_30default_config_static_selectorELNS0_4arch9wavefront6targetE0EEEvT1_,"axG",@progbits,_ZN7rocprim17ROCPRIM_400000_NS6detail17trampoline_kernelINS0_14default_configENS1_20scan_config_selectorIdEEZZNS1_9scan_implILNS1_25lookback_scan_determinismE0ELb0ELb0ES3_PKdPddZZZN2at6native31launch_logcumsumexp_cuda_kernelERKNSB_10TensorBaseESF_lENKUlvE_clEvENKUlvE_clEvEUlddE_dEEDaPvRmT3_T4_T5_mT6_P12ihipStream_tbENKUlT_T0_E_clISt17integral_constantIbLb1EESV_IbLb0EEEEDaSR_SS_EUlSR_E_NS1_11comp_targetILNS1_3genE0ELNS1_11target_archE4294967295ELNS1_3gpuE0ELNS1_3repE0EEENS1_30default_config_static_selectorELNS0_4arch9wavefront6targetE0EEEvT1_,comdat
	.globl	_ZN7rocprim17ROCPRIM_400000_NS6detail17trampoline_kernelINS0_14default_configENS1_20scan_config_selectorIdEEZZNS1_9scan_implILNS1_25lookback_scan_determinismE0ELb0ELb0ES3_PKdPddZZZN2at6native31launch_logcumsumexp_cuda_kernelERKNSB_10TensorBaseESF_lENKUlvE_clEvENKUlvE_clEvEUlddE_dEEDaPvRmT3_T4_T5_mT6_P12ihipStream_tbENKUlT_T0_E_clISt17integral_constantIbLb1EESV_IbLb0EEEEDaSR_SS_EUlSR_E_NS1_11comp_targetILNS1_3genE0ELNS1_11target_archE4294967295ELNS1_3gpuE0ELNS1_3repE0EEENS1_30default_config_static_selectorELNS0_4arch9wavefront6targetE0EEEvT1_ ; -- Begin function _ZN7rocprim17ROCPRIM_400000_NS6detail17trampoline_kernelINS0_14default_configENS1_20scan_config_selectorIdEEZZNS1_9scan_implILNS1_25lookback_scan_determinismE0ELb0ELb0ES3_PKdPddZZZN2at6native31launch_logcumsumexp_cuda_kernelERKNSB_10TensorBaseESF_lENKUlvE_clEvENKUlvE_clEvEUlddE_dEEDaPvRmT3_T4_T5_mT6_P12ihipStream_tbENKUlT_T0_E_clISt17integral_constantIbLb1EESV_IbLb0EEEEDaSR_SS_EUlSR_E_NS1_11comp_targetILNS1_3genE0ELNS1_11target_archE4294967295ELNS1_3gpuE0ELNS1_3repE0EEENS1_30default_config_static_selectorELNS0_4arch9wavefront6targetE0EEEvT1_
	.p2align	8
	.type	_ZN7rocprim17ROCPRIM_400000_NS6detail17trampoline_kernelINS0_14default_configENS1_20scan_config_selectorIdEEZZNS1_9scan_implILNS1_25lookback_scan_determinismE0ELb0ELb0ES3_PKdPddZZZN2at6native31launch_logcumsumexp_cuda_kernelERKNSB_10TensorBaseESF_lENKUlvE_clEvENKUlvE_clEvEUlddE_dEEDaPvRmT3_T4_T5_mT6_P12ihipStream_tbENKUlT_T0_E_clISt17integral_constantIbLb1EESV_IbLb0EEEEDaSR_SS_EUlSR_E_NS1_11comp_targetILNS1_3genE0ELNS1_11target_archE4294967295ELNS1_3gpuE0ELNS1_3repE0EEENS1_30default_config_static_selectorELNS0_4arch9wavefront6targetE0EEEvT1_,@function
_ZN7rocprim17ROCPRIM_400000_NS6detail17trampoline_kernelINS0_14default_configENS1_20scan_config_selectorIdEEZZNS1_9scan_implILNS1_25lookback_scan_determinismE0ELb0ELb0ES3_PKdPddZZZN2at6native31launch_logcumsumexp_cuda_kernelERKNSB_10TensorBaseESF_lENKUlvE_clEvENKUlvE_clEvEUlddE_dEEDaPvRmT3_T4_T5_mT6_P12ihipStream_tbENKUlT_T0_E_clISt17integral_constantIbLb1EESV_IbLb0EEEEDaSR_SS_EUlSR_E_NS1_11comp_targetILNS1_3genE0ELNS1_11target_archE4294967295ELNS1_3gpuE0ELNS1_3repE0EEENS1_30default_config_static_selectorELNS0_4arch9wavefront6targetE0EEEvT1_: ; @_ZN7rocprim17ROCPRIM_400000_NS6detail17trampoline_kernelINS0_14default_configENS1_20scan_config_selectorIdEEZZNS1_9scan_implILNS1_25lookback_scan_determinismE0ELb0ELb0ES3_PKdPddZZZN2at6native31launch_logcumsumexp_cuda_kernelERKNSB_10TensorBaseESF_lENKUlvE_clEvENKUlvE_clEvEUlddE_dEEDaPvRmT3_T4_T5_mT6_P12ihipStream_tbENKUlT_T0_E_clISt17integral_constantIbLb1EESV_IbLb0EEEEDaSR_SS_EUlSR_E_NS1_11comp_targetILNS1_3genE0ELNS1_11target_archE4294967295ELNS1_3gpuE0ELNS1_3repE0EEENS1_30default_config_static_selectorELNS0_4arch9wavefront6targetE0EEEvT1_
; %bb.0:
	.section	.rodata,"a",@progbits
	.p2align	6, 0x0
	.amdhsa_kernel _ZN7rocprim17ROCPRIM_400000_NS6detail17trampoline_kernelINS0_14default_configENS1_20scan_config_selectorIdEEZZNS1_9scan_implILNS1_25lookback_scan_determinismE0ELb0ELb0ES3_PKdPddZZZN2at6native31launch_logcumsumexp_cuda_kernelERKNSB_10TensorBaseESF_lENKUlvE_clEvENKUlvE_clEvEUlddE_dEEDaPvRmT3_T4_T5_mT6_P12ihipStream_tbENKUlT_T0_E_clISt17integral_constantIbLb1EESV_IbLb0EEEEDaSR_SS_EUlSR_E_NS1_11comp_targetILNS1_3genE0ELNS1_11target_archE4294967295ELNS1_3gpuE0ELNS1_3repE0EEENS1_30default_config_static_selectorELNS0_4arch9wavefront6targetE0EEEvT1_
		.amdhsa_group_segment_fixed_size 0
		.amdhsa_private_segment_fixed_size 0
		.amdhsa_kernarg_size 104
		.amdhsa_user_sgpr_count 2
		.amdhsa_user_sgpr_dispatch_ptr 0
		.amdhsa_user_sgpr_queue_ptr 0
		.amdhsa_user_sgpr_kernarg_segment_ptr 1
		.amdhsa_user_sgpr_dispatch_id 0
		.amdhsa_user_sgpr_private_segment_size 0
		.amdhsa_wavefront_size32 1
		.amdhsa_uses_dynamic_stack 0
		.amdhsa_enable_private_segment 0
		.amdhsa_system_sgpr_workgroup_id_x 1
		.amdhsa_system_sgpr_workgroup_id_y 0
		.amdhsa_system_sgpr_workgroup_id_z 0
		.amdhsa_system_sgpr_workgroup_info 0
		.amdhsa_system_vgpr_workitem_id 0
		.amdhsa_next_free_vgpr 1
		.amdhsa_next_free_sgpr 1
		.amdhsa_reserve_vcc 0
		.amdhsa_float_round_mode_32 0
		.amdhsa_float_round_mode_16_64 0
		.amdhsa_float_denorm_mode_32 3
		.amdhsa_float_denorm_mode_16_64 3
		.amdhsa_fp16_overflow 0
		.amdhsa_workgroup_processor_mode 1
		.amdhsa_memory_ordered 1
		.amdhsa_forward_progress 1
		.amdhsa_inst_pref_size 0
		.amdhsa_round_robin_scheduling 0
		.amdhsa_exception_fp_ieee_invalid_op 0
		.amdhsa_exception_fp_denorm_src 0
		.amdhsa_exception_fp_ieee_div_zero 0
		.amdhsa_exception_fp_ieee_overflow 0
		.amdhsa_exception_fp_ieee_underflow 0
		.amdhsa_exception_fp_ieee_inexact 0
		.amdhsa_exception_int_div_zero 0
	.end_amdhsa_kernel
	.section	.text._ZN7rocprim17ROCPRIM_400000_NS6detail17trampoline_kernelINS0_14default_configENS1_20scan_config_selectorIdEEZZNS1_9scan_implILNS1_25lookback_scan_determinismE0ELb0ELb0ES3_PKdPddZZZN2at6native31launch_logcumsumexp_cuda_kernelERKNSB_10TensorBaseESF_lENKUlvE_clEvENKUlvE_clEvEUlddE_dEEDaPvRmT3_T4_T5_mT6_P12ihipStream_tbENKUlT_T0_E_clISt17integral_constantIbLb1EESV_IbLb0EEEEDaSR_SS_EUlSR_E_NS1_11comp_targetILNS1_3genE0ELNS1_11target_archE4294967295ELNS1_3gpuE0ELNS1_3repE0EEENS1_30default_config_static_selectorELNS0_4arch9wavefront6targetE0EEEvT1_,"axG",@progbits,_ZN7rocprim17ROCPRIM_400000_NS6detail17trampoline_kernelINS0_14default_configENS1_20scan_config_selectorIdEEZZNS1_9scan_implILNS1_25lookback_scan_determinismE0ELb0ELb0ES3_PKdPddZZZN2at6native31launch_logcumsumexp_cuda_kernelERKNSB_10TensorBaseESF_lENKUlvE_clEvENKUlvE_clEvEUlddE_dEEDaPvRmT3_T4_T5_mT6_P12ihipStream_tbENKUlT_T0_E_clISt17integral_constantIbLb1EESV_IbLb0EEEEDaSR_SS_EUlSR_E_NS1_11comp_targetILNS1_3genE0ELNS1_11target_archE4294967295ELNS1_3gpuE0ELNS1_3repE0EEENS1_30default_config_static_selectorELNS0_4arch9wavefront6targetE0EEEvT1_,comdat
.Lfunc_end47:
	.size	_ZN7rocprim17ROCPRIM_400000_NS6detail17trampoline_kernelINS0_14default_configENS1_20scan_config_selectorIdEEZZNS1_9scan_implILNS1_25lookback_scan_determinismE0ELb0ELb0ES3_PKdPddZZZN2at6native31launch_logcumsumexp_cuda_kernelERKNSB_10TensorBaseESF_lENKUlvE_clEvENKUlvE_clEvEUlddE_dEEDaPvRmT3_T4_T5_mT6_P12ihipStream_tbENKUlT_T0_E_clISt17integral_constantIbLb1EESV_IbLb0EEEEDaSR_SS_EUlSR_E_NS1_11comp_targetILNS1_3genE0ELNS1_11target_archE4294967295ELNS1_3gpuE0ELNS1_3repE0EEENS1_30default_config_static_selectorELNS0_4arch9wavefront6targetE0EEEvT1_, .Lfunc_end47-_ZN7rocprim17ROCPRIM_400000_NS6detail17trampoline_kernelINS0_14default_configENS1_20scan_config_selectorIdEEZZNS1_9scan_implILNS1_25lookback_scan_determinismE0ELb0ELb0ES3_PKdPddZZZN2at6native31launch_logcumsumexp_cuda_kernelERKNSB_10TensorBaseESF_lENKUlvE_clEvENKUlvE_clEvEUlddE_dEEDaPvRmT3_T4_T5_mT6_P12ihipStream_tbENKUlT_T0_E_clISt17integral_constantIbLb1EESV_IbLb0EEEEDaSR_SS_EUlSR_E_NS1_11comp_targetILNS1_3genE0ELNS1_11target_archE4294967295ELNS1_3gpuE0ELNS1_3repE0EEENS1_30default_config_static_selectorELNS0_4arch9wavefront6targetE0EEEvT1_
                                        ; -- End function
	.set _ZN7rocprim17ROCPRIM_400000_NS6detail17trampoline_kernelINS0_14default_configENS1_20scan_config_selectorIdEEZZNS1_9scan_implILNS1_25lookback_scan_determinismE0ELb0ELb0ES3_PKdPddZZZN2at6native31launch_logcumsumexp_cuda_kernelERKNSB_10TensorBaseESF_lENKUlvE_clEvENKUlvE_clEvEUlddE_dEEDaPvRmT3_T4_T5_mT6_P12ihipStream_tbENKUlT_T0_E_clISt17integral_constantIbLb1EESV_IbLb0EEEEDaSR_SS_EUlSR_E_NS1_11comp_targetILNS1_3genE0ELNS1_11target_archE4294967295ELNS1_3gpuE0ELNS1_3repE0EEENS1_30default_config_static_selectorELNS0_4arch9wavefront6targetE0EEEvT1_.num_vgpr, 0
	.set _ZN7rocprim17ROCPRIM_400000_NS6detail17trampoline_kernelINS0_14default_configENS1_20scan_config_selectorIdEEZZNS1_9scan_implILNS1_25lookback_scan_determinismE0ELb0ELb0ES3_PKdPddZZZN2at6native31launch_logcumsumexp_cuda_kernelERKNSB_10TensorBaseESF_lENKUlvE_clEvENKUlvE_clEvEUlddE_dEEDaPvRmT3_T4_T5_mT6_P12ihipStream_tbENKUlT_T0_E_clISt17integral_constantIbLb1EESV_IbLb0EEEEDaSR_SS_EUlSR_E_NS1_11comp_targetILNS1_3genE0ELNS1_11target_archE4294967295ELNS1_3gpuE0ELNS1_3repE0EEENS1_30default_config_static_selectorELNS0_4arch9wavefront6targetE0EEEvT1_.num_agpr, 0
	.set _ZN7rocprim17ROCPRIM_400000_NS6detail17trampoline_kernelINS0_14default_configENS1_20scan_config_selectorIdEEZZNS1_9scan_implILNS1_25lookback_scan_determinismE0ELb0ELb0ES3_PKdPddZZZN2at6native31launch_logcumsumexp_cuda_kernelERKNSB_10TensorBaseESF_lENKUlvE_clEvENKUlvE_clEvEUlddE_dEEDaPvRmT3_T4_T5_mT6_P12ihipStream_tbENKUlT_T0_E_clISt17integral_constantIbLb1EESV_IbLb0EEEEDaSR_SS_EUlSR_E_NS1_11comp_targetILNS1_3genE0ELNS1_11target_archE4294967295ELNS1_3gpuE0ELNS1_3repE0EEENS1_30default_config_static_selectorELNS0_4arch9wavefront6targetE0EEEvT1_.numbered_sgpr, 0
	.set _ZN7rocprim17ROCPRIM_400000_NS6detail17trampoline_kernelINS0_14default_configENS1_20scan_config_selectorIdEEZZNS1_9scan_implILNS1_25lookback_scan_determinismE0ELb0ELb0ES3_PKdPddZZZN2at6native31launch_logcumsumexp_cuda_kernelERKNSB_10TensorBaseESF_lENKUlvE_clEvENKUlvE_clEvEUlddE_dEEDaPvRmT3_T4_T5_mT6_P12ihipStream_tbENKUlT_T0_E_clISt17integral_constantIbLb1EESV_IbLb0EEEEDaSR_SS_EUlSR_E_NS1_11comp_targetILNS1_3genE0ELNS1_11target_archE4294967295ELNS1_3gpuE0ELNS1_3repE0EEENS1_30default_config_static_selectorELNS0_4arch9wavefront6targetE0EEEvT1_.num_named_barrier, 0
	.set _ZN7rocprim17ROCPRIM_400000_NS6detail17trampoline_kernelINS0_14default_configENS1_20scan_config_selectorIdEEZZNS1_9scan_implILNS1_25lookback_scan_determinismE0ELb0ELb0ES3_PKdPddZZZN2at6native31launch_logcumsumexp_cuda_kernelERKNSB_10TensorBaseESF_lENKUlvE_clEvENKUlvE_clEvEUlddE_dEEDaPvRmT3_T4_T5_mT6_P12ihipStream_tbENKUlT_T0_E_clISt17integral_constantIbLb1EESV_IbLb0EEEEDaSR_SS_EUlSR_E_NS1_11comp_targetILNS1_3genE0ELNS1_11target_archE4294967295ELNS1_3gpuE0ELNS1_3repE0EEENS1_30default_config_static_selectorELNS0_4arch9wavefront6targetE0EEEvT1_.private_seg_size, 0
	.set _ZN7rocprim17ROCPRIM_400000_NS6detail17trampoline_kernelINS0_14default_configENS1_20scan_config_selectorIdEEZZNS1_9scan_implILNS1_25lookback_scan_determinismE0ELb0ELb0ES3_PKdPddZZZN2at6native31launch_logcumsumexp_cuda_kernelERKNSB_10TensorBaseESF_lENKUlvE_clEvENKUlvE_clEvEUlddE_dEEDaPvRmT3_T4_T5_mT6_P12ihipStream_tbENKUlT_T0_E_clISt17integral_constantIbLb1EESV_IbLb0EEEEDaSR_SS_EUlSR_E_NS1_11comp_targetILNS1_3genE0ELNS1_11target_archE4294967295ELNS1_3gpuE0ELNS1_3repE0EEENS1_30default_config_static_selectorELNS0_4arch9wavefront6targetE0EEEvT1_.uses_vcc, 0
	.set _ZN7rocprim17ROCPRIM_400000_NS6detail17trampoline_kernelINS0_14default_configENS1_20scan_config_selectorIdEEZZNS1_9scan_implILNS1_25lookback_scan_determinismE0ELb0ELb0ES3_PKdPddZZZN2at6native31launch_logcumsumexp_cuda_kernelERKNSB_10TensorBaseESF_lENKUlvE_clEvENKUlvE_clEvEUlddE_dEEDaPvRmT3_T4_T5_mT6_P12ihipStream_tbENKUlT_T0_E_clISt17integral_constantIbLb1EESV_IbLb0EEEEDaSR_SS_EUlSR_E_NS1_11comp_targetILNS1_3genE0ELNS1_11target_archE4294967295ELNS1_3gpuE0ELNS1_3repE0EEENS1_30default_config_static_selectorELNS0_4arch9wavefront6targetE0EEEvT1_.uses_flat_scratch, 0
	.set _ZN7rocprim17ROCPRIM_400000_NS6detail17trampoline_kernelINS0_14default_configENS1_20scan_config_selectorIdEEZZNS1_9scan_implILNS1_25lookback_scan_determinismE0ELb0ELb0ES3_PKdPddZZZN2at6native31launch_logcumsumexp_cuda_kernelERKNSB_10TensorBaseESF_lENKUlvE_clEvENKUlvE_clEvEUlddE_dEEDaPvRmT3_T4_T5_mT6_P12ihipStream_tbENKUlT_T0_E_clISt17integral_constantIbLb1EESV_IbLb0EEEEDaSR_SS_EUlSR_E_NS1_11comp_targetILNS1_3genE0ELNS1_11target_archE4294967295ELNS1_3gpuE0ELNS1_3repE0EEENS1_30default_config_static_selectorELNS0_4arch9wavefront6targetE0EEEvT1_.has_dyn_sized_stack, 0
	.set _ZN7rocprim17ROCPRIM_400000_NS6detail17trampoline_kernelINS0_14default_configENS1_20scan_config_selectorIdEEZZNS1_9scan_implILNS1_25lookback_scan_determinismE0ELb0ELb0ES3_PKdPddZZZN2at6native31launch_logcumsumexp_cuda_kernelERKNSB_10TensorBaseESF_lENKUlvE_clEvENKUlvE_clEvEUlddE_dEEDaPvRmT3_T4_T5_mT6_P12ihipStream_tbENKUlT_T0_E_clISt17integral_constantIbLb1EESV_IbLb0EEEEDaSR_SS_EUlSR_E_NS1_11comp_targetILNS1_3genE0ELNS1_11target_archE4294967295ELNS1_3gpuE0ELNS1_3repE0EEENS1_30default_config_static_selectorELNS0_4arch9wavefront6targetE0EEEvT1_.has_recursion, 0
	.set _ZN7rocprim17ROCPRIM_400000_NS6detail17trampoline_kernelINS0_14default_configENS1_20scan_config_selectorIdEEZZNS1_9scan_implILNS1_25lookback_scan_determinismE0ELb0ELb0ES3_PKdPddZZZN2at6native31launch_logcumsumexp_cuda_kernelERKNSB_10TensorBaseESF_lENKUlvE_clEvENKUlvE_clEvEUlddE_dEEDaPvRmT3_T4_T5_mT6_P12ihipStream_tbENKUlT_T0_E_clISt17integral_constantIbLb1EESV_IbLb0EEEEDaSR_SS_EUlSR_E_NS1_11comp_targetILNS1_3genE0ELNS1_11target_archE4294967295ELNS1_3gpuE0ELNS1_3repE0EEENS1_30default_config_static_selectorELNS0_4arch9wavefront6targetE0EEEvT1_.has_indirect_call, 0
	.section	.AMDGPU.csdata,"",@progbits
; Kernel info:
; codeLenInByte = 0
; TotalNumSgprs: 0
; NumVgprs: 0
; ScratchSize: 0
; MemoryBound: 0
; FloatMode: 240
; IeeeMode: 1
; LDSByteSize: 0 bytes/workgroup (compile time only)
; SGPRBlocks: 0
; VGPRBlocks: 0
; NumSGPRsForWavesPerEU: 1
; NumVGPRsForWavesPerEU: 1
; Occupancy: 16
; WaveLimiterHint : 0
; COMPUTE_PGM_RSRC2:SCRATCH_EN: 0
; COMPUTE_PGM_RSRC2:USER_SGPR: 2
; COMPUTE_PGM_RSRC2:TRAP_HANDLER: 0
; COMPUTE_PGM_RSRC2:TGID_X_EN: 1
; COMPUTE_PGM_RSRC2:TGID_Y_EN: 0
; COMPUTE_PGM_RSRC2:TGID_Z_EN: 0
; COMPUTE_PGM_RSRC2:TIDIG_COMP_CNT: 0
	.section	.text._ZN7rocprim17ROCPRIM_400000_NS6detail17trampoline_kernelINS0_14default_configENS1_20scan_config_selectorIdEEZZNS1_9scan_implILNS1_25lookback_scan_determinismE0ELb0ELb0ES3_PKdPddZZZN2at6native31launch_logcumsumexp_cuda_kernelERKNSB_10TensorBaseESF_lENKUlvE_clEvENKUlvE_clEvEUlddE_dEEDaPvRmT3_T4_T5_mT6_P12ihipStream_tbENKUlT_T0_E_clISt17integral_constantIbLb1EESV_IbLb0EEEEDaSR_SS_EUlSR_E_NS1_11comp_targetILNS1_3genE5ELNS1_11target_archE942ELNS1_3gpuE9ELNS1_3repE0EEENS1_30default_config_static_selectorELNS0_4arch9wavefront6targetE0EEEvT1_,"axG",@progbits,_ZN7rocprim17ROCPRIM_400000_NS6detail17trampoline_kernelINS0_14default_configENS1_20scan_config_selectorIdEEZZNS1_9scan_implILNS1_25lookback_scan_determinismE0ELb0ELb0ES3_PKdPddZZZN2at6native31launch_logcumsumexp_cuda_kernelERKNSB_10TensorBaseESF_lENKUlvE_clEvENKUlvE_clEvEUlddE_dEEDaPvRmT3_T4_T5_mT6_P12ihipStream_tbENKUlT_T0_E_clISt17integral_constantIbLb1EESV_IbLb0EEEEDaSR_SS_EUlSR_E_NS1_11comp_targetILNS1_3genE5ELNS1_11target_archE942ELNS1_3gpuE9ELNS1_3repE0EEENS1_30default_config_static_selectorELNS0_4arch9wavefront6targetE0EEEvT1_,comdat
	.globl	_ZN7rocprim17ROCPRIM_400000_NS6detail17trampoline_kernelINS0_14default_configENS1_20scan_config_selectorIdEEZZNS1_9scan_implILNS1_25lookback_scan_determinismE0ELb0ELb0ES3_PKdPddZZZN2at6native31launch_logcumsumexp_cuda_kernelERKNSB_10TensorBaseESF_lENKUlvE_clEvENKUlvE_clEvEUlddE_dEEDaPvRmT3_T4_T5_mT6_P12ihipStream_tbENKUlT_T0_E_clISt17integral_constantIbLb1EESV_IbLb0EEEEDaSR_SS_EUlSR_E_NS1_11comp_targetILNS1_3genE5ELNS1_11target_archE942ELNS1_3gpuE9ELNS1_3repE0EEENS1_30default_config_static_selectorELNS0_4arch9wavefront6targetE0EEEvT1_ ; -- Begin function _ZN7rocprim17ROCPRIM_400000_NS6detail17trampoline_kernelINS0_14default_configENS1_20scan_config_selectorIdEEZZNS1_9scan_implILNS1_25lookback_scan_determinismE0ELb0ELb0ES3_PKdPddZZZN2at6native31launch_logcumsumexp_cuda_kernelERKNSB_10TensorBaseESF_lENKUlvE_clEvENKUlvE_clEvEUlddE_dEEDaPvRmT3_T4_T5_mT6_P12ihipStream_tbENKUlT_T0_E_clISt17integral_constantIbLb1EESV_IbLb0EEEEDaSR_SS_EUlSR_E_NS1_11comp_targetILNS1_3genE5ELNS1_11target_archE942ELNS1_3gpuE9ELNS1_3repE0EEENS1_30default_config_static_selectorELNS0_4arch9wavefront6targetE0EEEvT1_
	.p2align	8
	.type	_ZN7rocprim17ROCPRIM_400000_NS6detail17trampoline_kernelINS0_14default_configENS1_20scan_config_selectorIdEEZZNS1_9scan_implILNS1_25lookback_scan_determinismE0ELb0ELb0ES3_PKdPddZZZN2at6native31launch_logcumsumexp_cuda_kernelERKNSB_10TensorBaseESF_lENKUlvE_clEvENKUlvE_clEvEUlddE_dEEDaPvRmT3_T4_T5_mT6_P12ihipStream_tbENKUlT_T0_E_clISt17integral_constantIbLb1EESV_IbLb0EEEEDaSR_SS_EUlSR_E_NS1_11comp_targetILNS1_3genE5ELNS1_11target_archE942ELNS1_3gpuE9ELNS1_3repE0EEENS1_30default_config_static_selectorELNS0_4arch9wavefront6targetE0EEEvT1_,@function
_ZN7rocprim17ROCPRIM_400000_NS6detail17trampoline_kernelINS0_14default_configENS1_20scan_config_selectorIdEEZZNS1_9scan_implILNS1_25lookback_scan_determinismE0ELb0ELb0ES3_PKdPddZZZN2at6native31launch_logcumsumexp_cuda_kernelERKNSB_10TensorBaseESF_lENKUlvE_clEvENKUlvE_clEvEUlddE_dEEDaPvRmT3_T4_T5_mT6_P12ihipStream_tbENKUlT_T0_E_clISt17integral_constantIbLb1EESV_IbLb0EEEEDaSR_SS_EUlSR_E_NS1_11comp_targetILNS1_3genE5ELNS1_11target_archE942ELNS1_3gpuE9ELNS1_3repE0EEENS1_30default_config_static_selectorELNS0_4arch9wavefront6targetE0EEEvT1_: ; @_ZN7rocprim17ROCPRIM_400000_NS6detail17trampoline_kernelINS0_14default_configENS1_20scan_config_selectorIdEEZZNS1_9scan_implILNS1_25lookback_scan_determinismE0ELb0ELb0ES3_PKdPddZZZN2at6native31launch_logcumsumexp_cuda_kernelERKNSB_10TensorBaseESF_lENKUlvE_clEvENKUlvE_clEvEUlddE_dEEDaPvRmT3_T4_T5_mT6_P12ihipStream_tbENKUlT_T0_E_clISt17integral_constantIbLb1EESV_IbLb0EEEEDaSR_SS_EUlSR_E_NS1_11comp_targetILNS1_3genE5ELNS1_11target_archE942ELNS1_3gpuE9ELNS1_3repE0EEENS1_30default_config_static_selectorELNS0_4arch9wavefront6targetE0EEEvT1_
; %bb.0:
	.section	.rodata,"a",@progbits
	.p2align	6, 0x0
	.amdhsa_kernel _ZN7rocprim17ROCPRIM_400000_NS6detail17trampoline_kernelINS0_14default_configENS1_20scan_config_selectorIdEEZZNS1_9scan_implILNS1_25lookback_scan_determinismE0ELb0ELb0ES3_PKdPddZZZN2at6native31launch_logcumsumexp_cuda_kernelERKNSB_10TensorBaseESF_lENKUlvE_clEvENKUlvE_clEvEUlddE_dEEDaPvRmT3_T4_T5_mT6_P12ihipStream_tbENKUlT_T0_E_clISt17integral_constantIbLb1EESV_IbLb0EEEEDaSR_SS_EUlSR_E_NS1_11comp_targetILNS1_3genE5ELNS1_11target_archE942ELNS1_3gpuE9ELNS1_3repE0EEENS1_30default_config_static_selectorELNS0_4arch9wavefront6targetE0EEEvT1_
		.amdhsa_group_segment_fixed_size 0
		.amdhsa_private_segment_fixed_size 0
		.amdhsa_kernarg_size 104
		.amdhsa_user_sgpr_count 2
		.amdhsa_user_sgpr_dispatch_ptr 0
		.amdhsa_user_sgpr_queue_ptr 0
		.amdhsa_user_sgpr_kernarg_segment_ptr 1
		.amdhsa_user_sgpr_dispatch_id 0
		.amdhsa_user_sgpr_private_segment_size 0
		.amdhsa_wavefront_size32 1
		.amdhsa_uses_dynamic_stack 0
		.amdhsa_enable_private_segment 0
		.amdhsa_system_sgpr_workgroup_id_x 1
		.amdhsa_system_sgpr_workgroup_id_y 0
		.amdhsa_system_sgpr_workgroup_id_z 0
		.amdhsa_system_sgpr_workgroup_info 0
		.amdhsa_system_vgpr_workitem_id 0
		.amdhsa_next_free_vgpr 1
		.amdhsa_next_free_sgpr 1
		.amdhsa_reserve_vcc 0
		.amdhsa_float_round_mode_32 0
		.amdhsa_float_round_mode_16_64 0
		.amdhsa_float_denorm_mode_32 3
		.amdhsa_float_denorm_mode_16_64 3
		.amdhsa_fp16_overflow 0
		.amdhsa_workgroup_processor_mode 1
		.amdhsa_memory_ordered 1
		.amdhsa_forward_progress 1
		.amdhsa_inst_pref_size 0
		.amdhsa_round_robin_scheduling 0
		.amdhsa_exception_fp_ieee_invalid_op 0
		.amdhsa_exception_fp_denorm_src 0
		.amdhsa_exception_fp_ieee_div_zero 0
		.amdhsa_exception_fp_ieee_overflow 0
		.amdhsa_exception_fp_ieee_underflow 0
		.amdhsa_exception_fp_ieee_inexact 0
		.amdhsa_exception_int_div_zero 0
	.end_amdhsa_kernel
	.section	.text._ZN7rocprim17ROCPRIM_400000_NS6detail17trampoline_kernelINS0_14default_configENS1_20scan_config_selectorIdEEZZNS1_9scan_implILNS1_25lookback_scan_determinismE0ELb0ELb0ES3_PKdPddZZZN2at6native31launch_logcumsumexp_cuda_kernelERKNSB_10TensorBaseESF_lENKUlvE_clEvENKUlvE_clEvEUlddE_dEEDaPvRmT3_T4_T5_mT6_P12ihipStream_tbENKUlT_T0_E_clISt17integral_constantIbLb1EESV_IbLb0EEEEDaSR_SS_EUlSR_E_NS1_11comp_targetILNS1_3genE5ELNS1_11target_archE942ELNS1_3gpuE9ELNS1_3repE0EEENS1_30default_config_static_selectorELNS0_4arch9wavefront6targetE0EEEvT1_,"axG",@progbits,_ZN7rocprim17ROCPRIM_400000_NS6detail17trampoline_kernelINS0_14default_configENS1_20scan_config_selectorIdEEZZNS1_9scan_implILNS1_25lookback_scan_determinismE0ELb0ELb0ES3_PKdPddZZZN2at6native31launch_logcumsumexp_cuda_kernelERKNSB_10TensorBaseESF_lENKUlvE_clEvENKUlvE_clEvEUlddE_dEEDaPvRmT3_T4_T5_mT6_P12ihipStream_tbENKUlT_T0_E_clISt17integral_constantIbLb1EESV_IbLb0EEEEDaSR_SS_EUlSR_E_NS1_11comp_targetILNS1_3genE5ELNS1_11target_archE942ELNS1_3gpuE9ELNS1_3repE0EEENS1_30default_config_static_selectorELNS0_4arch9wavefront6targetE0EEEvT1_,comdat
.Lfunc_end48:
	.size	_ZN7rocprim17ROCPRIM_400000_NS6detail17trampoline_kernelINS0_14default_configENS1_20scan_config_selectorIdEEZZNS1_9scan_implILNS1_25lookback_scan_determinismE0ELb0ELb0ES3_PKdPddZZZN2at6native31launch_logcumsumexp_cuda_kernelERKNSB_10TensorBaseESF_lENKUlvE_clEvENKUlvE_clEvEUlddE_dEEDaPvRmT3_T4_T5_mT6_P12ihipStream_tbENKUlT_T0_E_clISt17integral_constantIbLb1EESV_IbLb0EEEEDaSR_SS_EUlSR_E_NS1_11comp_targetILNS1_3genE5ELNS1_11target_archE942ELNS1_3gpuE9ELNS1_3repE0EEENS1_30default_config_static_selectorELNS0_4arch9wavefront6targetE0EEEvT1_, .Lfunc_end48-_ZN7rocprim17ROCPRIM_400000_NS6detail17trampoline_kernelINS0_14default_configENS1_20scan_config_selectorIdEEZZNS1_9scan_implILNS1_25lookback_scan_determinismE0ELb0ELb0ES3_PKdPddZZZN2at6native31launch_logcumsumexp_cuda_kernelERKNSB_10TensorBaseESF_lENKUlvE_clEvENKUlvE_clEvEUlddE_dEEDaPvRmT3_T4_T5_mT6_P12ihipStream_tbENKUlT_T0_E_clISt17integral_constantIbLb1EESV_IbLb0EEEEDaSR_SS_EUlSR_E_NS1_11comp_targetILNS1_3genE5ELNS1_11target_archE942ELNS1_3gpuE9ELNS1_3repE0EEENS1_30default_config_static_selectorELNS0_4arch9wavefront6targetE0EEEvT1_
                                        ; -- End function
	.set _ZN7rocprim17ROCPRIM_400000_NS6detail17trampoline_kernelINS0_14default_configENS1_20scan_config_selectorIdEEZZNS1_9scan_implILNS1_25lookback_scan_determinismE0ELb0ELb0ES3_PKdPddZZZN2at6native31launch_logcumsumexp_cuda_kernelERKNSB_10TensorBaseESF_lENKUlvE_clEvENKUlvE_clEvEUlddE_dEEDaPvRmT3_T4_T5_mT6_P12ihipStream_tbENKUlT_T0_E_clISt17integral_constantIbLb1EESV_IbLb0EEEEDaSR_SS_EUlSR_E_NS1_11comp_targetILNS1_3genE5ELNS1_11target_archE942ELNS1_3gpuE9ELNS1_3repE0EEENS1_30default_config_static_selectorELNS0_4arch9wavefront6targetE0EEEvT1_.num_vgpr, 0
	.set _ZN7rocprim17ROCPRIM_400000_NS6detail17trampoline_kernelINS0_14default_configENS1_20scan_config_selectorIdEEZZNS1_9scan_implILNS1_25lookback_scan_determinismE0ELb0ELb0ES3_PKdPddZZZN2at6native31launch_logcumsumexp_cuda_kernelERKNSB_10TensorBaseESF_lENKUlvE_clEvENKUlvE_clEvEUlddE_dEEDaPvRmT3_T4_T5_mT6_P12ihipStream_tbENKUlT_T0_E_clISt17integral_constantIbLb1EESV_IbLb0EEEEDaSR_SS_EUlSR_E_NS1_11comp_targetILNS1_3genE5ELNS1_11target_archE942ELNS1_3gpuE9ELNS1_3repE0EEENS1_30default_config_static_selectorELNS0_4arch9wavefront6targetE0EEEvT1_.num_agpr, 0
	.set _ZN7rocprim17ROCPRIM_400000_NS6detail17trampoline_kernelINS0_14default_configENS1_20scan_config_selectorIdEEZZNS1_9scan_implILNS1_25lookback_scan_determinismE0ELb0ELb0ES3_PKdPddZZZN2at6native31launch_logcumsumexp_cuda_kernelERKNSB_10TensorBaseESF_lENKUlvE_clEvENKUlvE_clEvEUlddE_dEEDaPvRmT3_T4_T5_mT6_P12ihipStream_tbENKUlT_T0_E_clISt17integral_constantIbLb1EESV_IbLb0EEEEDaSR_SS_EUlSR_E_NS1_11comp_targetILNS1_3genE5ELNS1_11target_archE942ELNS1_3gpuE9ELNS1_3repE0EEENS1_30default_config_static_selectorELNS0_4arch9wavefront6targetE0EEEvT1_.numbered_sgpr, 0
	.set _ZN7rocprim17ROCPRIM_400000_NS6detail17trampoline_kernelINS0_14default_configENS1_20scan_config_selectorIdEEZZNS1_9scan_implILNS1_25lookback_scan_determinismE0ELb0ELb0ES3_PKdPddZZZN2at6native31launch_logcumsumexp_cuda_kernelERKNSB_10TensorBaseESF_lENKUlvE_clEvENKUlvE_clEvEUlddE_dEEDaPvRmT3_T4_T5_mT6_P12ihipStream_tbENKUlT_T0_E_clISt17integral_constantIbLb1EESV_IbLb0EEEEDaSR_SS_EUlSR_E_NS1_11comp_targetILNS1_3genE5ELNS1_11target_archE942ELNS1_3gpuE9ELNS1_3repE0EEENS1_30default_config_static_selectorELNS0_4arch9wavefront6targetE0EEEvT1_.num_named_barrier, 0
	.set _ZN7rocprim17ROCPRIM_400000_NS6detail17trampoline_kernelINS0_14default_configENS1_20scan_config_selectorIdEEZZNS1_9scan_implILNS1_25lookback_scan_determinismE0ELb0ELb0ES3_PKdPddZZZN2at6native31launch_logcumsumexp_cuda_kernelERKNSB_10TensorBaseESF_lENKUlvE_clEvENKUlvE_clEvEUlddE_dEEDaPvRmT3_T4_T5_mT6_P12ihipStream_tbENKUlT_T0_E_clISt17integral_constantIbLb1EESV_IbLb0EEEEDaSR_SS_EUlSR_E_NS1_11comp_targetILNS1_3genE5ELNS1_11target_archE942ELNS1_3gpuE9ELNS1_3repE0EEENS1_30default_config_static_selectorELNS0_4arch9wavefront6targetE0EEEvT1_.private_seg_size, 0
	.set _ZN7rocprim17ROCPRIM_400000_NS6detail17trampoline_kernelINS0_14default_configENS1_20scan_config_selectorIdEEZZNS1_9scan_implILNS1_25lookback_scan_determinismE0ELb0ELb0ES3_PKdPddZZZN2at6native31launch_logcumsumexp_cuda_kernelERKNSB_10TensorBaseESF_lENKUlvE_clEvENKUlvE_clEvEUlddE_dEEDaPvRmT3_T4_T5_mT6_P12ihipStream_tbENKUlT_T0_E_clISt17integral_constantIbLb1EESV_IbLb0EEEEDaSR_SS_EUlSR_E_NS1_11comp_targetILNS1_3genE5ELNS1_11target_archE942ELNS1_3gpuE9ELNS1_3repE0EEENS1_30default_config_static_selectorELNS0_4arch9wavefront6targetE0EEEvT1_.uses_vcc, 0
	.set _ZN7rocprim17ROCPRIM_400000_NS6detail17trampoline_kernelINS0_14default_configENS1_20scan_config_selectorIdEEZZNS1_9scan_implILNS1_25lookback_scan_determinismE0ELb0ELb0ES3_PKdPddZZZN2at6native31launch_logcumsumexp_cuda_kernelERKNSB_10TensorBaseESF_lENKUlvE_clEvENKUlvE_clEvEUlddE_dEEDaPvRmT3_T4_T5_mT6_P12ihipStream_tbENKUlT_T0_E_clISt17integral_constantIbLb1EESV_IbLb0EEEEDaSR_SS_EUlSR_E_NS1_11comp_targetILNS1_3genE5ELNS1_11target_archE942ELNS1_3gpuE9ELNS1_3repE0EEENS1_30default_config_static_selectorELNS0_4arch9wavefront6targetE0EEEvT1_.uses_flat_scratch, 0
	.set _ZN7rocprim17ROCPRIM_400000_NS6detail17trampoline_kernelINS0_14default_configENS1_20scan_config_selectorIdEEZZNS1_9scan_implILNS1_25lookback_scan_determinismE0ELb0ELb0ES3_PKdPddZZZN2at6native31launch_logcumsumexp_cuda_kernelERKNSB_10TensorBaseESF_lENKUlvE_clEvENKUlvE_clEvEUlddE_dEEDaPvRmT3_T4_T5_mT6_P12ihipStream_tbENKUlT_T0_E_clISt17integral_constantIbLb1EESV_IbLb0EEEEDaSR_SS_EUlSR_E_NS1_11comp_targetILNS1_3genE5ELNS1_11target_archE942ELNS1_3gpuE9ELNS1_3repE0EEENS1_30default_config_static_selectorELNS0_4arch9wavefront6targetE0EEEvT1_.has_dyn_sized_stack, 0
	.set _ZN7rocprim17ROCPRIM_400000_NS6detail17trampoline_kernelINS0_14default_configENS1_20scan_config_selectorIdEEZZNS1_9scan_implILNS1_25lookback_scan_determinismE0ELb0ELb0ES3_PKdPddZZZN2at6native31launch_logcumsumexp_cuda_kernelERKNSB_10TensorBaseESF_lENKUlvE_clEvENKUlvE_clEvEUlddE_dEEDaPvRmT3_T4_T5_mT6_P12ihipStream_tbENKUlT_T0_E_clISt17integral_constantIbLb1EESV_IbLb0EEEEDaSR_SS_EUlSR_E_NS1_11comp_targetILNS1_3genE5ELNS1_11target_archE942ELNS1_3gpuE9ELNS1_3repE0EEENS1_30default_config_static_selectorELNS0_4arch9wavefront6targetE0EEEvT1_.has_recursion, 0
	.set _ZN7rocprim17ROCPRIM_400000_NS6detail17trampoline_kernelINS0_14default_configENS1_20scan_config_selectorIdEEZZNS1_9scan_implILNS1_25lookback_scan_determinismE0ELb0ELb0ES3_PKdPddZZZN2at6native31launch_logcumsumexp_cuda_kernelERKNSB_10TensorBaseESF_lENKUlvE_clEvENKUlvE_clEvEUlddE_dEEDaPvRmT3_T4_T5_mT6_P12ihipStream_tbENKUlT_T0_E_clISt17integral_constantIbLb1EESV_IbLb0EEEEDaSR_SS_EUlSR_E_NS1_11comp_targetILNS1_3genE5ELNS1_11target_archE942ELNS1_3gpuE9ELNS1_3repE0EEENS1_30default_config_static_selectorELNS0_4arch9wavefront6targetE0EEEvT1_.has_indirect_call, 0
	.section	.AMDGPU.csdata,"",@progbits
; Kernel info:
; codeLenInByte = 0
; TotalNumSgprs: 0
; NumVgprs: 0
; ScratchSize: 0
; MemoryBound: 0
; FloatMode: 240
; IeeeMode: 1
; LDSByteSize: 0 bytes/workgroup (compile time only)
; SGPRBlocks: 0
; VGPRBlocks: 0
; NumSGPRsForWavesPerEU: 1
; NumVGPRsForWavesPerEU: 1
; Occupancy: 16
; WaveLimiterHint : 0
; COMPUTE_PGM_RSRC2:SCRATCH_EN: 0
; COMPUTE_PGM_RSRC2:USER_SGPR: 2
; COMPUTE_PGM_RSRC2:TRAP_HANDLER: 0
; COMPUTE_PGM_RSRC2:TGID_X_EN: 1
; COMPUTE_PGM_RSRC2:TGID_Y_EN: 0
; COMPUTE_PGM_RSRC2:TGID_Z_EN: 0
; COMPUTE_PGM_RSRC2:TIDIG_COMP_CNT: 0
	.section	.text._ZN7rocprim17ROCPRIM_400000_NS6detail17trampoline_kernelINS0_14default_configENS1_20scan_config_selectorIdEEZZNS1_9scan_implILNS1_25lookback_scan_determinismE0ELb0ELb0ES3_PKdPddZZZN2at6native31launch_logcumsumexp_cuda_kernelERKNSB_10TensorBaseESF_lENKUlvE_clEvENKUlvE_clEvEUlddE_dEEDaPvRmT3_T4_T5_mT6_P12ihipStream_tbENKUlT_T0_E_clISt17integral_constantIbLb1EESV_IbLb0EEEEDaSR_SS_EUlSR_E_NS1_11comp_targetILNS1_3genE4ELNS1_11target_archE910ELNS1_3gpuE8ELNS1_3repE0EEENS1_30default_config_static_selectorELNS0_4arch9wavefront6targetE0EEEvT1_,"axG",@progbits,_ZN7rocprim17ROCPRIM_400000_NS6detail17trampoline_kernelINS0_14default_configENS1_20scan_config_selectorIdEEZZNS1_9scan_implILNS1_25lookback_scan_determinismE0ELb0ELb0ES3_PKdPddZZZN2at6native31launch_logcumsumexp_cuda_kernelERKNSB_10TensorBaseESF_lENKUlvE_clEvENKUlvE_clEvEUlddE_dEEDaPvRmT3_T4_T5_mT6_P12ihipStream_tbENKUlT_T0_E_clISt17integral_constantIbLb1EESV_IbLb0EEEEDaSR_SS_EUlSR_E_NS1_11comp_targetILNS1_3genE4ELNS1_11target_archE910ELNS1_3gpuE8ELNS1_3repE0EEENS1_30default_config_static_selectorELNS0_4arch9wavefront6targetE0EEEvT1_,comdat
	.globl	_ZN7rocprim17ROCPRIM_400000_NS6detail17trampoline_kernelINS0_14default_configENS1_20scan_config_selectorIdEEZZNS1_9scan_implILNS1_25lookback_scan_determinismE0ELb0ELb0ES3_PKdPddZZZN2at6native31launch_logcumsumexp_cuda_kernelERKNSB_10TensorBaseESF_lENKUlvE_clEvENKUlvE_clEvEUlddE_dEEDaPvRmT3_T4_T5_mT6_P12ihipStream_tbENKUlT_T0_E_clISt17integral_constantIbLb1EESV_IbLb0EEEEDaSR_SS_EUlSR_E_NS1_11comp_targetILNS1_3genE4ELNS1_11target_archE910ELNS1_3gpuE8ELNS1_3repE0EEENS1_30default_config_static_selectorELNS0_4arch9wavefront6targetE0EEEvT1_ ; -- Begin function _ZN7rocprim17ROCPRIM_400000_NS6detail17trampoline_kernelINS0_14default_configENS1_20scan_config_selectorIdEEZZNS1_9scan_implILNS1_25lookback_scan_determinismE0ELb0ELb0ES3_PKdPddZZZN2at6native31launch_logcumsumexp_cuda_kernelERKNSB_10TensorBaseESF_lENKUlvE_clEvENKUlvE_clEvEUlddE_dEEDaPvRmT3_T4_T5_mT6_P12ihipStream_tbENKUlT_T0_E_clISt17integral_constantIbLb1EESV_IbLb0EEEEDaSR_SS_EUlSR_E_NS1_11comp_targetILNS1_3genE4ELNS1_11target_archE910ELNS1_3gpuE8ELNS1_3repE0EEENS1_30default_config_static_selectorELNS0_4arch9wavefront6targetE0EEEvT1_
	.p2align	8
	.type	_ZN7rocprim17ROCPRIM_400000_NS6detail17trampoline_kernelINS0_14default_configENS1_20scan_config_selectorIdEEZZNS1_9scan_implILNS1_25lookback_scan_determinismE0ELb0ELb0ES3_PKdPddZZZN2at6native31launch_logcumsumexp_cuda_kernelERKNSB_10TensorBaseESF_lENKUlvE_clEvENKUlvE_clEvEUlddE_dEEDaPvRmT3_T4_T5_mT6_P12ihipStream_tbENKUlT_T0_E_clISt17integral_constantIbLb1EESV_IbLb0EEEEDaSR_SS_EUlSR_E_NS1_11comp_targetILNS1_3genE4ELNS1_11target_archE910ELNS1_3gpuE8ELNS1_3repE0EEENS1_30default_config_static_selectorELNS0_4arch9wavefront6targetE0EEEvT1_,@function
_ZN7rocprim17ROCPRIM_400000_NS6detail17trampoline_kernelINS0_14default_configENS1_20scan_config_selectorIdEEZZNS1_9scan_implILNS1_25lookback_scan_determinismE0ELb0ELb0ES3_PKdPddZZZN2at6native31launch_logcumsumexp_cuda_kernelERKNSB_10TensorBaseESF_lENKUlvE_clEvENKUlvE_clEvEUlddE_dEEDaPvRmT3_T4_T5_mT6_P12ihipStream_tbENKUlT_T0_E_clISt17integral_constantIbLb1EESV_IbLb0EEEEDaSR_SS_EUlSR_E_NS1_11comp_targetILNS1_3genE4ELNS1_11target_archE910ELNS1_3gpuE8ELNS1_3repE0EEENS1_30default_config_static_selectorELNS0_4arch9wavefront6targetE0EEEvT1_: ; @_ZN7rocprim17ROCPRIM_400000_NS6detail17trampoline_kernelINS0_14default_configENS1_20scan_config_selectorIdEEZZNS1_9scan_implILNS1_25lookback_scan_determinismE0ELb0ELb0ES3_PKdPddZZZN2at6native31launch_logcumsumexp_cuda_kernelERKNSB_10TensorBaseESF_lENKUlvE_clEvENKUlvE_clEvEUlddE_dEEDaPvRmT3_T4_T5_mT6_P12ihipStream_tbENKUlT_T0_E_clISt17integral_constantIbLb1EESV_IbLb0EEEEDaSR_SS_EUlSR_E_NS1_11comp_targetILNS1_3genE4ELNS1_11target_archE910ELNS1_3gpuE8ELNS1_3repE0EEENS1_30default_config_static_selectorELNS0_4arch9wavefront6targetE0EEEvT1_
; %bb.0:
	.section	.rodata,"a",@progbits
	.p2align	6, 0x0
	.amdhsa_kernel _ZN7rocprim17ROCPRIM_400000_NS6detail17trampoline_kernelINS0_14default_configENS1_20scan_config_selectorIdEEZZNS1_9scan_implILNS1_25lookback_scan_determinismE0ELb0ELb0ES3_PKdPddZZZN2at6native31launch_logcumsumexp_cuda_kernelERKNSB_10TensorBaseESF_lENKUlvE_clEvENKUlvE_clEvEUlddE_dEEDaPvRmT3_T4_T5_mT6_P12ihipStream_tbENKUlT_T0_E_clISt17integral_constantIbLb1EESV_IbLb0EEEEDaSR_SS_EUlSR_E_NS1_11comp_targetILNS1_3genE4ELNS1_11target_archE910ELNS1_3gpuE8ELNS1_3repE0EEENS1_30default_config_static_selectorELNS0_4arch9wavefront6targetE0EEEvT1_
		.amdhsa_group_segment_fixed_size 0
		.amdhsa_private_segment_fixed_size 0
		.amdhsa_kernarg_size 104
		.amdhsa_user_sgpr_count 2
		.amdhsa_user_sgpr_dispatch_ptr 0
		.amdhsa_user_sgpr_queue_ptr 0
		.amdhsa_user_sgpr_kernarg_segment_ptr 1
		.amdhsa_user_sgpr_dispatch_id 0
		.amdhsa_user_sgpr_private_segment_size 0
		.amdhsa_wavefront_size32 1
		.amdhsa_uses_dynamic_stack 0
		.amdhsa_enable_private_segment 0
		.amdhsa_system_sgpr_workgroup_id_x 1
		.amdhsa_system_sgpr_workgroup_id_y 0
		.amdhsa_system_sgpr_workgroup_id_z 0
		.amdhsa_system_sgpr_workgroup_info 0
		.amdhsa_system_vgpr_workitem_id 0
		.amdhsa_next_free_vgpr 1
		.amdhsa_next_free_sgpr 1
		.amdhsa_reserve_vcc 0
		.amdhsa_float_round_mode_32 0
		.amdhsa_float_round_mode_16_64 0
		.amdhsa_float_denorm_mode_32 3
		.amdhsa_float_denorm_mode_16_64 3
		.amdhsa_fp16_overflow 0
		.amdhsa_workgroup_processor_mode 1
		.amdhsa_memory_ordered 1
		.amdhsa_forward_progress 1
		.amdhsa_inst_pref_size 0
		.amdhsa_round_robin_scheduling 0
		.amdhsa_exception_fp_ieee_invalid_op 0
		.amdhsa_exception_fp_denorm_src 0
		.amdhsa_exception_fp_ieee_div_zero 0
		.amdhsa_exception_fp_ieee_overflow 0
		.amdhsa_exception_fp_ieee_underflow 0
		.amdhsa_exception_fp_ieee_inexact 0
		.amdhsa_exception_int_div_zero 0
	.end_amdhsa_kernel
	.section	.text._ZN7rocprim17ROCPRIM_400000_NS6detail17trampoline_kernelINS0_14default_configENS1_20scan_config_selectorIdEEZZNS1_9scan_implILNS1_25lookback_scan_determinismE0ELb0ELb0ES3_PKdPddZZZN2at6native31launch_logcumsumexp_cuda_kernelERKNSB_10TensorBaseESF_lENKUlvE_clEvENKUlvE_clEvEUlddE_dEEDaPvRmT3_T4_T5_mT6_P12ihipStream_tbENKUlT_T0_E_clISt17integral_constantIbLb1EESV_IbLb0EEEEDaSR_SS_EUlSR_E_NS1_11comp_targetILNS1_3genE4ELNS1_11target_archE910ELNS1_3gpuE8ELNS1_3repE0EEENS1_30default_config_static_selectorELNS0_4arch9wavefront6targetE0EEEvT1_,"axG",@progbits,_ZN7rocprim17ROCPRIM_400000_NS6detail17trampoline_kernelINS0_14default_configENS1_20scan_config_selectorIdEEZZNS1_9scan_implILNS1_25lookback_scan_determinismE0ELb0ELb0ES3_PKdPddZZZN2at6native31launch_logcumsumexp_cuda_kernelERKNSB_10TensorBaseESF_lENKUlvE_clEvENKUlvE_clEvEUlddE_dEEDaPvRmT3_T4_T5_mT6_P12ihipStream_tbENKUlT_T0_E_clISt17integral_constantIbLb1EESV_IbLb0EEEEDaSR_SS_EUlSR_E_NS1_11comp_targetILNS1_3genE4ELNS1_11target_archE910ELNS1_3gpuE8ELNS1_3repE0EEENS1_30default_config_static_selectorELNS0_4arch9wavefront6targetE0EEEvT1_,comdat
.Lfunc_end49:
	.size	_ZN7rocprim17ROCPRIM_400000_NS6detail17trampoline_kernelINS0_14default_configENS1_20scan_config_selectorIdEEZZNS1_9scan_implILNS1_25lookback_scan_determinismE0ELb0ELb0ES3_PKdPddZZZN2at6native31launch_logcumsumexp_cuda_kernelERKNSB_10TensorBaseESF_lENKUlvE_clEvENKUlvE_clEvEUlddE_dEEDaPvRmT3_T4_T5_mT6_P12ihipStream_tbENKUlT_T0_E_clISt17integral_constantIbLb1EESV_IbLb0EEEEDaSR_SS_EUlSR_E_NS1_11comp_targetILNS1_3genE4ELNS1_11target_archE910ELNS1_3gpuE8ELNS1_3repE0EEENS1_30default_config_static_selectorELNS0_4arch9wavefront6targetE0EEEvT1_, .Lfunc_end49-_ZN7rocprim17ROCPRIM_400000_NS6detail17trampoline_kernelINS0_14default_configENS1_20scan_config_selectorIdEEZZNS1_9scan_implILNS1_25lookback_scan_determinismE0ELb0ELb0ES3_PKdPddZZZN2at6native31launch_logcumsumexp_cuda_kernelERKNSB_10TensorBaseESF_lENKUlvE_clEvENKUlvE_clEvEUlddE_dEEDaPvRmT3_T4_T5_mT6_P12ihipStream_tbENKUlT_T0_E_clISt17integral_constantIbLb1EESV_IbLb0EEEEDaSR_SS_EUlSR_E_NS1_11comp_targetILNS1_3genE4ELNS1_11target_archE910ELNS1_3gpuE8ELNS1_3repE0EEENS1_30default_config_static_selectorELNS0_4arch9wavefront6targetE0EEEvT1_
                                        ; -- End function
	.set _ZN7rocprim17ROCPRIM_400000_NS6detail17trampoline_kernelINS0_14default_configENS1_20scan_config_selectorIdEEZZNS1_9scan_implILNS1_25lookback_scan_determinismE0ELb0ELb0ES3_PKdPddZZZN2at6native31launch_logcumsumexp_cuda_kernelERKNSB_10TensorBaseESF_lENKUlvE_clEvENKUlvE_clEvEUlddE_dEEDaPvRmT3_T4_T5_mT6_P12ihipStream_tbENKUlT_T0_E_clISt17integral_constantIbLb1EESV_IbLb0EEEEDaSR_SS_EUlSR_E_NS1_11comp_targetILNS1_3genE4ELNS1_11target_archE910ELNS1_3gpuE8ELNS1_3repE0EEENS1_30default_config_static_selectorELNS0_4arch9wavefront6targetE0EEEvT1_.num_vgpr, 0
	.set _ZN7rocprim17ROCPRIM_400000_NS6detail17trampoline_kernelINS0_14default_configENS1_20scan_config_selectorIdEEZZNS1_9scan_implILNS1_25lookback_scan_determinismE0ELb0ELb0ES3_PKdPddZZZN2at6native31launch_logcumsumexp_cuda_kernelERKNSB_10TensorBaseESF_lENKUlvE_clEvENKUlvE_clEvEUlddE_dEEDaPvRmT3_T4_T5_mT6_P12ihipStream_tbENKUlT_T0_E_clISt17integral_constantIbLb1EESV_IbLb0EEEEDaSR_SS_EUlSR_E_NS1_11comp_targetILNS1_3genE4ELNS1_11target_archE910ELNS1_3gpuE8ELNS1_3repE0EEENS1_30default_config_static_selectorELNS0_4arch9wavefront6targetE0EEEvT1_.num_agpr, 0
	.set _ZN7rocprim17ROCPRIM_400000_NS6detail17trampoline_kernelINS0_14default_configENS1_20scan_config_selectorIdEEZZNS1_9scan_implILNS1_25lookback_scan_determinismE0ELb0ELb0ES3_PKdPddZZZN2at6native31launch_logcumsumexp_cuda_kernelERKNSB_10TensorBaseESF_lENKUlvE_clEvENKUlvE_clEvEUlddE_dEEDaPvRmT3_T4_T5_mT6_P12ihipStream_tbENKUlT_T0_E_clISt17integral_constantIbLb1EESV_IbLb0EEEEDaSR_SS_EUlSR_E_NS1_11comp_targetILNS1_3genE4ELNS1_11target_archE910ELNS1_3gpuE8ELNS1_3repE0EEENS1_30default_config_static_selectorELNS0_4arch9wavefront6targetE0EEEvT1_.numbered_sgpr, 0
	.set _ZN7rocprim17ROCPRIM_400000_NS6detail17trampoline_kernelINS0_14default_configENS1_20scan_config_selectorIdEEZZNS1_9scan_implILNS1_25lookback_scan_determinismE0ELb0ELb0ES3_PKdPddZZZN2at6native31launch_logcumsumexp_cuda_kernelERKNSB_10TensorBaseESF_lENKUlvE_clEvENKUlvE_clEvEUlddE_dEEDaPvRmT3_T4_T5_mT6_P12ihipStream_tbENKUlT_T0_E_clISt17integral_constantIbLb1EESV_IbLb0EEEEDaSR_SS_EUlSR_E_NS1_11comp_targetILNS1_3genE4ELNS1_11target_archE910ELNS1_3gpuE8ELNS1_3repE0EEENS1_30default_config_static_selectorELNS0_4arch9wavefront6targetE0EEEvT1_.num_named_barrier, 0
	.set _ZN7rocprim17ROCPRIM_400000_NS6detail17trampoline_kernelINS0_14default_configENS1_20scan_config_selectorIdEEZZNS1_9scan_implILNS1_25lookback_scan_determinismE0ELb0ELb0ES3_PKdPddZZZN2at6native31launch_logcumsumexp_cuda_kernelERKNSB_10TensorBaseESF_lENKUlvE_clEvENKUlvE_clEvEUlddE_dEEDaPvRmT3_T4_T5_mT6_P12ihipStream_tbENKUlT_T0_E_clISt17integral_constantIbLb1EESV_IbLb0EEEEDaSR_SS_EUlSR_E_NS1_11comp_targetILNS1_3genE4ELNS1_11target_archE910ELNS1_3gpuE8ELNS1_3repE0EEENS1_30default_config_static_selectorELNS0_4arch9wavefront6targetE0EEEvT1_.private_seg_size, 0
	.set _ZN7rocprim17ROCPRIM_400000_NS6detail17trampoline_kernelINS0_14default_configENS1_20scan_config_selectorIdEEZZNS1_9scan_implILNS1_25lookback_scan_determinismE0ELb0ELb0ES3_PKdPddZZZN2at6native31launch_logcumsumexp_cuda_kernelERKNSB_10TensorBaseESF_lENKUlvE_clEvENKUlvE_clEvEUlddE_dEEDaPvRmT3_T4_T5_mT6_P12ihipStream_tbENKUlT_T0_E_clISt17integral_constantIbLb1EESV_IbLb0EEEEDaSR_SS_EUlSR_E_NS1_11comp_targetILNS1_3genE4ELNS1_11target_archE910ELNS1_3gpuE8ELNS1_3repE0EEENS1_30default_config_static_selectorELNS0_4arch9wavefront6targetE0EEEvT1_.uses_vcc, 0
	.set _ZN7rocprim17ROCPRIM_400000_NS6detail17trampoline_kernelINS0_14default_configENS1_20scan_config_selectorIdEEZZNS1_9scan_implILNS1_25lookback_scan_determinismE0ELb0ELb0ES3_PKdPddZZZN2at6native31launch_logcumsumexp_cuda_kernelERKNSB_10TensorBaseESF_lENKUlvE_clEvENKUlvE_clEvEUlddE_dEEDaPvRmT3_T4_T5_mT6_P12ihipStream_tbENKUlT_T0_E_clISt17integral_constantIbLb1EESV_IbLb0EEEEDaSR_SS_EUlSR_E_NS1_11comp_targetILNS1_3genE4ELNS1_11target_archE910ELNS1_3gpuE8ELNS1_3repE0EEENS1_30default_config_static_selectorELNS0_4arch9wavefront6targetE0EEEvT1_.uses_flat_scratch, 0
	.set _ZN7rocprim17ROCPRIM_400000_NS6detail17trampoline_kernelINS0_14default_configENS1_20scan_config_selectorIdEEZZNS1_9scan_implILNS1_25lookback_scan_determinismE0ELb0ELb0ES3_PKdPddZZZN2at6native31launch_logcumsumexp_cuda_kernelERKNSB_10TensorBaseESF_lENKUlvE_clEvENKUlvE_clEvEUlddE_dEEDaPvRmT3_T4_T5_mT6_P12ihipStream_tbENKUlT_T0_E_clISt17integral_constantIbLb1EESV_IbLb0EEEEDaSR_SS_EUlSR_E_NS1_11comp_targetILNS1_3genE4ELNS1_11target_archE910ELNS1_3gpuE8ELNS1_3repE0EEENS1_30default_config_static_selectorELNS0_4arch9wavefront6targetE0EEEvT1_.has_dyn_sized_stack, 0
	.set _ZN7rocprim17ROCPRIM_400000_NS6detail17trampoline_kernelINS0_14default_configENS1_20scan_config_selectorIdEEZZNS1_9scan_implILNS1_25lookback_scan_determinismE0ELb0ELb0ES3_PKdPddZZZN2at6native31launch_logcumsumexp_cuda_kernelERKNSB_10TensorBaseESF_lENKUlvE_clEvENKUlvE_clEvEUlddE_dEEDaPvRmT3_T4_T5_mT6_P12ihipStream_tbENKUlT_T0_E_clISt17integral_constantIbLb1EESV_IbLb0EEEEDaSR_SS_EUlSR_E_NS1_11comp_targetILNS1_3genE4ELNS1_11target_archE910ELNS1_3gpuE8ELNS1_3repE0EEENS1_30default_config_static_selectorELNS0_4arch9wavefront6targetE0EEEvT1_.has_recursion, 0
	.set _ZN7rocprim17ROCPRIM_400000_NS6detail17trampoline_kernelINS0_14default_configENS1_20scan_config_selectorIdEEZZNS1_9scan_implILNS1_25lookback_scan_determinismE0ELb0ELb0ES3_PKdPddZZZN2at6native31launch_logcumsumexp_cuda_kernelERKNSB_10TensorBaseESF_lENKUlvE_clEvENKUlvE_clEvEUlddE_dEEDaPvRmT3_T4_T5_mT6_P12ihipStream_tbENKUlT_T0_E_clISt17integral_constantIbLb1EESV_IbLb0EEEEDaSR_SS_EUlSR_E_NS1_11comp_targetILNS1_3genE4ELNS1_11target_archE910ELNS1_3gpuE8ELNS1_3repE0EEENS1_30default_config_static_selectorELNS0_4arch9wavefront6targetE0EEEvT1_.has_indirect_call, 0
	.section	.AMDGPU.csdata,"",@progbits
; Kernel info:
; codeLenInByte = 0
; TotalNumSgprs: 0
; NumVgprs: 0
; ScratchSize: 0
; MemoryBound: 0
; FloatMode: 240
; IeeeMode: 1
; LDSByteSize: 0 bytes/workgroup (compile time only)
; SGPRBlocks: 0
; VGPRBlocks: 0
; NumSGPRsForWavesPerEU: 1
; NumVGPRsForWavesPerEU: 1
; Occupancy: 16
; WaveLimiterHint : 0
; COMPUTE_PGM_RSRC2:SCRATCH_EN: 0
; COMPUTE_PGM_RSRC2:USER_SGPR: 2
; COMPUTE_PGM_RSRC2:TRAP_HANDLER: 0
; COMPUTE_PGM_RSRC2:TGID_X_EN: 1
; COMPUTE_PGM_RSRC2:TGID_Y_EN: 0
; COMPUTE_PGM_RSRC2:TGID_Z_EN: 0
; COMPUTE_PGM_RSRC2:TIDIG_COMP_CNT: 0
	.section	.text._ZN7rocprim17ROCPRIM_400000_NS6detail17trampoline_kernelINS0_14default_configENS1_20scan_config_selectorIdEEZZNS1_9scan_implILNS1_25lookback_scan_determinismE0ELb0ELb0ES3_PKdPddZZZN2at6native31launch_logcumsumexp_cuda_kernelERKNSB_10TensorBaseESF_lENKUlvE_clEvENKUlvE_clEvEUlddE_dEEDaPvRmT3_T4_T5_mT6_P12ihipStream_tbENKUlT_T0_E_clISt17integral_constantIbLb1EESV_IbLb0EEEEDaSR_SS_EUlSR_E_NS1_11comp_targetILNS1_3genE3ELNS1_11target_archE908ELNS1_3gpuE7ELNS1_3repE0EEENS1_30default_config_static_selectorELNS0_4arch9wavefront6targetE0EEEvT1_,"axG",@progbits,_ZN7rocprim17ROCPRIM_400000_NS6detail17trampoline_kernelINS0_14default_configENS1_20scan_config_selectorIdEEZZNS1_9scan_implILNS1_25lookback_scan_determinismE0ELb0ELb0ES3_PKdPddZZZN2at6native31launch_logcumsumexp_cuda_kernelERKNSB_10TensorBaseESF_lENKUlvE_clEvENKUlvE_clEvEUlddE_dEEDaPvRmT3_T4_T5_mT6_P12ihipStream_tbENKUlT_T0_E_clISt17integral_constantIbLb1EESV_IbLb0EEEEDaSR_SS_EUlSR_E_NS1_11comp_targetILNS1_3genE3ELNS1_11target_archE908ELNS1_3gpuE7ELNS1_3repE0EEENS1_30default_config_static_selectorELNS0_4arch9wavefront6targetE0EEEvT1_,comdat
	.globl	_ZN7rocprim17ROCPRIM_400000_NS6detail17trampoline_kernelINS0_14default_configENS1_20scan_config_selectorIdEEZZNS1_9scan_implILNS1_25lookback_scan_determinismE0ELb0ELb0ES3_PKdPddZZZN2at6native31launch_logcumsumexp_cuda_kernelERKNSB_10TensorBaseESF_lENKUlvE_clEvENKUlvE_clEvEUlddE_dEEDaPvRmT3_T4_T5_mT6_P12ihipStream_tbENKUlT_T0_E_clISt17integral_constantIbLb1EESV_IbLb0EEEEDaSR_SS_EUlSR_E_NS1_11comp_targetILNS1_3genE3ELNS1_11target_archE908ELNS1_3gpuE7ELNS1_3repE0EEENS1_30default_config_static_selectorELNS0_4arch9wavefront6targetE0EEEvT1_ ; -- Begin function _ZN7rocprim17ROCPRIM_400000_NS6detail17trampoline_kernelINS0_14default_configENS1_20scan_config_selectorIdEEZZNS1_9scan_implILNS1_25lookback_scan_determinismE0ELb0ELb0ES3_PKdPddZZZN2at6native31launch_logcumsumexp_cuda_kernelERKNSB_10TensorBaseESF_lENKUlvE_clEvENKUlvE_clEvEUlddE_dEEDaPvRmT3_T4_T5_mT6_P12ihipStream_tbENKUlT_T0_E_clISt17integral_constantIbLb1EESV_IbLb0EEEEDaSR_SS_EUlSR_E_NS1_11comp_targetILNS1_3genE3ELNS1_11target_archE908ELNS1_3gpuE7ELNS1_3repE0EEENS1_30default_config_static_selectorELNS0_4arch9wavefront6targetE0EEEvT1_
	.p2align	8
	.type	_ZN7rocprim17ROCPRIM_400000_NS6detail17trampoline_kernelINS0_14default_configENS1_20scan_config_selectorIdEEZZNS1_9scan_implILNS1_25lookback_scan_determinismE0ELb0ELb0ES3_PKdPddZZZN2at6native31launch_logcumsumexp_cuda_kernelERKNSB_10TensorBaseESF_lENKUlvE_clEvENKUlvE_clEvEUlddE_dEEDaPvRmT3_T4_T5_mT6_P12ihipStream_tbENKUlT_T0_E_clISt17integral_constantIbLb1EESV_IbLb0EEEEDaSR_SS_EUlSR_E_NS1_11comp_targetILNS1_3genE3ELNS1_11target_archE908ELNS1_3gpuE7ELNS1_3repE0EEENS1_30default_config_static_selectorELNS0_4arch9wavefront6targetE0EEEvT1_,@function
_ZN7rocprim17ROCPRIM_400000_NS6detail17trampoline_kernelINS0_14default_configENS1_20scan_config_selectorIdEEZZNS1_9scan_implILNS1_25lookback_scan_determinismE0ELb0ELb0ES3_PKdPddZZZN2at6native31launch_logcumsumexp_cuda_kernelERKNSB_10TensorBaseESF_lENKUlvE_clEvENKUlvE_clEvEUlddE_dEEDaPvRmT3_T4_T5_mT6_P12ihipStream_tbENKUlT_T0_E_clISt17integral_constantIbLb1EESV_IbLb0EEEEDaSR_SS_EUlSR_E_NS1_11comp_targetILNS1_3genE3ELNS1_11target_archE908ELNS1_3gpuE7ELNS1_3repE0EEENS1_30default_config_static_selectorELNS0_4arch9wavefront6targetE0EEEvT1_: ; @_ZN7rocprim17ROCPRIM_400000_NS6detail17trampoline_kernelINS0_14default_configENS1_20scan_config_selectorIdEEZZNS1_9scan_implILNS1_25lookback_scan_determinismE0ELb0ELb0ES3_PKdPddZZZN2at6native31launch_logcumsumexp_cuda_kernelERKNSB_10TensorBaseESF_lENKUlvE_clEvENKUlvE_clEvEUlddE_dEEDaPvRmT3_T4_T5_mT6_P12ihipStream_tbENKUlT_T0_E_clISt17integral_constantIbLb1EESV_IbLb0EEEEDaSR_SS_EUlSR_E_NS1_11comp_targetILNS1_3genE3ELNS1_11target_archE908ELNS1_3gpuE7ELNS1_3repE0EEENS1_30default_config_static_selectorELNS0_4arch9wavefront6targetE0EEEvT1_
; %bb.0:
	.section	.rodata,"a",@progbits
	.p2align	6, 0x0
	.amdhsa_kernel _ZN7rocprim17ROCPRIM_400000_NS6detail17trampoline_kernelINS0_14default_configENS1_20scan_config_selectorIdEEZZNS1_9scan_implILNS1_25lookback_scan_determinismE0ELb0ELb0ES3_PKdPddZZZN2at6native31launch_logcumsumexp_cuda_kernelERKNSB_10TensorBaseESF_lENKUlvE_clEvENKUlvE_clEvEUlddE_dEEDaPvRmT3_T4_T5_mT6_P12ihipStream_tbENKUlT_T0_E_clISt17integral_constantIbLb1EESV_IbLb0EEEEDaSR_SS_EUlSR_E_NS1_11comp_targetILNS1_3genE3ELNS1_11target_archE908ELNS1_3gpuE7ELNS1_3repE0EEENS1_30default_config_static_selectorELNS0_4arch9wavefront6targetE0EEEvT1_
		.amdhsa_group_segment_fixed_size 0
		.amdhsa_private_segment_fixed_size 0
		.amdhsa_kernarg_size 104
		.amdhsa_user_sgpr_count 2
		.amdhsa_user_sgpr_dispatch_ptr 0
		.amdhsa_user_sgpr_queue_ptr 0
		.amdhsa_user_sgpr_kernarg_segment_ptr 1
		.amdhsa_user_sgpr_dispatch_id 0
		.amdhsa_user_sgpr_private_segment_size 0
		.amdhsa_wavefront_size32 1
		.amdhsa_uses_dynamic_stack 0
		.amdhsa_enable_private_segment 0
		.amdhsa_system_sgpr_workgroup_id_x 1
		.amdhsa_system_sgpr_workgroup_id_y 0
		.amdhsa_system_sgpr_workgroup_id_z 0
		.amdhsa_system_sgpr_workgroup_info 0
		.amdhsa_system_vgpr_workitem_id 0
		.amdhsa_next_free_vgpr 1
		.amdhsa_next_free_sgpr 1
		.amdhsa_reserve_vcc 0
		.amdhsa_float_round_mode_32 0
		.amdhsa_float_round_mode_16_64 0
		.amdhsa_float_denorm_mode_32 3
		.amdhsa_float_denorm_mode_16_64 3
		.amdhsa_fp16_overflow 0
		.amdhsa_workgroup_processor_mode 1
		.amdhsa_memory_ordered 1
		.amdhsa_forward_progress 1
		.amdhsa_inst_pref_size 0
		.amdhsa_round_robin_scheduling 0
		.amdhsa_exception_fp_ieee_invalid_op 0
		.amdhsa_exception_fp_denorm_src 0
		.amdhsa_exception_fp_ieee_div_zero 0
		.amdhsa_exception_fp_ieee_overflow 0
		.amdhsa_exception_fp_ieee_underflow 0
		.amdhsa_exception_fp_ieee_inexact 0
		.amdhsa_exception_int_div_zero 0
	.end_amdhsa_kernel
	.section	.text._ZN7rocprim17ROCPRIM_400000_NS6detail17trampoline_kernelINS0_14default_configENS1_20scan_config_selectorIdEEZZNS1_9scan_implILNS1_25lookback_scan_determinismE0ELb0ELb0ES3_PKdPddZZZN2at6native31launch_logcumsumexp_cuda_kernelERKNSB_10TensorBaseESF_lENKUlvE_clEvENKUlvE_clEvEUlddE_dEEDaPvRmT3_T4_T5_mT6_P12ihipStream_tbENKUlT_T0_E_clISt17integral_constantIbLb1EESV_IbLb0EEEEDaSR_SS_EUlSR_E_NS1_11comp_targetILNS1_3genE3ELNS1_11target_archE908ELNS1_3gpuE7ELNS1_3repE0EEENS1_30default_config_static_selectorELNS0_4arch9wavefront6targetE0EEEvT1_,"axG",@progbits,_ZN7rocprim17ROCPRIM_400000_NS6detail17trampoline_kernelINS0_14default_configENS1_20scan_config_selectorIdEEZZNS1_9scan_implILNS1_25lookback_scan_determinismE0ELb0ELb0ES3_PKdPddZZZN2at6native31launch_logcumsumexp_cuda_kernelERKNSB_10TensorBaseESF_lENKUlvE_clEvENKUlvE_clEvEUlddE_dEEDaPvRmT3_T4_T5_mT6_P12ihipStream_tbENKUlT_T0_E_clISt17integral_constantIbLb1EESV_IbLb0EEEEDaSR_SS_EUlSR_E_NS1_11comp_targetILNS1_3genE3ELNS1_11target_archE908ELNS1_3gpuE7ELNS1_3repE0EEENS1_30default_config_static_selectorELNS0_4arch9wavefront6targetE0EEEvT1_,comdat
.Lfunc_end50:
	.size	_ZN7rocprim17ROCPRIM_400000_NS6detail17trampoline_kernelINS0_14default_configENS1_20scan_config_selectorIdEEZZNS1_9scan_implILNS1_25lookback_scan_determinismE0ELb0ELb0ES3_PKdPddZZZN2at6native31launch_logcumsumexp_cuda_kernelERKNSB_10TensorBaseESF_lENKUlvE_clEvENKUlvE_clEvEUlddE_dEEDaPvRmT3_T4_T5_mT6_P12ihipStream_tbENKUlT_T0_E_clISt17integral_constantIbLb1EESV_IbLb0EEEEDaSR_SS_EUlSR_E_NS1_11comp_targetILNS1_3genE3ELNS1_11target_archE908ELNS1_3gpuE7ELNS1_3repE0EEENS1_30default_config_static_selectorELNS0_4arch9wavefront6targetE0EEEvT1_, .Lfunc_end50-_ZN7rocprim17ROCPRIM_400000_NS6detail17trampoline_kernelINS0_14default_configENS1_20scan_config_selectorIdEEZZNS1_9scan_implILNS1_25lookback_scan_determinismE0ELb0ELb0ES3_PKdPddZZZN2at6native31launch_logcumsumexp_cuda_kernelERKNSB_10TensorBaseESF_lENKUlvE_clEvENKUlvE_clEvEUlddE_dEEDaPvRmT3_T4_T5_mT6_P12ihipStream_tbENKUlT_T0_E_clISt17integral_constantIbLb1EESV_IbLb0EEEEDaSR_SS_EUlSR_E_NS1_11comp_targetILNS1_3genE3ELNS1_11target_archE908ELNS1_3gpuE7ELNS1_3repE0EEENS1_30default_config_static_selectorELNS0_4arch9wavefront6targetE0EEEvT1_
                                        ; -- End function
	.set _ZN7rocprim17ROCPRIM_400000_NS6detail17trampoline_kernelINS0_14default_configENS1_20scan_config_selectorIdEEZZNS1_9scan_implILNS1_25lookback_scan_determinismE0ELb0ELb0ES3_PKdPddZZZN2at6native31launch_logcumsumexp_cuda_kernelERKNSB_10TensorBaseESF_lENKUlvE_clEvENKUlvE_clEvEUlddE_dEEDaPvRmT3_T4_T5_mT6_P12ihipStream_tbENKUlT_T0_E_clISt17integral_constantIbLb1EESV_IbLb0EEEEDaSR_SS_EUlSR_E_NS1_11comp_targetILNS1_3genE3ELNS1_11target_archE908ELNS1_3gpuE7ELNS1_3repE0EEENS1_30default_config_static_selectorELNS0_4arch9wavefront6targetE0EEEvT1_.num_vgpr, 0
	.set _ZN7rocprim17ROCPRIM_400000_NS6detail17trampoline_kernelINS0_14default_configENS1_20scan_config_selectorIdEEZZNS1_9scan_implILNS1_25lookback_scan_determinismE0ELb0ELb0ES3_PKdPddZZZN2at6native31launch_logcumsumexp_cuda_kernelERKNSB_10TensorBaseESF_lENKUlvE_clEvENKUlvE_clEvEUlddE_dEEDaPvRmT3_T4_T5_mT6_P12ihipStream_tbENKUlT_T0_E_clISt17integral_constantIbLb1EESV_IbLb0EEEEDaSR_SS_EUlSR_E_NS1_11comp_targetILNS1_3genE3ELNS1_11target_archE908ELNS1_3gpuE7ELNS1_3repE0EEENS1_30default_config_static_selectorELNS0_4arch9wavefront6targetE0EEEvT1_.num_agpr, 0
	.set _ZN7rocprim17ROCPRIM_400000_NS6detail17trampoline_kernelINS0_14default_configENS1_20scan_config_selectorIdEEZZNS1_9scan_implILNS1_25lookback_scan_determinismE0ELb0ELb0ES3_PKdPddZZZN2at6native31launch_logcumsumexp_cuda_kernelERKNSB_10TensorBaseESF_lENKUlvE_clEvENKUlvE_clEvEUlddE_dEEDaPvRmT3_T4_T5_mT6_P12ihipStream_tbENKUlT_T0_E_clISt17integral_constantIbLb1EESV_IbLb0EEEEDaSR_SS_EUlSR_E_NS1_11comp_targetILNS1_3genE3ELNS1_11target_archE908ELNS1_3gpuE7ELNS1_3repE0EEENS1_30default_config_static_selectorELNS0_4arch9wavefront6targetE0EEEvT1_.numbered_sgpr, 0
	.set _ZN7rocprim17ROCPRIM_400000_NS6detail17trampoline_kernelINS0_14default_configENS1_20scan_config_selectorIdEEZZNS1_9scan_implILNS1_25lookback_scan_determinismE0ELb0ELb0ES3_PKdPddZZZN2at6native31launch_logcumsumexp_cuda_kernelERKNSB_10TensorBaseESF_lENKUlvE_clEvENKUlvE_clEvEUlddE_dEEDaPvRmT3_T4_T5_mT6_P12ihipStream_tbENKUlT_T0_E_clISt17integral_constantIbLb1EESV_IbLb0EEEEDaSR_SS_EUlSR_E_NS1_11comp_targetILNS1_3genE3ELNS1_11target_archE908ELNS1_3gpuE7ELNS1_3repE0EEENS1_30default_config_static_selectorELNS0_4arch9wavefront6targetE0EEEvT1_.num_named_barrier, 0
	.set _ZN7rocprim17ROCPRIM_400000_NS6detail17trampoline_kernelINS0_14default_configENS1_20scan_config_selectorIdEEZZNS1_9scan_implILNS1_25lookback_scan_determinismE0ELb0ELb0ES3_PKdPddZZZN2at6native31launch_logcumsumexp_cuda_kernelERKNSB_10TensorBaseESF_lENKUlvE_clEvENKUlvE_clEvEUlddE_dEEDaPvRmT3_T4_T5_mT6_P12ihipStream_tbENKUlT_T0_E_clISt17integral_constantIbLb1EESV_IbLb0EEEEDaSR_SS_EUlSR_E_NS1_11comp_targetILNS1_3genE3ELNS1_11target_archE908ELNS1_3gpuE7ELNS1_3repE0EEENS1_30default_config_static_selectorELNS0_4arch9wavefront6targetE0EEEvT1_.private_seg_size, 0
	.set _ZN7rocprim17ROCPRIM_400000_NS6detail17trampoline_kernelINS0_14default_configENS1_20scan_config_selectorIdEEZZNS1_9scan_implILNS1_25lookback_scan_determinismE0ELb0ELb0ES3_PKdPddZZZN2at6native31launch_logcumsumexp_cuda_kernelERKNSB_10TensorBaseESF_lENKUlvE_clEvENKUlvE_clEvEUlddE_dEEDaPvRmT3_T4_T5_mT6_P12ihipStream_tbENKUlT_T0_E_clISt17integral_constantIbLb1EESV_IbLb0EEEEDaSR_SS_EUlSR_E_NS1_11comp_targetILNS1_3genE3ELNS1_11target_archE908ELNS1_3gpuE7ELNS1_3repE0EEENS1_30default_config_static_selectorELNS0_4arch9wavefront6targetE0EEEvT1_.uses_vcc, 0
	.set _ZN7rocprim17ROCPRIM_400000_NS6detail17trampoline_kernelINS0_14default_configENS1_20scan_config_selectorIdEEZZNS1_9scan_implILNS1_25lookback_scan_determinismE0ELb0ELb0ES3_PKdPddZZZN2at6native31launch_logcumsumexp_cuda_kernelERKNSB_10TensorBaseESF_lENKUlvE_clEvENKUlvE_clEvEUlddE_dEEDaPvRmT3_T4_T5_mT6_P12ihipStream_tbENKUlT_T0_E_clISt17integral_constantIbLb1EESV_IbLb0EEEEDaSR_SS_EUlSR_E_NS1_11comp_targetILNS1_3genE3ELNS1_11target_archE908ELNS1_3gpuE7ELNS1_3repE0EEENS1_30default_config_static_selectorELNS0_4arch9wavefront6targetE0EEEvT1_.uses_flat_scratch, 0
	.set _ZN7rocprim17ROCPRIM_400000_NS6detail17trampoline_kernelINS0_14default_configENS1_20scan_config_selectorIdEEZZNS1_9scan_implILNS1_25lookback_scan_determinismE0ELb0ELb0ES3_PKdPddZZZN2at6native31launch_logcumsumexp_cuda_kernelERKNSB_10TensorBaseESF_lENKUlvE_clEvENKUlvE_clEvEUlddE_dEEDaPvRmT3_T4_T5_mT6_P12ihipStream_tbENKUlT_T0_E_clISt17integral_constantIbLb1EESV_IbLb0EEEEDaSR_SS_EUlSR_E_NS1_11comp_targetILNS1_3genE3ELNS1_11target_archE908ELNS1_3gpuE7ELNS1_3repE0EEENS1_30default_config_static_selectorELNS0_4arch9wavefront6targetE0EEEvT1_.has_dyn_sized_stack, 0
	.set _ZN7rocprim17ROCPRIM_400000_NS6detail17trampoline_kernelINS0_14default_configENS1_20scan_config_selectorIdEEZZNS1_9scan_implILNS1_25lookback_scan_determinismE0ELb0ELb0ES3_PKdPddZZZN2at6native31launch_logcumsumexp_cuda_kernelERKNSB_10TensorBaseESF_lENKUlvE_clEvENKUlvE_clEvEUlddE_dEEDaPvRmT3_T4_T5_mT6_P12ihipStream_tbENKUlT_T0_E_clISt17integral_constantIbLb1EESV_IbLb0EEEEDaSR_SS_EUlSR_E_NS1_11comp_targetILNS1_3genE3ELNS1_11target_archE908ELNS1_3gpuE7ELNS1_3repE0EEENS1_30default_config_static_selectorELNS0_4arch9wavefront6targetE0EEEvT1_.has_recursion, 0
	.set _ZN7rocprim17ROCPRIM_400000_NS6detail17trampoline_kernelINS0_14default_configENS1_20scan_config_selectorIdEEZZNS1_9scan_implILNS1_25lookback_scan_determinismE0ELb0ELb0ES3_PKdPddZZZN2at6native31launch_logcumsumexp_cuda_kernelERKNSB_10TensorBaseESF_lENKUlvE_clEvENKUlvE_clEvEUlddE_dEEDaPvRmT3_T4_T5_mT6_P12ihipStream_tbENKUlT_T0_E_clISt17integral_constantIbLb1EESV_IbLb0EEEEDaSR_SS_EUlSR_E_NS1_11comp_targetILNS1_3genE3ELNS1_11target_archE908ELNS1_3gpuE7ELNS1_3repE0EEENS1_30default_config_static_selectorELNS0_4arch9wavefront6targetE0EEEvT1_.has_indirect_call, 0
	.section	.AMDGPU.csdata,"",@progbits
; Kernel info:
; codeLenInByte = 0
; TotalNumSgprs: 0
; NumVgprs: 0
; ScratchSize: 0
; MemoryBound: 0
; FloatMode: 240
; IeeeMode: 1
; LDSByteSize: 0 bytes/workgroup (compile time only)
; SGPRBlocks: 0
; VGPRBlocks: 0
; NumSGPRsForWavesPerEU: 1
; NumVGPRsForWavesPerEU: 1
; Occupancy: 16
; WaveLimiterHint : 0
; COMPUTE_PGM_RSRC2:SCRATCH_EN: 0
; COMPUTE_PGM_RSRC2:USER_SGPR: 2
; COMPUTE_PGM_RSRC2:TRAP_HANDLER: 0
; COMPUTE_PGM_RSRC2:TGID_X_EN: 1
; COMPUTE_PGM_RSRC2:TGID_Y_EN: 0
; COMPUTE_PGM_RSRC2:TGID_Z_EN: 0
; COMPUTE_PGM_RSRC2:TIDIG_COMP_CNT: 0
	.section	.text._ZN7rocprim17ROCPRIM_400000_NS6detail17trampoline_kernelINS0_14default_configENS1_20scan_config_selectorIdEEZZNS1_9scan_implILNS1_25lookback_scan_determinismE0ELb0ELb0ES3_PKdPddZZZN2at6native31launch_logcumsumexp_cuda_kernelERKNSB_10TensorBaseESF_lENKUlvE_clEvENKUlvE_clEvEUlddE_dEEDaPvRmT3_T4_T5_mT6_P12ihipStream_tbENKUlT_T0_E_clISt17integral_constantIbLb1EESV_IbLb0EEEEDaSR_SS_EUlSR_E_NS1_11comp_targetILNS1_3genE2ELNS1_11target_archE906ELNS1_3gpuE6ELNS1_3repE0EEENS1_30default_config_static_selectorELNS0_4arch9wavefront6targetE0EEEvT1_,"axG",@progbits,_ZN7rocprim17ROCPRIM_400000_NS6detail17trampoline_kernelINS0_14default_configENS1_20scan_config_selectorIdEEZZNS1_9scan_implILNS1_25lookback_scan_determinismE0ELb0ELb0ES3_PKdPddZZZN2at6native31launch_logcumsumexp_cuda_kernelERKNSB_10TensorBaseESF_lENKUlvE_clEvENKUlvE_clEvEUlddE_dEEDaPvRmT3_T4_T5_mT6_P12ihipStream_tbENKUlT_T0_E_clISt17integral_constantIbLb1EESV_IbLb0EEEEDaSR_SS_EUlSR_E_NS1_11comp_targetILNS1_3genE2ELNS1_11target_archE906ELNS1_3gpuE6ELNS1_3repE0EEENS1_30default_config_static_selectorELNS0_4arch9wavefront6targetE0EEEvT1_,comdat
	.globl	_ZN7rocprim17ROCPRIM_400000_NS6detail17trampoline_kernelINS0_14default_configENS1_20scan_config_selectorIdEEZZNS1_9scan_implILNS1_25lookback_scan_determinismE0ELb0ELb0ES3_PKdPddZZZN2at6native31launch_logcumsumexp_cuda_kernelERKNSB_10TensorBaseESF_lENKUlvE_clEvENKUlvE_clEvEUlddE_dEEDaPvRmT3_T4_T5_mT6_P12ihipStream_tbENKUlT_T0_E_clISt17integral_constantIbLb1EESV_IbLb0EEEEDaSR_SS_EUlSR_E_NS1_11comp_targetILNS1_3genE2ELNS1_11target_archE906ELNS1_3gpuE6ELNS1_3repE0EEENS1_30default_config_static_selectorELNS0_4arch9wavefront6targetE0EEEvT1_ ; -- Begin function _ZN7rocprim17ROCPRIM_400000_NS6detail17trampoline_kernelINS0_14default_configENS1_20scan_config_selectorIdEEZZNS1_9scan_implILNS1_25lookback_scan_determinismE0ELb0ELb0ES3_PKdPddZZZN2at6native31launch_logcumsumexp_cuda_kernelERKNSB_10TensorBaseESF_lENKUlvE_clEvENKUlvE_clEvEUlddE_dEEDaPvRmT3_T4_T5_mT6_P12ihipStream_tbENKUlT_T0_E_clISt17integral_constantIbLb1EESV_IbLb0EEEEDaSR_SS_EUlSR_E_NS1_11comp_targetILNS1_3genE2ELNS1_11target_archE906ELNS1_3gpuE6ELNS1_3repE0EEENS1_30default_config_static_selectorELNS0_4arch9wavefront6targetE0EEEvT1_
	.p2align	8
	.type	_ZN7rocprim17ROCPRIM_400000_NS6detail17trampoline_kernelINS0_14default_configENS1_20scan_config_selectorIdEEZZNS1_9scan_implILNS1_25lookback_scan_determinismE0ELb0ELb0ES3_PKdPddZZZN2at6native31launch_logcumsumexp_cuda_kernelERKNSB_10TensorBaseESF_lENKUlvE_clEvENKUlvE_clEvEUlddE_dEEDaPvRmT3_T4_T5_mT6_P12ihipStream_tbENKUlT_T0_E_clISt17integral_constantIbLb1EESV_IbLb0EEEEDaSR_SS_EUlSR_E_NS1_11comp_targetILNS1_3genE2ELNS1_11target_archE906ELNS1_3gpuE6ELNS1_3repE0EEENS1_30default_config_static_selectorELNS0_4arch9wavefront6targetE0EEEvT1_,@function
_ZN7rocprim17ROCPRIM_400000_NS6detail17trampoline_kernelINS0_14default_configENS1_20scan_config_selectorIdEEZZNS1_9scan_implILNS1_25lookback_scan_determinismE0ELb0ELb0ES3_PKdPddZZZN2at6native31launch_logcumsumexp_cuda_kernelERKNSB_10TensorBaseESF_lENKUlvE_clEvENKUlvE_clEvEUlddE_dEEDaPvRmT3_T4_T5_mT6_P12ihipStream_tbENKUlT_T0_E_clISt17integral_constantIbLb1EESV_IbLb0EEEEDaSR_SS_EUlSR_E_NS1_11comp_targetILNS1_3genE2ELNS1_11target_archE906ELNS1_3gpuE6ELNS1_3repE0EEENS1_30default_config_static_selectorELNS0_4arch9wavefront6targetE0EEEvT1_: ; @_ZN7rocprim17ROCPRIM_400000_NS6detail17trampoline_kernelINS0_14default_configENS1_20scan_config_selectorIdEEZZNS1_9scan_implILNS1_25lookback_scan_determinismE0ELb0ELb0ES3_PKdPddZZZN2at6native31launch_logcumsumexp_cuda_kernelERKNSB_10TensorBaseESF_lENKUlvE_clEvENKUlvE_clEvEUlddE_dEEDaPvRmT3_T4_T5_mT6_P12ihipStream_tbENKUlT_T0_E_clISt17integral_constantIbLb1EESV_IbLb0EEEEDaSR_SS_EUlSR_E_NS1_11comp_targetILNS1_3genE2ELNS1_11target_archE906ELNS1_3gpuE6ELNS1_3repE0EEENS1_30default_config_static_selectorELNS0_4arch9wavefront6targetE0EEEvT1_
; %bb.0:
	.section	.rodata,"a",@progbits
	.p2align	6, 0x0
	.amdhsa_kernel _ZN7rocprim17ROCPRIM_400000_NS6detail17trampoline_kernelINS0_14default_configENS1_20scan_config_selectorIdEEZZNS1_9scan_implILNS1_25lookback_scan_determinismE0ELb0ELb0ES3_PKdPddZZZN2at6native31launch_logcumsumexp_cuda_kernelERKNSB_10TensorBaseESF_lENKUlvE_clEvENKUlvE_clEvEUlddE_dEEDaPvRmT3_T4_T5_mT6_P12ihipStream_tbENKUlT_T0_E_clISt17integral_constantIbLb1EESV_IbLb0EEEEDaSR_SS_EUlSR_E_NS1_11comp_targetILNS1_3genE2ELNS1_11target_archE906ELNS1_3gpuE6ELNS1_3repE0EEENS1_30default_config_static_selectorELNS0_4arch9wavefront6targetE0EEEvT1_
		.amdhsa_group_segment_fixed_size 0
		.amdhsa_private_segment_fixed_size 0
		.amdhsa_kernarg_size 104
		.amdhsa_user_sgpr_count 2
		.amdhsa_user_sgpr_dispatch_ptr 0
		.amdhsa_user_sgpr_queue_ptr 0
		.amdhsa_user_sgpr_kernarg_segment_ptr 1
		.amdhsa_user_sgpr_dispatch_id 0
		.amdhsa_user_sgpr_private_segment_size 0
		.amdhsa_wavefront_size32 1
		.amdhsa_uses_dynamic_stack 0
		.amdhsa_enable_private_segment 0
		.amdhsa_system_sgpr_workgroup_id_x 1
		.amdhsa_system_sgpr_workgroup_id_y 0
		.amdhsa_system_sgpr_workgroup_id_z 0
		.amdhsa_system_sgpr_workgroup_info 0
		.amdhsa_system_vgpr_workitem_id 0
		.amdhsa_next_free_vgpr 1
		.amdhsa_next_free_sgpr 1
		.amdhsa_reserve_vcc 0
		.amdhsa_float_round_mode_32 0
		.amdhsa_float_round_mode_16_64 0
		.amdhsa_float_denorm_mode_32 3
		.amdhsa_float_denorm_mode_16_64 3
		.amdhsa_fp16_overflow 0
		.amdhsa_workgroup_processor_mode 1
		.amdhsa_memory_ordered 1
		.amdhsa_forward_progress 1
		.amdhsa_inst_pref_size 0
		.amdhsa_round_robin_scheduling 0
		.amdhsa_exception_fp_ieee_invalid_op 0
		.amdhsa_exception_fp_denorm_src 0
		.amdhsa_exception_fp_ieee_div_zero 0
		.amdhsa_exception_fp_ieee_overflow 0
		.amdhsa_exception_fp_ieee_underflow 0
		.amdhsa_exception_fp_ieee_inexact 0
		.amdhsa_exception_int_div_zero 0
	.end_amdhsa_kernel
	.section	.text._ZN7rocprim17ROCPRIM_400000_NS6detail17trampoline_kernelINS0_14default_configENS1_20scan_config_selectorIdEEZZNS1_9scan_implILNS1_25lookback_scan_determinismE0ELb0ELb0ES3_PKdPddZZZN2at6native31launch_logcumsumexp_cuda_kernelERKNSB_10TensorBaseESF_lENKUlvE_clEvENKUlvE_clEvEUlddE_dEEDaPvRmT3_T4_T5_mT6_P12ihipStream_tbENKUlT_T0_E_clISt17integral_constantIbLb1EESV_IbLb0EEEEDaSR_SS_EUlSR_E_NS1_11comp_targetILNS1_3genE2ELNS1_11target_archE906ELNS1_3gpuE6ELNS1_3repE0EEENS1_30default_config_static_selectorELNS0_4arch9wavefront6targetE0EEEvT1_,"axG",@progbits,_ZN7rocprim17ROCPRIM_400000_NS6detail17trampoline_kernelINS0_14default_configENS1_20scan_config_selectorIdEEZZNS1_9scan_implILNS1_25lookback_scan_determinismE0ELb0ELb0ES3_PKdPddZZZN2at6native31launch_logcumsumexp_cuda_kernelERKNSB_10TensorBaseESF_lENKUlvE_clEvENKUlvE_clEvEUlddE_dEEDaPvRmT3_T4_T5_mT6_P12ihipStream_tbENKUlT_T0_E_clISt17integral_constantIbLb1EESV_IbLb0EEEEDaSR_SS_EUlSR_E_NS1_11comp_targetILNS1_3genE2ELNS1_11target_archE906ELNS1_3gpuE6ELNS1_3repE0EEENS1_30default_config_static_selectorELNS0_4arch9wavefront6targetE0EEEvT1_,comdat
.Lfunc_end51:
	.size	_ZN7rocprim17ROCPRIM_400000_NS6detail17trampoline_kernelINS0_14default_configENS1_20scan_config_selectorIdEEZZNS1_9scan_implILNS1_25lookback_scan_determinismE0ELb0ELb0ES3_PKdPddZZZN2at6native31launch_logcumsumexp_cuda_kernelERKNSB_10TensorBaseESF_lENKUlvE_clEvENKUlvE_clEvEUlddE_dEEDaPvRmT3_T4_T5_mT6_P12ihipStream_tbENKUlT_T0_E_clISt17integral_constantIbLb1EESV_IbLb0EEEEDaSR_SS_EUlSR_E_NS1_11comp_targetILNS1_3genE2ELNS1_11target_archE906ELNS1_3gpuE6ELNS1_3repE0EEENS1_30default_config_static_selectorELNS0_4arch9wavefront6targetE0EEEvT1_, .Lfunc_end51-_ZN7rocprim17ROCPRIM_400000_NS6detail17trampoline_kernelINS0_14default_configENS1_20scan_config_selectorIdEEZZNS1_9scan_implILNS1_25lookback_scan_determinismE0ELb0ELb0ES3_PKdPddZZZN2at6native31launch_logcumsumexp_cuda_kernelERKNSB_10TensorBaseESF_lENKUlvE_clEvENKUlvE_clEvEUlddE_dEEDaPvRmT3_T4_T5_mT6_P12ihipStream_tbENKUlT_T0_E_clISt17integral_constantIbLb1EESV_IbLb0EEEEDaSR_SS_EUlSR_E_NS1_11comp_targetILNS1_3genE2ELNS1_11target_archE906ELNS1_3gpuE6ELNS1_3repE0EEENS1_30default_config_static_selectorELNS0_4arch9wavefront6targetE0EEEvT1_
                                        ; -- End function
	.set _ZN7rocprim17ROCPRIM_400000_NS6detail17trampoline_kernelINS0_14default_configENS1_20scan_config_selectorIdEEZZNS1_9scan_implILNS1_25lookback_scan_determinismE0ELb0ELb0ES3_PKdPddZZZN2at6native31launch_logcumsumexp_cuda_kernelERKNSB_10TensorBaseESF_lENKUlvE_clEvENKUlvE_clEvEUlddE_dEEDaPvRmT3_T4_T5_mT6_P12ihipStream_tbENKUlT_T0_E_clISt17integral_constantIbLb1EESV_IbLb0EEEEDaSR_SS_EUlSR_E_NS1_11comp_targetILNS1_3genE2ELNS1_11target_archE906ELNS1_3gpuE6ELNS1_3repE0EEENS1_30default_config_static_selectorELNS0_4arch9wavefront6targetE0EEEvT1_.num_vgpr, 0
	.set _ZN7rocprim17ROCPRIM_400000_NS6detail17trampoline_kernelINS0_14default_configENS1_20scan_config_selectorIdEEZZNS1_9scan_implILNS1_25lookback_scan_determinismE0ELb0ELb0ES3_PKdPddZZZN2at6native31launch_logcumsumexp_cuda_kernelERKNSB_10TensorBaseESF_lENKUlvE_clEvENKUlvE_clEvEUlddE_dEEDaPvRmT3_T4_T5_mT6_P12ihipStream_tbENKUlT_T0_E_clISt17integral_constantIbLb1EESV_IbLb0EEEEDaSR_SS_EUlSR_E_NS1_11comp_targetILNS1_3genE2ELNS1_11target_archE906ELNS1_3gpuE6ELNS1_3repE0EEENS1_30default_config_static_selectorELNS0_4arch9wavefront6targetE0EEEvT1_.num_agpr, 0
	.set _ZN7rocprim17ROCPRIM_400000_NS6detail17trampoline_kernelINS0_14default_configENS1_20scan_config_selectorIdEEZZNS1_9scan_implILNS1_25lookback_scan_determinismE0ELb0ELb0ES3_PKdPddZZZN2at6native31launch_logcumsumexp_cuda_kernelERKNSB_10TensorBaseESF_lENKUlvE_clEvENKUlvE_clEvEUlddE_dEEDaPvRmT3_T4_T5_mT6_P12ihipStream_tbENKUlT_T0_E_clISt17integral_constantIbLb1EESV_IbLb0EEEEDaSR_SS_EUlSR_E_NS1_11comp_targetILNS1_3genE2ELNS1_11target_archE906ELNS1_3gpuE6ELNS1_3repE0EEENS1_30default_config_static_selectorELNS0_4arch9wavefront6targetE0EEEvT1_.numbered_sgpr, 0
	.set _ZN7rocprim17ROCPRIM_400000_NS6detail17trampoline_kernelINS0_14default_configENS1_20scan_config_selectorIdEEZZNS1_9scan_implILNS1_25lookback_scan_determinismE0ELb0ELb0ES3_PKdPddZZZN2at6native31launch_logcumsumexp_cuda_kernelERKNSB_10TensorBaseESF_lENKUlvE_clEvENKUlvE_clEvEUlddE_dEEDaPvRmT3_T4_T5_mT6_P12ihipStream_tbENKUlT_T0_E_clISt17integral_constantIbLb1EESV_IbLb0EEEEDaSR_SS_EUlSR_E_NS1_11comp_targetILNS1_3genE2ELNS1_11target_archE906ELNS1_3gpuE6ELNS1_3repE0EEENS1_30default_config_static_selectorELNS0_4arch9wavefront6targetE0EEEvT1_.num_named_barrier, 0
	.set _ZN7rocprim17ROCPRIM_400000_NS6detail17trampoline_kernelINS0_14default_configENS1_20scan_config_selectorIdEEZZNS1_9scan_implILNS1_25lookback_scan_determinismE0ELb0ELb0ES3_PKdPddZZZN2at6native31launch_logcumsumexp_cuda_kernelERKNSB_10TensorBaseESF_lENKUlvE_clEvENKUlvE_clEvEUlddE_dEEDaPvRmT3_T4_T5_mT6_P12ihipStream_tbENKUlT_T0_E_clISt17integral_constantIbLb1EESV_IbLb0EEEEDaSR_SS_EUlSR_E_NS1_11comp_targetILNS1_3genE2ELNS1_11target_archE906ELNS1_3gpuE6ELNS1_3repE0EEENS1_30default_config_static_selectorELNS0_4arch9wavefront6targetE0EEEvT1_.private_seg_size, 0
	.set _ZN7rocprim17ROCPRIM_400000_NS6detail17trampoline_kernelINS0_14default_configENS1_20scan_config_selectorIdEEZZNS1_9scan_implILNS1_25lookback_scan_determinismE0ELb0ELb0ES3_PKdPddZZZN2at6native31launch_logcumsumexp_cuda_kernelERKNSB_10TensorBaseESF_lENKUlvE_clEvENKUlvE_clEvEUlddE_dEEDaPvRmT3_T4_T5_mT6_P12ihipStream_tbENKUlT_T0_E_clISt17integral_constantIbLb1EESV_IbLb0EEEEDaSR_SS_EUlSR_E_NS1_11comp_targetILNS1_3genE2ELNS1_11target_archE906ELNS1_3gpuE6ELNS1_3repE0EEENS1_30default_config_static_selectorELNS0_4arch9wavefront6targetE0EEEvT1_.uses_vcc, 0
	.set _ZN7rocprim17ROCPRIM_400000_NS6detail17trampoline_kernelINS0_14default_configENS1_20scan_config_selectorIdEEZZNS1_9scan_implILNS1_25lookback_scan_determinismE0ELb0ELb0ES3_PKdPddZZZN2at6native31launch_logcumsumexp_cuda_kernelERKNSB_10TensorBaseESF_lENKUlvE_clEvENKUlvE_clEvEUlddE_dEEDaPvRmT3_T4_T5_mT6_P12ihipStream_tbENKUlT_T0_E_clISt17integral_constantIbLb1EESV_IbLb0EEEEDaSR_SS_EUlSR_E_NS1_11comp_targetILNS1_3genE2ELNS1_11target_archE906ELNS1_3gpuE6ELNS1_3repE0EEENS1_30default_config_static_selectorELNS0_4arch9wavefront6targetE0EEEvT1_.uses_flat_scratch, 0
	.set _ZN7rocprim17ROCPRIM_400000_NS6detail17trampoline_kernelINS0_14default_configENS1_20scan_config_selectorIdEEZZNS1_9scan_implILNS1_25lookback_scan_determinismE0ELb0ELb0ES3_PKdPddZZZN2at6native31launch_logcumsumexp_cuda_kernelERKNSB_10TensorBaseESF_lENKUlvE_clEvENKUlvE_clEvEUlddE_dEEDaPvRmT3_T4_T5_mT6_P12ihipStream_tbENKUlT_T0_E_clISt17integral_constantIbLb1EESV_IbLb0EEEEDaSR_SS_EUlSR_E_NS1_11comp_targetILNS1_3genE2ELNS1_11target_archE906ELNS1_3gpuE6ELNS1_3repE0EEENS1_30default_config_static_selectorELNS0_4arch9wavefront6targetE0EEEvT1_.has_dyn_sized_stack, 0
	.set _ZN7rocprim17ROCPRIM_400000_NS6detail17trampoline_kernelINS0_14default_configENS1_20scan_config_selectorIdEEZZNS1_9scan_implILNS1_25lookback_scan_determinismE0ELb0ELb0ES3_PKdPddZZZN2at6native31launch_logcumsumexp_cuda_kernelERKNSB_10TensorBaseESF_lENKUlvE_clEvENKUlvE_clEvEUlddE_dEEDaPvRmT3_T4_T5_mT6_P12ihipStream_tbENKUlT_T0_E_clISt17integral_constantIbLb1EESV_IbLb0EEEEDaSR_SS_EUlSR_E_NS1_11comp_targetILNS1_3genE2ELNS1_11target_archE906ELNS1_3gpuE6ELNS1_3repE0EEENS1_30default_config_static_selectorELNS0_4arch9wavefront6targetE0EEEvT1_.has_recursion, 0
	.set _ZN7rocprim17ROCPRIM_400000_NS6detail17trampoline_kernelINS0_14default_configENS1_20scan_config_selectorIdEEZZNS1_9scan_implILNS1_25lookback_scan_determinismE0ELb0ELb0ES3_PKdPddZZZN2at6native31launch_logcumsumexp_cuda_kernelERKNSB_10TensorBaseESF_lENKUlvE_clEvENKUlvE_clEvEUlddE_dEEDaPvRmT3_T4_T5_mT6_P12ihipStream_tbENKUlT_T0_E_clISt17integral_constantIbLb1EESV_IbLb0EEEEDaSR_SS_EUlSR_E_NS1_11comp_targetILNS1_3genE2ELNS1_11target_archE906ELNS1_3gpuE6ELNS1_3repE0EEENS1_30default_config_static_selectorELNS0_4arch9wavefront6targetE0EEEvT1_.has_indirect_call, 0
	.section	.AMDGPU.csdata,"",@progbits
; Kernel info:
; codeLenInByte = 0
; TotalNumSgprs: 0
; NumVgprs: 0
; ScratchSize: 0
; MemoryBound: 0
; FloatMode: 240
; IeeeMode: 1
; LDSByteSize: 0 bytes/workgroup (compile time only)
; SGPRBlocks: 0
; VGPRBlocks: 0
; NumSGPRsForWavesPerEU: 1
; NumVGPRsForWavesPerEU: 1
; Occupancy: 16
; WaveLimiterHint : 0
; COMPUTE_PGM_RSRC2:SCRATCH_EN: 0
; COMPUTE_PGM_RSRC2:USER_SGPR: 2
; COMPUTE_PGM_RSRC2:TRAP_HANDLER: 0
; COMPUTE_PGM_RSRC2:TGID_X_EN: 1
; COMPUTE_PGM_RSRC2:TGID_Y_EN: 0
; COMPUTE_PGM_RSRC2:TGID_Z_EN: 0
; COMPUTE_PGM_RSRC2:TIDIG_COMP_CNT: 0
	.section	.text._ZN7rocprim17ROCPRIM_400000_NS6detail17trampoline_kernelINS0_14default_configENS1_20scan_config_selectorIdEEZZNS1_9scan_implILNS1_25lookback_scan_determinismE0ELb0ELb0ES3_PKdPddZZZN2at6native31launch_logcumsumexp_cuda_kernelERKNSB_10TensorBaseESF_lENKUlvE_clEvENKUlvE_clEvEUlddE_dEEDaPvRmT3_T4_T5_mT6_P12ihipStream_tbENKUlT_T0_E_clISt17integral_constantIbLb1EESV_IbLb0EEEEDaSR_SS_EUlSR_E_NS1_11comp_targetILNS1_3genE10ELNS1_11target_archE1201ELNS1_3gpuE5ELNS1_3repE0EEENS1_30default_config_static_selectorELNS0_4arch9wavefront6targetE0EEEvT1_,"axG",@progbits,_ZN7rocprim17ROCPRIM_400000_NS6detail17trampoline_kernelINS0_14default_configENS1_20scan_config_selectorIdEEZZNS1_9scan_implILNS1_25lookback_scan_determinismE0ELb0ELb0ES3_PKdPddZZZN2at6native31launch_logcumsumexp_cuda_kernelERKNSB_10TensorBaseESF_lENKUlvE_clEvENKUlvE_clEvEUlddE_dEEDaPvRmT3_T4_T5_mT6_P12ihipStream_tbENKUlT_T0_E_clISt17integral_constantIbLb1EESV_IbLb0EEEEDaSR_SS_EUlSR_E_NS1_11comp_targetILNS1_3genE10ELNS1_11target_archE1201ELNS1_3gpuE5ELNS1_3repE0EEENS1_30default_config_static_selectorELNS0_4arch9wavefront6targetE0EEEvT1_,comdat
	.globl	_ZN7rocprim17ROCPRIM_400000_NS6detail17trampoline_kernelINS0_14default_configENS1_20scan_config_selectorIdEEZZNS1_9scan_implILNS1_25lookback_scan_determinismE0ELb0ELb0ES3_PKdPddZZZN2at6native31launch_logcumsumexp_cuda_kernelERKNSB_10TensorBaseESF_lENKUlvE_clEvENKUlvE_clEvEUlddE_dEEDaPvRmT3_T4_T5_mT6_P12ihipStream_tbENKUlT_T0_E_clISt17integral_constantIbLb1EESV_IbLb0EEEEDaSR_SS_EUlSR_E_NS1_11comp_targetILNS1_3genE10ELNS1_11target_archE1201ELNS1_3gpuE5ELNS1_3repE0EEENS1_30default_config_static_selectorELNS0_4arch9wavefront6targetE0EEEvT1_ ; -- Begin function _ZN7rocprim17ROCPRIM_400000_NS6detail17trampoline_kernelINS0_14default_configENS1_20scan_config_selectorIdEEZZNS1_9scan_implILNS1_25lookback_scan_determinismE0ELb0ELb0ES3_PKdPddZZZN2at6native31launch_logcumsumexp_cuda_kernelERKNSB_10TensorBaseESF_lENKUlvE_clEvENKUlvE_clEvEUlddE_dEEDaPvRmT3_T4_T5_mT6_P12ihipStream_tbENKUlT_T0_E_clISt17integral_constantIbLb1EESV_IbLb0EEEEDaSR_SS_EUlSR_E_NS1_11comp_targetILNS1_3genE10ELNS1_11target_archE1201ELNS1_3gpuE5ELNS1_3repE0EEENS1_30default_config_static_selectorELNS0_4arch9wavefront6targetE0EEEvT1_
	.p2align	8
	.type	_ZN7rocprim17ROCPRIM_400000_NS6detail17trampoline_kernelINS0_14default_configENS1_20scan_config_selectorIdEEZZNS1_9scan_implILNS1_25lookback_scan_determinismE0ELb0ELb0ES3_PKdPddZZZN2at6native31launch_logcumsumexp_cuda_kernelERKNSB_10TensorBaseESF_lENKUlvE_clEvENKUlvE_clEvEUlddE_dEEDaPvRmT3_T4_T5_mT6_P12ihipStream_tbENKUlT_T0_E_clISt17integral_constantIbLb1EESV_IbLb0EEEEDaSR_SS_EUlSR_E_NS1_11comp_targetILNS1_3genE10ELNS1_11target_archE1201ELNS1_3gpuE5ELNS1_3repE0EEENS1_30default_config_static_selectorELNS0_4arch9wavefront6targetE0EEEvT1_,@function
_ZN7rocprim17ROCPRIM_400000_NS6detail17trampoline_kernelINS0_14default_configENS1_20scan_config_selectorIdEEZZNS1_9scan_implILNS1_25lookback_scan_determinismE0ELb0ELb0ES3_PKdPddZZZN2at6native31launch_logcumsumexp_cuda_kernelERKNSB_10TensorBaseESF_lENKUlvE_clEvENKUlvE_clEvEUlddE_dEEDaPvRmT3_T4_T5_mT6_P12ihipStream_tbENKUlT_T0_E_clISt17integral_constantIbLb1EESV_IbLb0EEEEDaSR_SS_EUlSR_E_NS1_11comp_targetILNS1_3genE10ELNS1_11target_archE1201ELNS1_3gpuE5ELNS1_3repE0EEENS1_30default_config_static_selectorELNS0_4arch9wavefront6targetE0EEEvT1_: ; @_ZN7rocprim17ROCPRIM_400000_NS6detail17trampoline_kernelINS0_14default_configENS1_20scan_config_selectorIdEEZZNS1_9scan_implILNS1_25lookback_scan_determinismE0ELb0ELb0ES3_PKdPddZZZN2at6native31launch_logcumsumexp_cuda_kernelERKNSB_10TensorBaseESF_lENKUlvE_clEvENKUlvE_clEvEUlddE_dEEDaPvRmT3_T4_T5_mT6_P12ihipStream_tbENKUlT_T0_E_clISt17integral_constantIbLb1EESV_IbLb0EEEEDaSR_SS_EUlSR_E_NS1_11comp_targetILNS1_3genE10ELNS1_11target_archE1201ELNS1_3gpuE5ELNS1_3repE0EEENS1_30default_config_static_selectorELNS0_4arch9wavefront6targetE0EEEvT1_
; %bb.0:
	s_endpgm
	.section	.rodata,"a",@progbits
	.p2align	6, 0x0
	.amdhsa_kernel _ZN7rocprim17ROCPRIM_400000_NS6detail17trampoline_kernelINS0_14default_configENS1_20scan_config_selectorIdEEZZNS1_9scan_implILNS1_25lookback_scan_determinismE0ELb0ELb0ES3_PKdPddZZZN2at6native31launch_logcumsumexp_cuda_kernelERKNSB_10TensorBaseESF_lENKUlvE_clEvENKUlvE_clEvEUlddE_dEEDaPvRmT3_T4_T5_mT6_P12ihipStream_tbENKUlT_T0_E_clISt17integral_constantIbLb1EESV_IbLb0EEEEDaSR_SS_EUlSR_E_NS1_11comp_targetILNS1_3genE10ELNS1_11target_archE1201ELNS1_3gpuE5ELNS1_3repE0EEENS1_30default_config_static_selectorELNS0_4arch9wavefront6targetE0EEEvT1_
		.amdhsa_group_segment_fixed_size 0
		.amdhsa_private_segment_fixed_size 0
		.amdhsa_kernarg_size 104
		.amdhsa_user_sgpr_count 2
		.amdhsa_user_sgpr_dispatch_ptr 0
		.amdhsa_user_sgpr_queue_ptr 0
		.amdhsa_user_sgpr_kernarg_segment_ptr 1
		.amdhsa_user_sgpr_dispatch_id 0
		.amdhsa_user_sgpr_private_segment_size 0
		.amdhsa_wavefront_size32 1
		.amdhsa_uses_dynamic_stack 0
		.amdhsa_enable_private_segment 0
		.amdhsa_system_sgpr_workgroup_id_x 1
		.amdhsa_system_sgpr_workgroup_id_y 0
		.amdhsa_system_sgpr_workgroup_id_z 0
		.amdhsa_system_sgpr_workgroup_info 0
		.amdhsa_system_vgpr_workitem_id 0
		.amdhsa_next_free_vgpr 1
		.amdhsa_next_free_sgpr 1
		.amdhsa_reserve_vcc 0
		.amdhsa_float_round_mode_32 0
		.amdhsa_float_round_mode_16_64 0
		.amdhsa_float_denorm_mode_32 3
		.amdhsa_float_denorm_mode_16_64 3
		.amdhsa_fp16_overflow 0
		.amdhsa_workgroup_processor_mode 1
		.amdhsa_memory_ordered 1
		.amdhsa_forward_progress 1
		.amdhsa_inst_pref_size 1
		.amdhsa_round_robin_scheduling 0
		.amdhsa_exception_fp_ieee_invalid_op 0
		.amdhsa_exception_fp_denorm_src 0
		.amdhsa_exception_fp_ieee_div_zero 0
		.amdhsa_exception_fp_ieee_overflow 0
		.amdhsa_exception_fp_ieee_underflow 0
		.amdhsa_exception_fp_ieee_inexact 0
		.amdhsa_exception_int_div_zero 0
	.end_amdhsa_kernel
	.section	.text._ZN7rocprim17ROCPRIM_400000_NS6detail17trampoline_kernelINS0_14default_configENS1_20scan_config_selectorIdEEZZNS1_9scan_implILNS1_25lookback_scan_determinismE0ELb0ELb0ES3_PKdPddZZZN2at6native31launch_logcumsumexp_cuda_kernelERKNSB_10TensorBaseESF_lENKUlvE_clEvENKUlvE_clEvEUlddE_dEEDaPvRmT3_T4_T5_mT6_P12ihipStream_tbENKUlT_T0_E_clISt17integral_constantIbLb1EESV_IbLb0EEEEDaSR_SS_EUlSR_E_NS1_11comp_targetILNS1_3genE10ELNS1_11target_archE1201ELNS1_3gpuE5ELNS1_3repE0EEENS1_30default_config_static_selectorELNS0_4arch9wavefront6targetE0EEEvT1_,"axG",@progbits,_ZN7rocprim17ROCPRIM_400000_NS6detail17trampoline_kernelINS0_14default_configENS1_20scan_config_selectorIdEEZZNS1_9scan_implILNS1_25lookback_scan_determinismE0ELb0ELb0ES3_PKdPddZZZN2at6native31launch_logcumsumexp_cuda_kernelERKNSB_10TensorBaseESF_lENKUlvE_clEvENKUlvE_clEvEUlddE_dEEDaPvRmT3_T4_T5_mT6_P12ihipStream_tbENKUlT_T0_E_clISt17integral_constantIbLb1EESV_IbLb0EEEEDaSR_SS_EUlSR_E_NS1_11comp_targetILNS1_3genE10ELNS1_11target_archE1201ELNS1_3gpuE5ELNS1_3repE0EEENS1_30default_config_static_selectorELNS0_4arch9wavefront6targetE0EEEvT1_,comdat
.Lfunc_end52:
	.size	_ZN7rocprim17ROCPRIM_400000_NS6detail17trampoline_kernelINS0_14default_configENS1_20scan_config_selectorIdEEZZNS1_9scan_implILNS1_25lookback_scan_determinismE0ELb0ELb0ES3_PKdPddZZZN2at6native31launch_logcumsumexp_cuda_kernelERKNSB_10TensorBaseESF_lENKUlvE_clEvENKUlvE_clEvEUlddE_dEEDaPvRmT3_T4_T5_mT6_P12ihipStream_tbENKUlT_T0_E_clISt17integral_constantIbLb1EESV_IbLb0EEEEDaSR_SS_EUlSR_E_NS1_11comp_targetILNS1_3genE10ELNS1_11target_archE1201ELNS1_3gpuE5ELNS1_3repE0EEENS1_30default_config_static_selectorELNS0_4arch9wavefront6targetE0EEEvT1_, .Lfunc_end52-_ZN7rocprim17ROCPRIM_400000_NS6detail17trampoline_kernelINS0_14default_configENS1_20scan_config_selectorIdEEZZNS1_9scan_implILNS1_25lookback_scan_determinismE0ELb0ELb0ES3_PKdPddZZZN2at6native31launch_logcumsumexp_cuda_kernelERKNSB_10TensorBaseESF_lENKUlvE_clEvENKUlvE_clEvEUlddE_dEEDaPvRmT3_T4_T5_mT6_P12ihipStream_tbENKUlT_T0_E_clISt17integral_constantIbLb1EESV_IbLb0EEEEDaSR_SS_EUlSR_E_NS1_11comp_targetILNS1_3genE10ELNS1_11target_archE1201ELNS1_3gpuE5ELNS1_3repE0EEENS1_30default_config_static_selectorELNS0_4arch9wavefront6targetE0EEEvT1_
                                        ; -- End function
	.set _ZN7rocprim17ROCPRIM_400000_NS6detail17trampoline_kernelINS0_14default_configENS1_20scan_config_selectorIdEEZZNS1_9scan_implILNS1_25lookback_scan_determinismE0ELb0ELb0ES3_PKdPddZZZN2at6native31launch_logcumsumexp_cuda_kernelERKNSB_10TensorBaseESF_lENKUlvE_clEvENKUlvE_clEvEUlddE_dEEDaPvRmT3_T4_T5_mT6_P12ihipStream_tbENKUlT_T0_E_clISt17integral_constantIbLb1EESV_IbLb0EEEEDaSR_SS_EUlSR_E_NS1_11comp_targetILNS1_3genE10ELNS1_11target_archE1201ELNS1_3gpuE5ELNS1_3repE0EEENS1_30default_config_static_selectorELNS0_4arch9wavefront6targetE0EEEvT1_.num_vgpr, 0
	.set _ZN7rocprim17ROCPRIM_400000_NS6detail17trampoline_kernelINS0_14default_configENS1_20scan_config_selectorIdEEZZNS1_9scan_implILNS1_25lookback_scan_determinismE0ELb0ELb0ES3_PKdPddZZZN2at6native31launch_logcumsumexp_cuda_kernelERKNSB_10TensorBaseESF_lENKUlvE_clEvENKUlvE_clEvEUlddE_dEEDaPvRmT3_T4_T5_mT6_P12ihipStream_tbENKUlT_T0_E_clISt17integral_constantIbLb1EESV_IbLb0EEEEDaSR_SS_EUlSR_E_NS1_11comp_targetILNS1_3genE10ELNS1_11target_archE1201ELNS1_3gpuE5ELNS1_3repE0EEENS1_30default_config_static_selectorELNS0_4arch9wavefront6targetE0EEEvT1_.num_agpr, 0
	.set _ZN7rocprim17ROCPRIM_400000_NS6detail17trampoline_kernelINS0_14default_configENS1_20scan_config_selectorIdEEZZNS1_9scan_implILNS1_25lookback_scan_determinismE0ELb0ELb0ES3_PKdPddZZZN2at6native31launch_logcumsumexp_cuda_kernelERKNSB_10TensorBaseESF_lENKUlvE_clEvENKUlvE_clEvEUlddE_dEEDaPvRmT3_T4_T5_mT6_P12ihipStream_tbENKUlT_T0_E_clISt17integral_constantIbLb1EESV_IbLb0EEEEDaSR_SS_EUlSR_E_NS1_11comp_targetILNS1_3genE10ELNS1_11target_archE1201ELNS1_3gpuE5ELNS1_3repE0EEENS1_30default_config_static_selectorELNS0_4arch9wavefront6targetE0EEEvT1_.numbered_sgpr, 0
	.set _ZN7rocprim17ROCPRIM_400000_NS6detail17trampoline_kernelINS0_14default_configENS1_20scan_config_selectorIdEEZZNS1_9scan_implILNS1_25lookback_scan_determinismE0ELb0ELb0ES3_PKdPddZZZN2at6native31launch_logcumsumexp_cuda_kernelERKNSB_10TensorBaseESF_lENKUlvE_clEvENKUlvE_clEvEUlddE_dEEDaPvRmT3_T4_T5_mT6_P12ihipStream_tbENKUlT_T0_E_clISt17integral_constantIbLb1EESV_IbLb0EEEEDaSR_SS_EUlSR_E_NS1_11comp_targetILNS1_3genE10ELNS1_11target_archE1201ELNS1_3gpuE5ELNS1_3repE0EEENS1_30default_config_static_selectorELNS0_4arch9wavefront6targetE0EEEvT1_.num_named_barrier, 0
	.set _ZN7rocprim17ROCPRIM_400000_NS6detail17trampoline_kernelINS0_14default_configENS1_20scan_config_selectorIdEEZZNS1_9scan_implILNS1_25lookback_scan_determinismE0ELb0ELb0ES3_PKdPddZZZN2at6native31launch_logcumsumexp_cuda_kernelERKNSB_10TensorBaseESF_lENKUlvE_clEvENKUlvE_clEvEUlddE_dEEDaPvRmT3_T4_T5_mT6_P12ihipStream_tbENKUlT_T0_E_clISt17integral_constantIbLb1EESV_IbLb0EEEEDaSR_SS_EUlSR_E_NS1_11comp_targetILNS1_3genE10ELNS1_11target_archE1201ELNS1_3gpuE5ELNS1_3repE0EEENS1_30default_config_static_selectorELNS0_4arch9wavefront6targetE0EEEvT1_.private_seg_size, 0
	.set _ZN7rocprim17ROCPRIM_400000_NS6detail17trampoline_kernelINS0_14default_configENS1_20scan_config_selectorIdEEZZNS1_9scan_implILNS1_25lookback_scan_determinismE0ELb0ELb0ES3_PKdPddZZZN2at6native31launch_logcumsumexp_cuda_kernelERKNSB_10TensorBaseESF_lENKUlvE_clEvENKUlvE_clEvEUlddE_dEEDaPvRmT3_T4_T5_mT6_P12ihipStream_tbENKUlT_T0_E_clISt17integral_constantIbLb1EESV_IbLb0EEEEDaSR_SS_EUlSR_E_NS1_11comp_targetILNS1_3genE10ELNS1_11target_archE1201ELNS1_3gpuE5ELNS1_3repE0EEENS1_30default_config_static_selectorELNS0_4arch9wavefront6targetE0EEEvT1_.uses_vcc, 0
	.set _ZN7rocprim17ROCPRIM_400000_NS6detail17trampoline_kernelINS0_14default_configENS1_20scan_config_selectorIdEEZZNS1_9scan_implILNS1_25lookback_scan_determinismE0ELb0ELb0ES3_PKdPddZZZN2at6native31launch_logcumsumexp_cuda_kernelERKNSB_10TensorBaseESF_lENKUlvE_clEvENKUlvE_clEvEUlddE_dEEDaPvRmT3_T4_T5_mT6_P12ihipStream_tbENKUlT_T0_E_clISt17integral_constantIbLb1EESV_IbLb0EEEEDaSR_SS_EUlSR_E_NS1_11comp_targetILNS1_3genE10ELNS1_11target_archE1201ELNS1_3gpuE5ELNS1_3repE0EEENS1_30default_config_static_selectorELNS0_4arch9wavefront6targetE0EEEvT1_.uses_flat_scratch, 0
	.set _ZN7rocprim17ROCPRIM_400000_NS6detail17trampoline_kernelINS0_14default_configENS1_20scan_config_selectorIdEEZZNS1_9scan_implILNS1_25lookback_scan_determinismE0ELb0ELb0ES3_PKdPddZZZN2at6native31launch_logcumsumexp_cuda_kernelERKNSB_10TensorBaseESF_lENKUlvE_clEvENKUlvE_clEvEUlddE_dEEDaPvRmT3_T4_T5_mT6_P12ihipStream_tbENKUlT_T0_E_clISt17integral_constantIbLb1EESV_IbLb0EEEEDaSR_SS_EUlSR_E_NS1_11comp_targetILNS1_3genE10ELNS1_11target_archE1201ELNS1_3gpuE5ELNS1_3repE0EEENS1_30default_config_static_selectorELNS0_4arch9wavefront6targetE0EEEvT1_.has_dyn_sized_stack, 0
	.set _ZN7rocprim17ROCPRIM_400000_NS6detail17trampoline_kernelINS0_14default_configENS1_20scan_config_selectorIdEEZZNS1_9scan_implILNS1_25lookback_scan_determinismE0ELb0ELb0ES3_PKdPddZZZN2at6native31launch_logcumsumexp_cuda_kernelERKNSB_10TensorBaseESF_lENKUlvE_clEvENKUlvE_clEvEUlddE_dEEDaPvRmT3_T4_T5_mT6_P12ihipStream_tbENKUlT_T0_E_clISt17integral_constantIbLb1EESV_IbLb0EEEEDaSR_SS_EUlSR_E_NS1_11comp_targetILNS1_3genE10ELNS1_11target_archE1201ELNS1_3gpuE5ELNS1_3repE0EEENS1_30default_config_static_selectorELNS0_4arch9wavefront6targetE0EEEvT1_.has_recursion, 0
	.set _ZN7rocprim17ROCPRIM_400000_NS6detail17trampoline_kernelINS0_14default_configENS1_20scan_config_selectorIdEEZZNS1_9scan_implILNS1_25lookback_scan_determinismE0ELb0ELb0ES3_PKdPddZZZN2at6native31launch_logcumsumexp_cuda_kernelERKNSB_10TensorBaseESF_lENKUlvE_clEvENKUlvE_clEvEUlddE_dEEDaPvRmT3_T4_T5_mT6_P12ihipStream_tbENKUlT_T0_E_clISt17integral_constantIbLb1EESV_IbLb0EEEEDaSR_SS_EUlSR_E_NS1_11comp_targetILNS1_3genE10ELNS1_11target_archE1201ELNS1_3gpuE5ELNS1_3repE0EEENS1_30default_config_static_selectorELNS0_4arch9wavefront6targetE0EEEvT1_.has_indirect_call, 0
	.section	.AMDGPU.csdata,"",@progbits
; Kernel info:
; codeLenInByte = 4
; TotalNumSgprs: 0
; NumVgprs: 0
; ScratchSize: 0
; MemoryBound: 0
; FloatMode: 240
; IeeeMode: 1
; LDSByteSize: 0 bytes/workgroup (compile time only)
; SGPRBlocks: 0
; VGPRBlocks: 0
; NumSGPRsForWavesPerEU: 1
; NumVGPRsForWavesPerEU: 1
; Occupancy: 16
; WaveLimiterHint : 0
; COMPUTE_PGM_RSRC2:SCRATCH_EN: 0
; COMPUTE_PGM_RSRC2:USER_SGPR: 2
; COMPUTE_PGM_RSRC2:TRAP_HANDLER: 0
; COMPUTE_PGM_RSRC2:TGID_X_EN: 1
; COMPUTE_PGM_RSRC2:TGID_Y_EN: 0
; COMPUTE_PGM_RSRC2:TGID_Z_EN: 0
; COMPUTE_PGM_RSRC2:TIDIG_COMP_CNT: 0
	.section	.text._ZN7rocprim17ROCPRIM_400000_NS6detail17trampoline_kernelINS0_14default_configENS1_20scan_config_selectorIdEEZZNS1_9scan_implILNS1_25lookback_scan_determinismE0ELb0ELb0ES3_PKdPddZZZN2at6native31launch_logcumsumexp_cuda_kernelERKNSB_10TensorBaseESF_lENKUlvE_clEvENKUlvE_clEvEUlddE_dEEDaPvRmT3_T4_T5_mT6_P12ihipStream_tbENKUlT_T0_E_clISt17integral_constantIbLb1EESV_IbLb0EEEEDaSR_SS_EUlSR_E_NS1_11comp_targetILNS1_3genE10ELNS1_11target_archE1200ELNS1_3gpuE4ELNS1_3repE0EEENS1_30default_config_static_selectorELNS0_4arch9wavefront6targetE0EEEvT1_,"axG",@progbits,_ZN7rocprim17ROCPRIM_400000_NS6detail17trampoline_kernelINS0_14default_configENS1_20scan_config_selectorIdEEZZNS1_9scan_implILNS1_25lookback_scan_determinismE0ELb0ELb0ES3_PKdPddZZZN2at6native31launch_logcumsumexp_cuda_kernelERKNSB_10TensorBaseESF_lENKUlvE_clEvENKUlvE_clEvEUlddE_dEEDaPvRmT3_T4_T5_mT6_P12ihipStream_tbENKUlT_T0_E_clISt17integral_constantIbLb1EESV_IbLb0EEEEDaSR_SS_EUlSR_E_NS1_11comp_targetILNS1_3genE10ELNS1_11target_archE1200ELNS1_3gpuE4ELNS1_3repE0EEENS1_30default_config_static_selectorELNS0_4arch9wavefront6targetE0EEEvT1_,comdat
	.globl	_ZN7rocprim17ROCPRIM_400000_NS6detail17trampoline_kernelINS0_14default_configENS1_20scan_config_selectorIdEEZZNS1_9scan_implILNS1_25lookback_scan_determinismE0ELb0ELb0ES3_PKdPddZZZN2at6native31launch_logcumsumexp_cuda_kernelERKNSB_10TensorBaseESF_lENKUlvE_clEvENKUlvE_clEvEUlddE_dEEDaPvRmT3_T4_T5_mT6_P12ihipStream_tbENKUlT_T0_E_clISt17integral_constantIbLb1EESV_IbLb0EEEEDaSR_SS_EUlSR_E_NS1_11comp_targetILNS1_3genE10ELNS1_11target_archE1200ELNS1_3gpuE4ELNS1_3repE0EEENS1_30default_config_static_selectorELNS0_4arch9wavefront6targetE0EEEvT1_ ; -- Begin function _ZN7rocprim17ROCPRIM_400000_NS6detail17trampoline_kernelINS0_14default_configENS1_20scan_config_selectorIdEEZZNS1_9scan_implILNS1_25lookback_scan_determinismE0ELb0ELb0ES3_PKdPddZZZN2at6native31launch_logcumsumexp_cuda_kernelERKNSB_10TensorBaseESF_lENKUlvE_clEvENKUlvE_clEvEUlddE_dEEDaPvRmT3_T4_T5_mT6_P12ihipStream_tbENKUlT_T0_E_clISt17integral_constantIbLb1EESV_IbLb0EEEEDaSR_SS_EUlSR_E_NS1_11comp_targetILNS1_3genE10ELNS1_11target_archE1200ELNS1_3gpuE4ELNS1_3repE0EEENS1_30default_config_static_selectorELNS0_4arch9wavefront6targetE0EEEvT1_
	.p2align	8
	.type	_ZN7rocprim17ROCPRIM_400000_NS6detail17trampoline_kernelINS0_14default_configENS1_20scan_config_selectorIdEEZZNS1_9scan_implILNS1_25lookback_scan_determinismE0ELb0ELb0ES3_PKdPddZZZN2at6native31launch_logcumsumexp_cuda_kernelERKNSB_10TensorBaseESF_lENKUlvE_clEvENKUlvE_clEvEUlddE_dEEDaPvRmT3_T4_T5_mT6_P12ihipStream_tbENKUlT_T0_E_clISt17integral_constantIbLb1EESV_IbLb0EEEEDaSR_SS_EUlSR_E_NS1_11comp_targetILNS1_3genE10ELNS1_11target_archE1200ELNS1_3gpuE4ELNS1_3repE0EEENS1_30default_config_static_selectorELNS0_4arch9wavefront6targetE0EEEvT1_,@function
_ZN7rocprim17ROCPRIM_400000_NS6detail17trampoline_kernelINS0_14default_configENS1_20scan_config_selectorIdEEZZNS1_9scan_implILNS1_25lookback_scan_determinismE0ELb0ELb0ES3_PKdPddZZZN2at6native31launch_logcumsumexp_cuda_kernelERKNSB_10TensorBaseESF_lENKUlvE_clEvENKUlvE_clEvEUlddE_dEEDaPvRmT3_T4_T5_mT6_P12ihipStream_tbENKUlT_T0_E_clISt17integral_constantIbLb1EESV_IbLb0EEEEDaSR_SS_EUlSR_E_NS1_11comp_targetILNS1_3genE10ELNS1_11target_archE1200ELNS1_3gpuE4ELNS1_3repE0EEENS1_30default_config_static_selectorELNS0_4arch9wavefront6targetE0EEEvT1_: ; @_ZN7rocprim17ROCPRIM_400000_NS6detail17trampoline_kernelINS0_14default_configENS1_20scan_config_selectorIdEEZZNS1_9scan_implILNS1_25lookback_scan_determinismE0ELb0ELb0ES3_PKdPddZZZN2at6native31launch_logcumsumexp_cuda_kernelERKNSB_10TensorBaseESF_lENKUlvE_clEvENKUlvE_clEvEUlddE_dEEDaPvRmT3_T4_T5_mT6_P12ihipStream_tbENKUlT_T0_E_clISt17integral_constantIbLb1EESV_IbLb0EEEEDaSR_SS_EUlSR_E_NS1_11comp_targetILNS1_3genE10ELNS1_11target_archE1200ELNS1_3gpuE4ELNS1_3repE0EEENS1_30default_config_static_selectorELNS0_4arch9wavefront6targetE0EEEvT1_
; %bb.0:
	.section	.rodata,"a",@progbits
	.p2align	6, 0x0
	.amdhsa_kernel _ZN7rocprim17ROCPRIM_400000_NS6detail17trampoline_kernelINS0_14default_configENS1_20scan_config_selectorIdEEZZNS1_9scan_implILNS1_25lookback_scan_determinismE0ELb0ELb0ES3_PKdPddZZZN2at6native31launch_logcumsumexp_cuda_kernelERKNSB_10TensorBaseESF_lENKUlvE_clEvENKUlvE_clEvEUlddE_dEEDaPvRmT3_T4_T5_mT6_P12ihipStream_tbENKUlT_T0_E_clISt17integral_constantIbLb1EESV_IbLb0EEEEDaSR_SS_EUlSR_E_NS1_11comp_targetILNS1_3genE10ELNS1_11target_archE1200ELNS1_3gpuE4ELNS1_3repE0EEENS1_30default_config_static_selectorELNS0_4arch9wavefront6targetE0EEEvT1_
		.amdhsa_group_segment_fixed_size 0
		.amdhsa_private_segment_fixed_size 0
		.amdhsa_kernarg_size 104
		.amdhsa_user_sgpr_count 2
		.amdhsa_user_sgpr_dispatch_ptr 0
		.amdhsa_user_sgpr_queue_ptr 0
		.amdhsa_user_sgpr_kernarg_segment_ptr 1
		.amdhsa_user_sgpr_dispatch_id 0
		.amdhsa_user_sgpr_private_segment_size 0
		.amdhsa_wavefront_size32 1
		.amdhsa_uses_dynamic_stack 0
		.amdhsa_enable_private_segment 0
		.amdhsa_system_sgpr_workgroup_id_x 1
		.amdhsa_system_sgpr_workgroup_id_y 0
		.amdhsa_system_sgpr_workgroup_id_z 0
		.amdhsa_system_sgpr_workgroup_info 0
		.amdhsa_system_vgpr_workitem_id 0
		.amdhsa_next_free_vgpr 1
		.amdhsa_next_free_sgpr 1
		.amdhsa_reserve_vcc 0
		.amdhsa_float_round_mode_32 0
		.amdhsa_float_round_mode_16_64 0
		.amdhsa_float_denorm_mode_32 3
		.amdhsa_float_denorm_mode_16_64 3
		.amdhsa_fp16_overflow 0
		.amdhsa_workgroup_processor_mode 1
		.amdhsa_memory_ordered 1
		.amdhsa_forward_progress 1
		.amdhsa_inst_pref_size 0
		.amdhsa_round_robin_scheduling 0
		.amdhsa_exception_fp_ieee_invalid_op 0
		.amdhsa_exception_fp_denorm_src 0
		.amdhsa_exception_fp_ieee_div_zero 0
		.amdhsa_exception_fp_ieee_overflow 0
		.amdhsa_exception_fp_ieee_underflow 0
		.amdhsa_exception_fp_ieee_inexact 0
		.amdhsa_exception_int_div_zero 0
	.end_amdhsa_kernel
	.section	.text._ZN7rocprim17ROCPRIM_400000_NS6detail17trampoline_kernelINS0_14default_configENS1_20scan_config_selectorIdEEZZNS1_9scan_implILNS1_25lookback_scan_determinismE0ELb0ELb0ES3_PKdPddZZZN2at6native31launch_logcumsumexp_cuda_kernelERKNSB_10TensorBaseESF_lENKUlvE_clEvENKUlvE_clEvEUlddE_dEEDaPvRmT3_T4_T5_mT6_P12ihipStream_tbENKUlT_T0_E_clISt17integral_constantIbLb1EESV_IbLb0EEEEDaSR_SS_EUlSR_E_NS1_11comp_targetILNS1_3genE10ELNS1_11target_archE1200ELNS1_3gpuE4ELNS1_3repE0EEENS1_30default_config_static_selectorELNS0_4arch9wavefront6targetE0EEEvT1_,"axG",@progbits,_ZN7rocprim17ROCPRIM_400000_NS6detail17trampoline_kernelINS0_14default_configENS1_20scan_config_selectorIdEEZZNS1_9scan_implILNS1_25lookback_scan_determinismE0ELb0ELb0ES3_PKdPddZZZN2at6native31launch_logcumsumexp_cuda_kernelERKNSB_10TensorBaseESF_lENKUlvE_clEvENKUlvE_clEvEUlddE_dEEDaPvRmT3_T4_T5_mT6_P12ihipStream_tbENKUlT_T0_E_clISt17integral_constantIbLb1EESV_IbLb0EEEEDaSR_SS_EUlSR_E_NS1_11comp_targetILNS1_3genE10ELNS1_11target_archE1200ELNS1_3gpuE4ELNS1_3repE0EEENS1_30default_config_static_selectorELNS0_4arch9wavefront6targetE0EEEvT1_,comdat
.Lfunc_end53:
	.size	_ZN7rocprim17ROCPRIM_400000_NS6detail17trampoline_kernelINS0_14default_configENS1_20scan_config_selectorIdEEZZNS1_9scan_implILNS1_25lookback_scan_determinismE0ELb0ELb0ES3_PKdPddZZZN2at6native31launch_logcumsumexp_cuda_kernelERKNSB_10TensorBaseESF_lENKUlvE_clEvENKUlvE_clEvEUlddE_dEEDaPvRmT3_T4_T5_mT6_P12ihipStream_tbENKUlT_T0_E_clISt17integral_constantIbLb1EESV_IbLb0EEEEDaSR_SS_EUlSR_E_NS1_11comp_targetILNS1_3genE10ELNS1_11target_archE1200ELNS1_3gpuE4ELNS1_3repE0EEENS1_30default_config_static_selectorELNS0_4arch9wavefront6targetE0EEEvT1_, .Lfunc_end53-_ZN7rocprim17ROCPRIM_400000_NS6detail17trampoline_kernelINS0_14default_configENS1_20scan_config_selectorIdEEZZNS1_9scan_implILNS1_25lookback_scan_determinismE0ELb0ELb0ES3_PKdPddZZZN2at6native31launch_logcumsumexp_cuda_kernelERKNSB_10TensorBaseESF_lENKUlvE_clEvENKUlvE_clEvEUlddE_dEEDaPvRmT3_T4_T5_mT6_P12ihipStream_tbENKUlT_T0_E_clISt17integral_constantIbLb1EESV_IbLb0EEEEDaSR_SS_EUlSR_E_NS1_11comp_targetILNS1_3genE10ELNS1_11target_archE1200ELNS1_3gpuE4ELNS1_3repE0EEENS1_30default_config_static_selectorELNS0_4arch9wavefront6targetE0EEEvT1_
                                        ; -- End function
	.set _ZN7rocprim17ROCPRIM_400000_NS6detail17trampoline_kernelINS0_14default_configENS1_20scan_config_selectorIdEEZZNS1_9scan_implILNS1_25lookback_scan_determinismE0ELb0ELb0ES3_PKdPddZZZN2at6native31launch_logcumsumexp_cuda_kernelERKNSB_10TensorBaseESF_lENKUlvE_clEvENKUlvE_clEvEUlddE_dEEDaPvRmT3_T4_T5_mT6_P12ihipStream_tbENKUlT_T0_E_clISt17integral_constantIbLb1EESV_IbLb0EEEEDaSR_SS_EUlSR_E_NS1_11comp_targetILNS1_3genE10ELNS1_11target_archE1200ELNS1_3gpuE4ELNS1_3repE0EEENS1_30default_config_static_selectorELNS0_4arch9wavefront6targetE0EEEvT1_.num_vgpr, 0
	.set _ZN7rocprim17ROCPRIM_400000_NS6detail17trampoline_kernelINS0_14default_configENS1_20scan_config_selectorIdEEZZNS1_9scan_implILNS1_25lookback_scan_determinismE0ELb0ELb0ES3_PKdPddZZZN2at6native31launch_logcumsumexp_cuda_kernelERKNSB_10TensorBaseESF_lENKUlvE_clEvENKUlvE_clEvEUlddE_dEEDaPvRmT3_T4_T5_mT6_P12ihipStream_tbENKUlT_T0_E_clISt17integral_constantIbLb1EESV_IbLb0EEEEDaSR_SS_EUlSR_E_NS1_11comp_targetILNS1_3genE10ELNS1_11target_archE1200ELNS1_3gpuE4ELNS1_3repE0EEENS1_30default_config_static_selectorELNS0_4arch9wavefront6targetE0EEEvT1_.num_agpr, 0
	.set _ZN7rocprim17ROCPRIM_400000_NS6detail17trampoline_kernelINS0_14default_configENS1_20scan_config_selectorIdEEZZNS1_9scan_implILNS1_25lookback_scan_determinismE0ELb0ELb0ES3_PKdPddZZZN2at6native31launch_logcumsumexp_cuda_kernelERKNSB_10TensorBaseESF_lENKUlvE_clEvENKUlvE_clEvEUlddE_dEEDaPvRmT3_T4_T5_mT6_P12ihipStream_tbENKUlT_T0_E_clISt17integral_constantIbLb1EESV_IbLb0EEEEDaSR_SS_EUlSR_E_NS1_11comp_targetILNS1_3genE10ELNS1_11target_archE1200ELNS1_3gpuE4ELNS1_3repE0EEENS1_30default_config_static_selectorELNS0_4arch9wavefront6targetE0EEEvT1_.numbered_sgpr, 0
	.set _ZN7rocprim17ROCPRIM_400000_NS6detail17trampoline_kernelINS0_14default_configENS1_20scan_config_selectorIdEEZZNS1_9scan_implILNS1_25lookback_scan_determinismE0ELb0ELb0ES3_PKdPddZZZN2at6native31launch_logcumsumexp_cuda_kernelERKNSB_10TensorBaseESF_lENKUlvE_clEvENKUlvE_clEvEUlddE_dEEDaPvRmT3_T4_T5_mT6_P12ihipStream_tbENKUlT_T0_E_clISt17integral_constantIbLb1EESV_IbLb0EEEEDaSR_SS_EUlSR_E_NS1_11comp_targetILNS1_3genE10ELNS1_11target_archE1200ELNS1_3gpuE4ELNS1_3repE0EEENS1_30default_config_static_selectorELNS0_4arch9wavefront6targetE0EEEvT1_.num_named_barrier, 0
	.set _ZN7rocprim17ROCPRIM_400000_NS6detail17trampoline_kernelINS0_14default_configENS1_20scan_config_selectorIdEEZZNS1_9scan_implILNS1_25lookback_scan_determinismE0ELb0ELb0ES3_PKdPddZZZN2at6native31launch_logcumsumexp_cuda_kernelERKNSB_10TensorBaseESF_lENKUlvE_clEvENKUlvE_clEvEUlddE_dEEDaPvRmT3_T4_T5_mT6_P12ihipStream_tbENKUlT_T0_E_clISt17integral_constantIbLb1EESV_IbLb0EEEEDaSR_SS_EUlSR_E_NS1_11comp_targetILNS1_3genE10ELNS1_11target_archE1200ELNS1_3gpuE4ELNS1_3repE0EEENS1_30default_config_static_selectorELNS0_4arch9wavefront6targetE0EEEvT1_.private_seg_size, 0
	.set _ZN7rocprim17ROCPRIM_400000_NS6detail17trampoline_kernelINS0_14default_configENS1_20scan_config_selectorIdEEZZNS1_9scan_implILNS1_25lookback_scan_determinismE0ELb0ELb0ES3_PKdPddZZZN2at6native31launch_logcumsumexp_cuda_kernelERKNSB_10TensorBaseESF_lENKUlvE_clEvENKUlvE_clEvEUlddE_dEEDaPvRmT3_T4_T5_mT6_P12ihipStream_tbENKUlT_T0_E_clISt17integral_constantIbLb1EESV_IbLb0EEEEDaSR_SS_EUlSR_E_NS1_11comp_targetILNS1_3genE10ELNS1_11target_archE1200ELNS1_3gpuE4ELNS1_3repE0EEENS1_30default_config_static_selectorELNS0_4arch9wavefront6targetE0EEEvT1_.uses_vcc, 0
	.set _ZN7rocprim17ROCPRIM_400000_NS6detail17trampoline_kernelINS0_14default_configENS1_20scan_config_selectorIdEEZZNS1_9scan_implILNS1_25lookback_scan_determinismE0ELb0ELb0ES3_PKdPddZZZN2at6native31launch_logcumsumexp_cuda_kernelERKNSB_10TensorBaseESF_lENKUlvE_clEvENKUlvE_clEvEUlddE_dEEDaPvRmT3_T4_T5_mT6_P12ihipStream_tbENKUlT_T0_E_clISt17integral_constantIbLb1EESV_IbLb0EEEEDaSR_SS_EUlSR_E_NS1_11comp_targetILNS1_3genE10ELNS1_11target_archE1200ELNS1_3gpuE4ELNS1_3repE0EEENS1_30default_config_static_selectorELNS0_4arch9wavefront6targetE0EEEvT1_.uses_flat_scratch, 0
	.set _ZN7rocprim17ROCPRIM_400000_NS6detail17trampoline_kernelINS0_14default_configENS1_20scan_config_selectorIdEEZZNS1_9scan_implILNS1_25lookback_scan_determinismE0ELb0ELb0ES3_PKdPddZZZN2at6native31launch_logcumsumexp_cuda_kernelERKNSB_10TensorBaseESF_lENKUlvE_clEvENKUlvE_clEvEUlddE_dEEDaPvRmT3_T4_T5_mT6_P12ihipStream_tbENKUlT_T0_E_clISt17integral_constantIbLb1EESV_IbLb0EEEEDaSR_SS_EUlSR_E_NS1_11comp_targetILNS1_3genE10ELNS1_11target_archE1200ELNS1_3gpuE4ELNS1_3repE0EEENS1_30default_config_static_selectorELNS0_4arch9wavefront6targetE0EEEvT1_.has_dyn_sized_stack, 0
	.set _ZN7rocprim17ROCPRIM_400000_NS6detail17trampoline_kernelINS0_14default_configENS1_20scan_config_selectorIdEEZZNS1_9scan_implILNS1_25lookback_scan_determinismE0ELb0ELb0ES3_PKdPddZZZN2at6native31launch_logcumsumexp_cuda_kernelERKNSB_10TensorBaseESF_lENKUlvE_clEvENKUlvE_clEvEUlddE_dEEDaPvRmT3_T4_T5_mT6_P12ihipStream_tbENKUlT_T0_E_clISt17integral_constantIbLb1EESV_IbLb0EEEEDaSR_SS_EUlSR_E_NS1_11comp_targetILNS1_3genE10ELNS1_11target_archE1200ELNS1_3gpuE4ELNS1_3repE0EEENS1_30default_config_static_selectorELNS0_4arch9wavefront6targetE0EEEvT1_.has_recursion, 0
	.set _ZN7rocprim17ROCPRIM_400000_NS6detail17trampoline_kernelINS0_14default_configENS1_20scan_config_selectorIdEEZZNS1_9scan_implILNS1_25lookback_scan_determinismE0ELb0ELb0ES3_PKdPddZZZN2at6native31launch_logcumsumexp_cuda_kernelERKNSB_10TensorBaseESF_lENKUlvE_clEvENKUlvE_clEvEUlddE_dEEDaPvRmT3_T4_T5_mT6_P12ihipStream_tbENKUlT_T0_E_clISt17integral_constantIbLb1EESV_IbLb0EEEEDaSR_SS_EUlSR_E_NS1_11comp_targetILNS1_3genE10ELNS1_11target_archE1200ELNS1_3gpuE4ELNS1_3repE0EEENS1_30default_config_static_selectorELNS0_4arch9wavefront6targetE0EEEvT1_.has_indirect_call, 0
	.section	.AMDGPU.csdata,"",@progbits
; Kernel info:
; codeLenInByte = 0
; TotalNumSgprs: 0
; NumVgprs: 0
; ScratchSize: 0
; MemoryBound: 0
; FloatMode: 240
; IeeeMode: 1
; LDSByteSize: 0 bytes/workgroup (compile time only)
; SGPRBlocks: 0
; VGPRBlocks: 0
; NumSGPRsForWavesPerEU: 1
; NumVGPRsForWavesPerEU: 1
; Occupancy: 16
; WaveLimiterHint : 0
; COMPUTE_PGM_RSRC2:SCRATCH_EN: 0
; COMPUTE_PGM_RSRC2:USER_SGPR: 2
; COMPUTE_PGM_RSRC2:TRAP_HANDLER: 0
; COMPUTE_PGM_RSRC2:TGID_X_EN: 1
; COMPUTE_PGM_RSRC2:TGID_Y_EN: 0
; COMPUTE_PGM_RSRC2:TGID_Z_EN: 0
; COMPUTE_PGM_RSRC2:TIDIG_COMP_CNT: 0
	.section	.text._ZN7rocprim17ROCPRIM_400000_NS6detail17trampoline_kernelINS0_14default_configENS1_20scan_config_selectorIdEEZZNS1_9scan_implILNS1_25lookback_scan_determinismE0ELb0ELb0ES3_PKdPddZZZN2at6native31launch_logcumsumexp_cuda_kernelERKNSB_10TensorBaseESF_lENKUlvE_clEvENKUlvE_clEvEUlddE_dEEDaPvRmT3_T4_T5_mT6_P12ihipStream_tbENKUlT_T0_E_clISt17integral_constantIbLb1EESV_IbLb0EEEEDaSR_SS_EUlSR_E_NS1_11comp_targetILNS1_3genE9ELNS1_11target_archE1100ELNS1_3gpuE3ELNS1_3repE0EEENS1_30default_config_static_selectorELNS0_4arch9wavefront6targetE0EEEvT1_,"axG",@progbits,_ZN7rocprim17ROCPRIM_400000_NS6detail17trampoline_kernelINS0_14default_configENS1_20scan_config_selectorIdEEZZNS1_9scan_implILNS1_25lookback_scan_determinismE0ELb0ELb0ES3_PKdPddZZZN2at6native31launch_logcumsumexp_cuda_kernelERKNSB_10TensorBaseESF_lENKUlvE_clEvENKUlvE_clEvEUlddE_dEEDaPvRmT3_T4_T5_mT6_P12ihipStream_tbENKUlT_T0_E_clISt17integral_constantIbLb1EESV_IbLb0EEEEDaSR_SS_EUlSR_E_NS1_11comp_targetILNS1_3genE9ELNS1_11target_archE1100ELNS1_3gpuE3ELNS1_3repE0EEENS1_30default_config_static_selectorELNS0_4arch9wavefront6targetE0EEEvT1_,comdat
	.globl	_ZN7rocprim17ROCPRIM_400000_NS6detail17trampoline_kernelINS0_14default_configENS1_20scan_config_selectorIdEEZZNS1_9scan_implILNS1_25lookback_scan_determinismE0ELb0ELb0ES3_PKdPddZZZN2at6native31launch_logcumsumexp_cuda_kernelERKNSB_10TensorBaseESF_lENKUlvE_clEvENKUlvE_clEvEUlddE_dEEDaPvRmT3_T4_T5_mT6_P12ihipStream_tbENKUlT_T0_E_clISt17integral_constantIbLb1EESV_IbLb0EEEEDaSR_SS_EUlSR_E_NS1_11comp_targetILNS1_3genE9ELNS1_11target_archE1100ELNS1_3gpuE3ELNS1_3repE0EEENS1_30default_config_static_selectorELNS0_4arch9wavefront6targetE0EEEvT1_ ; -- Begin function _ZN7rocprim17ROCPRIM_400000_NS6detail17trampoline_kernelINS0_14default_configENS1_20scan_config_selectorIdEEZZNS1_9scan_implILNS1_25lookback_scan_determinismE0ELb0ELb0ES3_PKdPddZZZN2at6native31launch_logcumsumexp_cuda_kernelERKNSB_10TensorBaseESF_lENKUlvE_clEvENKUlvE_clEvEUlddE_dEEDaPvRmT3_T4_T5_mT6_P12ihipStream_tbENKUlT_T0_E_clISt17integral_constantIbLb1EESV_IbLb0EEEEDaSR_SS_EUlSR_E_NS1_11comp_targetILNS1_3genE9ELNS1_11target_archE1100ELNS1_3gpuE3ELNS1_3repE0EEENS1_30default_config_static_selectorELNS0_4arch9wavefront6targetE0EEEvT1_
	.p2align	8
	.type	_ZN7rocprim17ROCPRIM_400000_NS6detail17trampoline_kernelINS0_14default_configENS1_20scan_config_selectorIdEEZZNS1_9scan_implILNS1_25lookback_scan_determinismE0ELb0ELb0ES3_PKdPddZZZN2at6native31launch_logcumsumexp_cuda_kernelERKNSB_10TensorBaseESF_lENKUlvE_clEvENKUlvE_clEvEUlddE_dEEDaPvRmT3_T4_T5_mT6_P12ihipStream_tbENKUlT_T0_E_clISt17integral_constantIbLb1EESV_IbLb0EEEEDaSR_SS_EUlSR_E_NS1_11comp_targetILNS1_3genE9ELNS1_11target_archE1100ELNS1_3gpuE3ELNS1_3repE0EEENS1_30default_config_static_selectorELNS0_4arch9wavefront6targetE0EEEvT1_,@function
_ZN7rocprim17ROCPRIM_400000_NS6detail17trampoline_kernelINS0_14default_configENS1_20scan_config_selectorIdEEZZNS1_9scan_implILNS1_25lookback_scan_determinismE0ELb0ELb0ES3_PKdPddZZZN2at6native31launch_logcumsumexp_cuda_kernelERKNSB_10TensorBaseESF_lENKUlvE_clEvENKUlvE_clEvEUlddE_dEEDaPvRmT3_T4_T5_mT6_P12ihipStream_tbENKUlT_T0_E_clISt17integral_constantIbLb1EESV_IbLb0EEEEDaSR_SS_EUlSR_E_NS1_11comp_targetILNS1_3genE9ELNS1_11target_archE1100ELNS1_3gpuE3ELNS1_3repE0EEENS1_30default_config_static_selectorELNS0_4arch9wavefront6targetE0EEEvT1_: ; @_ZN7rocprim17ROCPRIM_400000_NS6detail17trampoline_kernelINS0_14default_configENS1_20scan_config_selectorIdEEZZNS1_9scan_implILNS1_25lookback_scan_determinismE0ELb0ELb0ES3_PKdPddZZZN2at6native31launch_logcumsumexp_cuda_kernelERKNSB_10TensorBaseESF_lENKUlvE_clEvENKUlvE_clEvEUlddE_dEEDaPvRmT3_T4_T5_mT6_P12ihipStream_tbENKUlT_T0_E_clISt17integral_constantIbLb1EESV_IbLb0EEEEDaSR_SS_EUlSR_E_NS1_11comp_targetILNS1_3genE9ELNS1_11target_archE1100ELNS1_3gpuE3ELNS1_3repE0EEENS1_30default_config_static_selectorELNS0_4arch9wavefront6targetE0EEEvT1_
; %bb.0:
	.section	.rodata,"a",@progbits
	.p2align	6, 0x0
	.amdhsa_kernel _ZN7rocprim17ROCPRIM_400000_NS6detail17trampoline_kernelINS0_14default_configENS1_20scan_config_selectorIdEEZZNS1_9scan_implILNS1_25lookback_scan_determinismE0ELb0ELb0ES3_PKdPddZZZN2at6native31launch_logcumsumexp_cuda_kernelERKNSB_10TensorBaseESF_lENKUlvE_clEvENKUlvE_clEvEUlddE_dEEDaPvRmT3_T4_T5_mT6_P12ihipStream_tbENKUlT_T0_E_clISt17integral_constantIbLb1EESV_IbLb0EEEEDaSR_SS_EUlSR_E_NS1_11comp_targetILNS1_3genE9ELNS1_11target_archE1100ELNS1_3gpuE3ELNS1_3repE0EEENS1_30default_config_static_selectorELNS0_4arch9wavefront6targetE0EEEvT1_
		.amdhsa_group_segment_fixed_size 0
		.amdhsa_private_segment_fixed_size 0
		.amdhsa_kernarg_size 104
		.amdhsa_user_sgpr_count 2
		.amdhsa_user_sgpr_dispatch_ptr 0
		.amdhsa_user_sgpr_queue_ptr 0
		.amdhsa_user_sgpr_kernarg_segment_ptr 1
		.amdhsa_user_sgpr_dispatch_id 0
		.amdhsa_user_sgpr_private_segment_size 0
		.amdhsa_wavefront_size32 1
		.amdhsa_uses_dynamic_stack 0
		.amdhsa_enable_private_segment 0
		.amdhsa_system_sgpr_workgroup_id_x 1
		.amdhsa_system_sgpr_workgroup_id_y 0
		.amdhsa_system_sgpr_workgroup_id_z 0
		.amdhsa_system_sgpr_workgroup_info 0
		.amdhsa_system_vgpr_workitem_id 0
		.amdhsa_next_free_vgpr 1
		.amdhsa_next_free_sgpr 1
		.amdhsa_reserve_vcc 0
		.amdhsa_float_round_mode_32 0
		.amdhsa_float_round_mode_16_64 0
		.amdhsa_float_denorm_mode_32 3
		.amdhsa_float_denorm_mode_16_64 3
		.amdhsa_fp16_overflow 0
		.amdhsa_workgroup_processor_mode 1
		.amdhsa_memory_ordered 1
		.amdhsa_forward_progress 1
		.amdhsa_inst_pref_size 0
		.amdhsa_round_robin_scheduling 0
		.amdhsa_exception_fp_ieee_invalid_op 0
		.amdhsa_exception_fp_denorm_src 0
		.amdhsa_exception_fp_ieee_div_zero 0
		.amdhsa_exception_fp_ieee_overflow 0
		.amdhsa_exception_fp_ieee_underflow 0
		.amdhsa_exception_fp_ieee_inexact 0
		.amdhsa_exception_int_div_zero 0
	.end_amdhsa_kernel
	.section	.text._ZN7rocprim17ROCPRIM_400000_NS6detail17trampoline_kernelINS0_14default_configENS1_20scan_config_selectorIdEEZZNS1_9scan_implILNS1_25lookback_scan_determinismE0ELb0ELb0ES3_PKdPddZZZN2at6native31launch_logcumsumexp_cuda_kernelERKNSB_10TensorBaseESF_lENKUlvE_clEvENKUlvE_clEvEUlddE_dEEDaPvRmT3_T4_T5_mT6_P12ihipStream_tbENKUlT_T0_E_clISt17integral_constantIbLb1EESV_IbLb0EEEEDaSR_SS_EUlSR_E_NS1_11comp_targetILNS1_3genE9ELNS1_11target_archE1100ELNS1_3gpuE3ELNS1_3repE0EEENS1_30default_config_static_selectorELNS0_4arch9wavefront6targetE0EEEvT1_,"axG",@progbits,_ZN7rocprim17ROCPRIM_400000_NS6detail17trampoline_kernelINS0_14default_configENS1_20scan_config_selectorIdEEZZNS1_9scan_implILNS1_25lookback_scan_determinismE0ELb0ELb0ES3_PKdPddZZZN2at6native31launch_logcumsumexp_cuda_kernelERKNSB_10TensorBaseESF_lENKUlvE_clEvENKUlvE_clEvEUlddE_dEEDaPvRmT3_T4_T5_mT6_P12ihipStream_tbENKUlT_T0_E_clISt17integral_constantIbLb1EESV_IbLb0EEEEDaSR_SS_EUlSR_E_NS1_11comp_targetILNS1_3genE9ELNS1_11target_archE1100ELNS1_3gpuE3ELNS1_3repE0EEENS1_30default_config_static_selectorELNS0_4arch9wavefront6targetE0EEEvT1_,comdat
.Lfunc_end54:
	.size	_ZN7rocprim17ROCPRIM_400000_NS6detail17trampoline_kernelINS0_14default_configENS1_20scan_config_selectorIdEEZZNS1_9scan_implILNS1_25lookback_scan_determinismE0ELb0ELb0ES3_PKdPddZZZN2at6native31launch_logcumsumexp_cuda_kernelERKNSB_10TensorBaseESF_lENKUlvE_clEvENKUlvE_clEvEUlddE_dEEDaPvRmT3_T4_T5_mT6_P12ihipStream_tbENKUlT_T0_E_clISt17integral_constantIbLb1EESV_IbLb0EEEEDaSR_SS_EUlSR_E_NS1_11comp_targetILNS1_3genE9ELNS1_11target_archE1100ELNS1_3gpuE3ELNS1_3repE0EEENS1_30default_config_static_selectorELNS0_4arch9wavefront6targetE0EEEvT1_, .Lfunc_end54-_ZN7rocprim17ROCPRIM_400000_NS6detail17trampoline_kernelINS0_14default_configENS1_20scan_config_selectorIdEEZZNS1_9scan_implILNS1_25lookback_scan_determinismE0ELb0ELb0ES3_PKdPddZZZN2at6native31launch_logcumsumexp_cuda_kernelERKNSB_10TensorBaseESF_lENKUlvE_clEvENKUlvE_clEvEUlddE_dEEDaPvRmT3_T4_T5_mT6_P12ihipStream_tbENKUlT_T0_E_clISt17integral_constantIbLb1EESV_IbLb0EEEEDaSR_SS_EUlSR_E_NS1_11comp_targetILNS1_3genE9ELNS1_11target_archE1100ELNS1_3gpuE3ELNS1_3repE0EEENS1_30default_config_static_selectorELNS0_4arch9wavefront6targetE0EEEvT1_
                                        ; -- End function
	.set _ZN7rocprim17ROCPRIM_400000_NS6detail17trampoline_kernelINS0_14default_configENS1_20scan_config_selectorIdEEZZNS1_9scan_implILNS1_25lookback_scan_determinismE0ELb0ELb0ES3_PKdPddZZZN2at6native31launch_logcumsumexp_cuda_kernelERKNSB_10TensorBaseESF_lENKUlvE_clEvENKUlvE_clEvEUlddE_dEEDaPvRmT3_T4_T5_mT6_P12ihipStream_tbENKUlT_T0_E_clISt17integral_constantIbLb1EESV_IbLb0EEEEDaSR_SS_EUlSR_E_NS1_11comp_targetILNS1_3genE9ELNS1_11target_archE1100ELNS1_3gpuE3ELNS1_3repE0EEENS1_30default_config_static_selectorELNS0_4arch9wavefront6targetE0EEEvT1_.num_vgpr, 0
	.set _ZN7rocprim17ROCPRIM_400000_NS6detail17trampoline_kernelINS0_14default_configENS1_20scan_config_selectorIdEEZZNS1_9scan_implILNS1_25lookback_scan_determinismE0ELb0ELb0ES3_PKdPddZZZN2at6native31launch_logcumsumexp_cuda_kernelERKNSB_10TensorBaseESF_lENKUlvE_clEvENKUlvE_clEvEUlddE_dEEDaPvRmT3_T4_T5_mT6_P12ihipStream_tbENKUlT_T0_E_clISt17integral_constantIbLb1EESV_IbLb0EEEEDaSR_SS_EUlSR_E_NS1_11comp_targetILNS1_3genE9ELNS1_11target_archE1100ELNS1_3gpuE3ELNS1_3repE0EEENS1_30default_config_static_selectorELNS0_4arch9wavefront6targetE0EEEvT1_.num_agpr, 0
	.set _ZN7rocprim17ROCPRIM_400000_NS6detail17trampoline_kernelINS0_14default_configENS1_20scan_config_selectorIdEEZZNS1_9scan_implILNS1_25lookback_scan_determinismE0ELb0ELb0ES3_PKdPddZZZN2at6native31launch_logcumsumexp_cuda_kernelERKNSB_10TensorBaseESF_lENKUlvE_clEvENKUlvE_clEvEUlddE_dEEDaPvRmT3_T4_T5_mT6_P12ihipStream_tbENKUlT_T0_E_clISt17integral_constantIbLb1EESV_IbLb0EEEEDaSR_SS_EUlSR_E_NS1_11comp_targetILNS1_3genE9ELNS1_11target_archE1100ELNS1_3gpuE3ELNS1_3repE0EEENS1_30default_config_static_selectorELNS0_4arch9wavefront6targetE0EEEvT1_.numbered_sgpr, 0
	.set _ZN7rocprim17ROCPRIM_400000_NS6detail17trampoline_kernelINS0_14default_configENS1_20scan_config_selectorIdEEZZNS1_9scan_implILNS1_25lookback_scan_determinismE0ELb0ELb0ES3_PKdPddZZZN2at6native31launch_logcumsumexp_cuda_kernelERKNSB_10TensorBaseESF_lENKUlvE_clEvENKUlvE_clEvEUlddE_dEEDaPvRmT3_T4_T5_mT6_P12ihipStream_tbENKUlT_T0_E_clISt17integral_constantIbLb1EESV_IbLb0EEEEDaSR_SS_EUlSR_E_NS1_11comp_targetILNS1_3genE9ELNS1_11target_archE1100ELNS1_3gpuE3ELNS1_3repE0EEENS1_30default_config_static_selectorELNS0_4arch9wavefront6targetE0EEEvT1_.num_named_barrier, 0
	.set _ZN7rocprim17ROCPRIM_400000_NS6detail17trampoline_kernelINS0_14default_configENS1_20scan_config_selectorIdEEZZNS1_9scan_implILNS1_25lookback_scan_determinismE0ELb0ELb0ES3_PKdPddZZZN2at6native31launch_logcumsumexp_cuda_kernelERKNSB_10TensorBaseESF_lENKUlvE_clEvENKUlvE_clEvEUlddE_dEEDaPvRmT3_T4_T5_mT6_P12ihipStream_tbENKUlT_T0_E_clISt17integral_constantIbLb1EESV_IbLb0EEEEDaSR_SS_EUlSR_E_NS1_11comp_targetILNS1_3genE9ELNS1_11target_archE1100ELNS1_3gpuE3ELNS1_3repE0EEENS1_30default_config_static_selectorELNS0_4arch9wavefront6targetE0EEEvT1_.private_seg_size, 0
	.set _ZN7rocprim17ROCPRIM_400000_NS6detail17trampoline_kernelINS0_14default_configENS1_20scan_config_selectorIdEEZZNS1_9scan_implILNS1_25lookback_scan_determinismE0ELb0ELb0ES3_PKdPddZZZN2at6native31launch_logcumsumexp_cuda_kernelERKNSB_10TensorBaseESF_lENKUlvE_clEvENKUlvE_clEvEUlddE_dEEDaPvRmT3_T4_T5_mT6_P12ihipStream_tbENKUlT_T0_E_clISt17integral_constantIbLb1EESV_IbLb0EEEEDaSR_SS_EUlSR_E_NS1_11comp_targetILNS1_3genE9ELNS1_11target_archE1100ELNS1_3gpuE3ELNS1_3repE0EEENS1_30default_config_static_selectorELNS0_4arch9wavefront6targetE0EEEvT1_.uses_vcc, 0
	.set _ZN7rocprim17ROCPRIM_400000_NS6detail17trampoline_kernelINS0_14default_configENS1_20scan_config_selectorIdEEZZNS1_9scan_implILNS1_25lookback_scan_determinismE0ELb0ELb0ES3_PKdPddZZZN2at6native31launch_logcumsumexp_cuda_kernelERKNSB_10TensorBaseESF_lENKUlvE_clEvENKUlvE_clEvEUlddE_dEEDaPvRmT3_T4_T5_mT6_P12ihipStream_tbENKUlT_T0_E_clISt17integral_constantIbLb1EESV_IbLb0EEEEDaSR_SS_EUlSR_E_NS1_11comp_targetILNS1_3genE9ELNS1_11target_archE1100ELNS1_3gpuE3ELNS1_3repE0EEENS1_30default_config_static_selectorELNS0_4arch9wavefront6targetE0EEEvT1_.uses_flat_scratch, 0
	.set _ZN7rocprim17ROCPRIM_400000_NS6detail17trampoline_kernelINS0_14default_configENS1_20scan_config_selectorIdEEZZNS1_9scan_implILNS1_25lookback_scan_determinismE0ELb0ELb0ES3_PKdPddZZZN2at6native31launch_logcumsumexp_cuda_kernelERKNSB_10TensorBaseESF_lENKUlvE_clEvENKUlvE_clEvEUlddE_dEEDaPvRmT3_T4_T5_mT6_P12ihipStream_tbENKUlT_T0_E_clISt17integral_constantIbLb1EESV_IbLb0EEEEDaSR_SS_EUlSR_E_NS1_11comp_targetILNS1_3genE9ELNS1_11target_archE1100ELNS1_3gpuE3ELNS1_3repE0EEENS1_30default_config_static_selectorELNS0_4arch9wavefront6targetE0EEEvT1_.has_dyn_sized_stack, 0
	.set _ZN7rocprim17ROCPRIM_400000_NS6detail17trampoline_kernelINS0_14default_configENS1_20scan_config_selectorIdEEZZNS1_9scan_implILNS1_25lookback_scan_determinismE0ELb0ELb0ES3_PKdPddZZZN2at6native31launch_logcumsumexp_cuda_kernelERKNSB_10TensorBaseESF_lENKUlvE_clEvENKUlvE_clEvEUlddE_dEEDaPvRmT3_T4_T5_mT6_P12ihipStream_tbENKUlT_T0_E_clISt17integral_constantIbLb1EESV_IbLb0EEEEDaSR_SS_EUlSR_E_NS1_11comp_targetILNS1_3genE9ELNS1_11target_archE1100ELNS1_3gpuE3ELNS1_3repE0EEENS1_30default_config_static_selectorELNS0_4arch9wavefront6targetE0EEEvT1_.has_recursion, 0
	.set _ZN7rocprim17ROCPRIM_400000_NS6detail17trampoline_kernelINS0_14default_configENS1_20scan_config_selectorIdEEZZNS1_9scan_implILNS1_25lookback_scan_determinismE0ELb0ELb0ES3_PKdPddZZZN2at6native31launch_logcumsumexp_cuda_kernelERKNSB_10TensorBaseESF_lENKUlvE_clEvENKUlvE_clEvEUlddE_dEEDaPvRmT3_T4_T5_mT6_P12ihipStream_tbENKUlT_T0_E_clISt17integral_constantIbLb1EESV_IbLb0EEEEDaSR_SS_EUlSR_E_NS1_11comp_targetILNS1_3genE9ELNS1_11target_archE1100ELNS1_3gpuE3ELNS1_3repE0EEENS1_30default_config_static_selectorELNS0_4arch9wavefront6targetE0EEEvT1_.has_indirect_call, 0
	.section	.AMDGPU.csdata,"",@progbits
; Kernel info:
; codeLenInByte = 0
; TotalNumSgprs: 0
; NumVgprs: 0
; ScratchSize: 0
; MemoryBound: 0
; FloatMode: 240
; IeeeMode: 1
; LDSByteSize: 0 bytes/workgroup (compile time only)
; SGPRBlocks: 0
; VGPRBlocks: 0
; NumSGPRsForWavesPerEU: 1
; NumVGPRsForWavesPerEU: 1
; Occupancy: 16
; WaveLimiterHint : 0
; COMPUTE_PGM_RSRC2:SCRATCH_EN: 0
; COMPUTE_PGM_RSRC2:USER_SGPR: 2
; COMPUTE_PGM_RSRC2:TRAP_HANDLER: 0
; COMPUTE_PGM_RSRC2:TGID_X_EN: 1
; COMPUTE_PGM_RSRC2:TGID_Y_EN: 0
; COMPUTE_PGM_RSRC2:TGID_Z_EN: 0
; COMPUTE_PGM_RSRC2:TIDIG_COMP_CNT: 0
	.section	.text._ZN7rocprim17ROCPRIM_400000_NS6detail17trampoline_kernelINS0_14default_configENS1_20scan_config_selectorIdEEZZNS1_9scan_implILNS1_25lookback_scan_determinismE0ELb0ELb0ES3_PKdPddZZZN2at6native31launch_logcumsumexp_cuda_kernelERKNSB_10TensorBaseESF_lENKUlvE_clEvENKUlvE_clEvEUlddE_dEEDaPvRmT3_T4_T5_mT6_P12ihipStream_tbENKUlT_T0_E_clISt17integral_constantIbLb1EESV_IbLb0EEEEDaSR_SS_EUlSR_E_NS1_11comp_targetILNS1_3genE8ELNS1_11target_archE1030ELNS1_3gpuE2ELNS1_3repE0EEENS1_30default_config_static_selectorELNS0_4arch9wavefront6targetE0EEEvT1_,"axG",@progbits,_ZN7rocprim17ROCPRIM_400000_NS6detail17trampoline_kernelINS0_14default_configENS1_20scan_config_selectorIdEEZZNS1_9scan_implILNS1_25lookback_scan_determinismE0ELb0ELb0ES3_PKdPddZZZN2at6native31launch_logcumsumexp_cuda_kernelERKNSB_10TensorBaseESF_lENKUlvE_clEvENKUlvE_clEvEUlddE_dEEDaPvRmT3_T4_T5_mT6_P12ihipStream_tbENKUlT_T0_E_clISt17integral_constantIbLb1EESV_IbLb0EEEEDaSR_SS_EUlSR_E_NS1_11comp_targetILNS1_3genE8ELNS1_11target_archE1030ELNS1_3gpuE2ELNS1_3repE0EEENS1_30default_config_static_selectorELNS0_4arch9wavefront6targetE0EEEvT1_,comdat
	.globl	_ZN7rocprim17ROCPRIM_400000_NS6detail17trampoline_kernelINS0_14default_configENS1_20scan_config_selectorIdEEZZNS1_9scan_implILNS1_25lookback_scan_determinismE0ELb0ELb0ES3_PKdPddZZZN2at6native31launch_logcumsumexp_cuda_kernelERKNSB_10TensorBaseESF_lENKUlvE_clEvENKUlvE_clEvEUlddE_dEEDaPvRmT3_T4_T5_mT6_P12ihipStream_tbENKUlT_T0_E_clISt17integral_constantIbLb1EESV_IbLb0EEEEDaSR_SS_EUlSR_E_NS1_11comp_targetILNS1_3genE8ELNS1_11target_archE1030ELNS1_3gpuE2ELNS1_3repE0EEENS1_30default_config_static_selectorELNS0_4arch9wavefront6targetE0EEEvT1_ ; -- Begin function _ZN7rocprim17ROCPRIM_400000_NS6detail17trampoline_kernelINS0_14default_configENS1_20scan_config_selectorIdEEZZNS1_9scan_implILNS1_25lookback_scan_determinismE0ELb0ELb0ES3_PKdPddZZZN2at6native31launch_logcumsumexp_cuda_kernelERKNSB_10TensorBaseESF_lENKUlvE_clEvENKUlvE_clEvEUlddE_dEEDaPvRmT3_T4_T5_mT6_P12ihipStream_tbENKUlT_T0_E_clISt17integral_constantIbLb1EESV_IbLb0EEEEDaSR_SS_EUlSR_E_NS1_11comp_targetILNS1_3genE8ELNS1_11target_archE1030ELNS1_3gpuE2ELNS1_3repE0EEENS1_30default_config_static_selectorELNS0_4arch9wavefront6targetE0EEEvT1_
	.p2align	8
	.type	_ZN7rocprim17ROCPRIM_400000_NS6detail17trampoline_kernelINS0_14default_configENS1_20scan_config_selectorIdEEZZNS1_9scan_implILNS1_25lookback_scan_determinismE0ELb0ELb0ES3_PKdPddZZZN2at6native31launch_logcumsumexp_cuda_kernelERKNSB_10TensorBaseESF_lENKUlvE_clEvENKUlvE_clEvEUlddE_dEEDaPvRmT3_T4_T5_mT6_P12ihipStream_tbENKUlT_T0_E_clISt17integral_constantIbLb1EESV_IbLb0EEEEDaSR_SS_EUlSR_E_NS1_11comp_targetILNS1_3genE8ELNS1_11target_archE1030ELNS1_3gpuE2ELNS1_3repE0EEENS1_30default_config_static_selectorELNS0_4arch9wavefront6targetE0EEEvT1_,@function
_ZN7rocprim17ROCPRIM_400000_NS6detail17trampoline_kernelINS0_14default_configENS1_20scan_config_selectorIdEEZZNS1_9scan_implILNS1_25lookback_scan_determinismE0ELb0ELb0ES3_PKdPddZZZN2at6native31launch_logcumsumexp_cuda_kernelERKNSB_10TensorBaseESF_lENKUlvE_clEvENKUlvE_clEvEUlddE_dEEDaPvRmT3_T4_T5_mT6_P12ihipStream_tbENKUlT_T0_E_clISt17integral_constantIbLb1EESV_IbLb0EEEEDaSR_SS_EUlSR_E_NS1_11comp_targetILNS1_3genE8ELNS1_11target_archE1030ELNS1_3gpuE2ELNS1_3repE0EEENS1_30default_config_static_selectorELNS0_4arch9wavefront6targetE0EEEvT1_: ; @_ZN7rocprim17ROCPRIM_400000_NS6detail17trampoline_kernelINS0_14default_configENS1_20scan_config_selectorIdEEZZNS1_9scan_implILNS1_25lookback_scan_determinismE0ELb0ELb0ES3_PKdPddZZZN2at6native31launch_logcumsumexp_cuda_kernelERKNSB_10TensorBaseESF_lENKUlvE_clEvENKUlvE_clEvEUlddE_dEEDaPvRmT3_T4_T5_mT6_P12ihipStream_tbENKUlT_T0_E_clISt17integral_constantIbLb1EESV_IbLb0EEEEDaSR_SS_EUlSR_E_NS1_11comp_targetILNS1_3genE8ELNS1_11target_archE1030ELNS1_3gpuE2ELNS1_3repE0EEENS1_30default_config_static_selectorELNS0_4arch9wavefront6targetE0EEEvT1_
; %bb.0:
	.section	.rodata,"a",@progbits
	.p2align	6, 0x0
	.amdhsa_kernel _ZN7rocprim17ROCPRIM_400000_NS6detail17trampoline_kernelINS0_14default_configENS1_20scan_config_selectorIdEEZZNS1_9scan_implILNS1_25lookback_scan_determinismE0ELb0ELb0ES3_PKdPddZZZN2at6native31launch_logcumsumexp_cuda_kernelERKNSB_10TensorBaseESF_lENKUlvE_clEvENKUlvE_clEvEUlddE_dEEDaPvRmT3_T4_T5_mT6_P12ihipStream_tbENKUlT_T0_E_clISt17integral_constantIbLb1EESV_IbLb0EEEEDaSR_SS_EUlSR_E_NS1_11comp_targetILNS1_3genE8ELNS1_11target_archE1030ELNS1_3gpuE2ELNS1_3repE0EEENS1_30default_config_static_selectorELNS0_4arch9wavefront6targetE0EEEvT1_
		.amdhsa_group_segment_fixed_size 0
		.amdhsa_private_segment_fixed_size 0
		.amdhsa_kernarg_size 104
		.amdhsa_user_sgpr_count 2
		.amdhsa_user_sgpr_dispatch_ptr 0
		.amdhsa_user_sgpr_queue_ptr 0
		.amdhsa_user_sgpr_kernarg_segment_ptr 1
		.amdhsa_user_sgpr_dispatch_id 0
		.amdhsa_user_sgpr_private_segment_size 0
		.amdhsa_wavefront_size32 1
		.amdhsa_uses_dynamic_stack 0
		.amdhsa_enable_private_segment 0
		.amdhsa_system_sgpr_workgroup_id_x 1
		.amdhsa_system_sgpr_workgroup_id_y 0
		.amdhsa_system_sgpr_workgroup_id_z 0
		.amdhsa_system_sgpr_workgroup_info 0
		.amdhsa_system_vgpr_workitem_id 0
		.amdhsa_next_free_vgpr 1
		.amdhsa_next_free_sgpr 1
		.amdhsa_reserve_vcc 0
		.amdhsa_float_round_mode_32 0
		.amdhsa_float_round_mode_16_64 0
		.amdhsa_float_denorm_mode_32 3
		.amdhsa_float_denorm_mode_16_64 3
		.amdhsa_fp16_overflow 0
		.amdhsa_workgroup_processor_mode 1
		.amdhsa_memory_ordered 1
		.amdhsa_forward_progress 1
		.amdhsa_inst_pref_size 0
		.amdhsa_round_robin_scheduling 0
		.amdhsa_exception_fp_ieee_invalid_op 0
		.amdhsa_exception_fp_denorm_src 0
		.amdhsa_exception_fp_ieee_div_zero 0
		.amdhsa_exception_fp_ieee_overflow 0
		.amdhsa_exception_fp_ieee_underflow 0
		.amdhsa_exception_fp_ieee_inexact 0
		.amdhsa_exception_int_div_zero 0
	.end_amdhsa_kernel
	.section	.text._ZN7rocprim17ROCPRIM_400000_NS6detail17trampoline_kernelINS0_14default_configENS1_20scan_config_selectorIdEEZZNS1_9scan_implILNS1_25lookback_scan_determinismE0ELb0ELb0ES3_PKdPddZZZN2at6native31launch_logcumsumexp_cuda_kernelERKNSB_10TensorBaseESF_lENKUlvE_clEvENKUlvE_clEvEUlddE_dEEDaPvRmT3_T4_T5_mT6_P12ihipStream_tbENKUlT_T0_E_clISt17integral_constantIbLb1EESV_IbLb0EEEEDaSR_SS_EUlSR_E_NS1_11comp_targetILNS1_3genE8ELNS1_11target_archE1030ELNS1_3gpuE2ELNS1_3repE0EEENS1_30default_config_static_selectorELNS0_4arch9wavefront6targetE0EEEvT1_,"axG",@progbits,_ZN7rocprim17ROCPRIM_400000_NS6detail17trampoline_kernelINS0_14default_configENS1_20scan_config_selectorIdEEZZNS1_9scan_implILNS1_25lookback_scan_determinismE0ELb0ELb0ES3_PKdPddZZZN2at6native31launch_logcumsumexp_cuda_kernelERKNSB_10TensorBaseESF_lENKUlvE_clEvENKUlvE_clEvEUlddE_dEEDaPvRmT3_T4_T5_mT6_P12ihipStream_tbENKUlT_T0_E_clISt17integral_constantIbLb1EESV_IbLb0EEEEDaSR_SS_EUlSR_E_NS1_11comp_targetILNS1_3genE8ELNS1_11target_archE1030ELNS1_3gpuE2ELNS1_3repE0EEENS1_30default_config_static_selectorELNS0_4arch9wavefront6targetE0EEEvT1_,comdat
.Lfunc_end55:
	.size	_ZN7rocprim17ROCPRIM_400000_NS6detail17trampoline_kernelINS0_14default_configENS1_20scan_config_selectorIdEEZZNS1_9scan_implILNS1_25lookback_scan_determinismE0ELb0ELb0ES3_PKdPddZZZN2at6native31launch_logcumsumexp_cuda_kernelERKNSB_10TensorBaseESF_lENKUlvE_clEvENKUlvE_clEvEUlddE_dEEDaPvRmT3_T4_T5_mT6_P12ihipStream_tbENKUlT_T0_E_clISt17integral_constantIbLb1EESV_IbLb0EEEEDaSR_SS_EUlSR_E_NS1_11comp_targetILNS1_3genE8ELNS1_11target_archE1030ELNS1_3gpuE2ELNS1_3repE0EEENS1_30default_config_static_selectorELNS0_4arch9wavefront6targetE0EEEvT1_, .Lfunc_end55-_ZN7rocprim17ROCPRIM_400000_NS6detail17trampoline_kernelINS0_14default_configENS1_20scan_config_selectorIdEEZZNS1_9scan_implILNS1_25lookback_scan_determinismE0ELb0ELb0ES3_PKdPddZZZN2at6native31launch_logcumsumexp_cuda_kernelERKNSB_10TensorBaseESF_lENKUlvE_clEvENKUlvE_clEvEUlddE_dEEDaPvRmT3_T4_T5_mT6_P12ihipStream_tbENKUlT_T0_E_clISt17integral_constantIbLb1EESV_IbLb0EEEEDaSR_SS_EUlSR_E_NS1_11comp_targetILNS1_3genE8ELNS1_11target_archE1030ELNS1_3gpuE2ELNS1_3repE0EEENS1_30default_config_static_selectorELNS0_4arch9wavefront6targetE0EEEvT1_
                                        ; -- End function
	.set _ZN7rocprim17ROCPRIM_400000_NS6detail17trampoline_kernelINS0_14default_configENS1_20scan_config_selectorIdEEZZNS1_9scan_implILNS1_25lookback_scan_determinismE0ELb0ELb0ES3_PKdPddZZZN2at6native31launch_logcumsumexp_cuda_kernelERKNSB_10TensorBaseESF_lENKUlvE_clEvENKUlvE_clEvEUlddE_dEEDaPvRmT3_T4_T5_mT6_P12ihipStream_tbENKUlT_T0_E_clISt17integral_constantIbLb1EESV_IbLb0EEEEDaSR_SS_EUlSR_E_NS1_11comp_targetILNS1_3genE8ELNS1_11target_archE1030ELNS1_3gpuE2ELNS1_3repE0EEENS1_30default_config_static_selectorELNS0_4arch9wavefront6targetE0EEEvT1_.num_vgpr, 0
	.set _ZN7rocprim17ROCPRIM_400000_NS6detail17trampoline_kernelINS0_14default_configENS1_20scan_config_selectorIdEEZZNS1_9scan_implILNS1_25lookback_scan_determinismE0ELb0ELb0ES3_PKdPddZZZN2at6native31launch_logcumsumexp_cuda_kernelERKNSB_10TensorBaseESF_lENKUlvE_clEvENKUlvE_clEvEUlddE_dEEDaPvRmT3_T4_T5_mT6_P12ihipStream_tbENKUlT_T0_E_clISt17integral_constantIbLb1EESV_IbLb0EEEEDaSR_SS_EUlSR_E_NS1_11comp_targetILNS1_3genE8ELNS1_11target_archE1030ELNS1_3gpuE2ELNS1_3repE0EEENS1_30default_config_static_selectorELNS0_4arch9wavefront6targetE0EEEvT1_.num_agpr, 0
	.set _ZN7rocprim17ROCPRIM_400000_NS6detail17trampoline_kernelINS0_14default_configENS1_20scan_config_selectorIdEEZZNS1_9scan_implILNS1_25lookback_scan_determinismE0ELb0ELb0ES3_PKdPddZZZN2at6native31launch_logcumsumexp_cuda_kernelERKNSB_10TensorBaseESF_lENKUlvE_clEvENKUlvE_clEvEUlddE_dEEDaPvRmT3_T4_T5_mT6_P12ihipStream_tbENKUlT_T0_E_clISt17integral_constantIbLb1EESV_IbLb0EEEEDaSR_SS_EUlSR_E_NS1_11comp_targetILNS1_3genE8ELNS1_11target_archE1030ELNS1_3gpuE2ELNS1_3repE0EEENS1_30default_config_static_selectorELNS0_4arch9wavefront6targetE0EEEvT1_.numbered_sgpr, 0
	.set _ZN7rocprim17ROCPRIM_400000_NS6detail17trampoline_kernelINS0_14default_configENS1_20scan_config_selectorIdEEZZNS1_9scan_implILNS1_25lookback_scan_determinismE0ELb0ELb0ES3_PKdPddZZZN2at6native31launch_logcumsumexp_cuda_kernelERKNSB_10TensorBaseESF_lENKUlvE_clEvENKUlvE_clEvEUlddE_dEEDaPvRmT3_T4_T5_mT6_P12ihipStream_tbENKUlT_T0_E_clISt17integral_constantIbLb1EESV_IbLb0EEEEDaSR_SS_EUlSR_E_NS1_11comp_targetILNS1_3genE8ELNS1_11target_archE1030ELNS1_3gpuE2ELNS1_3repE0EEENS1_30default_config_static_selectorELNS0_4arch9wavefront6targetE0EEEvT1_.num_named_barrier, 0
	.set _ZN7rocprim17ROCPRIM_400000_NS6detail17trampoline_kernelINS0_14default_configENS1_20scan_config_selectorIdEEZZNS1_9scan_implILNS1_25lookback_scan_determinismE0ELb0ELb0ES3_PKdPddZZZN2at6native31launch_logcumsumexp_cuda_kernelERKNSB_10TensorBaseESF_lENKUlvE_clEvENKUlvE_clEvEUlddE_dEEDaPvRmT3_T4_T5_mT6_P12ihipStream_tbENKUlT_T0_E_clISt17integral_constantIbLb1EESV_IbLb0EEEEDaSR_SS_EUlSR_E_NS1_11comp_targetILNS1_3genE8ELNS1_11target_archE1030ELNS1_3gpuE2ELNS1_3repE0EEENS1_30default_config_static_selectorELNS0_4arch9wavefront6targetE0EEEvT1_.private_seg_size, 0
	.set _ZN7rocprim17ROCPRIM_400000_NS6detail17trampoline_kernelINS0_14default_configENS1_20scan_config_selectorIdEEZZNS1_9scan_implILNS1_25lookback_scan_determinismE0ELb0ELb0ES3_PKdPddZZZN2at6native31launch_logcumsumexp_cuda_kernelERKNSB_10TensorBaseESF_lENKUlvE_clEvENKUlvE_clEvEUlddE_dEEDaPvRmT3_T4_T5_mT6_P12ihipStream_tbENKUlT_T0_E_clISt17integral_constantIbLb1EESV_IbLb0EEEEDaSR_SS_EUlSR_E_NS1_11comp_targetILNS1_3genE8ELNS1_11target_archE1030ELNS1_3gpuE2ELNS1_3repE0EEENS1_30default_config_static_selectorELNS0_4arch9wavefront6targetE0EEEvT1_.uses_vcc, 0
	.set _ZN7rocprim17ROCPRIM_400000_NS6detail17trampoline_kernelINS0_14default_configENS1_20scan_config_selectorIdEEZZNS1_9scan_implILNS1_25lookback_scan_determinismE0ELb0ELb0ES3_PKdPddZZZN2at6native31launch_logcumsumexp_cuda_kernelERKNSB_10TensorBaseESF_lENKUlvE_clEvENKUlvE_clEvEUlddE_dEEDaPvRmT3_T4_T5_mT6_P12ihipStream_tbENKUlT_T0_E_clISt17integral_constantIbLb1EESV_IbLb0EEEEDaSR_SS_EUlSR_E_NS1_11comp_targetILNS1_3genE8ELNS1_11target_archE1030ELNS1_3gpuE2ELNS1_3repE0EEENS1_30default_config_static_selectorELNS0_4arch9wavefront6targetE0EEEvT1_.uses_flat_scratch, 0
	.set _ZN7rocprim17ROCPRIM_400000_NS6detail17trampoline_kernelINS0_14default_configENS1_20scan_config_selectorIdEEZZNS1_9scan_implILNS1_25lookback_scan_determinismE0ELb0ELb0ES3_PKdPddZZZN2at6native31launch_logcumsumexp_cuda_kernelERKNSB_10TensorBaseESF_lENKUlvE_clEvENKUlvE_clEvEUlddE_dEEDaPvRmT3_T4_T5_mT6_P12ihipStream_tbENKUlT_T0_E_clISt17integral_constantIbLb1EESV_IbLb0EEEEDaSR_SS_EUlSR_E_NS1_11comp_targetILNS1_3genE8ELNS1_11target_archE1030ELNS1_3gpuE2ELNS1_3repE0EEENS1_30default_config_static_selectorELNS0_4arch9wavefront6targetE0EEEvT1_.has_dyn_sized_stack, 0
	.set _ZN7rocprim17ROCPRIM_400000_NS6detail17trampoline_kernelINS0_14default_configENS1_20scan_config_selectorIdEEZZNS1_9scan_implILNS1_25lookback_scan_determinismE0ELb0ELb0ES3_PKdPddZZZN2at6native31launch_logcumsumexp_cuda_kernelERKNSB_10TensorBaseESF_lENKUlvE_clEvENKUlvE_clEvEUlddE_dEEDaPvRmT3_T4_T5_mT6_P12ihipStream_tbENKUlT_T0_E_clISt17integral_constantIbLb1EESV_IbLb0EEEEDaSR_SS_EUlSR_E_NS1_11comp_targetILNS1_3genE8ELNS1_11target_archE1030ELNS1_3gpuE2ELNS1_3repE0EEENS1_30default_config_static_selectorELNS0_4arch9wavefront6targetE0EEEvT1_.has_recursion, 0
	.set _ZN7rocprim17ROCPRIM_400000_NS6detail17trampoline_kernelINS0_14default_configENS1_20scan_config_selectorIdEEZZNS1_9scan_implILNS1_25lookback_scan_determinismE0ELb0ELb0ES3_PKdPddZZZN2at6native31launch_logcumsumexp_cuda_kernelERKNSB_10TensorBaseESF_lENKUlvE_clEvENKUlvE_clEvEUlddE_dEEDaPvRmT3_T4_T5_mT6_P12ihipStream_tbENKUlT_T0_E_clISt17integral_constantIbLb1EESV_IbLb0EEEEDaSR_SS_EUlSR_E_NS1_11comp_targetILNS1_3genE8ELNS1_11target_archE1030ELNS1_3gpuE2ELNS1_3repE0EEENS1_30default_config_static_selectorELNS0_4arch9wavefront6targetE0EEEvT1_.has_indirect_call, 0
	.section	.AMDGPU.csdata,"",@progbits
; Kernel info:
; codeLenInByte = 0
; TotalNumSgprs: 0
; NumVgprs: 0
; ScratchSize: 0
; MemoryBound: 0
; FloatMode: 240
; IeeeMode: 1
; LDSByteSize: 0 bytes/workgroup (compile time only)
; SGPRBlocks: 0
; VGPRBlocks: 0
; NumSGPRsForWavesPerEU: 1
; NumVGPRsForWavesPerEU: 1
; Occupancy: 16
; WaveLimiterHint : 0
; COMPUTE_PGM_RSRC2:SCRATCH_EN: 0
; COMPUTE_PGM_RSRC2:USER_SGPR: 2
; COMPUTE_PGM_RSRC2:TRAP_HANDLER: 0
; COMPUTE_PGM_RSRC2:TGID_X_EN: 1
; COMPUTE_PGM_RSRC2:TGID_Y_EN: 0
; COMPUTE_PGM_RSRC2:TGID_Z_EN: 0
; COMPUTE_PGM_RSRC2:TIDIG_COMP_CNT: 0
	.section	.text._ZN7rocprim17ROCPRIM_400000_NS6detail17trampoline_kernelINS0_14default_configENS1_20scan_config_selectorIdEEZZNS1_9scan_implILNS1_25lookback_scan_determinismE0ELb0ELb0ES3_PKdPddZZZN2at6native31launch_logcumsumexp_cuda_kernelERKNSB_10TensorBaseESF_lENKUlvE_clEvENKUlvE_clEvEUlddE_dEEDaPvRmT3_T4_T5_mT6_P12ihipStream_tbENKUlT_T0_E_clISt17integral_constantIbLb1EESV_IbLb0EEEEDaSR_SS_EUlSR_E0_NS1_11comp_targetILNS1_3genE0ELNS1_11target_archE4294967295ELNS1_3gpuE0ELNS1_3repE0EEENS1_30default_config_static_selectorELNS0_4arch9wavefront6targetE0EEEvT1_,"axG",@progbits,_ZN7rocprim17ROCPRIM_400000_NS6detail17trampoline_kernelINS0_14default_configENS1_20scan_config_selectorIdEEZZNS1_9scan_implILNS1_25lookback_scan_determinismE0ELb0ELb0ES3_PKdPddZZZN2at6native31launch_logcumsumexp_cuda_kernelERKNSB_10TensorBaseESF_lENKUlvE_clEvENKUlvE_clEvEUlddE_dEEDaPvRmT3_T4_T5_mT6_P12ihipStream_tbENKUlT_T0_E_clISt17integral_constantIbLb1EESV_IbLb0EEEEDaSR_SS_EUlSR_E0_NS1_11comp_targetILNS1_3genE0ELNS1_11target_archE4294967295ELNS1_3gpuE0ELNS1_3repE0EEENS1_30default_config_static_selectorELNS0_4arch9wavefront6targetE0EEEvT1_,comdat
	.globl	_ZN7rocprim17ROCPRIM_400000_NS6detail17trampoline_kernelINS0_14default_configENS1_20scan_config_selectorIdEEZZNS1_9scan_implILNS1_25lookback_scan_determinismE0ELb0ELb0ES3_PKdPddZZZN2at6native31launch_logcumsumexp_cuda_kernelERKNSB_10TensorBaseESF_lENKUlvE_clEvENKUlvE_clEvEUlddE_dEEDaPvRmT3_T4_T5_mT6_P12ihipStream_tbENKUlT_T0_E_clISt17integral_constantIbLb1EESV_IbLb0EEEEDaSR_SS_EUlSR_E0_NS1_11comp_targetILNS1_3genE0ELNS1_11target_archE4294967295ELNS1_3gpuE0ELNS1_3repE0EEENS1_30default_config_static_selectorELNS0_4arch9wavefront6targetE0EEEvT1_ ; -- Begin function _ZN7rocprim17ROCPRIM_400000_NS6detail17trampoline_kernelINS0_14default_configENS1_20scan_config_selectorIdEEZZNS1_9scan_implILNS1_25lookback_scan_determinismE0ELb0ELb0ES3_PKdPddZZZN2at6native31launch_logcumsumexp_cuda_kernelERKNSB_10TensorBaseESF_lENKUlvE_clEvENKUlvE_clEvEUlddE_dEEDaPvRmT3_T4_T5_mT6_P12ihipStream_tbENKUlT_T0_E_clISt17integral_constantIbLb1EESV_IbLb0EEEEDaSR_SS_EUlSR_E0_NS1_11comp_targetILNS1_3genE0ELNS1_11target_archE4294967295ELNS1_3gpuE0ELNS1_3repE0EEENS1_30default_config_static_selectorELNS0_4arch9wavefront6targetE0EEEvT1_
	.p2align	8
	.type	_ZN7rocprim17ROCPRIM_400000_NS6detail17trampoline_kernelINS0_14default_configENS1_20scan_config_selectorIdEEZZNS1_9scan_implILNS1_25lookback_scan_determinismE0ELb0ELb0ES3_PKdPddZZZN2at6native31launch_logcumsumexp_cuda_kernelERKNSB_10TensorBaseESF_lENKUlvE_clEvENKUlvE_clEvEUlddE_dEEDaPvRmT3_T4_T5_mT6_P12ihipStream_tbENKUlT_T0_E_clISt17integral_constantIbLb1EESV_IbLb0EEEEDaSR_SS_EUlSR_E0_NS1_11comp_targetILNS1_3genE0ELNS1_11target_archE4294967295ELNS1_3gpuE0ELNS1_3repE0EEENS1_30default_config_static_selectorELNS0_4arch9wavefront6targetE0EEEvT1_,@function
_ZN7rocprim17ROCPRIM_400000_NS6detail17trampoline_kernelINS0_14default_configENS1_20scan_config_selectorIdEEZZNS1_9scan_implILNS1_25lookback_scan_determinismE0ELb0ELb0ES3_PKdPddZZZN2at6native31launch_logcumsumexp_cuda_kernelERKNSB_10TensorBaseESF_lENKUlvE_clEvENKUlvE_clEvEUlddE_dEEDaPvRmT3_T4_T5_mT6_P12ihipStream_tbENKUlT_T0_E_clISt17integral_constantIbLb1EESV_IbLb0EEEEDaSR_SS_EUlSR_E0_NS1_11comp_targetILNS1_3genE0ELNS1_11target_archE4294967295ELNS1_3gpuE0ELNS1_3repE0EEENS1_30default_config_static_selectorELNS0_4arch9wavefront6targetE0EEEvT1_: ; @_ZN7rocprim17ROCPRIM_400000_NS6detail17trampoline_kernelINS0_14default_configENS1_20scan_config_selectorIdEEZZNS1_9scan_implILNS1_25lookback_scan_determinismE0ELb0ELb0ES3_PKdPddZZZN2at6native31launch_logcumsumexp_cuda_kernelERKNSB_10TensorBaseESF_lENKUlvE_clEvENKUlvE_clEvEUlddE_dEEDaPvRmT3_T4_T5_mT6_P12ihipStream_tbENKUlT_T0_E_clISt17integral_constantIbLb1EESV_IbLb0EEEEDaSR_SS_EUlSR_E0_NS1_11comp_targetILNS1_3genE0ELNS1_11target_archE4294967295ELNS1_3gpuE0ELNS1_3repE0EEENS1_30default_config_static_selectorELNS0_4arch9wavefront6targetE0EEEvT1_
; %bb.0:
	.section	.rodata,"a",@progbits
	.p2align	6, 0x0
	.amdhsa_kernel _ZN7rocprim17ROCPRIM_400000_NS6detail17trampoline_kernelINS0_14default_configENS1_20scan_config_selectorIdEEZZNS1_9scan_implILNS1_25lookback_scan_determinismE0ELb0ELb0ES3_PKdPddZZZN2at6native31launch_logcumsumexp_cuda_kernelERKNSB_10TensorBaseESF_lENKUlvE_clEvENKUlvE_clEvEUlddE_dEEDaPvRmT3_T4_T5_mT6_P12ihipStream_tbENKUlT_T0_E_clISt17integral_constantIbLb1EESV_IbLb0EEEEDaSR_SS_EUlSR_E0_NS1_11comp_targetILNS1_3genE0ELNS1_11target_archE4294967295ELNS1_3gpuE0ELNS1_3repE0EEENS1_30default_config_static_selectorELNS0_4arch9wavefront6targetE0EEEvT1_
		.amdhsa_group_segment_fixed_size 0
		.amdhsa_private_segment_fixed_size 0
		.amdhsa_kernarg_size 40
		.amdhsa_user_sgpr_count 2
		.amdhsa_user_sgpr_dispatch_ptr 0
		.amdhsa_user_sgpr_queue_ptr 0
		.amdhsa_user_sgpr_kernarg_segment_ptr 1
		.amdhsa_user_sgpr_dispatch_id 0
		.amdhsa_user_sgpr_private_segment_size 0
		.amdhsa_wavefront_size32 1
		.amdhsa_uses_dynamic_stack 0
		.amdhsa_enable_private_segment 0
		.amdhsa_system_sgpr_workgroup_id_x 1
		.amdhsa_system_sgpr_workgroup_id_y 0
		.amdhsa_system_sgpr_workgroup_id_z 0
		.amdhsa_system_sgpr_workgroup_info 0
		.amdhsa_system_vgpr_workitem_id 0
		.amdhsa_next_free_vgpr 1
		.amdhsa_next_free_sgpr 1
		.amdhsa_reserve_vcc 0
		.amdhsa_float_round_mode_32 0
		.amdhsa_float_round_mode_16_64 0
		.amdhsa_float_denorm_mode_32 3
		.amdhsa_float_denorm_mode_16_64 3
		.amdhsa_fp16_overflow 0
		.amdhsa_workgroup_processor_mode 1
		.amdhsa_memory_ordered 1
		.amdhsa_forward_progress 1
		.amdhsa_inst_pref_size 0
		.amdhsa_round_robin_scheduling 0
		.amdhsa_exception_fp_ieee_invalid_op 0
		.amdhsa_exception_fp_denorm_src 0
		.amdhsa_exception_fp_ieee_div_zero 0
		.amdhsa_exception_fp_ieee_overflow 0
		.amdhsa_exception_fp_ieee_underflow 0
		.amdhsa_exception_fp_ieee_inexact 0
		.amdhsa_exception_int_div_zero 0
	.end_amdhsa_kernel
	.section	.text._ZN7rocprim17ROCPRIM_400000_NS6detail17trampoline_kernelINS0_14default_configENS1_20scan_config_selectorIdEEZZNS1_9scan_implILNS1_25lookback_scan_determinismE0ELb0ELb0ES3_PKdPddZZZN2at6native31launch_logcumsumexp_cuda_kernelERKNSB_10TensorBaseESF_lENKUlvE_clEvENKUlvE_clEvEUlddE_dEEDaPvRmT3_T4_T5_mT6_P12ihipStream_tbENKUlT_T0_E_clISt17integral_constantIbLb1EESV_IbLb0EEEEDaSR_SS_EUlSR_E0_NS1_11comp_targetILNS1_3genE0ELNS1_11target_archE4294967295ELNS1_3gpuE0ELNS1_3repE0EEENS1_30default_config_static_selectorELNS0_4arch9wavefront6targetE0EEEvT1_,"axG",@progbits,_ZN7rocprim17ROCPRIM_400000_NS6detail17trampoline_kernelINS0_14default_configENS1_20scan_config_selectorIdEEZZNS1_9scan_implILNS1_25lookback_scan_determinismE0ELb0ELb0ES3_PKdPddZZZN2at6native31launch_logcumsumexp_cuda_kernelERKNSB_10TensorBaseESF_lENKUlvE_clEvENKUlvE_clEvEUlddE_dEEDaPvRmT3_T4_T5_mT6_P12ihipStream_tbENKUlT_T0_E_clISt17integral_constantIbLb1EESV_IbLb0EEEEDaSR_SS_EUlSR_E0_NS1_11comp_targetILNS1_3genE0ELNS1_11target_archE4294967295ELNS1_3gpuE0ELNS1_3repE0EEENS1_30default_config_static_selectorELNS0_4arch9wavefront6targetE0EEEvT1_,comdat
.Lfunc_end56:
	.size	_ZN7rocprim17ROCPRIM_400000_NS6detail17trampoline_kernelINS0_14default_configENS1_20scan_config_selectorIdEEZZNS1_9scan_implILNS1_25lookback_scan_determinismE0ELb0ELb0ES3_PKdPddZZZN2at6native31launch_logcumsumexp_cuda_kernelERKNSB_10TensorBaseESF_lENKUlvE_clEvENKUlvE_clEvEUlddE_dEEDaPvRmT3_T4_T5_mT6_P12ihipStream_tbENKUlT_T0_E_clISt17integral_constantIbLb1EESV_IbLb0EEEEDaSR_SS_EUlSR_E0_NS1_11comp_targetILNS1_3genE0ELNS1_11target_archE4294967295ELNS1_3gpuE0ELNS1_3repE0EEENS1_30default_config_static_selectorELNS0_4arch9wavefront6targetE0EEEvT1_, .Lfunc_end56-_ZN7rocprim17ROCPRIM_400000_NS6detail17trampoline_kernelINS0_14default_configENS1_20scan_config_selectorIdEEZZNS1_9scan_implILNS1_25lookback_scan_determinismE0ELb0ELb0ES3_PKdPddZZZN2at6native31launch_logcumsumexp_cuda_kernelERKNSB_10TensorBaseESF_lENKUlvE_clEvENKUlvE_clEvEUlddE_dEEDaPvRmT3_T4_T5_mT6_P12ihipStream_tbENKUlT_T0_E_clISt17integral_constantIbLb1EESV_IbLb0EEEEDaSR_SS_EUlSR_E0_NS1_11comp_targetILNS1_3genE0ELNS1_11target_archE4294967295ELNS1_3gpuE0ELNS1_3repE0EEENS1_30default_config_static_selectorELNS0_4arch9wavefront6targetE0EEEvT1_
                                        ; -- End function
	.set _ZN7rocprim17ROCPRIM_400000_NS6detail17trampoline_kernelINS0_14default_configENS1_20scan_config_selectorIdEEZZNS1_9scan_implILNS1_25lookback_scan_determinismE0ELb0ELb0ES3_PKdPddZZZN2at6native31launch_logcumsumexp_cuda_kernelERKNSB_10TensorBaseESF_lENKUlvE_clEvENKUlvE_clEvEUlddE_dEEDaPvRmT3_T4_T5_mT6_P12ihipStream_tbENKUlT_T0_E_clISt17integral_constantIbLb1EESV_IbLb0EEEEDaSR_SS_EUlSR_E0_NS1_11comp_targetILNS1_3genE0ELNS1_11target_archE4294967295ELNS1_3gpuE0ELNS1_3repE0EEENS1_30default_config_static_selectorELNS0_4arch9wavefront6targetE0EEEvT1_.num_vgpr, 0
	.set _ZN7rocprim17ROCPRIM_400000_NS6detail17trampoline_kernelINS0_14default_configENS1_20scan_config_selectorIdEEZZNS1_9scan_implILNS1_25lookback_scan_determinismE0ELb0ELb0ES3_PKdPddZZZN2at6native31launch_logcumsumexp_cuda_kernelERKNSB_10TensorBaseESF_lENKUlvE_clEvENKUlvE_clEvEUlddE_dEEDaPvRmT3_T4_T5_mT6_P12ihipStream_tbENKUlT_T0_E_clISt17integral_constantIbLb1EESV_IbLb0EEEEDaSR_SS_EUlSR_E0_NS1_11comp_targetILNS1_3genE0ELNS1_11target_archE4294967295ELNS1_3gpuE0ELNS1_3repE0EEENS1_30default_config_static_selectorELNS0_4arch9wavefront6targetE0EEEvT1_.num_agpr, 0
	.set _ZN7rocprim17ROCPRIM_400000_NS6detail17trampoline_kernelINS0_14default_configENS1_20scan_config_selectorIdEEZZNS1_9scan_implILNS1_25lookback_scan_determinismE0ELb0ELb0ES3_PKdPddZZZN2at6native31launch_logcumsumexp_cuda_kernelERKNSB_10TensorBaseESF_lENKUlvE_clEvENKUlvE_clEvEUlddE_dEEDaPvRmT3_T4_T5_mT6_P12ihipStream_tbENKUlT_T0_E_clISt17integral_constantIbLb1EESV_IbLb0EEEEDaSR_SS_EUlSR_E0_NS1_11comp_targetILNS1_3genE0ELNS1_11target_archE4294967295ELNS1_3gpuE0ELNS1_3repE0EEENS1_30default_config_static_selectorELNS0_4arch9wavefront6targetE0EEEvT1_.numbered_sgpr, 0
	.set _ZN7rocprim17ROCPRIM_400000_NS6detail17trampoline_kernelINS0_14default_configENS1_20scan_config_selectorIdEEZZNS1_9scan_implILNS1_25lookback_scan_determinismE0ELb0ELb0ES3_PKdPddZZZN2at6native31launch_logcumsumexp_cuda_kernelERKNSB_10TensorBaseESF_lENKUlvE_clEvENKUlvE_clEvEUlddE_dEEDaPvRmT3_T4_T5_mT6_P12ihipStream_tbENKUlT_T0_E_clISt17integral_constantIbLb1EESV_IbLb0EEEEDaSR_SS_EUlSR_E0_NS1_11comp_targetILNS1_3genE0ELNS1_11target_archE4294967295ELNS1_3gpuE0ELNS1_3repE0EEENS1_30default_config_static_selectorELNS0_4arch9wavefront6targetE0EEEvT1_.num_named_barrier, 0
	.set _ZN7rocprim17ROCPRIM_400000_NS6detail17trampoline_kernelINS0_14default_configENS1_20scan_config_selectorIdEEZZNS1_9scan_implILNS1_25lookback_scan_determinismE0ELb0ELb0ES3_PKdPddZZZN2at6native31launch_logcumsumexp_cuda_kernelERKNSB_10TensorBaseESF_lENKUlvE_clEvENKUlvE_clEvEUlddE_dEEDaPvRmT3_T4_T5_mT6_P12ihipStream_tbENKUlT_T0_E_clISt17integral_constantIbLb1EESV_IbLb0EEEEDaSR_SS_EUlSR_E0_NS1_11comp_targetILNS1_3genE0ELNS1_11target_archE4294967295ELNS1_3gpuE0ELNS1_3repE0EEENS1_30default_config_static_selectorELNS0_4arch9wavefront6targetE0EEEvT1_.private_seg_size, 0
	.set _ZN7rocprim17ROCPRIM_400000_NS6detail17trampoline_kernelINS0_14default_configENS1_20scan_config_selectorIdEEZZNS1_9scan_implILNS1_25lookback_scan_determinismE0ELb0ELb0ES3_PKdPddZZZN2at6native31launch_logcumsumexp_cuda_kernelERKNSB_10TensorBaseESF_lENKUlvE_clEvENKUlvE_clEvEUlddE_dEEDaPvRmT3_T4_T5_mT6_P12ihipStream_tbENKUlT_T0_E_clISt17integral_constantIbLb1EESV_IbLb0EEEEDaSR_SS_EUlSR_E0_NS1_11comp_targetILNS1_3genE0ELNS1_11target_archE4294967295ELNS1_3gpuE0ELNS1_3repE0EEENS1_30default_config_static_selectorELNS0_4arch9wavefront6targetE0EEEvT1_.uses_vcc, 0
	.set _ZN7rocprim17ROCPRIM_400000_NS6detail17trampoline_kernelINS0_14default_configENS1_20scan_config_selectorIdEEZZNS1_9scan_implILNS1_25lookback_scan_determinismE0ELb0ELb0ES3_PKdPddZZZN2at6native31launch_logcumsumexp_cuda_kernelERKNSB_10TensorBaseESF_lENKUlvE_clEvENKUlvE_clEvEUlddE_dEEDaPvRmT3_T4_T5_mT6_P12ihipStream_tbENKUlT_T0_E_clISt17integral_constantIbLb1EESV_IbLb0EEEEDaSR_SS_EUlSR_E0_NS1_11comp_targetILNS1_3genE0ELNS1_11target_archE4294967295ELNS1_3gpuE0ELNS1_3repE0EEENS1_30default_config_static_selectorELNS0_4arch9wavefront6targetE0EEEvT1_.uses_flat_scratch, 0
	.set _ZN7rocprim17ROCPRIM_400000_NS6detail17trampoline_kernelINS0_14default_configENS1_20scan_config_selectorIdEEZZNS1_9scan_implILNS1_25lookback_scan_determinismE0ELb0ELb0ES3_PKdPddZZZN2at6native31launch_logcumsumexp_cuda_kernelERKNSB_10TensorBaseESF_lENKUlvE_clEvENKUlvE_clEvEUlddE_dEEDaPvRmT3_T4_T5_mT6_P12ihipStream_tbENKUlT_T0_E_clISt17integral_constantIbLb1EESV_IbLb0EEEEDaSR_SS_EUlSR_E0_NS1_11comp_targetILNS1_3genE0ELNS1_11target_archE4294967295ELNS1_3gpuE0ELNS1_3repE0EEENS1_30default_config_static_selectorELNS0_4arch9wavefront6targetE0EEEvT1_.has_dyn_sized_stack, 0
	.set _ZN7rocprim17ROCPRIM_400000_NS6detail17trampoline_kernelINS0_14default_configENS1_20scan_config_selectorIdEEZZNS1_9scan_implILNS1_25lookback_scan_determinismE0ELb0ELb0ES3_PKdPddZZZN2at6native31launch_logcumsumexp_cuda_kernelERKNSB_10TensorBaseESF_lENKUlvE_clEvENKUlvE_clEvEUlddE_dEEDaPvRmT3_T4_T5_mT6_P12ihipStream_tbENKUlT_T0_E_clISt17integral_constantIbLb1EESV_IbLb0EEEEDaSR_SS_EUlSR_E0_NS1_11comp_targetILNS1_3genE0ELNS1_11target_archE4294967295ELNS1_3gpuE0ELNS1_3repE0EEENS1_30default_config_static_selectorELNS0_4arch9wavefront6targetE0EEEvT1_.has_recursion, 0
	.set _ZN7rocprim17ROCPRIM_400000_NS6detail17trampoline_kernelINS0_14default_configENS1_20scan_config_selectorIdEEZZNS1_9scan_implILNS1_25lookback_scan_determinismE0ELb0ELb0ES3_PKdPddZZZN2at6native31launch_logcumsumexp_cuda_kernelERKNSB_10TensorBaseESF_lENKUlvE_clEvENKUlvE_clEvEUlddE_dEEDaPvRmT3_T4_T5_mT6_P12ihipStream_tbENKUlT_T0_E_clISt17integral_constantIbLb1EESV_IbLb0EEEEDaSR_SS_EUlSR_E0_NS1_11comp_targetILNS1_3genE0ELNS1_11target_archE4294967295ELNS1_3gpuE0ELNS1_3repE0EEENS1_30default_config_static_selectorELNS0_4arch9wavefront6targetE0EEEvT1_.has_indirect_call, 0
	.section	.AMDGPU.csdata,"",@progbits
; Kernel info:
; codeLenInByte = 0
; TotalNumSgprs: 0
; NumVgprs: 0
; ScratchSize: 0
; MemoryBound: 0
; FloatMode: 240
; IeeeMode: 1
; LDSByteSize: 0 bytes/workgroup (compile time only)
; SGPRBlocks: 0
; VGPRBlocks: 0
; NumSGPRsForWavesPerEU: 1
; NumVGPRsForWavesPerEU: 1
; Occupancy: 16
; WaveLimiterHint : 0
; COMPUTE_PGM_RSRC2:SCRATCH_EN: 0
; COMPUTE_PGM_RSRC2:USER_SGPR: 2
; COMPUTE_PGM_RSRC2:TRAP_HANDLER: 0
; COMPUTE_PGM_RSRC2:TGID_X_EN: 1
; COMPUTE_PGM_RSRC2:TGID_Y_EN: 0
; COMPUTE_PGM_RSRC2:TGID_Z_EN: 0
; COMPUTE_PGM_RSRC2:TIDIG_COMP_CNT: 0
	.section	.text._ZN7rocprim17ROCPRIM_400000_NS6detail17trampoline_kernelINS0_14default_configENS1_20scan_config_selectorIdEEZZNS1_9scan_implILNS1_25lookback_scan_determinismE0ELb0ELb0ES3_PKdPddZZZN2at6native31launch_logcumsumexp_cuda_kernelERKNSB_10TensorBaseESF_lENKUlvE_clEvENKUlvE_clEvEUlddE_dEEDaPvRmT3_T4_T5_mT6_P12ihipStream_tbENKUlT_T0_E_clISt17integral_constantIbLb1EESV_IbLb0EEEEDaSR_SS_EUlSR_E0_NS1_11comp_targetILNS1_3genE5ELNS1_11target_archE942ELNS1_3gpuE9ELNS1_3repE0EEENS1_30default_config_static_selectorELNS0_4arch9wavefront6targetE0EEEvT1_,"axG",@progbits,_ZN7rocprim17ROCPRIM_400000_NS6detail17trampoline_kernelINS0_14default_configENS1_20scan_config_selectorIdEEZZNS1_9scan_implILNS1_25lookback_scan_determinismE0ELb0ELb0ES3_PKdPddZZZN2at6native31launch_logcumsumexp_cuda_kernelERKNSB_10TensorBaseESF_lENKUlvE_clEvENKUlvE_clEvEUlddE_dEEDaPvRmT3_T4_T5_mT6_P12ihipStream_tbENKUlT_T0_E_clISt17integral_constantIbLb1EESV_IbLb0EEEEDaSR_SS_EUlSR_E0_NS1_11comp_targetILNS1_3genE5ELNS1_11target_archE942ELNS1_3gpuE9ELNS1_3repE0EEENS1_30default_config_static_selectorELNS0_4arch9wavefront6targetE0EEEvT1_,comdat
	.globl	_ZN7rocprim17ROCPRIM_400000_NS6detail17trampoline_kernelINS0_14default_configENS1_20scan_config_selectorIdEEZZNS1_9scan_implILNS1_25lookback_scan_determinismE0ELb0ELb0ES3_PKdPddZZZN2at6native31launch_logcumsumexp_cuda_kernelERKNSB_10TensorBaseESF_lENKUlvE_clEvENKUlvE_clEvEUlddE_dEEDaPvRmT3_T4_T5_mT6_P12ihipStream_tbENKUlT_T0_E_clISt17integral_constantIbLb1EESV_IbLb0EEEEDaSR_SS_EUlSR_E0_NS1_11comp_targetILNS1_3genE5ELNS1_11target_archE942ELNS1_3gpuE9ELNS1_3repE0EEENS1_30default_config_static_selectorELNS0_4arch9wavefront6targetE0EEEvT1_ ; -- Begin function _ZN7rocprim17ROCPRIM_400000_NS6detail17trampoline_kernelINS0_14default_configENS1_20scan_config_selectorIdEEZZNS1_9scan_implILNS1_25lookback_scan_determinismE0ELb0ELb0ES3_PKdPddZZZN2at6native31launch_logcumsumexp_cuda_kernelERKNSB_10TensorBaseESF_lENKUlvE_clEvENKUlvE_clEvEUlddE_dEEDaPvRmT3_T4_T5_mT6_P12ihipStream_tbENKUlT_T0_E_clISt17integral_constantIbLb1EESV_IbLb0EEEEDaSR_SS_EUlSR_E0_NS1_11comp_targetILNS1_3genE5ELNS1_11target_archE942ELNS1_3gpuE9ELNS1_3repE0EEENS1_30default_config_static_selectorELNS0_4arch9wavefront6targetE0EEEvT1_
	.p2align	8
	.type	_ZN7rocprim17ROCPRIM_400000_NS6detail17trampoline_kernelINS0_14default_configENS1_20scan_config_selectorIdEEZZNS1_9scan_implILNS1_25lookback_scan_determinismE0ELb0ELb0ES3_PKdPddZZZN2at6native31launch_logcumsumexp_cuda_kernelERKNSB_10TensorBaseESF_lENKUlvE_clEvENKUlvE_clEvEUlddE_dEEDaPvRmT3_T4_T5_mT6_P12ihipStream_tbENKUlT_T0_E_clISt17integral_constantIbLb1EESV_IbLb0EEEEDaSR_SS_EUlSR_E0_NS1_11comp_targetILNS1_3genE5ELNS1_11target_archE942ELNS1_3gpuE9ELNS1_3repE0EEENS1_30default_config_static_selectorELNS0_4arch9wavefront6targetE0EEEvT1_,@function
_ZN7rocprim17ROCPRIM_400000_NS6detail17trampoline_kernelINS0_14default_configENS1_20scan_config_selectorIdEEZZNS1_9scan_implILNS1_25lookback_scan_determinismE0ELb0ELb0ES3_PKdPddZZZN2at6native31launch_logcumsumexp_cuda_kernelERKNSB_10TensorBaseESF_lENKUlvE_clEvENKUlvE_clEvEUlddE_dEEDaPvRmT3_T4_T5_mT6_P12ihipStream_tbENKUlT_T0_E_clISt17integral_constantIbLb1EESV_IbLb0EEEEDaSR_SS_EUlSR_E0_NS1_11comp_targetILNS1_3genE5ELNS1_11target_archE942ELNS1_3gpuE9ELNS1_3repE0EEENS1_30default_config_static_selectorELNS0_4arch9wavefront6targetE0EEEvT1_: ; @_ZN7rocprim17ROCPRIM_400000_NS6detail17trampoline_kernelINS0_14default_configENS1_20scan_config_selectorIdEEZZNS1_9scan_implILNS1_25lookback_scan_determinismE0ELb0ELb0ES3_PKdPddZZZN2at6native31launch_logcumsumexp_cuda_kernelERKNSB_10TensorBaseESF_lENKUlvE_clEvENKUlvE_clEvEUlddE_dEEDaPvRmT3_T4_T5_mT6_P12ihipStream_tbENKUlT_T0_E_clISt17integral_constantIbLb1EESV_IbLb0EEEEDaSR_SS_EUlSR_E0_NS1_11comp_targetILNS1_3genE5ELNS1_11target_archE942ELNS1_3gpuE9ELNS1_3repE0EEENS1_30default_config_static_selectorELNS0_4arch9wavefront6targetE0EEEvT1_
; %bb.0:
	.section	.rodata,"a",@progbits
	.p2align	6, 0x0
	.amdhsa_kernel _ZN7rocprim17ROCPRIM_400000_NS6detail17trampoline_kernelINS0_14default_configENS1_20scan_config_selectorIdEEZZNS1_9scan_implILNS1_25lookback_scan_determinismE0ELb0ELb0ES3_PKdPddZZZN2at6native31launch_logcumsumexp_cuda_kernelERKNSB_10TensorBaseESF_lENKUlvE_clEvENKUlvE_clEvEUlddE_dEEDaPvRmT3_T4_T5_mT6_P12ihipStream_tbENKUlT_T0_E_clISt17integral_constantIbLb1EESV_IbLb0EEEEDaSR_SS_EUlSR_E0_NS1_11comp_targetILNS1_3genE5ELNS1_11target_archE942ELNS1_3gpuE9ELNS1_3repE0EEENS1_30default_config_static_selectorELNS0_4arch9wavefront6targetE0EEEvT1_
		.amdhsa_group_segment_fixed_size 0
		.amdhsa_private_segment_fixed_size 0
		.amdhsa_kernarg_size 40
		.amdhsa_user_sgpr_count 2
		.amdhsa_user_sgpr_dispatch_ptr 0
		.amdhsa_user_sgpr_queue_ptr 0
		.amdhsa_user_sgpr_kernarg_segment_ptr 1
		.amdhsa_user_sgpr_dispatch_id 0
		.amdhsa_user_sgpr_private_segment_size 0
		.amdhsa_wavefront_size32 1
		.amdhsa_uses_dynamic_stack 0
		.amdhsa_enable_private_segment 0
		.amdhsa_system_sgpr_workgroup_id_x 1
		.amdhsa_system_sgpr_workgroup_id_y 0
		.amdhsa_system_sgpr_workgroup_id_z 0
		.amdhsa_system_sgpr_workgroup_info 0
		.amdhsa_system_vgpr_workitem_id 0
		.amdhsa_next_free_vgpr 1
		.amdhsa_next_free_sgpr 1
		.amdhsa_reserve_vcc 0
		.amdhsa_float_round_mode_32 0
		.amdhsa_float_round_mode_16_64 0
		.amdhsa_float_denorm_mode_32 3
		.amdhsa_float_denorm_mode_16_64 3
		.amdhsa_fp16_overflow 0
		.amdhsa_workgroup_processor_mode 1
		.amdhsa_memory_ordered 1
		.amdhsa_forward_progress 1
		.amdhsa_inst_pref_size 0
		.amdhsa_round_robin_scheduling 0
		.amdhsa_exception_fp_ieee_invalid_op 0
		.amdhsa_exception_fp_denorm_src 0
		.amdhsa_exception_fp_ieee_div_zero 0
		.amdhsa_exception_fp_ieee_overflow 0
		.amdhsa_exception_fp_ieee_underflow 0
		.amdhsa_exception_fp_ieee_inexact 0
		.amdhsa_exception_int_div_zero 0
	.end_amdhsa_kernel
	.section	.text._ZN7rocprim17ROCPRIM_400000_NS6detail17trampoline_kernelINS0_14default_configENS1_20scan_config_selectorIdEEZZNS1_9scan_implILNS1_25lookback_scan_determinismE0ELb0ELb0ES3_PKdPddZZZN2at6native31launch_logcumsumexp_cuda_kernelERKNSB_10TensorBaseESF_lENKUlvE_clEvENKUlvE_clEvEUlddE_dEEDaPvRmT3_T4_T5_mT6_P12ihipStream_tbENKUlT_T0_E_clISt17integral_constantIbLb1EESV_IbLb0EEEEDaSR_SS_EUlSR_E0_NS1_11comp_targetILNS1_3genE5ELNS1_11target_archE942ELNS1_3gpuE9ELNS1_3repE0EEENS1_30default_config_static_selectorELNS0_4arch9wavefront6targetE0EEEvT1_,"axG",@progbits,_ZN7rocprim17ROCPRIM_400000_NS6detail17trampoline_kernelINS0_14default_configENS1_20scan_config_selectorIdEEZZNS1_9scan_implILNS1_25lookback_scan_determinismE0ELb0ELb0ES3_PKdPddZZZN2at6native31launch_logcumsumexp_cuda_kernelERKNSB_10TensorBaseESF_lENKUlvE_clEvENKUlvE_clEvEUlddE_dEEDaPvRmT3_T4_T5_mT6_P12ihipStream_tbENKUlT_T0_E_clISt17integral_constantIbLb1EESV_IbLb0EEEEDaSR_SS_EUlSR_E0_NS1_11comp_targetILNS1_3genE5ELNS1_11target_archE942ELNS1_3gpuE9ELNS1_3repE0EEENS1_30default_config_static_selectorELNS0_4arch9wavefront6targetE0EEEvT1_,comdat
.Lfunc_end57:
	.size	_ZN7rocprim17ROCPRIM_400000_NS6detail17trampoline_kernelINS0_14default_configENS1_20scan_config_selectorIdEEZZNS1_9scan_implILNS1_25lookback_scan_determinismE0ELb0ELb0ES3_PKdPddZZZN2at6native31launch_logcumsumexp_cuda_kernelERKNSB_10TensorBaseESF_lENKUlvE_clEvENKUlvE_clEvEUlddE_dEEDaPvRmT3_T4_T5_mT6_P12ihipStream_tbENKUlT_T0_E_clISt17integral_constantIbLb1EESV_IbLb0EEEEDaSR_SS_EUlSR_E0_NS1_11comp_targetILNS1_3genE5ELNS1_11target_archE942ELNS1_3gpuE9ELNS1_3repE0EEENS1_30default_config_static_selectorELNS0_4arch9wavefront6targetE0EEEvT1_, .Lfunc_end57-_ZN7rocprim17ROCPRIM_400000_NS6detail17trampoline_kernelINS0_14default_configENS1_20scan_config_selectorIdEEZZNS1_9scan_implILNS1_25lookback_scan_determinismE0ELb0ELb0ES3_PKdPddZZZN2at6native31launch_logcumsumexp_cuda_kernelERKNSB_10TensorBaseESF_lENKUlvE_clEvENKUlvE_clEvEUlddE_dEEDaPvRmT3_T4_T5_mT6_P12ihipStream_tbENKUlT_T0_E_clISt17integral_constantIbLb1EESV_IbLb0EEEEDaSR_SS_EUlSR_E0_NS1_11comp_targetILNS1_3genE5ELNS1_11target_archE942ELNS1_3gpuE9ELNS1_3repE0EEENS1_30default_config_static_selectorELNS0_4arch9wavefront6targetE0EEEvT1_
                                        ; -- End function
	.set _ZN7rocprim17ROCPRIM_400000_NS6detail17trampoline_kernelINS0_14default_configENS1_20scan_config_selectorIdEEZZNS1_9scan_implILNS1_25lookback_scan_determinismE0ELb0ELb0ES3_PKdPddZZZN2at6native31launch_logcumsumexp_cuda_kernelERKNSB_10TensorBaseESF_lENKUlvE_clEvENKUlvE_clEvEUlddE_dEEDaPvRmT3_T4_T5_mT6_P12ihipStream_tbENKUlT_T0_E_clISt17integral_constantIbLb1EESV_IbLb0EEEEDaSR_SS_EUlSR_E0_NS1_11comp_targetILNS1_3genE5ELNS1_11target_archE942ELNS1_3gpuE9ELNS1_3repE0EEENS1_30default_config_static_selectorELNS0_4arch9wavefront6targetE0EEEvT1_.num_vgpr, 0
	.set _ZN7rocprim17ROCPRIM_400000_NS6detail17trampoline_kernelINS0_14default_configENS1_20scan_config_selectorIdEEZZNS1_9scan_implILNS1_25lookback_scan_determinismE0ELb0ELb0ES3_PKdPddZZZN2at6native31launch_logcumsumexp_cuda_kernelERKNSB_10TensorBaseESF_lENKUlvE_clEvENKUlvE_clEvEUlddE_dEEDaPvRmT3_T4_T5_mT6_P12ihipStream_tbENKUlT_T0_E_clISt17integral_constantIbLb1EESV_IbLb0EEEEDaSR_SS_EUlSR_E0_NS1_11comp_targetILNS1_3genE5ELNS1_11target_archE942ELNS1_3gpuE9ELNS1_3repE0EEENS1_30default_config_static_selectorELNS0_4arch9wavefront6targetE0EEEvT1_.num_agpr, 0
	.set _ZN7rocprim17ROCPRIM_400000_NS6detail17trampoline_kernelINS0_14default_configENS1_20scan_config_selectorIdEEZZNS1_9scan_implILNS1_25lookback_scan_determinismE0ELb0ELb0ES3_PKdPddZZZN2at6native31launch_logcumsumexp_cuda_kernelERKNSB_10TensorBaseESF_lENKUlvE_clEvENKUlvE_clEvEUlddE_dEEDaPvRmT3_T4_T5_mT6_P12ihipStream_tbENKUlT_T0_E_clISt17integral_constantIbLb1EESV_IbLb0EEEEDaSR_SS_EUlSR_E0_NS1_11comp_targetILNS1_3genE5ELNS1_11target_archE942ELNS1_3gpuE9ELNS1_3repE0EEENS1_30default_config_static_selectorELNS0_4arch9wavefront6targetE0EEEvT1_.numbered_sgpr, 0
	.set _ZN7rocprim17ROCPRIM_400000_NS6detail17trampoline_kernelINS0_14default_configENS1_20scan_config_selectorIdEEZZNS1_9scan_implILNS1_25lookback_scan_determinismE0ELb0ELb0ES3_PKdPddZZZN2at6native31launch_logcumsumexp_cuda_kernelERKNSB_10TensorBaseESF_lENKUlvE_clEvENKUlvE_clEvEUlddE_dEEDaPvRmT3_T4_T5_mT6_P12ihipStream_tbENKUlT_T0_E_clISt17integral_constantIbLb1EESV_IbLb0EEEEDaSR_SS_EUlSR_E0_NS1_11comp_targetILNS1_3genE5ELNS1_11target_archE942ELNS1_3gpuE9ELNS1_3repE0EEENS1_30default_config_static_selectorELNS0_4arch9wavefront6targetE0EEEvT1_.num_named_barrier, 0
	.set _ZN7rocprim17ROCPRIM_400000_NS6detail17trampoline_kernelINS0_14default_configENS1_20scan_config_selectorIdEEZZNS1_9scan_implILNS1_25lookback_scan_determinismE0ELb0ELb0ES3_PKdPddZZZN2at6native31launch_logcumsumexp_cuda_kernelERKNSB_10TensorBaseESF_lENKUlvE_clEvENKUlvE_clEvEUlddE_dEEDaPvRmT3_T4_T5_mT6_P12ihipStream_tbENKUlT_T0_E_clISt17integral_constantIbLb1EESV_IbLb0EEEEDaSR_SS_EUlSR_E0_NS1_11comp_targetILNS1_3genE5ELNS1_11target_archE942ELNS1_3gpuE9ELNS1_3repE0EEENS1_30default_config_static_selectorELNS0_4arch9wavefront6targetE0EEEvT1_.private_seg_size, 0
	.set _ZN7rocprim17ROCPRIM_400000_NS6detail17trampoline_kernelINS0_14default_configENS1_20scan_config_selectorIdEEZZNS1_9scan_implILNS1_25lookback_scan_determinismE0ELb0ELb0ES3_PKdPddZZZN2at6native31launch_logcumsumexp_cuda_kernelERKNSB_10TensorBaseESF_lENKUlvE_clEvENKUlvE_clEvEUlddE_dEEDaPvRmT3_T4_T5_mT6_P12ihipStream_tbENKUlT_T0_E_clISt17integral_constantIbLb1EESV_IbLb0EEEEDaSR_SS_EUlSR_E0_NS1_11comp_targetILNS1_3genE5ELNS1_11target_archE942ELNS1_3gpuE9ELNS1_3repE0EEENS1_30default_config_static_selectorELNS0_4arch9wavefront6targetE0EEEvT1_.uses_vcc, 0
	.set _ZN7rocprim17ROCPRIM_400000_NS6detail17trampoline_kernelINS0_14default_configENS1_20scan_config_selectorIdEEZZNS1_9scan_implILNS1_25lookback_scan_determinismE0ELb0ELb0ES3_PKdPddZZZN2at6native31launch_logcumsumexp_cuda_kernelERKNSB_10TensorBaseESF_lENKUlvE_clEvENKUlvE_clEvEUlddE_dEEDaPvRmT3_T4_T5_mT6_P12ihipStream_tbENKUlT_T0_E_clISt17integral_constantIbLb1EESV_IbLb0EEEEDaSR_SS_EUlSR_E0_NS1_11comp_targetILNS1_3genE5ELNS1_11target_archE942ELNS1_3gpuE9ELNS1_3repE0EEENS1_30default_config_static_selectorELNS0_4arch9wavefront6targetE0EEEvT1_.uses_flat_scratch, 0
	.set _ZN7rocprim17ROCPRIM_400000_NS6detail17trampoline_kernelINS0_14default_configENS1_20scan_config_selectorIdEEZZNS1_9scan_implILNS1_25lookback_scan_determinismE0ELb0ELb0ES3_PKdPddZZZN2at6native31launch_logcumsumexp_cuda_kernelERKNSB_10TensorBaseESF_lENKUlvE_clEvENKUlvE_clEvEUlddE_dEEDaPvRmT3_T4_T5_mT6_P12ihipStream_tbENKUlT_T0_E_clISt17integral_constantIbLb1EESV_IbLb0EEEEDaSR_SS_EUlSR_E0_NS1_11comp_targetILNS1_3genE5ELNS1_11target_archE942ELNS1_3gpuE9ELNS1_3repE0EEENS1_30default_config_static_selectorELNS0_4arch9wavefront6targetE0EEEvT1_.has_dyn_sized_stack, 0
	.set _ZN7rocprim17ROCPRIM_400000_NS6detail17trampoline_kernelINS0_14default_configENS1_20scan_config_selectorIdEEZZNS1_9scan_implILNS1_25lookback_scan_determinismE0ELb0ELb0ES3_PKdPddZZZN2at6native31launch_logcumsumexp_cuda_kernelERKNSB_10TensorBaseESF_lENKUlvE_clEvENKUlvE_clEvEUlddE_dEEDaPvRmT3_T4_T5_mT6_P12ihipStream_tbENKUlT_T0_E_clISt17integral_constantIbLb1EESV_IbLb0EEEEDaSR_SS_EUlSR_E0_NS1_11comp_targetILNS1_3genE5ELNS1_11target_archE942ELNS1_3gpuE9ELNS1_3repE0EEENS1_30default_config_static_selectorELNS0_4arch9wavefront6targetE0EEEvT1_.has_recursion, 0
	.set _ZN7rocprim17ROCPRIM_400000_NS6detail17trampoline_kernelINS0_14default_configENS1_20scan_config_selectorIdEEZZNS1_9scan_implILNS1_25lookback_scan_determinismE0ELb0ELb0ES3_PKdPddZZZN2at6native31launch_logcumsumexp_cuda_kernelERKNSB_10TensorBaseESF_lENKUlvE_clEvENKUlvE_clEvEUlddE_dEEDaPvRmT3_T4_T5_mT6_P12ihipStream_tbENKUlT_T0_E_clISt17integral_constantIbLb1EESV_IbLb0EEEEDaSR_SS_EUlSR_E0_NS1_11comp_targetILNS1_3genE5ELNS1_11target_archE942ELNS1_3gpuE9ELNS1_3repE0EEENS1_30default_config_static_selectorELNS0_4arch9wavefront6targetE0EEEvT1_.has_indirect_call, 0
	.section	.AMDGPU.csdata,"",@progbits
; Kernel info:
; codeLenInByte = 0
; TotalNumSgprs: 0
; NumVgprs: 0
; ScratchSize: 0
; MemoryBound: 0
; FloatMode: 240
; IeeeMode: 1
; LDSByteSize: 0 bytes/workgroup (compile time only)
; SGPRBlocks: 0
; VGPRBlocks: 0
; NumSGPRsForWavesPerEU: 1
; NumVGPRsForWavesPerEU: 1
; Occupancy: 16
; WaveLimiterHint : 0
; COMPUTE_PGM_RSRC2:SCRATCH_EN: 0
; COMPUTE_PGM_RSRC2:USER_SGPR: 2
; COMPUTE_PGM_RSRC2:TRAP_HANDLER: 0
; COMPUTE_PGM_RSRC2:TGID_X_EN: 1
; COMPUTE_PGM_RSRC2:TGID_Y_EN: 0
; COMPUTE_PGM_RSRC2:TGID_Z_EN: 0
; COMPUTE_PGM_RSRC2:TIDIG_COMP_CNT: 0
	.section	.text._ZN7rocprim17ROCPRIM_400000_NS6detail17trampoline_kernelINS0_14default_configENS1_20scan_config_selectorIdEEZZNS1_9scan_implILNS1_25lookback_scan_determinismE0ELb0ELb0ES3_PKdPddZZZN2at6native31launch_logcumsumexp_cuda_kernelERKNSB_10TensorBaseESF_lENKUlvE_clEvENKUlvE_clEvEUlddE_dEEDaPvRmT3_T4_T5_mT6_P12ihipStream_tbENKUlT_T0_E_clISt17integral_constantIbLb1EESV_IbLb0EEEEDaSR_SS_EUlSR_E0_NS1_11comp_targetILNS1_3genE4ELNS1_11target_archE910ELNS1_3gpuE8ELNS1_3repE0EEENS1_30default_config_static_selectorELNS0_4arch9wavefront6targetE0EEEvT1_,"axG",@progbits,_ZN7rocprim17ROCPRIM_400000_NS6detail17trampoline_kernelINS0_14default_configENS1_20scan_config_selectorIdEEZZNS1_9scan_implILNS1_25lookback_scan_determinismE0ELb0ELb0ES3_PKdPddZZZN2at6native31launch_logcumsumexp_cuda_kernelERKNSB_10TensorBaseESF_lENKUlvE_clEvENKUlvE_clEvEUlddE_dEEDaPvRmT3_T4_T5_mT6_P12ihipStream_tbENKUlT_T0_E_clISt17integral_constantIbLb1EESV_IbLb0EEEEDaSR_SS_EUlSR_E0_NS1_11comp_targetILNS1_3genE4ELNS1_11target_archE910ELNS1_3gpuE8ELNS1_3repE0EEENS1_30default_config_static_selectorELNS0_4arch9wavefront6targetE0EEEvT1_,comdat
	.globl	_ZN7rocprim17ROCPRIM_400000_NS6detail17trampoline_kernelINS0_14default_configENS1_20scan_config_selectorIdEEZZNS1_9scan_implILNS1_25lookback_scan_determinismE0ELb0ELb0ES3_PKdPddZZZN2at6native31launch_logcumsumexp_cuda_kernelERKNSB_10TensorBaseESF_lENKUlvE_clEvENKUlvE_clEvEUlddE_dEEDaPvRmT3_T4_T5_mT6_P12ihipStream_tbENKUlT_T0_E_clISt17integral_constantIbLb1EESV_IbLb0EEEEDaSR_SS_EUlSR_E0_NS1_11comp_targetILNS1_3genE4ELNS1_11target_archE910ELNS1_3gpuE8ELNS1_3repE0EEENS1_30default_config_static_selectorELNS0_4arch9wavefront6targetE0EEEvT1_ ; -- Begin function _ZN7rocprim17ROCPRIM_400000_NS6detail17trampoline_kernelINS0_14default_configENS1_20scan_config_selectorIdEEZZNS1_9scan_implILNS1_25lookback_scan_determinismE0ELb0ELb0ES3_PKdPddZZZN2at6native31launch_logcumsumexp_cuda_kernelERKNSB_10TensorBaseESF_lENKUlvE_clEvENKUlvE_clEvEUlddE_dEEDaPvRmT3_T4_T5_mT6_P12ihipStream_tbENKUlT_T0_E_clISt17integral_constantIbLb1EESV_IbLb0EEEEDaSR_SS_EUlSR_E0_NS1_11comp_targetILNS1_3genE4ELNS1_11target_archE910ELNS1_3gpuE8ELNS1_3repE0EEENS1_30default_config_static_selectorELNS0_4arch9wavefront6targetE0EEEvT1_
	.p2align	8
	.type	_ZN7rocprim17ROCPRIM_400000_NS6detail17trampoline_kernelINS0_14default_configENS1_20scan_config_selectorIdEEZZNS1_9scan_implILNS1_25lookback_scan_determinismE0ELb0ELb0ES3_PKdPddZZZN2at6native31launch_logcumsumexp_cuda_kernelERKNSB_10TensorBaseESF_lENKUlvE_clEvENKUlvE_clEvEUlddE_dEEDaPvRmT3_T4_T5_mT6_P12ihipStream_tbENKUlT_T0_E_clISt17integral_constantIbLb1EESV_IbLb0EEEEDaSR_SS_EUlSR_E0_NS1_11comp_targetILNS1_3genE4ELNS1_11target_archE910ELNS1_3gpuE8ELNS1_3repE0EEENS1_30default_config_static_selectorELNS0_4arch9wavefront6targetE0EEEvT1_,@function
_ZN7rocprim17ROCPRIM_400000_NS6detail17trampoline_kernelINS0_14default_configENS1_20scan_config_selectorIdEEZZNS1_9scan_implILNS1_25lookback_scan_determinismE0ELb0ELb0ES3_PKdPddZZZN2at6native31launch_logcumsumexp_cuda_kernelERKNSB_10TensorBaseESF_lENKUlvE_clEvENKUlvE_clEvEUlddE_dEEDaPvRmT3_T4_T5_mT6_P12ihipStream_tbENKUlT_T0_E_clISt17integral_constantIbLb1EESV_IbLb0EEEEDaSR_SS_EUlSR_E0_NS1_11comp_targetILNS1_3genE4ELNS1_11target_archE910ELNS1_3gpuE8ELNS1_3repE0EEENS1_30default_config_static_selectorELNS0_4arch9wavefront6targetE0EEEvT1_: ; @_ZN7rocprim17ROCPRIM_400000_NS6detail17trampoline_kernelINS0_14default_configENS1_20scan_config_selectorIdEEZZNS1_9scan_implILNS1_25lookback_scan_determinismE0ELb0ELb0ES3_PKdPddZZZN2at6native31launch_logcumsumexp_cuda_kernelERKNSB_10TensorBaseESF_lENKUlvE_clEvENKUlvE_clEvEUlddE_dEEDaPvRmT3_T4_T5_mT6_P12ihipStream_tbENKUlT_T0_E_clISt17integral_constantIbLb1EESV_IbLb0EEEEDaSR_SS_EUlSR_E0_NS1_11comp_targetILNS1_3genE4ELNS1_11target_archE910ELNS1_3gpuE8ELNS1_3repE0EEENS1_30default_config_static_selectorELNS0_4arch9wavefront6targetE0EEEvT1_
; %bb.0:
	.section	.rodata,"a",@progbits
	.p2align	6, 0x0
	.amdhsa_kernel _ZN7rocprim17ROCPRIM_400000_NS6detail17trampoline_kernelINS0_14default_configENS1_20scan_config_selectorIdEEZZNS1_9scan_implILNS1_25lookback_scan_determinismE0ELb0ELb0ES3_PKdPddZZZN2at6native31launch_logcumsumexp_cuda_kernelERKNSB_10TensorBaseESF_lENKUlvE_clEvENKUlvE_clEvEUlddE_dEEDaPvRmT3_T4_T5_mT6_P12ihipStream_tbENKUlT_T0_E_clISt17integral_constantIbLb1EESV_IbLb0EEEEDaSR_SS_EUlSR_E0_NS1_11comp_targetILNS1_3genE4ELNS1_11target_archE910ELNS1_3gpuE8ELNS1_3repE0EEENS1_30default_config_static_selectorELNS0_4arch9wavefront6targetE0EEEvT1_
		.amdhsa_group_segment_fixed_size 0
		.amdhsa_private_segment_fixed_size 0
		.amdhsa_kernarg_size 40
		.amdhsa_user_sgpr_count 2
		.amdhsa_user_sgpr_dispatch_ptr 0
		.amdhsa_user_sgpr_queue_ptr 0
		.amdhsa_user_sgpr_kernarg_segment_ptr 1
		.amdhsa_user_sgpr_dispatch_id 0
		.amdhsa_user_sgpr_private_segment_size 0
		.amdhsa_wavefront_size32 1
		.amdhsa_uses_dynamic_stack 0
		.amdhsa_enable_private_segment 0
		.amdhsa_system_sgpr_workgroup_id_x 1
		.amdhsa_system_sgpr_workgroup_id_y 0
		.amdhsa_system_sgpr_workgroup_id_z 0
		.amdhsa_system_sgpr_workgroup_info 0
		.amdhsa_system_vgpr_workitem_id 0
		.amdhsa_next_free_vgpr 1
		.amdhsa_next_free_sgpr 1
		.amdhsa_reserve_vcc 0
		.amdhsa_float_round_mode_32 0
		.amdhsa_float_round_mode_16_64 0
		.amdhsa_float_denorm_mode_32 3
		.amdhsa_float_denorm_mode_16_64 3
		.amdhsa_fp16_overflow 0
		.amdhsa_workgroup_processor_mode 1
		.amdhsa_memory_ordered 1
		.amdhsa_forward_progress 1
		.amdhsa_inst_pref_size 0
		.amdhsa_round_robin_scheduling 0
		.amdhsa_exception_fp_ieee_invalid_op 0
		.amdhsa_exception_fp_denorm_src 0
		.amdhsa_exception_fp_ieee_div_zero 0
		.amdhsa_exception_fp_ieee_overflow 0
		.amdhsa_exception_fp_ieee_underflow 0
		.amdhsa_exception_fp_ieee_inexact 0
		.amdhsa_exception_int_div_zero 0
	.end_amdhsa_kernel
	.section	.text._ZN7rocprim17ROCPRIM_400000_NS6detail17trampoline_kernelINS0_14default_configENS1_20scan_config_selectorIdEEZZNS1_9scan_implILNS1_25lookback_scan_determinismE0ELb0ELb0ES3_PKdPddZZZN2at6native31launch_logcumsumexp_cuda_kernelERKNSB_10TensorBaseESF_lENKUlvE_clEvENKUlvE_clEvEUlddE_dEEDaPvRmT3_T4_T5_mT6_P12ihipStream_tbENKUlT_T0_E_clISt17integral_constantIbLb1EESV_IbLb0EEEEDaSR_SS_EUlSR_E0_NS1_11comp_targetILNS1_3genE4ELNS1_11target_archE910ELNS1_3gpuE8ELNS1_3repE0EEENS1_30default_config_static_selectorELNS0_4arch9wavefront6targetE0EEEvT1_,"axG",@progbits,_ZN7rocprim17ROCPRIM_400000_NS6detail17trampoline_kernelINS0_14default_configENS1_20scan_config_selectorIdEEZZNS1_9scan_implILNS1_25lookback_scan_determinismE0ELb0ELb0ES3_PKdPddZZZN2at6native31launch_logcumsumexp_cuda_kernelERKNSB_10TensorBaseESF_lENKUlvE_clEvENKUlvE_clEvEUlddE_dEEDaPvRmT3_T4_T5_mT6_P12ihipStream_tbENKUlT_T0_E_clISt17integral_constantIbLb1EESV_IbLb0EEEEDaSR_SS_EUlSR_E0_NS1_11comp_targetILNS1_3genE4ELNS1_11target_archE910ELNS1_3gpuE8ELNS1_3repE0EEENS1_30default_config_static_selectorELNS0_4arch9wavefront6targetE0EEEvT1_,comdat
.Lfunc_end58:
	.size	_ZN7rocprim17ROCPRIM_400000_NS6detail17trampoline_kernelINS0_14default_configENS1_20scan_config_selectorIdEEZZNS1_9scan_implILNS1_25lookback_scan_determinismE0ELb0ELb0ES3_PKdPddZZZN2at6native31launch_logcumsumexp_cuda_kernelERKNSB_10TensorBaseESF_lENKUlvE_clEvENKUlvE_clEvEUlddE_dEEDaPvRmT3_T4_T5_mT6_P12ihipStream_tbENKUlT_T0_E_clISt17integral_constantIbLb1EESV_IbLb0EEEEDaSR_SS_EUlSR_E0_NS1_11comp_targetILNS1_3genE4ELNS1_11target_archE910ELNS1_3gpuE8ELNS1_3repE0EEENS1_30default_config_static_selectorELNS0_4arch9wavefront6targetE0EEEvT1_, .Lfunc_end58-_ZN7rocprim17ROCPRIM_400000_NS6detail17trampoline_kernelINS0_14default_configENS1_20scan_config_selectorIdEEZZNS1_9scan_implILNS1_25lookback_scan_determinismE0ELb0ELb0ES3_PKdPddZZZN2at6native31launch_logcumsumexp_cuda_kernelERKNSB_10TensorBaseESF_lENKUlvE_clEvENKUlvE_clEvEUlddE_dEEDaPvRmT3_T4_T5_mT6_P12ihipStream_tbENKUlT_T0_E_clISt17integral_constantIbLb1EESV_IbLb0EEEEDaSR_SS_EUlSR_E0_NS1_11comp_targetILNS1_3genE4ELNS1_11target_archE910ELNS1_3gpuE8ELNS1_3repE0EEENS1_30default_config_static_selectorELNS0_4arch9wavefront6targetE0EEEvT1_
                                        ; -- End function
	.set _ZN7rocprim17ROCPRIM_400000_NS6detail17trampoline_kernelINS0_14default_configENS1_20scan_config_selectorIdEEZZNS1_9scan_implILNS1_25lookback_scan_determinismE0ELb0ELb0ES3_PKdPddZZZN2at6native31launch_logcumsumexp_cuda_kernelERKNSB_10TensorBaseESF_lENKUlvE_clEvENKUlvE_clEvEUlddE_dEEDaPvRmT3_T4_T5_mT6_P12ihipStream_tbENKUlT_T0_E_clISt17integral_constantIbLb1EESV_IbLb0EEEEDaSR_SS_EUlSR_E0_NS1_11comp_targetILNS1_3genE4ELNS1_11target_archE910ELNS1_3gpuE8ELNS1_3repE0EEENS1_30default_config_static_selectorELNS0_4arch9wavefront6targetE0EEEvT1_.num_vgpr, 0
	.set _ZN7rocprim17ROCPRIM_400000_NS6detail17trampoline_kernelINS0_14default_configENS1_20scan_config_selectorIdEEZZNS1_9scan_implILNS1_25lookback_scan_determinismE0ELb0ELb0ES3_PKdPddZZZN2at6native31launch_logcumsumexp_cuda_kernelERKNSB_10TensorBaseESF_lENKUlvE_clEvENKUlvE_clEvEUlddE_dEEDaPvRmT3_T4_T5_mT6_P12ihipStream_tbENKUlT_T0_E_clISt17integral_constantIbLb1EESV_IbLb0EEEEDaSR_SS_EUlSR_E0_NS1_11comp_targetILNS1_3genE4ELNS1_11target_archE910ELNS1_3gpuE8ELNS1_3repE0EEENS1_30default_config_static_selectorELNS0_4arch9wavefront6targetE0EEEvT1_.num_agpr, 0
	.set _ZN7rocprim17ROCPRIM_400000_NS6detail17trampoline_kernelINS0_14default_configENS1_20scan_config_selectorIdEEZZNS1_9scan_implILNS1_25lookback_scan_determinismE0ELb0ELb0ES3_PKdPddZZZN2at6native31launch_logcumsumexp_cuda_kernelERKNSB_10TensorBaseESF_lENKUlvE_clEvENKUlvE_clEvEUlddE_dEEDaPvRmT3_T4_T5_mT6_P12ihipStream_tbENKUlT_T0_E_clISt17integral_constantIbLb1EESV_IbLb0EEEEDaSR_SS_EUlSR_E0_NS1_11comp_targetILNS1_3genE4ELNS1_11target_archE910ELNS1_3gpuE8ELNS1_3repE0EEENS1_30default_config_static_selectorELNS0_4arch9wavefront6targetE0EEEvT1_.numbered_sgpr, 0
	.set _ZN7rocprim17ROCPRIM_400000_NS6detail17trampoline_kernelINS0_14default_configENS1_20scan_config_selectorIdEEZZNS1_9scan_implILNS1_25lookback_scan_determinismE0ELb0ELb0ES3_PKdPddZZZN2at6native31launch_logcumsumexp_cuda_kernelERKNSB_10TensorBaseESF_lENKUlvE_clEvENKUlvE_clEvEUlddE_dEEDaPvRmT3_T4_T5_mT6_P12ihipStream_tbENKUlT_T0_E_clISt17integral_constantIbLb1EESV_IbLb0EEEEDaSR_SS_EUlSR_E0_NS1_11comp_targetILNS1_3genE4ELNS1_11target_archE910ELNS1_3gpuE8ELNS1_3repE0EEENS1_30default_config_static_selectorELNS0_4arch9wavefront6targetE0EEEvT1_.num_named_barrier, 0
	.set _ZN7rocprim17ROCPRIM_400000_NS6detail17trampoline_kernelINS0_14default_configENS1_20scan_config_selectorIdEEZZNS1_9scan_implILNS1_25lookback_scan_determinismE0ELb0ELb0ES3_PKdPddZZZN2at6native31launch_logcumsumexp_cuda_kernelERKNSB_10TensorBaseESF_lENKUlvE_clEvENKUlvE_clEvEUlddE_dEEDaPvRmT3_T4_T5_mT6_P12ihipStream_tbENKUlT_T0_E_clISt17integral_constantIbLb1EESV_IbLb0EEEEDaSR_SS_EUlSR_E0_NS1_11comp_targetILNS1_3genE4ELNS1_11target_archE910ELNS1_3gpuE8ELNS1_3repE0EEENS1_30default_config_static_selectorELNS0_4arch9wavefront6targetE0EEEvT1_.private_seg_size, 0
	.set _ZN7rocprim17ROCPRIM_400000_NS6detail17trampoline_kernelINS0_14default_configENS1_20scan_config_selectorIdEEZZNS1_9scan_implILNS1_25lookback_scan_determinismE0ELb0ELb0ES3_PKdPddZZZN2at6native31launch_logcumsumexp_cuda_kernelERKNSB_10TensorBaseESF_lENKUlvE_clEvENKUlvE_clEvEUlddE_dEEDaPvRmT3_T4_T5_mT6_P12ihipStream_tbENKUlT_T0_E_clISt17integral_constantIbLb1EESV_IbLb0EEEEDaSR_SS_EUlSR_E0_NS1_11comp_targetILNS1_3genE4ELNS1_11target_archE910ELNS1_3gpuE8ELNS1_3repE0EEENS1_30default_config_static_selectorELNS0_4arch9wavefront6targetE0EEEvT1_.uses_vcc, 0
	.set _ZN7rocprim17ROCPRIM_400000_NS6detail17trampoline_kernelINS0_14default_configENS1_20scan_config_selectorIdEEZZNS1_9scan_implILNS1_25lookback_scan_determinismE0ELb0ELb0ES3_PKdPddZZZN2at6native31launch_logcumsumexp_cuda_kernelERKNSB_10TensorBaseESF_lENKUlvE_clEvENKUlvE_clEvEUlddE_dEEDaPvRmT3_T4_T5_mT6_P12ihipStream_tbENKUlT_T0_E_clISt17integral_constantIbLb1EESV_IbLb0EEEEDaSR_SS_EUlSR_E0_NS1_11comp_targetILNS1_3genE4ELNS1_11target_archE910ELNS1_3gpuE8ELNS1_3repE0EEENS1_30default_config_static_selectorELNS0_4arch9wavefront6targetE0EEEvT1_.uses_flat_scratch, 0
	.set _ZN7rocprim17ROCPRIM_400000_NS6detail17trampoline_kernelINS0_14default_configENS1_20scan_config_selectorIdEEZZNS1_9scan_implILNS1_25lookback_scan_determinismE0ELb0ELb0ES3_PKdPddZZZN2at6native31launch_logcumsumexp_cuda_kernelERKNSB_10TensorBaseESF_lENKUlvE_clEvENKUlvE_clEvEUlddE_dEEDaPvRmT3_T4_T5_mT6_P12ihipStream_tbENKUlT_T0_E_clISt17integral_constantIbLb1EESV_IbLb0EEEEDaSR_SS_EUlSR_E0_NS1_11comp_targetILNS1_3genE4ELNS1_11target_archE910ELNS1_3gpuE8ELNS1_3repE0EEENS1_30default_config_static_selectorELNS0_4arch9wavefront6targetE0EEEvT1_.has_dyn_sized_stack, 0
	.set _ZN7rocprim17ROCPRIM_400000_NS6detail17trampoline_kernelINS0_14default_configENS1_20scan_config_selectorIdEEZZNS1_9scan_implILNS1_25lookback_scan_determinismE0ELb0ELb0ES3_PKdPddZZZN2at6native31launch_logcumsumexp_cuda_kernelERKNSB_10TensorBaseESF_lENKUlvE_clEvENKUlvE_clEvEUlddE_dEEDaPvRmT3_T4_T5_mT6_P12ihipStream_tbENKUlT_T0_E_clISt17integral_constantIbLb1EESV_IbLb0EEEEDaSR_SS_EUlSR_E0_NS1_11comp_targetILNS1_3genE4ELNS1_11target_archE910ELNS1_3gpuE8ELNS1_3repE0EEENS1_30default_config_static_selectorELNS0_4arch9wavefront6targetE0EEEvT1_.has_recursion, 0
	.set _ZN7rocprim17ROCPRIM_400000_NS6detail17trampoline_kernelINS0_14default_configENS1_20scan_config_selectorIdEEZZNS1_9scan_implILNS1_25lookback_scan_determinismE0ELb0ELb0ES3_PKdPddZZZN2at6native31launch_logcumsumexp_cuda_kernelERKNSB_10TensorBaseESF_lENKUlvE_clEvENKUlvE_clEvEUlddE_dEEDaPvRmT3_T4_T5_mT6_P12ihipStream_tbENKUlT_T0_E_clISt17integral_constantIbLb1EESV_IbLb0EEEEDaSR_SS_EUlSR_E0_NS1_11comp_targetILNS1_3genE4ELNS1_11target_archE910ELNS1_3gpuE8ELNS1_3repE0EEENS1_30default_config_static_selectorELNS0_4arch9wavefront6targetE0EEEvT1_.has_indirect_call, 0
	.section	.AMDGPU.csdata,"",@progbits
; Kernel info:
; codeLenInByte = 0
; TotalNumSgprs: 0
; NumVgprs: 0
; ScratchSize: 0
; MemoryBound: 0
; FloatMode: 240
; IeeeMode: 1
; LDSByteSize: 0 bytes/workgroup (compile time only)
; SGPRBlocks: 0
; VGPRBlocks: 0
; NumSGPRsForWavesPerEU: 1
; NumVGPRsForWavesPerEU: 1
; Occupancy: 16
; WaveLimiterHint : 0
; COMPUTE_PGM_RSRC2:SCRATCH_EN: 0
; COMPUTE_PGM_RSRC2:USER_SGPR: 2
; COMPUTE_PGM_RSRC2:TRAP_HANDLER: 0
; COMPUTE_PGM_RSRC2:TGID_X_EN: 1
; COMPUTE_PGM_RSRC2:TGID_Y_EN: 0
; COMPUTE_PGM_RSRC2:TGID_Z_EN: 0
; COMPUTE_PGM_RSRC2:TIDIG_COMP_CNT: 0
	.section	.text._ZN7rocprim17ROCPRIM_400000_NS6detail17trampoline_kernelINS0_14default_configENS1_20scan_config_selectorIdEEZZNS1_9scan_implILNS1_25lookback_scan_determinismE0ELb0ELb0ES3_PKdPddZZZN2at6native31launch_logcumsumexp_cuda_kernelERKNSB_10TensorBaseESF_lENKUlvE_clEvENKUlvE_clEvEUlddE_dEEDaPvRmT3_T4_T5_mT6_P12ihipStream_tbENKUlT_T0_E_clISt17integral_constantIbLb1EESV_IbLb0EEEEDaSR_SS_EUlSR_E0_NS1_11comp_targetILNS1_3genE3ELNS1_11target_archE908ELNS1_3gpuE7ELNS1_3repE0EEENS1_30default_config_static_selectorELNS0_4arch9wavefront6targetE0EEEvT1_,"axG",@progbits,_ZN7rocprim17ROCPRIM_400000_NS6detail17trampoline_kernelINS0_14default_configENS1_20scan_config_selectorIdEEZZNS1_9scan_implILNS1_25lookback_scan_determinismE0ELb0ELb0ES3_PKdPddZZZN2at6native31launch_logcumsumexp_cuda_kernelERKNSB_10TensorBaseESF_lENKUlvE_clEvENKUlvE_clEvEUlddE_dEEDaPvRmT3_T4_T5_mT6_P12ihipStream_tbENKUlT_T0_E_clISt17integral_constantIbLb1EESV_IbLb0EEEEDaSR_SS_EUlSR_E0_NS1_11comp_targetILNS1_3genE3ELNS1_11target_archE908ELNS1_3gpuE7ELNS1_3repE0EEENS1_30default_config_static_selectorELNS0_4arch9wavefront6targetE0EEEvT1_,comdat
	.globl	_ZN7rocprim17ROCPRIM_400000_NS6detail17trampoline_kernelINS0_14default_configENS1_20scan_config_selectorIdEEZZNS1_9scan_implILNS1_25lookback_scan_determinismE0ELb0ELb0ES3_PKdPddZZZN2at6native31launch_logcumsumexp_cuda_kernelERKNSB_10TensorBaseESF_lENKUlvE_clEvENKUlvE_clEvEUlddE_dEEDaPvRmT3_T4_T5_mT6_P12ihipStream_tbENKUlT_T0_E_clISt17integral_constantIbLb1EESV_IbLb0EEEEDaSR_SS_EUlSR_E0_NS1_11comp_targetILNS1_3genE3ELNS1_11target_archE908ELNS1_3gpuE7ELNS1_3repE0EEENS1_30default_config_static_selectorELNS0_4arch9wavefront6targetE0EEEvT1_ ; -- Begin function _ZN7rocprim17ROCPRIM_400000_NS6detail17trampoline_kernelINS0_14default_configENS1_20scan_config_selectorIdEEZZNS1_9scan_implILNS1_25lookback_scan_determinismE0ELb0ELb0ES3_PKdPddZZZN2at6native31launch_logcumsumexp_cuda_kernelERKNSB_10TensorBaseESF_lENKUlvE_clEvENKUlvE_clEvEUlddE_dEEDaPvRmT3_T4_T5_mT6_P12ihipStream_tbENKUlT_T0_E_clISt17integral_constantIbLb1EESV_IbLb0EEEEDaSR_SS_EUlSR_E0_NS1_11comp_targetILNS1_3genE3ELNS1_11target_archE908ELNS1_3gpuE7ELNS1_3repE0EEENS1_30default_config_static_selectorELNS0_4arch9wavefront6targetE0EEEvT1_
	.p2align	8
	.type	_ZN7rocprim17ROCPRIM_400000_NS6detail17trampoline_kernelINS0_14default_configENS1_20scan_config_selectorIdEEZZNS1_9scan_implILNS1_25lookback_scan_determinismE0ELb0ELb0ES3_PKdPddZZZN2at6native31launch_logcumsumexp_cuda_kernelERKNSB_10TensorBaseESF_lENKUlvE_clEvENKUlvE_clEvEUlddE_dEEDaPvRmT3_T4_T5_mT6_P12ihipStream_tbENKUlT_T0_E_clISt17integral_constantIbLb1EESV_IbLb0EEEEDaSR_SS_EUlSR_E0_NS1_11comp_targetILNS1_3genE3ELNS1_11target_archE908ELNS1_3gpuE7ELNS1_3repE0EEENS1_30default_config_static_selectorELNS0_4arch9wavefront6targetE0EEEvT1_,@function
_ZN7rocprim17ROCPRIM_400000_NS6detail17trampoline_kernelINS0_14default_configENS1_20scan_config_selectorIdEEZZNS1_9scan_implILNS1_25lookback_scan_determinismE0ELb0ELb0ES3_PKdPddZZZN2at6native31launch_logcumsumexp_cuda_kernelERKNSB_10TensorBaseESF_lENKUlvE_clEvENKUlvE_clEvEUlddE_dEEDaPvRmT3_T4_T5_mT6_P12ihipStream_tbENKUlT_T0_E_clISt17integral_constantIbLb1EESV_IbLb0EEEEDaSR_SS_EUlSR_E0_NS1_11comp_targetILNS1_3genE3ELNS1_11target_archE908ELNS1_3gpuE7ELNS1_3repE0EEENS1_30default_config_static_selectorELNS0_4arch9wavefront6targetE0EEEvT1_: ; @_ZN7rocprim17ROCPRIM_400000_NS6detail17trampoline_kernelINS0_14default_configENS1_20scan_config_selectorIdEEZZNS1_9scan_implILNS1_25lookback_scan_determinismE0ELb0ELb0ES3_PKdPddZZZN2at6native31launch_logcumsumexp_cuda_kernelERKNSB_10TensorBaseESF_lENKUlvE_clEvENKUlvE_clEvEUlddE_dEEDaPvRmT3_T4_T5_mT6_P12ihipStream_tbENKUlT_T0_E_clISt17integral_constantIbLb1EESV_IbLb0EEEEDaSR_SS_EUlSR_E0_NS1_11comp_targetILNS1_3genE3ELNS1_11target_archE908ELNS1_3gpuE7ELNS1_3repE0EEENS1_30default_config_static_selectorELNS0_4arch9wavefront6targetE0EEEvT1_
; %bb.0:
	.section	.rodata,"a",@progbits
	.p2align	6, 0x0
	.amdhsa_kernel _ZN7rocprim17ROCPRIM_400000_NS6detail17trampoline_kernelINS0_14default_configENS1_20scan_config_selectorIdEEZZNS1_9scan_implILNS1_25lookback_scan_determinismE0ELb0ELb0ES3_PKdPddZZZN2at6native31launch_logcumsumexp_cuda_kernelERKNSB_10TensorBaseESF_lENKUlvE_clEvENKUlvE_clEvEUlddE_dEEDaPvRmT3_T4_T5_mT6_P12ihipStream_tbENKUlT_T0_E_clISt17integral_constantIbLb1EESV_IbLb0EEEEDaSR_SS_EUlSR_E0_NS1_11comp_targetILNS1_3genE3ELNS1_11target_archE908ELNS1_3gpuE7ELNS1_3repE0EEENS1_30default_config_static_selectorELNS0_4arch9wavefront6targetE0EEEvT1_
		.amdhsa_group_segment_fixed_size 0
		.amdhsa_private_segment_fixed_size 0
		.amdhsa_kernarg_size 40
		.amdhsa_user_sgpr_count 2
		.amdhsa_user_sgpr_dispatch_ptr 0
		.amdhsa_user_sgpr_queue_ptr 0
		.amdhsa_user_sgpr_kernarg_segment_ptr 1
		.amdhsa_user_sgpr_dispatch_id 0
		.amdhsa_user_sgpr_private_segment_size 0
		.amdhsa_wavefront_size32 1
		.amdhsa_uses_dynamic_stack 0
		.amdhsa_enable_private_segment 0
		.amdhsa_system_sgpr_workgroup_id_x 1
		.amdhsa_system_sgpr_workgroup_id_y 0
		.amdhsa_system_sgpr_workgroup_id_z 0
		.amdhsa_system_sgpr_workgroup_info 0
		.amdhsa_system_vgpr_workitem_id 0
		.amdhsa_next_free_vgpr 1
		.amdhsa_next_free_sgpr 1
		.amdhsa_reserve_vcc 0
		.amdhsa_float_round_mode_32 0
		.amdhsa_float_round_mode_16_64 0
		.amdhsa_float_denorm_mode_32 3
		.amdhsa_float_denorm_mode_16_64 3
		.amdhsa_fp16_overflow 0
		.amdhsa_workgroup_processor_mode 1
		.amdhsa_memory_ordered 1
		.amdhsa_forward_progress 1
		.amdhsa_inst_pref_size 0
		.amdhsa_round_robin_scheduling 0
		.amdhsa_exception_fp_ieee_invalid_op 0
		.amdhsa_exception_fp_denorm_src 0
		.amdhsa_exception_fp_ieee_div_zero 0
		.amdhsa_exception_fp_ieee_overflow 0
		.amdhsa_exception_fp_ieee_underflow 0
		.amdhsa_exception_fp_ieee_inexact 0
		.amdhsa_exception_int_div_zero 0
	.end_amdhsa_kernel
	.section	.text._ZN7rocprim17ROCPRIM_400000_NS6detail17trampoline_kernelINS0_14default_configENS1_20scan_config_selectorIdEEZZNS1_9scan_implILNS1_25lookback_scan_determinismE0ELb0ELb0ES3_PKdPddZZZN2at6native31launch_logcumsumexp_cuda_kernelERKNSB_10TensorBaseESF_lENKUlvE_clEvENKUlvE_clEvEUlddE_dEEDaPvRmT3_T4_T5_mT6_P12ihipStream_tbENKUlT_T0_E_clISt17integral_constantIbLb1EESV_IbLb0EEEEDaSR_SS_EUlSR_E0_NS1_11comp_targetILNS1_3genE3ELNS1_11target_archE908ELNS1_3gpuE7ELNS1_3repE0EEENS1_30default_config_static_selectorELNS0_4arch9wavefront6targetE0EEEvT1_,"axG",@progbits,_ZN7rocprim17ROCPRIM_400000_NS6detail17trampoline_kernelINS0_14default_configENS1_20scan_config_selectorIdEEZZNS1_9scan_implILNS1_25lookback_scan_determinismE0ELb0ELb0ES3_PKdPddZZZN2at6native31launch_logcumsumexp_cuda_kernelERKNSB_10TensorBaseESF_lENKUlvE_clEvENKUlvE_clEvEUlddE_dEEDaPvRmT3_T4_T5_mT6_P12ihipStream_tbENKUlT_T0_E_clISt17integral_constantIbLb1EESV_IbLb0EEEEDaSR_SS_EUlSR_E0_NS1_11comp_targetILNS1_3genE3ELNS1_11target_archE908ELNS1_3gpuE7ELNS1_3repE0EEENS1_30default_config_static_selectorELNS0_4arch9wavefront6targetE0EEEvT1_,comdat
.Lfunc_end59:
	.size	_ZN7rocprim17ROCPRIM_400000_NS6detail17trampoline_kernelINS0_14default_configENS1_20scan_config_selectorIdEEZZNS1_9scan_implILNS1_25lookback_scan_determinismE0ELb0ELb0ES3_PKdPddZZZN2at6native31launch_logcumsumexp_cuda_kernelERKNSB_10TensorBaseESF_lENKUlvE_clEvENKUlvE_clEvEUlddE_dEEDaPvRmT3_T4_T5_mT6_P12ihipStream_tbENKUlT_T0_E_clISt17integral_constantIbLb1EESV_IbLb0EEEEDaSR_SS_EUlSR_E0_NS1_11comp_targetILNS1_3genE3ELNS1_11target_archE908ELNS1_3gpuE7ELNS1_3repE0EEENS1_30default_config_static_selectorELNS0_4arch9wavefront6targetE0EEEvT1_, .Lfunc_end59-_ZN7rocprim17ROCPRIM_400000_NS6detail17trampoline_kernelINS0_14default_configENS1_20scan_config_selectorIdEEZZNS1_9scan_implILNS1_25lookback_scan_determinismE0ELb0ELb0ES3_PKdPddZZZN2at6native31launch_logcumsumexp_cuda_kernelERKNSB_10TensorBaseESF_lENKUlvE_clEvENKUlvE_clEvEUlddE_dEEDaPvRmT3_T4_T5_mT6_P12ihipStream_tbENKUlT_T0_E_clISt17integral_constantIbLb1EESV_IbLb0EEEEDaSR_SS_EUlSR_E0_NS1_11comp_targetILNS1_3genE3ELNS1_11target_archE908ELNS1_3gpuE7ELNS1_3repE0EEENS1_30default_config_static_selectorELNS0_4arch9wavefront6targetE0EEEvT1_
                                        ; -- End function
	.set _ZN7rocprim17ROCPRIM_400000_NS6detail17trampoline_kernelINS0_14default_configENS1_20scan_config_selectorIdEEZZNS1_9scan_implILNS1_25lookback_scan_determinismE0ELb0ELb0ES3_PKdPddZZZN2at6native31launch_logcumsumexp_cuda_kernelERKNSB_10TensorBaseESF_lENKUlvE_clEvENKUlvE_clEvEUlddE_dEEDaPvRmT3_T4_T5_mT6_P12ihipStream_tbENKUlT_T0_E_clISt17integral_constantIbLb1EESV_IbLb0EEEEDaSR_SS_EUlSR_E0_NS1_11comp_targetILNS1_3genE3ELNS1_11target_archE908ELNS1_3gpuE7ELNS1_3repE0EEENS1_30default_config_static_selectorELNS0_4arch9wavefront6targetE0EEEvT1_.num_vgpr, 0
	.set _ZN7rocprim17ROCPRIM_400000_NS6detail17trampoline_kernelINS0_14default_configENS1_20scan_config_selectorIdEEZZNS1_9scan_implILNS1_25lookback_scan_determinismE0ELb0ELb0ES3_PKdPddZZZN2at6native31launch_logcumsumexp_cuda_kernelERKNSB_10TensorBaseESF_lENKUlvE_clEvENKUlvE_clEvEUlddE_dEEDaPvRmT3_T4_T5_mT6_P12ihipStream_tbENKUlT_T0_E_clISt17integral_constantIbLb1EESV_IbLb0EEEEDaSR_SS_EUlSR_E0_NS1_11comp_targetILNS1_3genE3ELNS1_11target_archE908ELNS1_3gpuE7ELNS1_3repE0EEENS1_30default_config_static_selectorELNS0_4arch9wavefront6targetE0EEEvT1_.num_agpr, 0
	.set _ZN7rocprim17ROCPRIM_400000_NS6detail17trampoline_kernelINS0_14default_configENS1_20scan_config_selectorIdEEZZNS1_9scan_implILNS1_25lookback_scan_determinismE0ELb0ELb0ES3_PKdPddZZZN2at6native31launch_logcumsumexp_cuda_kernelERKNSB_10TensorBaseESF_lENKUlvE_clEvENKUlvE_clEvEUlddE_dEEDaPvRmT3_T4_T5_mT6_P12ihipStream_tbENKUlT_T0_E_clISt17integral_constantIbLb1EESV_IbLb0EEEEDaSR_SS_EUlSR_E0_NS1_11comp_targetILNS1_3genE3ELNS1_11target_archE908ELNS1_3gpuE7ELNS1_3repE0EEENS1_30default_config_static_selectorELNS0_4arch9wavefront6targetE0EEEvT1_.numbered_sgpr, 0
	.set _ZN7rocprim17ROCPRIM_400000_NS6detail17trampoline_kernelINS0_14default_configENS1_20scan_config_selectorIdEEZZNS1_9scan_implILNS1_25lookback_scan_determinismE0ELb0ELb0ES3_PKdPddZZZN2at6native31launch_logcumsumexp_cuda_kernelERKNSB_10TensorBaseESF_lENKUlvE_clEvENKUlvE_clEvEUlddE_dEEDaPvRmT3_T4_T5_mT6_P12ihipStream_tbENKUlT_T0_E_clISt17integral_constantIbLb1EESV_IbLb0EEEEDaSR_SS_EUlSR_E0_NS1_11comp_targetILNS1_3genE3ELNS1_11target_archE908ELNS1_3gpuE7ELNS1_3repE0EEENS1_30default_config_static_selectorELNS0_4arch9wavefront6targetE0EEEvT1_.num_named_barrier, 0
	.set _ZN7rocprim17ROCPRIM_400000_NS6detail17trampoline_kernelINS0_14default_configENS1_20scan_config_selectorIdEEZZNS1_9scan_implILNS1_25lookback_scan_determinismE0ELb0ELb0ES3_PKdPddZZZN2at6native31launch_logcumsumexp_cuda_kernelERKNSB_10TensorBaseESF_lENKUlvE_clEvENKUlvE_clEvEUlddE_dEEDaPvRmT3_T4_T5_mT6_P12ihipStream_tbENKUlT_T0_E_clISt17integral_constantIbLb1EESV_IbLb0EEEEDaSR_SS_EUlSR_E0_NS1_11comp_targetILNS1_3genE3ELNS1_11target_archE908ELNS1_3gpuE7ELNS1_3repE0EEENS1_30default_config_static_selectorELNS0_4arch9wavefront6targetE0EEEvT1_.private_seg_size, 0
	.set _ZN7rocprim17ROCPRIM_400000_NS6detail17trampoline_kernelINS0_14default_configENS1_20scan_config_selectorIdEEZZNS1_9scan_implILNS1_25lookback_scan_determinismE0ELb0ELb0ES3_PKdPddZZZN2at6native31launch_logcumsumexp_cuda_kernelERKNSB_10TensorBaseESF_lENKUlvE_clEvENKUlvE_clEvEUlddE_dEEDaPvRmT3_T4_T5_mT6_P12ihipStream_tbENKUlT_T0_E_clISt17integral_constantIbLb1EESV_IbLb0EEEEDaSR_SS_EUlSR_E0_NS1_11comp_targetILNS1_3genE3ELNS1_11target_archE908ELNS1_3gpuE7ELNS1_3repE0EEENS1_30default_config_static_selectorELNS0_4arch9wavefront6targetE0EEEvT1_.uses_vcc, 0
	.set _ZN7rocprim17ROCPRIM_400000_NS6detail17trampoline_kernelINS0_14default_configENS1_20scan_config_selectorIdEEZZNS1_9scan_implILNS1_25lookback_scan_determinismE0ELb0ELb0ES3_PKdPddZZZN2at6native31launch_logcumsumexp_cuda_kernelERKNSB_10TensorBaseESF_lENKUlvE_clEvENKUlvE_clEvEUlddE_dEEDaPvRmT3_T4_T5_mT6_P12ihipStream_tbENKUlT_T0_E_clISt17integral_constantIbLb1EESV_IbLb0EEEEDaSR_SS_EUlSR_E0_NS1_11comp_targetILNS1_3genE3ELNS1_11target_archE908ELNS1_3gpuE7ELNS1_3repE0EEENS1_30default_config_static_selectorELNS0_4arch9wavefront6targetE0EEEvT1_.uses_flat_scratch, 0
	.set _ZN7rocprim17ROCPRIM_400000_NS6detail17trampoline_kernelINS0_14default_configENS1_20scan_config_selectorIdEEZZNS1_9scan_implILNS1_25lookback_scan_determinismE0ELb0ELb0ES3_PKdPddZZZN2at6native31launch_logcumsumexp_cuda_kernelERKNSB_10TensorBaseESF_lENKUlvE_clEvENKUlvE_clEvEUlddE_dEEDaPvRmT3_T4_T5_mT6_P12ihipStream_tbENKUlT_T0_E_clISt17integral_constantIbLb1EESV_IbLb0EEEEDaSR_SS_EUlSR_E0_NS1_11comp_targetILNS1_3genE3ELNS1_11target_archE908ELNS1_3gpuE7ELNS1_3repE0EEENS1_30default_config_static_selectorELNS0_4arch9wavefront6targetE0EEEvT1_.has_dyn_sized_stack, 0
	.set _ZN7rocprim17ROCPRIM_400000_NS6detail17trampoline_kernelINS0_14default_configENS1_20scan_config_selectorIdEEZZNS1_9scan_implILNS1_25lookback_scan_determinismE0ELb0ELb0ES3_PKdPddZZZN2at6native31launch_logcumsumexp_cuda_kernelERKNSB_10TensorBaseESF_lENKUlvE_clEvENKUlvE_clEvEUlddE_dEEDaPvRmT3_T4_T5_mT6_P12ihipStream_tbENKUlT_T0_E_clISt17integral_constantIbLb1EESV_IbLb0EEEEDaSR_SS_EUlSR_E0_NS1_11comp_targetILNS1_3genE3ELNS1_11target_archE908ELNS1_3gpuE7ELNS1_3repE0EEENS1_30default_config_static_selectorELNS0_4arch9wavefront6targetE0EEEvT1_.has_recursion, 0
	.set _ZN7rocprim17ROCPRIM_400000_NS6detail17trampoline_kernelINS0_14default_configENS1_20scan_config_selectorIdEEZZNS1_9scan_implILNS1_25lookback_scan_determinismE0ELb0ELb0ES3_PKdPddZZZN2at6native31launch_logcumsumexp_cuda_kernelERKNSB_10TensorBaseESF_lENKUlvE_clEvENKUlvE_clEvEUlddE_dEEDaPvRmT3_T4_T5_mT6_P12ihipStream_tbENKUlT_T0_E_clISt17integral_constantIbLb1EESV_IbLb0EEEEDaSR_SS_EUlSR_E0_NS1_11comp_targetILNS1_3genE3ELNS1_11target_archE908ELNS1_3gpuE7ELNS1_3repE0EEENS1_30default_config_static_selectorELNS0_4arch9wavefront6targetE0EEEvT1_.has_indirect_call, 0
	.section	.AMDGPU.csdata,"",@progbits
; Kernel info:
; codeLenInByte = 0
; TotalNumSgprs: 0
; NumVgprs: 0
; ScratchSize: 0
; MemoryBound: 0
; FloatMode: 240
; IeeeMode: 1
; LDSByteSize: 0 bytes/workgroup (compile time only)
; SGPRBlocks: 0
; VGPRBlocks: 0
; NumSGPRsForWavesPerEU: 1
; NumVGPRsForWavesPerEU: 1
; Occupancy: 16
; WaveLimiterHint : 0
; COMPUTE_PGM_RSRC2:SCRATCH_EN: 0
; COMPUTE_PGM_RSRC2:USER_SGPR: 2
; COMPUTE_PGM_RSRC2:TRAP_HANDLER: 0
; COMPUTE_PGM_RSRC2:TGID_X_EN: 1
; COMPUTE_PGM_RSRC2:TGID_Y_EN: 0
; COMPUTE_PGM_RSRC2:TGID_Z_EN: 0
; COMPUTE_PGM_RSRC2:TIDIG_COMP_CNT: 0
	.section	.text._ZN7rocprim17ROCPRIM_400000_NS6detail17trampoline_kernelINS0_14default_configENS1_20scan_config_selectorIdEEZZNS1_9scan_implILNS1_25lookback_scan_determinismE0ELb0ELb0ES3_PKdPddZZZN2at6native31launch_logcumsumexp_cuda_kernelERKNSB_10TensorBaseESF_lENKUlvE_clEvENKUlvE_clEvEUlddE_dEEDaPvRmT3_T4_T5_mT6_P12ihipStream_tbENKUlT_T0_E_clISt17integral_constantIbLb1EESV_IbLb0EEEEDaSR_SS_EUlSR_E0_NS1_11comp_targetILNS1_3genE2ELNS1_11target_archE906ELNS1_3gpuE6ELNS1_3repE0EEENS1_30default_config_static_selectorELNS0_4arch9wavefront6targetE0EEEvT1_,"axG",@progbits,_ZN7rocprim17ROCPRIM_400000_NS6detail17trampoline_kernelINS0_14default_configENS1_20scan_config_selectorIdEEZZNS1_9scan_implILNS1_25lookback_scan_determinismE0ELb0ELb0ES3_PKdPddZZZN2at6native31launch_logcumsumexp_cuda_kernelERKNSB_10TensorBaseESF_lENKUlvE_clEvENKUlvE_clEvEUlddE_dEEDaPvRmT3_T4_T5_mT6_P12ihipStream_tbENKUlT_T0_E_clISt17integral_constantIbLb1EESV_IbLb0EEEEDaSR_SS_EUlSR_E0_NS1_11comp_targetILNS1_3genE2ELNS1_11target_archE906ELNS1_3gpuE6ELNS1_3repE0EEENS1_30default_config_static_selectorELNS0_4arch9wavefront6targetE0EEEvT1_,comdat
	.globl	_ZN7rocprim17ROCPRIM_400000_NS6detail17trampoline_kernelINS0_14default_configENS1_20scan_config_selectorIdEEZZNS1_9scan_implILNS1_25lookback_scan_determinismE0ELb0ELb0ES3_PKdPddZZZN2at6native31launch_logcumsumexp_cuda_kernelERKNSB_10TensorBaseESF_lENKUlvE_clEvENKUlvE_clEvEUlddE_dEEDaPvRmT3_T4_T5_mT6_P12ihipStream_tbENKUlT_T0_E_clISt17integral_constantIbLb1EESV_IbLb0EEEEDaSR_SS_EUlSR_E0_NS1_11comp_targetILNS1_3genE2ELNS1_11target_archE906ELNS1_3gpuE6ELNS1_3repE0EEENS1_30default_config_static_selectorELNS0_4arch9wavefront6targetE0EEEvT1_ ; -- Begin function _ZN7rocprim17ROCPRIM_400000_NS6detail17trampoline_kernelINS0_14default_configENS1_20scan_config_selectorIdEEZZNS1_9scan_implILNS1_25lookback_scan_determinismE0ELb0ELb0ES3_PKdPddZZZN2at6native31launch_logcumsumexp_cuda_kernelERKNSB_10TensorBaseESF_lENKUlvE_clEvENKUlvE_clEvEUlddE_dEEDaPvRmT3_T4_T5_mT6_P12ihipStream_tbENKUlT_T0_E_clISt17integral_constantIbLb1EESV_IbLb0EEEEDaSR_SS_EUlSR_E0_NS1_11comp_targetILNS1_3genE2ELNS1_11target_archE906ELNS1_3gpuE6ELNS1_3repE0EEENS1_30default_config_static_selectorELNS0_4arch9wavefront6targetE0EEEvT1_
	.p2align	8
	.type	_ZN7rocprim17ROCPRIM_400000_NS6detail17trampoline_kernelINS0_14default_configENS1_20scan_config_selectorIdEEZZNS1_9scan_implILNS1_25lookback_scan_determinismE0ELb0ELb0ES3_PKdPddZZZN2at6native31launch_logcumsumexp_cuda_kernelERKNSB_10TensorBaseESF_lENKUlvE_clEvENKUlvE_clEvEUlddE_dEEDaPvRmT3_T4_T5_mT6_P12ihipStream_tbENKUlT_T0_E_clISt17integral_constantIbLb1EESV_IbLb0EEEEDaSR_SS_EUlSR_E0_NS1_11comp_targetILNS1_3genE2ELNS1_11target_archE906ELNS1_3gpuE6ELNS1_3repE0EEENS1_30default_config_static_selectorELNS0_4arch9wavefront6targetE0EEEvT1_,@function
_ZN7rocprim17ROCPRIM_400000_NS6detail17trampoline_kernelINS0_14default_configENS1_20scan_config_selectorIdEEZZNS1_9scan_implILNS1_25lookback_scan_determinismE0ELb0ELb0ES3_PKdPddZZZN2at6native31launch_logcumsumexp_cuda_kernelERKNSB_10TensorBaseESF_lENKUlvE_clEvENKUlvE_clEvEUlddE_dEEDaPvRmT3_T4_T5_mT6_P12ihipStream_tbENKUlT_T0_E_clISt17integral_constantIbLb1EESV_IbLb0EEEEDaSR_SS_EUlSR_E0_NS1_11comp_targetILNS1_3genE2ELNS1_11target_archE906ELNS1_3gpuE6ELNS1_3repE0EEENS1_30default_config_static_selectorELNS0_4arch9wavefront6targetE0EEEvT1_: ; @_ZN7rocprim17ROCPRIM_400000_NS6detail17trampoline_kernelINS0_14default_configENS1_20scan_config_selectorIdEEZZNS1_9scan_implILNS1_25lookback_scan_determinismE0ELb0ELb0ES3_PKdPddZZZN2at6native31launch_logcumsumexp_cuda_kernelERKNSB_10TensorBaseESF_lENKUlvE_clEvENKUlvE_clEvEUlddE_dEEDaPvRmT3_T4_T5_mT6_P12ihipStream_tbENKUlT_T0_E_clISt17integral_constantIbLb1EESV_IbLb0EEEEDaSR_SS_EUlSR_E0_NS1_11comp_targetILNS1_3genE2ELNS1_11target_archE906ELNS1_3gpuE6ELNS1_3repE0EEENS1_30default_config_static_selectorELNS0_4arch9wavefront6targetE0EEEvT1_
; %bb.0:
	.section	.rodata,"a",@progbits
	.p2align	6, 0x0
	.amdhsa_kernel _ZN7rocprim17ROCPRIM_400000_NS6detail17trampoline_kernelINS0_14default_configENS1_20scan_config_selectorIdEEZZNS1_9scan_implILNS1_25lookback_scan_determinismE0ELb0ELb0ES3_PKdPddZZZN2at6native31launch_logcumsumexp_cuda_kernelERKNSB_10TensorBaseESF_lENKUlvE_clEvENKUlvE_clEvEUlddE_dEEDaPvRmT3_T4_T5_mT6_P12ihipStream_tbENKUlT_T0_E_clISt17integral_constantIbLb1EESV_IbLb0EEEEDaSR_SS_EUlSR_E0_NS1_11comp_targetILNS1_3genE2ELNS1_11target_archE906ELNS1_3gpuE6ELNS1_3repE0EEENS1_30default_config_static_selectorELNS0_4arch9wavefront6targetE0EEEvT1_
		.amdhsa_group_segment_fixed_size 0
		.amdhsa_private_segment_fixed_size 0
		.amdhsa_kernarg_size 40
		.amdhsa_user_sgpr_count 2
		.amdhsa_user_sgpr_dispatch_ptr 0
		.amdhsa_user_sgpr_queue_ptr 0
		.amdhsa_user_sgpr_kernarg_segment_ptr 1
		.amdhsa_user_sgpr_dispatch_id 0
		.amdhsa_user_sgpr_private_segment_size 0
		.amdhsa_wavefront_size32 1
		.amdhsa_uses_dynamic_stack 0
		.amdhsa_enable_private_segment 0
		.amdhsa_system_sgpr_workgroup_id_x 1
		.amdhsa_system_sgpr_workgroup_id_y 0
		.amdhsa_system_sgpr_workgroup_id_z 0
		.amdhsa_system_sgpr_workgroup_info 0
		.amdhsa_system_vgpr_workitem_id 0
		.amdhsa_next_free_vgpr 1
		.amdhsa_next_free_sgpr 1
		.amdhsa_reserve_vcc 0
		.amdhsa_float_round_mode_32 0
		.amdhsa_float_round_mode_16_64 0
		.amdhsa_float_denorm_mode_32 3
		.amdhsa_float_denorm_mode_16_64 3
		.amdhsa_fp16_overflow 0
		.amdhsa_workgroup_processor_mode 1
		.amdhsa_memory_ordered 1
		.amdhsa_forward_progress 1
		.amdhsa_inst_pref_size 0
		.amdhsa_round_robin_scheduling 0
		.amdhsa_exception_fp_ieee_invalid_op 0
		.amdhsa_exception_fp_denorm_src 0
		.amdhsa_exception_fp_ieee_div_zero 0
		.amdhsa_exception_fp_ieee_overflow 0
		.amdhsa_exception_fp_ieee_underflow 0
		.amdhsa_exception_fp_ieee_inexact 0
		.amdhsa_exception_int_div_zero 0
	.end_amdhsa_kernel
	.section	.text._ZN7rocprim17ROCPRIM_400000_NS6detail17trampoline_kernelINS0_14default_configENS1_20scan_config_selectorIdEEZZNS1_9scan_implILNS1_25lookback_scan_determinismE0ELb0ELb0ES3_PKdPddZZZN2at6native31launch_logcumsumexp_cuda_kernelERKNSB_10TensorBaseESF_lENKUlvE_clEvENKUlvE_clEvEUlddE_dEEDaPvRmT3_T4_T5_mT6_P12ihipStream_tbENKUlT_T0_E_clISt17integral_constantIbLb1EESV_IbLb0EEEEDaSR_SS_EUlSR_E0_NS1_11comp_targetILNS1_3genE2ELNS1_11target_archE906ELNS1_3gpuE6ELNS1_3repE0EEENS1_30default_config_static_selectorELNS0_4arch9wavefront6targetE0EEEvT1_,"axG",@progbits,_ZN7rocprim17ROCPRIM_400000_NS6detail17trampoline_kernelINS0_14default_configENS1_20scan_config_selectorIdEEZZNS1_9scan_implILNS1_25lookback_scan_determinismE0ELb0ELb0ES3_PKdPddZZZN2at6native31launch_logcumsumexp_cuda_kernelERKNSB_10TensorBaseESF_lENKUlvE_clEvENKUlvE_clEvEUlddE_dEEDaPvRmT3_T4_T5_mT6_P12ihipStream_tbENKUlT_T0_E_clISt17integral_constantIbLb1EESV_IbLb0EEEEDaSR_SS_EUlSR_E0_NS1_11comp_targetILNS1_3genE2ELNS1_11target_archE906ELNS1_3gpuE6ELNS1_3repE0EEENS1_30default_config_static_selectorELNS0_4arch9wavefront6targetE0EEEvT1_,comdat
.Lfunc_end60:
	.size	_ZN7rocprim17ROCPRIM_400000_NS6detail17trampoline_kernelINS0_14default_configENS1_20scan_config_selectorIdEEZZNS1_9scan_implILNS1_25lookback_scan_determinismE0ELb0ELb0ES3_PKdPddZZZN2at6native31launch_logcumsumexp_cuda_kernelERKNSB_10TensorBaseESF_lENKUlvE_clEvENKUlvE_clEvEUlddE_dEEDaPvRmT3_T4_T5_mT6_P12ihipStream_tbENKUlT_T0_E_clISt17integral_constantIbLb1EESV_IbLb0EEEEDaSR_SS_EUlSR_E0_NS1_11comp_targetILNS1_3genE2ELNS1_11target_archE906ELNS1_3gpuE6ELNS1_3repE0EEENS1_30default_config_static_selectorELNS0_4arch9wavefront6targetE0EEEvT1_, .Lfunc_end60-_ZN7rocprim17ROCPRIM_400000_NS6detail17trampoline_kernelINS0_14default_configENS1_20scan_config_selectorIdEEZZNS1_9scan_implILNS1_25lookback_scan_determinismE0ELb0ELb0ES3_PKdPddZZZN2at6native31launch_logcumsumexp_cuda_kernelERKNSB_10TensorBaseESF_lENKUlvE_clEvENKUlvE_clEvEUlddE_dEEDaPvRmT3_T4_T5_mT6_P12ihipStream_tbENKUlT_T0_E_clISt17integral_constantIbLb1EESV_IbLb0EEEEDaSR_SS_EUlSR_E0_NS1_11comp_targetILNS1_3genE2ELNS1_11target_archE906ELNS1_3gpuE6ELNS1_3repE0EEENS1_30default_config_static_selectorELNS0_4arch9wavefront6targetE0EEEvT1_
                                        ; -- End function
	.set _ZN7rocprim17ROCPRIM_400000_NS6detail17trampoline_kernelINS0_14default_configENS1_20scan_config_selectorIdEEZZNS1_9scan_implILNS1_25lookback_scan_determinismE0ELb0ELb0ES3_PKdPddZZZN2at6native31launch_logcumsumexp_cuda_kernelERKNSB_10TensorBaseESF_lENKUlvE_clEvENKUlvE_clEvEUlddE_dEEDaPvRmT3_T4_T5_mT6_P12ihipStream_tbENKUlT_T0_E_clISt17integral_constantIbLb1EESV_IbLb0EEEEDaSR_SS_EUlSR_E0_NS1_11comp_targetILNS1_3genE2ELNS1_11target_archE906ELNS1_3gpuE6ELNS1_3repE0EEENS1_30default_config_static_selectorELNS0_4arch9wavefront6targetE0EEEvT1_.num_vgpr, 0
	.set _ZN7rocprim17ROCPRIM_400000_NS6detail17trampoline_kernelINS0_14default_configENS1_20scan_config_selectorIdEEZZNS1_9scan_implILNS1_25lookback_scan_determinismE0ELb0ELb0ES3_PKdPddZZZN2at6native31launch_logcumsumexp_cuda_kernelERKNSB_10TensorBaseESF_lENKUlvE_clEvENKUlvE_clEvEUlddE_dEEDaPvRmT3_T4_T5_mT6_P12ihipStream_tbENKUlT_T0_E_clISt17integral_constantIbLb1EESV_IbLb0EEEEDaSR_SS_EUlSR_E0_NS1_11comp_targetILNS1_3genE2ELNS1_11target_archE906ELNS1_3gpuE6ELNS1_3repE0EEENS1_30default_config_static_selectorELNS0_4arch9wavefront6targetE0EEEvT1_.num_agpr, 0
	.set _ZN7rocprim17ROCPRIM_400000_NS6detail17trampoline_kernelINS0_14default_configENS1_20scan_config_selectorIdEEZZNS1_9scan_implILNS1_25lookback_scan_determinismE0ELb0ELb0ES3_PKdPddZZZN2at6native31launch_logcumsumexp_cuda_kernelERKNSB_10TensorBaseESF_lENKUlvE_clEvENKUlvE_clEvEUlddE_dEEDaPvRmT3_T4_T5_mT6_P12ihipStream_tbENKUlT_T0_E_clISt17integral_constantIbLb1EESV_IbLb0EEEEDaSR_SS_EUlSR_E0_NS1_11comp_targetILNS1_3genE2ELNS1_11target_archE906ELNS1_3gpuE6ELNS1_3repE0EEENS1_30default_config_static_selectorELNS0_4arch9wavefront6targetE0EEEvT1_.numbered_sgpr, 0
	.set _ZN7rocprim17ROCPRIM_400000_NS6detail17trampoline_kernelINS0_14default_configENS1_20scan_config_selectorIdEEZZNS1_9scan_implILNS1_25lookback_scan_determinismE0ELb0ELb0ES3_PKdPddZZZN2at6native31launch_logcumsumexp_cuda_kernelERKNSB_10TensorBaseESF_lENKUlvE_clEvENKUlvE_clEvEUlddE_dEEDaPvRmT3_T4_T5_mT6_P12ihipStream_tbENKUlT_T0_E_clISt17integral_constantIbLb1EESV_IbLb0EEEEDaSR_SS_EUlSR_E0_NS1_11comp_targetILNS1_3genE2ELNS1_11target_archE906ELNS1_3gpuE6ELNS1_3repE0EEENS1_30default_config_static_selectorELNS0_4arch9wavefront6targetE0EEEvT1_.num_named_barrier, 0
	.set _ZN7rocprim17ROCPRIM_400000_NS6detail17trampoline_kernelINS0_14default_configENS1_20scan_config_selectorIdEEZZNS1_9scan_implILNS1_25lookback_scan_determinismE0ELb0ELb0ES3_PKdPddZZZN2at6native31launch_logcumsumexp_cuda_kernelERKNSB_10TensorBaseESF_lENKUlvE_clEvENKUlvE_clEvEUlddE_dEEDaPvRmT3_T4_T5_mT6_P12ihipStream_tbENKUlT_T0_E_clISt17integral_constantIbLb1EESV_IbLb0EEEEDaSR_SS_EUlSR_E0_NS1_11comp_targetILNS1_3genE2ELNS1_11target_archE906ELNS1_3gpuE6ELNS1_3repE0EEENS1_30default_config_static_selectorELNS0_4arch9wavefront6targetE0EEEvT1_.private_seg_size, 0
	.set _ZN7rocprim17ROCPRIM_400000_NS6detail17trampoline_kernelINS0_14default_configENS1_20scan_config_selectorIdEEZZNS1_9scan_implILNS1_25lookback_scan_determinismE0ELb0ELb0ES3_PKdPddZZZN2at6native31launch_logcumsumexp_cuda_kernelERKNSB_10TensorBaseESF_lENKUlvE_clEvENKUlvE_clEvEUlddE_dEEDaPvRmT3_T4_T5_mT6_P12ihipStream_tbENKUlT_T0_E_clISt17integral_constantIbLb1EESV_IbLb0EEEEDaSR_SS_EUlSR_E0_NS1_11comp_targetILNS1_3genE2ELNS1_11target_archE906ELNS1_3gpuE6ELNS1_3repE0EEENS1_30default_config_static_selectorELNS0_4arch9wavefront6targetE0EEEvT1_.uses_vcc, 0
	.set _ZN7rocprim17ROCPRIM_400000_NS6detail17trampoline_kernelINS0_14default_configENS1_20scan_config_selectorIdEEZZNS1_9scan_implILNS1_25lookback_scan_determinismE0ELb0ELb0ES3_PKdPddZZZN2at6native31launch_logcumsumexp_cuda_kernelERKNSB_10TensorBaseESF_lENKUlvE_clEvENKUlvE_clEvEUlddE_dEEDaPvRmT3_T4_T5_mT6_P12ihipStream_tbENKUlT_T0_E_clISt17integral_constantIbLb1EESV_IbLb0EEEEDaSR_SS_EUlSR_E0_NS1_11comp_targetILNS1_3genE2ELNS1_11target_archE906ELNS1_3gpuE6ELNS1_3repE0EEENS1_30default_config_static_selectorELNS0_4arch9wavefront6targetE0EEEvT1_.uses_flat_scratch, 0
	.set _ZN7rocprim17ROCPRIM_400000_NS6detail17trampoline_kernelINS0_14default_configENS1_20scan_config_selectorIdEEZZNS1_9scan_implILNS1_25lookback_scan_determinismE0ELb0ELb0ES3_PKdPddZZZN2at6native31launch_logcumsumexp_cuda_kernelERKNSB_10TensorBaseESF_lENKUlvE_clEvENKUlvE_clEvEUlddE_dEEDaPvRmT3_T4_T5_mT6_P12ihipStream_tbENKUlT_T0_E_clISt17integral_constantIbLb1EESV_IbLb0EEEEDaSR_SS_EUlSR_E0_NS1_11comp_targetILNS1_3genE2ELNS1_11target_archE906ELNS1_3gpuE6ELNS1_3repE0EEENS1_30default_config_static_selectorELNS0_4arch9wavefront6targetE0EEEvT1_.has_dyn_sized_stack, 0
	.set _ZN7rocprim17ROCPRIM_400000_NS6detail17trampoline_kernelINS0_14default_configENS1_20scan_config_selectorIdEEZZNS1_9scan_implILNS1_25lookback_scan_determinismE0ELb0ELb0ES3_PKdPddZZZN2at6native31launch_logcumsumexp_cuda_kernelERKNSB_10TensorBaseESF_lENKUlvE_clEvENKUlvE_clEvEUlddE_dEEDaPvRmT3_T4_T5_mT6_P12ihipStream_tbENKUlT_T0_E_clISt17integral_constantIbLb1EESV_IbLb0EEEEDaSR_SS_EUlSR_E0_NS1_11comp_targetILNS1_3genE2ELNS1_11target_archE906ELNS1_3gpuE6ELNS1_3repE0EEENS1_30default_config_static_selectorELNS0_4arch9wavefront6targetE0EEEvT1_.has_recursion, 0
	.set _ZN7rocprim17ROCPRIM_400000_NS6detail17trampoline_kernelINS0_14default_configENS1_20scan_config_selectorIdEEZZNS1_9scan_implILNS1_25lookback_scan_determinismE0ELb0ELb0ES3_PKdPddZZZN2at6native31launch_logcumsumexp_cuda_kernelERKNSB_10TensorBaseESF_lENKUlvE_clEvENKUlvE_clEvEUlddE_dEEDaPvRmT3_T4_T5_mT6_P12ihipStream_tbENKUlT_T0_E_clISt17integral_constantIbLb1EESV_IbLb0EEEEDaSR_SS_EUlSR_E0_NS1_11comp_targetILNS1_3genE2ELNS1_11target_archE906ELNS1_3gpuE6ELNS1_3repE0EEENS1_30default_config_static_selectorELNS0_4arch9wavefront6targetE0EEEvT1_.has_indirect_call, 0
	.section	.AMDGPU.csdata,"",@progbits
; Kernel info:
; codeLenInByte = 0
; TotalNumSgprs: 0
; NumVgprs: 0
; ScratchSize: 0
; MemoryBound: 0
; FloatMode: 240
; IeeeMode: 1
; LDSByteSize: 0 bytes/workgroup (compile time only)
; SGPRBlocks: 0
; VGPRBlocks: 0
; NumSGPRsForWavesPerEU: 1
; NumVGPRsForWavesPerEU: 1
; Occupancy: 16
; WaveLimiterHint : 0
; COMPUTE_PGM_RSRC2:SCRATCH_EN: 0
; COMPUTE_PGM_RSRC2:USER_SGPR: 2
; COMPUTE_PGM_RSRC2:TRAP_HANDLER: 0
; COMPUTE_PGM_RSRC2:TGID_X_EN: 1
; COMPUTE_PGM_RSRC2:TGID_Y_EN: 0
; COMPUTE_PGM_RSRC2:TGID_Z_EN: 0
; COMPUTE_PGM_RSRC2:TIDIG_COMP_CNT: 0
	.section	.text._ZN7rocprim17ROCPRIM_400000_NS6detail17trampoline_kernelINS0_14default_configENS1_20scan_config_selectorIdEEZZNS1_9scan_implILNS1_25lookback_scan_determinismE0ELb0ELb0ES3_PKdPddZZZN2at6native31launch_logcumsumexp_cuda_kernelERKNSB_10TensorBaseESF_lENKUlvE_clEvENKUlvE_clEvEUlddE_dEEDaPvRmT3_T4_T5_mT6_P12ihipStream_tbENKUlT_T0_E_clISt17integral_constantIbLb1EESV_IbLb0EEEEDaSR_SS_EUlSR_E0_NS1_11comp_targetILNS1_3genE10ELNS1_11target_archE1201ELNS1_3gpuE5ELNS1_3repE0EEENS1_30default_config_static_selectorELNS0_4arch9wavefront6targetE0EEEvT1_,"axG",@progbits,_ZN7rocprim17ROCPRIM_400000_NS6detail17trampoline_kernelINS0_14default_configENS1_20scan_config_selectorIdEEZZNS1_9scan_implILNS1_25lookback_scan_determinismE0ELb0ELb0ES3_PKdPddZZZN2at6native31launch_logcumsumexp_cuda_kernelERKNSB_10TensorBaseESF_lENKUlvE_clEvENKUlvE_clEvEUlddE_dEEDaPvRmT3_T4_T5_mT6_P12ihipStream_tbENKUlT_T0_E_clISt17integral_constantIbLb1EESV_IbLb0EEEEDaSR_SS_EUlSR_E0_NS1_11comp_targetILNS1_3genE10ELNS1_11target_archE1201ELNS1_3gpuE5ELNS1_3repE0EEENS1_30default_config_static_selectorELNS0_4arch9wavefront6targetE0EEEvT1_,comdat
	.globl	_ZN7rocprim17ROCPRIM_400000_NS6detail17trampoline_kernelINS0_14default_configENS1_20scan_config_selectorIdEEZZNS1_9scan_implILNS1_25lookback_scan_determinismE0ELb0ELb0ES3_PKdPddZZZN2at6native31launch_logcumsumexp_cuda_kernelERKNSB_10TensorBaseESF_lENKUlvE_clEvENKUlvE_clEvEUlddE_dEEDaPvRmT3_T4_T5_mT6_P12ihipStream_tbENKUlT_T0_E_clISt17integral_constantIbLb1EESV_IbLb0EEEEDaSR_SS_EUlSR_E0_NS1_11comp_targetILNS1_3genE10ELNS1_11target_archE1201ELNS1_3gpuE5ELNS1_3repE0EEENS1_30default_config_static_selectorELNS0_4arch9wavefront6targetE0EEEvT1_ ; -- Begin function _ZN7rocprim17ROCPRIM_400000_NS6detail17trampoline_kernelINS0_14default_configENS1_20scan_config_selectorIdEEZZNS1_9scan_implILNS1_25lookback_scan_determinismE0ELb0ELb0ES3_PKdPddZZZN2at6native31launch_logcumsumexp_cuda_kernelERKNSB_10TensorBaseESF_lENKUlvE_clEvENKUlvE_clEvEUlddE_dEEDaPvRmT3_T4_T5_mT6_P12ihipStream_tbENKUlT_T0_E_clISt17integral_constantIbLb1EESV_IbLb0EEEEDaSR_SS_EUlSR_E0_NS1_11comp_targetILNS1_3genE10ELNS1_11target_archE1201ELNS1_3gpuE5ELNS1_3repE0EEENS1_30default_config_static_selectorELNS0_4arch9wavefront6targetE0EEEvT1_
	.p2align	8
	.type	_ZN7rocprim17ROCPRIM_400000_NS6detail17trampoline_kernelINS0_14default_configENS1_20scan_config_selectorIdEEZZNS1_9scan_implILNS1_25lookback_scan_determinismE0ELb0ELb0ES3_PKdPddZZZN2at6native31launch_logcumsumexp_cuda_kernelERKNSB_10TensorBaseESF_lENKUlvE_clEvENKUlvE_clEvEUlddE_dEEDaPvRmT3_T4_T5_mT6_P12ihipStream_tbENKUlT_T0_E_clISt17integral_constantIbLb1EESV_IbLb0EEEEDaSR_SS_EUlSR_E0_NS1_11comp_targetILNS1_3genE10ELNS1_11target_archE1201ELNS1_3gpuE5ELNS1_3repE0EEENS1_30default_config_static_selectorELNS0_4arch9wavefront6targetE0EEEvT1_,@function
_ZN7rocprim17ROCPRIM_400000_NS6detail17trampoline_kernelINS0_14default_configENS1_20scan_config_selectorIdEEZZNS1_9scan_implILNS1_25lookback_scan_determinismE0ELb0ELb0ES3_PKdPddZZZN2at6native31launch_logcumsumexp_cuda_kernelERKNSB_10TensorBaseESF_lENKUlvE_clEvENKUlvE_clEvEUlddE_dEEDaPvRmT3_T4_T5_mT6_P12ihipStream_tbENKUlT_T0_E_clISt17integral_constantIbLb1EESV_IbLb0EEEEDaSR_SS_EUlSR_E0_NS1_11comp_targetILNS1_3genE10ELNS1_11target_archE1201ELNS1_3gpuE5ELNS1_3repE0EEENS1_30default_config_static_selectorELNS0_4arch9wavefront6targetE0EEEvT1_: ; @_ZN7rocprim17ROCPRIM_400000_NS6detail17trampoline_kernelINS0_14default_configENS1_20scan_config_selectorIdEEZZNS1_9scan_implILNS1_25lookback_scan_determinismE0ELb0ELb0ES3_PKdPddZZZN2at6native31launch_logcumsumexp_cuda_kernelERKNSB_10TensorBaseESF_lENKUlvE_clEvENKUlvE_clEvEUlddE_dEEDaPvRmT3_T4_T5_mT6_P12ihipStream_tbENKUlT_T0_E_clISt17integral_constantIbLb1EESV_IbLb0EEEEDaSR_SS_EUlSR_E0_NS1_11comp_targetILNS1_3genE10ELNS1_11target_archE1201ELNS1_3gpuE5ELNS1_3repE0EEENS1_30default_config_static_selectorELNS0_4arch9wavefront6targetE0EEEvT1_
; %bb.0:
	s_load_b128 s[20:23], s[0:1], 0x0
	v_lshlrev_b32_e32 v77, 3, v0
	s_wait_kmcnt 0x0
	s_load_b64 s[18:19], s[20:21], 0x0
	v_cmp_gt_u32_e32 vcc_lo, s22, v0
	s_wait_kmcnt 0x0
	v_dual_mov_b32 v1, s18 :: v_dual_mov_b32 v2, s19
	s_and_saveexec_b32 s2, vcc_lo
	s_cbranch_execz .LBB61_2
; %bb.1:
	global_load_b64 v[1:2], v77, s[20:21]
.LBB61_2:
	s_or_b32 exec_lo, exec_lo, s2
	v_or_b32_e32 v33, 0x100, v0
	v_dual_mov_b32 v3, s18 :: v_dual_mov_b32 v4, s19
	s_delay_alu instid0(VALU_DEP_2)
	v_cmp_gt_u32_e64 s2, s22, v33
	s_and_saveexec_b32 s3, s2
	s_cbranch_execz .LBB61_4
; %bb.3:
	global_load_b64 v[3:4], v77, s[20:21] offset:2048
.LBB61_4:
	s_or_b32 exec_lo, exec_lo, s3
	v_or_b32_e32 v34, 0x200, v0
	v_dual_mov_b32 v5, s18 :: v_dual_mov_b32 v6, s19
	s_delay_alu instid0(VALU_DEP_2)
	v_cmp_gt_u32_e64 s3, s22, v34
	s_and_saveexec_b32 s4, s3
	s_cbranch_execz .LBB61_6
; %bb.5:
	global_load_b64 v[5:6], v77, s[20:21] offset:4096
.LBB61_6:
	;; [unrolled: 10-line block ×15, first 2 shown]
	s_or_b32 exec_lo, exec_lo, s17
	v_lshrrev_b32_e32 v48, 2, v0
	v_lshrrev_b32_e32 v34, 2, v34
	;; [unrolled: 1-line block ×5, first 2 shown]
	v_and_b32_e32 v95, 56, v48
	v_and_b32_e32 v34, 0xf8, v34
	;; [unrolled: 1-line block ×4, first 2 shown]
	s_delay_alu instid0(VALU_DEP_4) | instskip(NEXT) | instid1(VALU_DEP_4)
	v_add_nc_u32_e32 v78, v95, v77
	v_add_nc_u32_e32 v80, v34, v77
	v_and_b32_e32 v34, 0x1f8, v36
	v_lshrrev_b32_e32 v36, 2, v39
	v_add_nc_u32_e32 v79, v33, v77
	v_add_nc_u32_e32 v81, v35, v77
	s_wait_loadcnt 0x0
	ds_store_b64 v78, v[1:2]
	ds_store_b64 v79, v[3:4] offset:2048
	ds_store_b64 v80, v[5:6] offset:4096
	;; [unrolled: 1-line block ×3, first 2 shown]
	v_and_b32_e32 v1, 0x1f8, v36
	v_lshrrev_b32_e32 v2, 2, v40
	v_lshrrev_b32_e32 v3, 2, v41
	;; [unrolled: 1-line block ×4, first 2 shown]
	v_add_nc_u32_e32 v85, v1, v77
	v_and_b32_e32 v1, 0x3f8, v2
	v_and_b32_e32 v2, 0x3f8, v3
	;; [unrolled: 1-line block ×4, first 2 shown]
	v_lshlrev_b32_e32 v5, 2, v0
	v_add_nc_u32_e32 v86, v1, v77
	v_add_nc_u32_e32 v87, v2, v77
	v_lshrrev_b32_e32 v1, 2, v44
	v_lshrrev_b32_e32 v2, 2, v45
	;; [unrolled: 1-line block ×4, first 2 shown]
	v_add_nc_u32_e32 v88, v3, v77
	v_and_b32_e32 v1, 0x3f8, v1
	v_and_b32_e32 v2, 0x3f8, v2
	v_lshrrev_b32_e32 v3, 2, v46
	v_add_nc_u32_e32 v89, v4, v77
	v_lshrrev_b32_e32 v4, 2, v47
	v_add_nc_u32_e32 v90, v1, v77
	v_add_nc_u32_e32 v91, v2, v77
	v_and_b32_e32 v1, 0x3f8, v5
	v_lshlrev_b32_e32 v2, 7, v0
	v_and_b32_e32 v33, 0x1f8, v33
	v_and_b32_e32 v35, 0x1f8, v37
	;; [unrolled: 1-line block ×4, first 2 shown]
	v_add_nc_u32_e32 v82, v34, v77
	v_add_nc_u32_e32 v94, v1, v2
	;; [unrolled: 1-line block ×6, first 2 shown]
	ds_store_b64 v82, v[7:8] offset:8192
	ds_store_b64 v83, v[11:12] offset:10240
	;; [unrolled: 1-line block ×12, first 2 shown]
	s_wait_dscnt 0x0
	s_barrier_signal -1
	s_barrier_wait -1
	global_inv scope:SCOPE_SE
	ds_load_2addr_b64 v[1:4], v94 offset1:1
	ds_load_2addr_b64 v[29:32], v94 offset0:2 offset1:3
	s_wait_dscnt 0x1
	v_max_num_f64_e32 v[35:36], v[3:4], v[3:4]
	v_max_num_f64_e32 v[63:64], v[1:2], v[1:2]
	v_cmp_u_f64_e64 s33, v[1:2], v[1:2]
	v_cmp_u_f64_e64 s17, v[3:4], v[3:4]
	v_dual_mov_b32 v70, v2 :: v_dual_mov_b32 v69, v1
	s_delay_alu instid0(VALU_DEP_4) | instskip(SKIP_1) | instid1(VALU_DEP_2)
	v_min_num_f64_e32 v[65:66], v[63:64], v[35:36]
	v_max_num_f64_e32 v[67:68], v[63:64], v[35:36]
	v_cndmask_b32_e64 v5, v65, v1, s33
	s_delay_alu instid0(VALU_DEP_3) | instskip(NEXT) | instid1(VALU_DEP_3)
	v_cndmask_b32_e64 v6, v66, v2, s33
	v_cndmask_b32_e64 v7, v68, v2, s33
	s_delay_alu instid0(VALU_DEP_4) | instskip(NEXT) | instid1(VALU_DEP_4)
	v_cndmask_b32_e64 v8, v67, v1, s33
	v_cndmask_b32_e64 v37, v5, v3, s17
	s_delay_alu instid0(VALU_DEP_4) | instskip(NEXT) | instid1(VALU_DEP_4)
	v_cndmask_b32_e64 v38, v6, v4, s17
	v_cndmask_b32_e64 v34, v7, v4, s17
	s_delay_alu instid0(VALU_DEP_4)
	v_cndmask_b32_e64 v33, v8, v3, s17
	ds_load_2addr_b64 v[25:28], v94 offset0:4 offset1:5
	ds_load_2addr_b64 v[21:24], v94 offset0:6 offset1:7
	;; [unrolled: 1-line block ×6, first 2 shown]
	s_wait_loadcnt_dscnt 0x0
	v_cmp_class_f64_e64 s19, v[37:38], 0x1f8
	s_barrier_signal -1
	v_cmp_neq_f64_e64 s18, v[37:38], v[33:34]
	s_barrier_wait -1
	global_inv scope:SCOPE_SE
	s_or_b32 s18, s18, s19
	s_wait_alu 0xfffe
	s_and_saveexec_b32 s24, s18
	s_cbranch_execz .LBB61_34
; %bb.33:
	v_add_f64_e64 v[37:38], v[37:38], -v[33:34]
	s_mov_b32 s18, 0x652b82fe
	s_mov_b32 s19, 0x3ff71547
	;; [unrolled: 1-line block ×10, first 2 shown]
	s_wait_alu 0xfffe
	s_delay_alu instid0(VALU_DEP_1) | instskip(SKIP_2) | instid1(VALU_DEP_1)
	v_mul_f64_e32 v[39:40], s[18:19], v[37:38]
	s_mov_b32 s18, 0xfca7ab0c
	s_mov_b32 s19, 0x3e928af3
	v_rndne_f64_e32 v[39:40], v[39:40]
	s_delay_alu instid0(VALU_DEP_1) | instskip(SKIP_2) | instid1(VALU_DEP_2)
	v_fma_f64 v[41:42], v[39:40], s[20:21], v[37:38]
	v_cvt_i32_f64_e32 v45, v[39:40]
	s_mov_b32 s21, 0x3fe62e42
	v_fma_f64 v[41:42], v[39:40], s[22:23], v[41:42]
	s_mov_b32 s23, 0x3c7abc9e
	s_wait_alu 0xfffe
	s_delay_alu instid0(VALU_DEP_1)
	v_fma_f64 v[43:44], v[41:42], s[26:27], s[18:19]
	s_mov_b32 s18, 0x623fde64
	s_mov_b32 s19, 0x3ec71dee
	;; [unrolled: 1-line block ×4, first 2 shown]
	s_wait_alu 0xfffe
	s_delay_alu instid0(VALU_DEP_1) | instskip(SKIP_3) | instid1(VALU_DEP_1)
	v_fma_f64 v[43:44], v[41:42], v[43:44], s[18:19]
	s_mov_b32 s18, 0x7c89e6b0
	s_mov_b32 s19, 0x3efa0199
	s_wait_alu 0xfffe
	v_fma_f64 v[43:44], v[41:42], v[43:44], s[18:19]
	s_mov_b32 s18, 0x14761f6e
	s_mov_b32 s19, 0x3f2a01a0
	s_wait_alu 0xfffe
	s_delay_alu instid0(VALU_DEP_1) | instskip(SKIP_3) | instid1(VALU_DEP_1)
	v_fma_f64 v[43:44], v[41:42], v[43:44], s[18:19]
	s_mov_b32 s18, 0x1852b7b0
	s_mov_b32 s19, 0x3f56c16c
	s_wait_alu 0xfffe
	v_fma_f64 v[43:44], v[41:42], v[43:44], s[18:19]
	s_mov_b32 s18, 0x11122322
	s_mov_b32 s19, 0x3f811111
	;; [unrolled: 9-line block ×3, first 2 shown]
	s_wait_alu 0xfffe
	s_delay_alu instid0(VALU_DEP_1) | instskip(SKIP_3) | instid1(VALU_DEP_1)
	v_fma_f64 v[43:44], v[41:42], v[43:44], s[18:19]
	s_mov_b32 s18, 11
	s_mov_b32 s19, 0x3fe00000
	s_wait_alu 0xfffe
	v_fma_f64 v[43:44], v[41:42], v[43:44], s[18:19]
	v_cmp_nlt_f64_e64 s18, 0x40900000, v[37:38]
	v_cmp_ngt_f64_e64 s19, 0xc090cc00, v[37:38]
	s_delay_alu instid0(VALU_DEP_3) | instskip(NEXT) | instid1(VALU_DEP_1)
	v_fma_f64 v[43:44], v[41:42], v[43:44], 1.0
	v_fma_f64 v[39:40], v[41:42], v[43:44], 1.0
	s_delay_alu instid0(VALU_DEP_1) | instskip(SKIP_1) | instid1(VALU_DEP_1)
	v_ldexp_f64 v[39:40], v[39:40], v45
	s_wait_alu 0xf1ff
	v_cndmask_b32_e64 v40, 0x7ff00000, v40, s18
	s_and_b32 s18, s19, s18
	s_wait_alu 0xfffe
	s_delay_alu instid0(VALU_DEP_2) | instskip(SKIP_3) | instid1(VALU_DEP_1)
	v_cndmask_b32_e64 v37, 0, v39, s18
	s_mov_b32 s18, 0x55555555
	v_cndmask_b32_e64 v38, 0, v40, s19
	s_mov_b32 s19, 0x3fe55555
	v_add_f64_e32 v[39:40], 1.0, v[37:38]
	s_delay_alu instid0(VALU_DEP_1) | instskip(SKIP_3) | instid1(VALU_DEP_3)
	v_frexp_mant_f64_e32 v[41:42], v[39:40]
	v_frexp_exp_i32_f64_e32 v45, v[39:40]
	v_add_f64_e32 v[43:44], -1.0, v[39:40]
	s_wait_alu 0xfffe
	v_cmp_gt_f64_e64 s18, s[18:19], v[41:42]
	s_delay_alu instid0(VALU_DEP_2) | instskip(SKIP_2) | instid1(VALU_DEP_3)
	v_add_f64_e64 v[41:42], v[43:44], -v[39:40]
	v_add_f64_e64 v[43:44], v[37:38], -v[43:44]
	s_wait_alu 0xf1ff
	v_subrev_co_ci_u32_e64 v61, null, 0, v45, s18
	s_delay_alu instid0(VALU_DEP_3) | instskip(SKIP_1) | instid1(VALU_DEP_2)
	v_add_f64_e32 v[41:42], 1.0, v[41:42]
	s_mov_b32 s18, 0x55555780
	v_sub_nc_u32_e32 v47, 0, v61
	s_delay_alu instid0(VALU_DEP_1) | instskip(NEXT) | instid1(VALU_DEP_3)
	v_ldexp_f64 v[39:40], v[39:40], v47
	v_add_f64_e32 v[41:42], v[43:44], v[41:42]
	s_delay_alu instid0(VALU_DEP_2) | instskip(SKIP_1) | instid1(VALU_DEP_3)
	v_add_f64_e32 v[45:46], 1.0, v[39:40]
	v_add_f64_e32 v[51:52], -1.0, v[39:40]
	v_ldexp_f64 v[41:42], v[41:42], v47
	s_delay_alu instid0(VALU_DEP_3) | instskip(NEXT) | instid1(VALU_DEP_3)
	v_add_f64_e32 v[43:44], -1.0, v[45:46]
	v_add_f64_e32 v[53:54], 1.0, v[51:52]
	s_delay_alu instid0(VALU_DEP_2) | instskip(NEXT) | instid1(VALU_DEP_2)
	v_add_f64_e64 v[43:44], v[39:40], -v[43:44]
	v_add_f64_e64 v[39:40], v[39:40], -v[53:54]
	s_delay_alu instid0(VALU_DEP_2) | instskip(NEXT) | instid1(VALU_DEP_2)
	v_add_f64_e32 v[43:44], v[41:42], v[43:44]
	v_add_f64_e32 v[39:40], v[41:42], v[39:40]
	s_delay_alu instid0(VALU_DEP_2) | instskip(NEXT) | instid1(VALU_DEP_2)
	v_add_f64_e32 v[47:48], v[45:46], v[43:44]
	v_add_f64_e32 v[53:54], v[51:52], v[39:40]
	s_delay_alu instid0(VALU_DEP_2) | instskip(SKIP_1) | instid1(VALU_DEP_2)
	v_rcp_f64_e32 v[49:50], v[47:48]
	v_add_f64_e64 v[45:46], v[47:48], -v[45:46]
	v_add_f64_e64 v[51:52], v[53:54], -v[51:52]
	s_delay_alu instid0(VALU_DEP_2) | instskip(NEXT) | instid1(TRANS32_DEP_1)
	v_add_f64_e64 v[43:44], v[43:44], -v[45:46]
	v_fma_f64 v[55:56], -v[47:48], v[49:50], 1.0
	s_delay_alu instid0(VALU_DEP_3) | instskip(NEXT) | instid1(VALU_DEP_2)
	v_add_f64_e64 v[39:40], v[39:40], -v[51:52]
	v_fma_f64 v[49:50], v[55:56], v[49:50], v[49:50]
	s_delay_alu instid0(VALU_DEP_1) | instskip(NEXT) | instid1(VALU_DEP_1)
	v_fma_f64 v[41:42], -v[47:48], v[49:50], 1.0
	v_fma_f64 v[41:42], v[41:42], v[49:50], v[49:50]
	s_delay_alu instid0(VALU_DEP_1) | instskip(NEXT) | instid1(VALU_DEP_1)
	v_mul_f64_e32 v[49:50], v[53:54], v[41:42]
	v_mul_f64_e32 v[55:56], v[47:48], v[49:50]
	s_delay_alu instid0(VALU_DEP_1) | instskip(NEXT) | instid1(VALU_DEP_1)
	v_fma_f64 v[45:46], v[49:50], v[47:48], -v[55:56]
	v_fma_f64 v[45:46], v[49:50], v[43:44], v[45:46]
	s_delay_alu instid0(VALU_DEP_1) | instskip(NEXT) | instid1(VALU_DEP_1)
	v_add_f64_e32 v[57:58], v[55:56], v[45:46]
	v_add_f64_e64 v[59:60], v[53:54], -v[57:58]
	v_add_f64_e64 v[51:52], v[57:58], -v[55:56]
	s_delay_alu instid0(VALU_DEP_2) | instskip(NEXT) | instid1(VALU_DEP_2)
	v_add_f64_e64 v[53:54], v[53:54], -v[59:60]
	v_add_f64_e64 v[45:46], v[51:52], -v[45:46]
	s_delay_alu instid0(VALU_DEP_2) | instskip(NEXT) | instid1(VALU_DEP_1)
	v_add_f64_e64 v[53:54], v[53:54], -v[57:58]
	v_add_f64_e32 v[39:40], v[39:40], v[53:54]
	s_delay_alu instid0(VALU_DEP_1) | instskip(NEXT) | instid1(VALU_DEP_1)
	v_add_f64_e32 v[39:40], v[45:46], v[39:40]
	v_add_f64_e32 v[45:46], v[59:60], v[39:40]
	s_delay_alu instid0(VALU_DEP_1) | instskip(SKIP_1) | instid1(VALU_DEP_2)
	v_mul_f64_e32 v[51:52], v[41:42], v[45:46]
	v_add_f64_e64 v[57:58], v[59:60], -v[45:46]
	v_mul_f64_e32 v[53:54], v[47:48], v[51:52]
	s_delay_alu instid0(VALU_DEP_2) | instskip(NEXT) | instid1(VALU_DEP_2)
	v_add_f64_e32 v[39:40], v[39:40], v[57:58]
	v_fma_f64 v[47:48], v[51:52], v[47:48], -v[53:54]
	s_delay_alu instid0(VALU_DEP_1) | instskip(NEXT) | instid1(VALU_DEP_1)
	v_fma_f64 v[43:44], v[51:52], v[43:44], v[47:48]
	v_add_f64_e32 v[47:48], v[53:54], v[43:44]
	s_delay_alu instid0(VALU_DEP_1) | instskip(SKIP_1) | instid1(VALU_DEP_2)
	v_add_f64_e64 v[55:56], v[45:46], -v[47:48]
	v_add_f64_e64 v[53:54], v[47:48], -v[53:54]
	;; [unrolled: 1-line block ×3, first 2 shown]
	s_delay_alu instid0(VALU_DEP_2) | instskip(NEXT) | instid1(VALU_DEP_2)
	v_add_f64_e64 v[43:44], v[53:54], -v[43:44]
	v_add_f64_e64 v[45:46], v[45:46], -v[47:48]
	s_delay_alu instid0(VALU_DEP_1) | instskip(SKIP_1) | instid1(VALU_DEP_2)
	v_add_f64_e32 v[39:40], v[39:40], v[45:46]
	v_add_f64_e32 v[45:46], v[49:50], v[51:52]
	;; [unrolled: 1-line block ×3, first 2 shown]
	s_delay_alu instid0(VALU_DEP_2) | instskip(NEXT) | instid1(VALU_DEP_2)
	v_add_f64_e64 v[43:44], v[45:46], -v[49:50]
	v_add_f64_e32 v[39:40], v[55:56], v[39:40]
	s_delay_alu instid0(VALU_DEP_2) | instskip(NEXT) | instid1(VALU_DEP_2)
	v_add_f64_e64 v[43:44], v[51:52], -v[43:44]
	v_mul_f64_e32 v[39:40], v[41:42], v[39:40]
	s_delay_alu instid0(VALU_DEP_1) | instskip(NEXT) | instid1(VALU_DEP_1)
	v_add_f64_e32 v[39:40], v[43:44], v[39:40]
	v_add_f64_e32 v[41:42], v[45:46], v[39:40]
	s_delay_alu instid0(VALU_DEP_1) | instskip(NEXT) | instid1(VALU_DEP_1)
	v_mul_f64_e32 v[43:44], v[41:42], v[41:42]
	v_fma_f64 v[47:48], v[43:44], s[28:29], s[26:27]
	s_mov_b32 s26, 0xd7f4df2e
	s_mov_b32 s27, 0x3fc7474d
	v_mul_f64_e32 v[49:50], v[41:42], v[43:44]
	s_wait_alu 0xfffe
	s_delay_alu instid0(VALU_DEP_2) | instskip(SKIP_3) | instid1(VALU_DEP_1)
	v_fma_f64 v[47:48], v[43:44], v[47:48], s[26:27]
	s_mov_b32 s26, 0x16291751
	s_mov_b32 s27, 0x3fcc71c0
	s_wait_alu 0xfffe
	v_fma_f64 v[47:48], v[43:44], v[47:48], s[26:27]
	s_mov_b32 s26, 0x9b27acf1
	s_mov_b32 s27, 0x3fd24924
	s_wait_alu 0xfffe
	s_delay_alu instid0(VALU_DEP_1) | instskip(SKIP_3) | instid1(VALU_DEP_1)
	v_fma_f64 v[47:48], v[43:44], v[47:48], s[26:27]
	s_mov_b32 s26, 0x998ef7b6
	s_mov_b32 s27, 0x3fd99999
	s_wait_alu 0xfffe
	v_fma_f64 v[47:48], v[43:44], v[47:48], s[26:27]
	s_delay_alu instid0(VALU_DEP_1)
	v_fma_f64 v[43:44], v[43:44], v[47:48], s[18:19]
	v_ldexp_f64 v[47:48], v[41:42], 1
	v_add_f64_e64 v[41:42], v[41:42], -v[45:46]
	v_cmp_nge_f64_e64 s18, -1.0, v[37:38]
	v_cmp_neq_f64_e64 s19, 0x7ff00000, v[37:38]
	v_mul_f64_e32 v[43:44], v[49:50], v[43:44]
	v_cvt_f64_i32_e32 v[49:50], v61
	v_add_f64_e64 v[39:40], v[39:40], -v[41:42]
	s_and_b32 s18, s18, s19
	s_delay_alu instid0(VALU_DEP_3) | instskip(NEXT) | instid1(VALU_DEP_3)
	v_add_f64_e32 v[45:46], v[47:48], v[43:44]
	v_mul_f64_e32 v[51:52], s[20:21], v[49:50]
	s_delay_alu instid0(VALU_DEP_3) | instskip(NEXT) | instid1(VALU_DEP_3)
	v_ldexp_f64 v[39:40], v[39:40], 1
	v_add_f64_e64 v[41:42], v[45:46], -v[47:48]
	s_delay_alu instid0(VALU_DEP_3) | instskip(SKIP_1) | instid1(VALU_DEP_3)
	v_fma_f64 v[47:48], v[49:50], s[20:21], -v[51:52]
	v_cmp_ngt_f64_e64 s20, -1.0, v[37:38]
	v_add_f64_e64 v[41:42], v[43:44], -v[41:42]
	s_delay_alu instid0(VALU_DEP_3) | instskip(NEXT) | instid1(VALU_DEP_2)
	v_fma_f64 v[43:44], v[49:50], s[22:23], v[47:48]
	v_add_f64_e32 v[39:40], v[39:40], v[41:42]
	s_delay_alu instid0(VALU_DEP_2) | instskip(NEXT) | instid1(VALU_DEP_2)
	v_add_f64_e32 v[41:42], v[51:52], v[43:44]
	v_add_f64_e32 v[47:48], v[45:46], v[39:40]
	s_delay_alu instid0(VALU_DEP_2) | instskip(NEXT) | instid1(VALU_DEP_2)
	v_add_f64_e64 v[51:52], v[41:42], -v[51:52]
	v_add_f64_e32 v[49:50], v[41:42], v[47:48]
	v_add_f64_e64 v[45:46], v[47:48], -v[45:46]
	s_delay_alu instid0(VALU_DEP_3) | instskip(NEXT) | instid1(VALU_DEP_3)
	v_add_f64_e64 v[43:44], v[43:44], -v[51:52]
	v_add_f64_e64 v[53:54], v[49:50], -v[41:42]
	s_delay_alu instid0(VALU_DEP_3) | instskip(NEXT) | instid1(VALU_DEP_2)
	v_add_f64_e64 v[39:40], v[39:40], -v[45:46]
	v_add_f64_e64 v[55:56], v[49:50], -v[53:54]
	;; [unrolled: 1-line block ×3, first 2 shown]
	s_delay_alu instid0(VALU_DEP_3) | instskip(NEXT) | instid1(VALU_DEP_3)
	v_add_f64_e32 v[47:48], v[43:44], v[39:40]
	v_add_f64_e64 v[41:42], v[41:42], -v[55:56]
	s_delay_alu instid0(VALU_DEP_1) | instskip(NEXT) | instid1(VALU_DEP_3)
	v_add_f64_e32 v[41:42], v[45:46], v[41:42]
	v_add_f64_e64 v[45:46], v[47:48], -v[43:44]
	s_delay_alu instid0(VALU_DEP_2) | instskip(NEXT) | instid1(VALU_DEP_2)
	v_add_f64_e32 v[41:42], v[47:48], v[41:42]
	v_add_f64_e64 v[47:48], v[47:48], -v[45:46]
	v_add_f64_e64 v[39:40], v[39:40], -v[45:46]
	s_delay_alu instid0(VALU_DEP_3) | instskip(NEXT) | instid1(VALU_DEP_3)
	v_add_f64_e32 v[51:52], v[49:50], v[41:42]
	v_add_f64_e64 v[43:44], v[43:44], -v[47:48]
	s_delay_alu instid0(VALU_DEP_2) | instskip(NEXT) | instid1(VALU_DEP_2)
	v_add_f64_e64 v[45:46], v[51:52], -v[49:50]
	v_add_f64_e32 v[39:40], v[39:40], v[43:44]
	s_delay_alu instid0(VALU_DEP_2) | instskip(NEXT) | instid1(VALU_DEP_1)
	v_add_f64_e64 v[41:42], v[41:42], -v[45:46]
	v_add_f64_e32 v[39:40], v[39:40], v[41:42]
	s_delay_alu instid0(VALU_DEP_1) | instskip(SKIP_1) | instid1(VALU_DEP_1)
	v_add_f64_e32 v[39:40], v[51:52], v[39:40]
	s_wait_alu 0xfffe
	v_cndmask_b32_e64 v39, 0, v39, s18
	v_cmp_neq_f64_e64 s18, -1.0, v[37:38]
	s_delay_alu instid0(VALU_DEP_3) | instskip(SKIP_1) | instid1(VALU_DEP_1)
	v_cndmask_b32_e64 v40, 0x7ff00000, v40, s19
	s_wait_alu 0xf1ff
	v_cndmask_b32_e64 v40, 0x7ff80000, v40, s20
	s_delay_alu instid0(VALU_DEP_1) | instskip(NEXT) | instid1(VALU_DEP_1)
	v_cndmask_b32_e64 v40, 0xfff00000, v40, s18
	v_add_f64_e32 v[69:70], v[33:34], v[39:40]
.LBB61_34:
	s_or_b32 exec_lo, exec_lo, s24
	v_max_num_f64_e32 v[33:34], v[29:30], v[29:30]
	s_delay_alu instid0(VALU_DEP_2) | instskip(SKIP_2) | instid1(VALU_DEP_3)
	v_max_num_f64_e32 v[37:38], v[69:70], v[69:70]
	v_cmp_u_f64_e64 s19, v[69:70], v[69:70]
	v_cmp_u_f64_e64 s18, v[29:30], v[29:30]
	v_min_num_f64_e32 v[39:40], v[37:38], v[33:34]
	v_max_num_f64_e32 v[37:38], v[37:38], v[33:34]
	s_wait_alu 0xf1ff
	s_delay_alu instid0(VALU_DEP_2) | instskip(NEXT) | instid1(VALU_DEP_3)
	v_cndmask_b32_e64 v39, v39, v69, s19
	v_cndmask_b32_e64 v40, v40, v70, s19
	s_delay_alu instid0(VALU_DEP_3) | instskip(NEXT) | instid1(VALU_DEP_4)
	v_cndmask_b32_e64 v38, v38, v70, s19
	v_cndmask_b32_e64 v37, v37, v69, s19
	s_delay_alu instid0(VALU_DEP_4) | instskip(NEXT) | instid1(VALU_DEP_4)
	v_cndmask_b32_e64 v39, v39, v29, s18
	v_cndmask_b32_e64 v40, v40, v30, s18
	s_delay_alu instid0(VALU_DEP_4) | instskip(NEXT) | instid1(VALU_DEP_4)
	v_cndmask_b32_e64 v38, v38, v30, s18
	v_cndmask_b32_e64 v37, v37, v29, s18
	s_delay_alu instid0(VALU_DEP_3) | instskip(NEXT) | instid1(VALU_DEP_2)
	v_cmp_class_f64_e64 s20, v[39:40], 0x1f8
	v_cmp_neq_f64_e64 s19, v[39:40], v[37:38]
	s_or_b32 s19, s19, s20
	s_wait_alu 0xfffe
	s_and_saveexec_b32 s26, s19
	s_cbranch_execz .LBB61_36
; %bb.35:
	v_add_f64_e64 v[39:40], v[39:40], -v[37:38]
	s_mov_b32 s20, 0x652b82fe
	s_mov_b32 s21, 0x3ff71547
	;; [unrolled: 1-line block ×10, first 2 shown]
	s_wait_alu 0xfffe
	s_delay_alu instid0(VALU_DEP_1) | instskip(SKIP_3) | instid1(VALU_DEP_2)
	v_mul_f64_e32 v[41:42], s[20:21], v[39:40]
	s_mov_b32 s20, 0xfca7ab0c
	s_mov_b32 s21, 0x3e928af3
	v_cmp_nlt_f64_e64 s19, 0x40900000, v[39:40]
	v_rndne_f64_e32 v[41:42], v[41:42]
	s_delay_alu instid0(VALU_DEP_1) | instskip(SKIP_2) | instid1(VALU_DEP_2)
	v_fma_f64 v[43:44], v[41:42], s[22:23], v[39:40]
	v_cvt_i32_f64_e32 v47, v[41:42]
	s_mov_b32 s23, 0x3fe62e42
	v_fma_f64 v[43:44], v[41:42], s[24:25], v[43:44]
	s_mov_b32 s25, 0x3c7abc9e
	s_wait_alu 0xfffe
	s_delay_alu instid0(VALU_DEP_1)
	v_fma_f64 v[45:46], v[43:44], s[28:29], s[20:21]
	s_mov_b32 s20, 0x623fde64
	s_mov_b32 s21, 0x3ec71dee
	;; [unrolled: 1-line block ×4, first 2 shown]
	s_wait_alu 0xfffe
	s_delay_alu instid0(VALU_DEP_1) | instskip(SKIP_3) | instid1(VALU_DEP_1)
	v_fma_f64 v[45:46], v[43:44], v[45:46], s[20:21]
	s_mov_b32 s20, 0x7c89e6b0
	s_mov_b32 s21, 0x3efa0199
	s_wait_alu 0xfffe
	v_fma_f64 v[45:46], v[43:44], v[45:46], s[20:21]
	s_mov_b32 s20, 0x14761f6e
	s_mov_b32 s21, 0x3f2a01a0
	s_wait_alu 0xfffe
	s_delay_alu instid0(VALU_DEP_1) | instskip(SKIP_3) | instid1(VALU_DEP_1)
	v_fma_f64 v[45:46], v[43:44], v[45:46], s[20:21]
	s_mov_b32 s20, 0x1852b7b0
	s_mov_b32 s21, 0x3f56c16c
	s_wait_alu 0xfffe
	v_fma_f64 v[45:46], v[43:44], v[45:46], s[20:21]
	s_mov_b32 s20, 0x11122322
	s_mov_b32 s21, 0x3f811111
	;; [unrolled: 9-line block ×3, first 2 shown]
	s_wait_alu 0xfffe
	s_delay_alu instid0(VALU_DEP_1) | instskip(SKIP_3) | instid1(VALU_DEP_1)
	v_fma_f64 v[45:46], v[43:44], v[45:46], s[20:21]
	s_mov_b32 s20, 11
	s_mov_b32 s21, 0x3fe00000
	s_wait_alu 0xfffe
	v_fma_f64 v[45:46], v[43:44], v[45:46], s[20:21]
	v_cmp_ngt_f64_e64 s20, 0xc090cc00, v[39:40]
	s_mov_b32 s21, 0x3fe55555
	v_fma_f64 v[45:46], v[43:44], v[45:46], 1.0
	s_delay_alu instid0(VALU_DEP_1) | instskip(NEXT) | instid1(VALU_DEP_1)
	v_fma_f64 v[41:42], v[43:44], v[45:46], 1.0
	v_ldexp_f64 v[41:42], v[41:42], v47
	s_wait_alu 0xf1ff
	s_delay_alu instid0(VALU_DEP_1) | instskip(SKIP_2) | instid1(VALU_DEP_2)
	v_cndmask_b32_e64 v42, 0x7ff00000, v42, s19
	s_and_b32 s19, s20, s19
	s_wait_alu 0xfffe
	v_cndmask_b32_e64 v39, 0, v41, s19
	s_delay_alu instid0(VALU_DEP_2) | instskip(SKIP_1) | instid1(VALU_DEP_1)
	v_cndmask_b32_e64 v40, 0, v42, s20
	s_mov_b32 s20, 0x55555555
	v_add_f64_e32 v[41:42], 1.0, v[39:40]
	s_delay_alu instid0(VALU_DEP_1) | instskip(SKIP_3) | instid1(VALU_DEP_3)
	v_frexp_mant_f64_e32 v[43:44], v[41:42]
	v_frexp_exp_i32_f64_e32 v47, v[41:42]
	v_add_f64_e32 v[45:46], -1.0, v[41:42]
	s_wait_alu 0xfffe
	v_cmp_gt_f64_e64 s19, s[20:21], v[43:44]
	s_mov_b32 s20, 0x55555780
	v_add_f64_e64 v[43:44], v[45:46], -v[41:42]
	v_add_f64_e64 v[45:46], v[39:40], -v[45:46]
	s_wait_alu 0xf1ff
	v_subrev_co_ci_u32_e64 v69, null, 0, v47, s19
	s_delay_alu instid0(VALU_DEP_3) | instskip(SKIP_1) | instid1(VALU_DEP_3)
	v_add_f64_e32 v[43:44], 1.0, v[43:44]
	v_cmp_nge_f64_e64 s19, -1.0, v[39:40]
	v_sub_nc_u32_e32 v49, 0, v69
	s_delay_alu instid0(VALU_DEP_1) | instskip(NEXT) | instid1(VALU_DEP_4)
	v_ldexp_f64 v[41:42], v[41:42], v49
	v_add_f64_e32 v[43:44], v[45:46], v[43:44]
	s_delay_alu instid0(VALU_DEP_2) | instskip(SKIP_1) | instid1(VALU_DEP_3)
	v_add_f64_e32 v[47:48], 1.0, v[41:42]
	v_add_f64_e32 v[53:54], -1.0, v[41:42]
	v_ldexp_f64 v[43:44], v[43:44], v49
	s_delay_alu instid0(VALU_DEP_3) | instskip(NEXT) | instid1(VALU_DEP_3)
	v_add_f64_e32 v[45:46], -1.0, v[47:48]
	v_add_f64_e32 v[55:56], 1.0, v[53:54]
	s_delay_alu instid0(VALU_DEP_2) | instskip(NEXT) | instid1(VALU_DEP_2)
	v_add_f64_e64 v[45:46], v[41:42], -v[45:46]
	v_add_f64_e64 v[41:42], v[41:42], -v[55:56]
	s_delay_alu instid0(VALU_DEP_2) | instskip(NEXT) | instid1(VALU_DEP_2)
	v_add_f64_e32 v[45:46], v[43:44], v[45:46]
	v_add_f64_e32 v[41:42], v[43:44], v[41:42]
	s_delay_alu instid0(VALU_DEP_2) | instskip(NEXT) | instid1(VALU_DEP_2)
	v_add_f64_e32 v[49:50], v[47:48], v[45:46]
	v_add_f64_e32 v[55:56], v[53:54], v[41:42]
	s_delay_alu instid0(VALU_DEP_2) | instskip(SKIP_1) | instid1(VALU_DEP_2)
	v_rcp_f64_e32 v[51:52], v[49:50]
	v_add_f64_e64 v[47:48], v[49:50], -v[47:48]
	v_add_f64_e64 v[53:54], v[55:56], -v[53:54]
	s_delay_alu instid0(VALU_DEP_2) | instskip(NEXT) | instid1(TRANS32_DEP_1)
	v_add_f64_e64 v[45:46], v[45:46], -v[47:48]
	v_fma_f64 v[57:58], -v[49:50], v[51:52], 1.0
	s_delay_alu instid0(VALU_DEP_3) | instskip(NEXT) | instid1(VALU_DEP_2)
	v_add_f64_e64 v[41:42], v[41:42], -v[53:54]
	v_fma_f64 v[51:52], v[57:58], v[51:52], v[51:52]
	s_delay_alu instid0(VALU_DEP_1) | instskip(NEXT) | instid1(VALU_DEP_1)
	v_fma_f64 v[43:44], -v[49:50], v[51:52], 1.0
	v_fma_f64 v[43:44], v[43:44], v[51:52], v[51:52]
	s_delay_alu instid0(VALU_DEP_1) | instskip(NEXT) | instid1(VALU_DEP_1)
	v_mul_f64_e32 v[51:52], v[55:56], v[43:44]
	v_mul_f64_e32 v[57:58], v[49:50], v[51:52]
	s_delay_alu instid0(VALU_DEP_1) | instskip(NEXT) | instid1(VALU_DEP_1)
	v_fma_f64 v[47:48], v[51:52], v[49:50], -v[57:58]
	v_fma_f64 v[47:48], v[51:52], v[45:46], v[47:48]
	s_delay_alu instid0(VALU_DEP_1) | instskip(NEXT) | instid1(VALU_DEP_1)
	v_add_f64_e32 v[59:60], v[57:58], v[47:48]
	v_add_f64_e64 v[61:62], v[55:56], -v[59:60]
	v_add_f64_e64 v[53:54], v[59:60], -v[57:58]
	s_delay_alu instid0(VALU_DEP_2) | instskip(NEXT) | instid1(VALU_DEP_2)
	v_add_f64_e64 v[55:56], v[55:56], -v[61:62]
	v_add_f64_e64 v[47:48], v[53:54], -v[47:48]
	s_delay_alu instid0(VALU_DEP_2) | instskip(NEXT) | instid1(VALU_DEP_1)
	v_add_f64_e64 v[55:56], v[55:56], -v[59:60]
	v_add_f64_e32 v[41:42], v[41:42], v[55:56]
	s_delay_alu instid0(VALU_DEP_1) | instskip(NEXT) | instid1(VALU_DEP_1)
	v_add_f64_e32 v[41:42], v[47:48], v[41:42]
	v_add_f64_e32 v[47:48], v[61:62], v[41:42]
	s_delay_alu instid0(VALU_DEP_1) | instskip(SKIP_1) | instid1(VALU_DEP_2)
	v_mul_f64_e32 v[53:54], v[43:44], v[47:48]
	v_add_f64_e64 v[59:60], v[61:62], -v[47:48]
	v_mul_f64_e32 v[55:56], v[49:50], v[53:54]
	s_delay_alu instid0(VALU_DEP_2) | instskip(NEXT) | instid1(VALU_DEP_2)
	v_add_f64_e32 v[41:42], v[41:42], v[59:60]
	v_fma_f64 v[49:50], v[53:54], v[49:50], -v[55:56]
	s_delay_alu instid0(VALU_DEP_1) | instskip(NEXT) | instid1(VALU_DEP_1)
	v_fma_f64 v[45:46], v[53:54], v[45:46], v[49:50]
	v_add_f64_e32 v[49:50], v[55:56], v[45:46]
	s_delay_alu instid0(VALU_DEP_1) | instskip(SKIP_1) | instid1(VALU_DEP_2)
	v_add_f64_e64 v[57:58], v[47:48], -v[49:50]
	v_add_f64_e64 v[55:56], v[49:50], -v[55:56]
	;; [unrolled: 1-line block ×3, first 2 shown]
	s_delay_alu instid0(VALU_DEP_2) | instskip(NEXT) | instid1(VALU_DEP_2)
	v_add_f64_e64 v[45:46], v[55:56], -v[45:46]
	v_add_f64_e64 v[47:48], v[47:48], -v[49:50]
	s_delay_alu instid0(VALU_DEP_1) | instskip(SKIP_1) | instid1(VALU_DEP_2)
	v_add_f64_e32 v[41:42], v[41:42], v[47:48]
	v_add_f64_e32 v[47:48], v[51:52], v[53:54]
	;; [unrolled: 1-line block ×3, first 2 shown]
	s_delay_alu instid0(VALU_DEP_2) | instskip(NEXT) | instid1(VALU_DEP_2)
	v_add_f64_e64 v[45:46], v[47:48], -v[51:52]
	v_add_f64_e32 v[41:42], v[57:58], v[41:42]
	s_delay_alu instid0(VALU_DEP_2) | instskip(NEXT) | instid1(VALU_DEP_2)
	v_add_f64_e64 v[45:46], v[53:54], -v[45:46]
	v_mul_f64_e32 v[41:42], v[43:44], v[41:42]
	s_delay_alu instid0(VALU_DEP_1) | instskip(NEXT) | instid1(VALU_DEP_1)
	v_add_f64_e32 v[41:42], v[45:46], v[41:42]
	v_add_f64_e32 v[43:44], v[47:48], v[41:42]
	s_delay_alu instid0(VALU_DEP_1) | instskip(NEXT) | instid1(VALU_DEP_1)
	v_mul_f64_e32 v[45:46], v[43:44], v[43:44]
	v_fma_f64 v[49:50], v[45:46], s[30:31], s[28:29]
	s_mov_b32 s28, 0xd7f4df2e
	s_mov_b32 s29, 0x3fc7474d
	v_mul_f64_e32 v[51:52], v[43:44], v[45:46]
	s_wait_alu 0xfffe
	s_delay_alu instid0(VALU_DEP_2) | instskip(SKIP_3) | instid1(VALU_DEP_1)
	v_fma_f64 v[49:50], v[45:46], v[49:50], s[28:29]
	s_mov_b32 s28, 0x16291751
	s_mov_b32 s29, 0x3fcc71c0
	s_wait_alu 0xfffe
	v_fma_f64 v[49:50], v[45:46], v[49:50], s[28:29]
	s_mov_b32 s28, 0x9b27acf1
	s_mov_b32 s29, 0x3fd24924
	s_wait_alu 0xfffe
	s_delay_alu instid0(VALU_DEP_1) | instskip(SKIP_3) | instid1(VALU_DEP_1)
	v_fma_f64 v[49:50], v[45:46], v[49:50], s[28:29]
	s_mov_b32 s28, 0x998ef7b6
	s_mov_b32 s29, 0x3fd99999
	s_wait_alu 0xfffe
	v_fma_f64 v[49:50], v[45:46], v[49:50], s[28:29]
	s_delay_alu instid0(VALU_DEP_1)
	v_fma_f64 v[45:46], v[45:46], v[49:50], s[20:21]
	v_ldexp_f64 v[49:50], v[43:44], 1
	v_add_f64_e64 v[43:44], v[43:44], -v[47:48]
	v_cmp_neq_f64_e64 s20, 0x7ff00000, v[39:40]
	v_cmp_ngt_f64_e64 s21, -1.0, v[39:40]
	v_mul_f64_e32 v[45:46], v[51:52], v[45:46]
	v_cvt_f64_i32_e32 v[51:52], v69
	v_add_f64_e64 v[41:42], v[41:42], -v[43:44]
	s_and_b32 s19, s19, s20
	s_delay_alu instid0(VALU_DEP_3) | instskip(NEXT) | instid1(VALU_DEP_3)
	v_add_f64_e32 v[47:48], v[49:50], v[45:46]
	v_mul_f64_e32 v[53:54], s[22:23], v[51:52]
	s_delay_alu instid0(VALU_DEP_3) | instskip(NEXT) | instid1(VALU_DEP_3)
	v_ldexp_f64 v[41:42], v[41:42], 1
	v_add_f64_e64 v[43:44], v[47:48], -v[49:50]
	s_delay_alu instid0(VALU_DEP_3) | instskip(NEXT) | instid1(VALU_DEP_2)
	v_fma_f64 v[49:50], v[51:52], s[22:23], -v[53:54]
	v_add_f64_e64 v[43:44], v[45:46], -v[43:44]
	s_delay_alu instid0(VALU_DEP_2) | instskip(NEXT) | instid1(VALU_DEP_2)
	v_fma_f64 v[45:46], v[51:52], s[24:25], v[49:50]
	v_add_f64_e32 v[41:42], v[41:42], v[43:44]
	s_delay_alu instid0(VALU_DEP_2) | instskip(NEXT) | instid1(VALU_DEP_2)
	v_add_f64_e32 v[43:44], v[53:54], v[45:46]
	v_add_f64_e32 v[49:50], v[47:48], v[41:42]
	s_delay_alu instid0(VALU_DEP_2) | instskip(NEXT) | instid1(VALU_DEP_2)
	v_add_f64_e64 v[53:54], v[43:44], -v[53:54]
	v_add_f64_e32 v[51:52], v[43:44], v[49:50]
	v_add_f64_e64 v[47:48], v[49:50], -v[47:48]
	s_delay_alu instid0(VALU_DEP_3) | instskip(NEXT) | instid1(VALU_DEP_3)
	v_add_f64_e64 v[45:46], v[45:46], -v[53:54]
	v_add_f64_e64 v[55:56], v[51:52], -v[43:44]
	s_delay_alu instid0(VALU_DEP_3) | instskip(NEXT) | instid1(VALU_DEP_2)
	v_add_f64_e64 v[41:42], v[41:42], -v[47:48]
	v_add_f64_e64 v[57:58], v[51:52], -v[55:56]
	v_add_f64_e64 v[47:48], v[49:50], -v[55:56]
	s_delay_alu instid0(VALU_DEP_3) | instskip(NEXT) | instid1(VALU_DEP_3)
	v_add_f64_e32 v[49:50], v[45:46], v[41:42]
	v_add_f64_e64 v[43:44], v[43:44], -v[57:58]
	s_delay_alu instid0(VALU_DEP_1) | instskip(NEXT) | instid1(VALU_DEP_3)
	v_add_f64_e32 v[43:44], v[47:48], v[43:44]
	v_add_f64_e64 v[47:48], v[49:50], -v[45:46]
	s_delay_alu instid0(VALU_DEP_2) | instskip(NEXT) | instid1(VALU_DEP_2)
	v_add_f64_e32 v[43:44], v[49:50], v[43:44]
	v_add_f64_e64 v[49:50], v[49:50], -v[47:48]
	v_add_f64_e64 v[41:42], v[41:42], -v[47:48]
	s_delay_alu instid0(VALU_DEP_3) | instskip(NEXT) | instid1(VALU_DEP_3)
	v_add_f64_e32 v[53:54], v[51:52], v[43:44]
	v_add_f64_e64 v[45:46], v[45:46], -v[49:50]
	s_delay_alu instid0(VALU_DEP_2) | instskip(NEXT) | instid1(VALU_DEP_2)
	v_add_f64_e64 v[47:48], v[53:54], -v[51:52]
	v_add_f64_e32 v[41:42], v[41:42], v[45:46]
	s_delay_alu instid0(VALU_DEP_2) | instskip(NEXT) | instid1(VALU_DEP_1)
	v_add_f64_e64 v[43:44], v[43:44], -v[47:48]
	v_add_f64_e32 v[41:42], v[41:42], v[43:44]
	s_delay_alu instid0(VALU_DEP_1) | instskip(SKIP_1) | instid1(VALU_DEP_1)
	v_add_f64_e32 v[41:42], v[53:54], v[41:42]
	s_wait_alu 0xfffe
	v_cndmask_b32_e64 v41, 0, v41, s19
	v_cmp_neq_f64_e64 s19, -1.0, v[39:40]
	s_delay_alu instid0(VALU_DEP_3) | instskip(NEXT) | instid1(VALU_DEP_1)
	v_cndmask_b32_e64 v42, 0x7ff00000, v42, s20
	v_cndmask_b32_e64 v42, 0x7ff80000, v42, s21
	s_wait_alu 0xf1ff
	s_delay_alu instid0(VALU_DEP_1) | instskip(NEXT) | instid1(VALU_DEP_1)
	v_cndmask_b32_e64 v42, 0xfff00000, v42, s19
	v_add_f64_e32 v[69:70], v[37:38], v[41:42]
.LBB61_36:
	s_wait_alu 0xfffe
	s_or_b32 exec_lo, exec_lo, s26
	v_max_num_f64_e32 v[37:38], v[31:32], v[31:32]
	s_delay_alu instid0(VALU_DEP_2) | instskip(SKIP_2) | instid1(VALU_DEP_3)
	v_max_num_f64_e32 v[39:40], v[69:70], v[69:70]
	v_cmp_u_f64_e64 s20, v[69:70], v[69:70]
	v_cmp_u_f64_e64 s19, v[31:32], v[31:32]
	v_min_num_f64_e32 v[41:42], v[39:40], v[37:38]
	v_max_num_f64_e32 v[39:40], v[39:40], v[37:38]
	s_wait_alu 0xf1ff
	s_delay_alu instid0(VALU_DEP_2) | instskip(NEXT) | instid1(VALU_DEP_3)
	v_cndmask_b32_e64 v41, v41, v69, s20
	v_cndmask_b32_e64 v42, v42, v70, s20
	s_delay_alu instid0(VALU_DEP_3) | instskip(NEXT) | instid1(VALU_DEP_4)
	v_cndmask_b32_e64 v40, v40, v70, s20
	v_cndmask_b32_e64 v39, v39, v69, s20
	s_delay_alu instid0(VALU_DEP_4) | instskip(NEXT) | instid1(VALU_DEP_4)
	v_cndmask_b32_e64 v41, v41, v31, s19
	v_cndmask_b32_e64 v42, v42, v32, s19
	s_delay_alu instid0(VALU_DEP_4) | instskip(NEXT) | instid1(VALU_DEP_4)
	v_cndmask_b32_e64 v40, v40, v32, s19
	v_cndmask_b32_e64 v39, v39, v31, s19
	s_delay_alu instid0(VALU_DEP_3) | instskip(NEXT) | instid1(VALU_DEP_2)
	v_cmp_class_f64_e64 s21, v[41:42], 0x1f8
	v_cmp_neq_f64_e64 s20, v[41:42], v[39:40]
	s_or_b32 s20, s20, s21
	s_wait_alu 0xfffe
	s_and_saveexec_b32 s26, s20
	s_cbranch_execz .LBB61_38
; %bb.37:
	v_add_f64_e64 v[41:42], v[41:42], -v[39:40]
	s_mov_b32 s20, 0x652b82fe
	s_mov_b32 s21, 0x3ff71547
	;; [unrolled: 1-line block ×10, first 2 shown]
	s_wait_alu 0xfffe
	s_delay_alu instid0(VALU_DEP_1) | instskip(SKIP_2) | instid1(VALU_DEP_1)
	v_mul_f64_e32 v[43:44], s[20:21], v[41:42]
	s_mov_b32 s20, 0xfca7ab0c
	s_mov_b32 s21, 0x3e928af3
	v_rndne_f64_e32 v[43:44], v[43:44]
	s_delay_alu instid0(VALU_DEP_1) | instskip(SKIP_2) | instid1(VALU_DEP_2)
	v_fma_f64 v[45:46], v[43:44], s[22:23], v[41:42]
	v_cvt_i32_f64_e32 v49, v[43:44]
	s_mov_b32 s23, 0x3fe62e42
	v_fma_f64 v[45:46], v[43:44], s[24:25], v[45:46]
	s_mov_b32 s25, 0x3c7abc9e
	s_wait_alu 0xfffe
	s_delay_alu instid0(VALU_DEP_1)
	v_fma_f64 v[47:48], v[45:46], s[28:29], s[20:21]
	s_mov_b32 s20, 0x623fde64
	s_mov_b32 s21, 0x3ec71dee
	;; [unrolled: 1-line block ×4, first 2 shown]
	s_wait_alu 0xfffe
	s_delay_alu instid0(VALU_DEP_1) | instskip(SKIP_3) | instid1(VALU_DEP_1)
	v_fma_f64 v[47:48], v[45:46], v[47:48], s[20:21]
	s_mov_b32 s20, 0x7c89e6b0
	s_mov_b32 s21, 0x3efa0199
	s_wait_alu 0xfffe
	v_fma_f64 v[47:48], v[45:46], v[47:48], s[20:21]
	s_mov_b32 s20, 0x14761f6e
	s_mov_b32 s21, 0x3f2a01a0
	s_wait_alu 0xfffe
	s_delay_alu instid0(VALU_DEP_1) | instskip(SKIP_3) | instid1(VALU_DEP_1)
	v_fma_f64 v[47:48], v[45:46], v[47:48], s[20:21]
	s_mov_b32 s20, 0x1852b7b0
	s_mov_b32 s21, 0x3f56c16c
	s_wait_alu 0xfffe
	v_fma_f64 v[47:48], v[45:46], v[47:48], s[20:21]
	s_mov_b32 s20, 0x11122322
	s_mov_b32 s21, 0x3f811111
	;; [unrolled: 9-line block ×3, first 2 shown]
	s_wait_alu 0xfffe
	s_delay_alu instid0(VALU_DEP_1) | instskip(SKIP_3) | instid1(VALU_DEP_1)
	v_fma_f64 v[47:48], v[45:46], v[47:48], s[20:21]
	s_mov_b32 s20, 11
	s_mov_b32 s21, 0x3fe00000
	s_wait_alu 0xfffe
	v_fma_f64 v[47:48], v[45:46], v[47:48], s[20:21]
	v_cmp_nlt_f64_e64 s20, 0x40900000, v[41:42]
	v_cmp_ngt_f64_e64 s21, 0xc090cc00, v[41:42]
	s_delay_alu instid0(VALU_DEP_3) | instskip(NEXT) | instid1(VALU_DEP_1)
	v_fma_f64 v[47:48], v[45:46], v[47:48], 1.0
	v_fma_f64 v[43:44], v[45:46], v[47:48], 1.0
	s_delay_alu instid0(VALU_DEP_1) | instskip(SKIP_1) | instid1(VALU_DEP_1)
	v_ldexp_f64 v[43:44], v[43:44], v49
	s_wait_alu 0xf1ff
	v_cndmask_b32_e64 v44, 0x7ff00000, v44, s20
	s_and_b32 s20, s21, s20
	s_wait_alu 0xfffe
	s_delay_alu instid0(VALU_DEP_2) | instskip(SKIP_3) | instid1(VALU_DEP_1)
	v_cndmask_b32_e64 v41, 0, v43, s20
	s_mov_b32 s20, 0x55555555
	v_cndmask_b32_e64 v42, 0, v44, s21
	s_mov_b32 s21, 0x3fe55555
	v_add_f64_e32 v[43:44], 1.0, v[41:42]
	s_delay_alu instid0(VALU_DEP_1) | instskip(SKIP_3) | instid1(VALU_DEP_3)
	v_frexp_mant_f64_e32 v[45:46], v[43:44]
	v_frexp_exp_i32_f64_e32 v49, v[43:44]
	v_add_f64_e32 v[47:48], -1.0, v[43:44]
	s_wait_alu 0xfffe
	v_cmp_gt_f64_e64 s20, s[20:21], v[45:46]
	s_delay_alu instid0(VALU_DEP_2) | instskip(SKIP_2) | instid1(VALU_DEP_3)
	v_add_f64_e64 v[45:46], v[47:48], -v[43:44]
	v_add_f64_e64 v[47:48], v[41:42], -v[47:48]
	s_wait_alu 0xf1ff
	v_subrev_co_ci_u32_e64 v71, null, 0, v49, s20
	s_delay_alu instid0(VALU_DEP_3) | instskip(SKIP_1) | instid1(VALU_DEP_2)
	v_add_f64_e32 v[45:46], 1.0, v[45:46]
	s_mov_b32 s20, 0x55555780
	v_sub_nc_u32_e32 v51, 0, v71
	s_delay_alu instid0(VALU_DEP_1) | instskip(NEXT) | instid1(VALU_DEP_3)
	v_ldexp_f64 v[43:44], v[43:44], v51
	v_add_f64_e32 v[45:46], v[47:48], v[45:46]
	s_delay_alu instid0(VALU_DEP_2) | instskip(SKIP_1) | instid1(VALU_DEP_3)
	v_add_f64_e32 v[49:50], 1.0, v[43:44]
	v_add_f64_e32 v[55:56], -1.0, v[43:44]
	v_ldexp_f64 v[45:46], v[45:46], v51
	s_delay_alu instid0(VALU_DEP_3) | instskip(NEXT) | instid1(VALU_DEP_3)
	v_add_f64_e32 v[47:48], -1.0, v[49:50]
	v_add_f64_e32 v[57:58], 1.0, v[55:56]
	s_delay_alu instid0(VALU_DEP_2) | instskip(NEXT) | instid1(VALU_DEP_2)
	v_add_f64_e64 v[47:48], v[43:44], -v[47:48]
	v_add_f64_e64 v[43:44], v[43:44], -v[57:58]
	s_delay_alu instid0(VALU_DEP_2) | instskip(NEXT) | instid1(VALU_DEP_2)
	v_add_f64_e32 v[47:48], v[45:46], v[47:48]
	v_add_f64_e32 v[43:44], v[45:46], v[43:44]
	s_delay_alu instid0(VALU_DEP_2) | instskip(NEXT) | instid1(VALU_DEP_2)
	v_add_f64_e32 v[51:52], v[49:50], v[47:48]
	v_add_f64_e32 v[57:58], v[55:56], v[43:44]
	s_delay_alu instid0(VALU_DEP_2) | instskip(SKIP_1) | instid1(VALU_DEP_2)
	v_rcp_f64_e32 v[53:54], v[51:52]
	v_add_f64_e64 v[49:50], v[51:52], -v[49:50]
	v_add_f64_e64 v[55:56], v[57:58], -v[55:56]
	s_delay_alu instid0(VALU_DEP_2) | instskip(NEXT) | instid1(TRANS32_DEP_1)
	v_add_f64_e64 v[47:48], v[47:48], -v[49:50]
	v_fma_f64 v[59:60], -v[51:52], v[53:54], 1.0
	s_delay_alu instid0(VALU_DEP_3) | instskip(NEXT) | instid1(VALU_DEP_2)
	v_add_f64_e64 v[43:44], v[43:44], -v[55:56]
	v_fma_f64 v[53:54], v[59:60], v[53:54], v[53:54]
	s_delay_alu instid0(VALU_DEP_1) | instskip(NEXT) | instid1(VALU_DEP_1)
	v_fma_f64 v[45:46], -v[51:52], v[53:54], 1.0
	v_fma_f64 v[45:46], v[45:46], v[53:54], v[53:54]
	s_delay_alu instid0(VALU_DEP_1) | instskip(NEXT) | instid1(VALU_DEP_1)
	v_mul_f64_e32 v[53:54], v[57:58], v[45:46]
	v_mul_f64_e32 v[59:60], v[51:52], v[53:54]
	s_delay_alu instid0(VALU_DEP_1) | instskip(NEXT) | instid1(VALU_DEP_1)
	v_fma_f64 v[49:50], v[53:54], v[51:52], -v[59:60]
	v_fma_f64 v[49:50], v[53:54], v[47:48], v[49:50]
	s_delay_alu instid0(VALU_DEP_1) | instskip(NEXT) | instid1(VALU_DEP_1)
	v_add_f64_e32 v[61:62], v[59:60], v[49:50]
	v_add_f64_e64 v[69:70], v[57:58], -v[61:62]
	v_add_f64_e64 v[55:56], v[61:62], -v[59:60]
	s_delay_alu instid0(VALU_DEP_2) | instskip(NEXT) | instid1(VALU_DEP_2)
	v_add_f64_e64 v[57:58], v[57:58], -v[69:70]
	v_add_f64_e64 v[49:50], v[55:56], -v[49:50]
	s_delay_alu instid0(VALU_DEP_2) | instskip(NEXT) | instid1(VALU_DEP_1)
	v_add_f64_e64 v[57:58], v[57:58], -v[61:62]
	v_add_f64_e32 v[43:44], v[43:44], v[57:58]
	s_delay_alu instid0(VALU_DEP_1) | instskip(NEXT) | instid1(VALU_DEP_1)
	v_add_f64_e32 v[43:44], v[49:50], v[43:44]
	v_add_f64_e32 v[49:50], v[69:70], v[43:44]
	s_delay_alu instid0(VALU_DEP_1) | instskip(SKIP_1) | instid1(VALU_DEP_2)
	v_mul_f64_e32 v[55:56], v[45:46], v[49:50]
	v_add_f64_e64 v[61:62], v[69:70], -v[49:50]
	v_mul_f64_e32 v[57:58], v[51:52], v[55:56]
	s_delay_alu instid0(VALU_DEP_2) | instskip(NEXT) | instid1(VALU_DEP_2)
	v_add_f64_e32 v[43:44], v[43:44], v[61:62]
	v_fma_f64 v[51:52], v[55:56], v[51:52], -v[57:58]
	s_delay_alu instid0(VALU_DEP_1) | instskip(NEXT) | instid1(VALU_DEP_1)
	v_fma_f64 v[47:48], v[55:56], v[47:48], v[51:52]
	v_add_f64_e32 v[51:52], v[57:58], v[47:48]
	s_delay_alu instid0(VALU_DEP_1) | instskip(SKIP_1) | instid1(VALU_DEP_2)
	v_add_f64_e64 v[59:60], v[49:50], -v[51:52]
	v_add_f64_e64 v[57:58], v[51:52], -v[57:58]
	;; [unrolled: 1-line block ×3, first 2 shown]
	s_delay_alu instid0(VALU_DEP_2) | instskip(NEXT) | instid1(VALU_DEP_2)
	v_add_f64_e64 v[47:48], v[57:58], -v[47:48]
	v_add_f64_e64 v[49:50], v[49:50], -v[51:52]
	s_delay_alu instid0(VALU_DEP_1) | instskip(SKIP_1) | instid1(VALU_DEP_2)
	v_add_f64_e32 v[43:44], v[43:44], v[49:50]
	v_add_f64_e32 v[49:50], v[53:54], v[55:56]
	;; [unrolled: 1-line block ×3, first 2 shown]
	s_delay_alu instid0(VALU_DEP_2) | instskip(NEXT) | instid1(VALU_DEP_2)
	v_add_f64_e64 v[47:48], v[49:50], -v[53:54]
	v_add_f64_e32 v[43:44], v[59:60], v[43:44]
	s_delay_alu instid0(VALU_DEP_2) | instskip(NEXT) | instid1(VALU_DEP_2)
	v_add_f64_e64 v[47:48], v[55:56], -v[47:48]
	v_mul_f64_e32 v[43:44], v[45:46], v[43:44]
	s_delay_alu instid0(VALU_DEP_1) | instskip(NEXT) | instid1(VALU_DEP_1)
	v_add_f64_e32 v[43:44], v[47:48], v[43:44]
	v_add_f64_e32 v[45:46], v[49:50], v[43:44]
	s_delay_alu instid0(VALU_DEP_1) | instskip(NEXT) | instid1(VALU_DEP_1)
	v_mul_f64_e32 v[47:48], v[45:46], v[45:46]
	v_fma_f64 v[51:52], v[47:48], s[30:31], s[28:29]
	s_mov_b32 s28, 0xd7f4df2e
	s_mov_b32 s29, 0x3fc7474d
	v_mul_f64_e32 v[53:54], v[45:46], v[47:48]
	s_wait_alu 0xfffe
	s_delay_alu instid0(VALU_DEP_2) | instskip(SKIP_3) | instid1(VALU_DEP_1)
	v_fma_f64 v[51:52], v[47:48], v[51:52], s[28:29]
	s_mov_b32 s28, 0x16291751
	s_mov_b32 s29, 0x3fcc71c0
	s_wait_alu 0xfffe
	v_fma_f64 v[51:52], v[47:48], v[51:52], s[28:29]
	s_mov_b32 s28, 0x9b27acf1
	s_mov_b32 s29, 0x3fd24924
	s_wait_alu 0xfffe
	s_delay_alu instid0(VALU_DEP_1) | instskip(SKIP_3) | instid1(VALU_DEP_1)
	v_fma_f64 v[51:52], v[47:48], v[51:52], s[28:29]
	s_mov_b32 s28, 0x998ef7b6
	s_mov_b32 s29, 0x3fd99999
	s_wait_alu 0xfffe
	v_fma_f64 v[51:52], v[47:48], v[51:52], s[28:29]
	s_delay_alu instid0(VALU_DEP_1)
	v_fma_f64 v[47:48], v[47:48], v[51:52], s[20:21]
	v_ldexp_f64 v[51:52], v[45:46], 1
	v_add_f64_e64 v[45:46], v[45:46], -v[49:50]
	v_cmp_nge_f64_e64 s20, -1.0, v[41:42]
	v_cmp_neq_f64_e64 s21, 0x7ff00000, v[41:42]
	v_mul_f64_e32 v[47:48], v[53:54], v[47:48]
	v_cvt_f64_i32_e32 v[53:54], v71
	v_add_f64_e64 v[43:44], v[43:44], -v[45:46]
	s_and_b32 s20, s20, s21
	s_delay_alu instid0(VALU_DEP_3) | instskip(NEXT) | instid1(VALU_DEP_3)
	v_add_f64_e32 v[49:50], v[51:52], v[47:48]
	v_mul_f64_e32 v[55:56], s[22:23], v[53:54]
	s_delay_alu instid0(VALU_DEP_3) | instskip(NEXT) | instid1(VALU_DEP_3)
	v_ldexp_f64 v[43:44], v[43:44], 1
	v_add_f64_e64 v[45:46], v[49:50], -v[51:52]
	s_delay_alu instid0(VALU_DEP_3) | instskip(SKIP_1) | instid1(VALU_DEP_3)
	v_fma_f64 v[51:52], v[53:54], s[22:23], -v[55:56]
	v_cmp_ngt_f64_e64 s22, -1.0, v[41:42]
	v_add_f64_e64 v[45:46], v[47:48], -v[45:46]
	s_delay_alu instid0(VALU_DEP_3) | instskip(NEXT) | instid1(VALU_DEP_2)
	v_fma_f64 v[47:48], v[53:54], s[24:25], v[51:52]
	v_add_f64_e32 v[43:44], v[43:44], v[45:46]
	s_delay_alu instid0(VALU_DEP_2) | instskip(NEXT) | instid1(VALU_DEP_2)
	v_add_f64_e32 v[45:46], v[55:56], v[47:48]
	v_add_f64_e32 v[51:52], v[49:50], v[43:44]
	s_delay_alu instid0(VALU_DEP_2) | instskip(NEXT) | instid1(VALU_DEP_2)
	v_add_f64_e64 v[55:56], v[45:46], -v[55:56]
	v_add_f64_e32 v[53:54], v[45:46], v[51:52]
	v_add_f64_e64 v[49:50], v[51:52], -v[49:50]
	s_delay_alu instid0(VALU_DEP_3) | instskip(NEXT) | instid1(VALU_DEP_3)
	v_add_f64_e64 v[47:48], v[47:48], -v[55:56]
	v_add_f64_e64 v[57:58], v[53:54], -v[45:46]
	s_delay_alu instid0(VALU_DEP_3) | instskip(NEXT) | instid1(VALU_DEP_2)
	v_add_f64_e64 v[43:44], v[43:44], -v[49:50]
	v_add_f64_e64 v[59:60], v[53:54], -v[57:58]
	;; [unrolled: 1-line block ×3, first 2 shown]
	s_delay_alu instid0(VALU_DEP_3) | instskip(NEXT) | instid1(VALU_DEP_3)
	v_add_f64_e32 v[51:52], v[47:48], v[43:44]
	v_add_f64_e64 v[45:46], v[45:46], -v[59:60]
	s_delay_alu instid0(VALU_DEP_1) | instskip(NEXT) | instid1(VALU_DEP_3)
	v_add_f64_e32 v[45:46], v[49:50], v[45:46]
	v_add_f64_e64 v[49:50], v[51:52], -v[47:48]
	s_delay_alu instid0(VALU_DEP_2) | instskip(NEXT) | instid1(VALU_DEP_2)
	v_add_f64_e32 v[45:46], v[51:52], v[45:46]
	v_add_f64_e64 v[51:52], v[51:52], -v[49:50]
	v_add_f64_e64 v[43:44], v[43:44], -v[49:50]
	s_delay_alu instid0(VALU_DEP_3) | instskip(NEXT) | instid1(VALU_DEP_3)
	v_add_f64_e32 v[55:56], v[53:54], v[45:46]
	v_add_f64_e64 v[47:48], v[47:48], -v[51:52]
	s_delay_alu instid0(VALU_DEP_2) | instskip(NEXT) | instid1(VALU_DEP_2)
	v_add_f64_e64 v[49:50], v[55:56], -v[53:54]
	v_add_f64_e32 v[43:44], v[43:44], v[47:48]
	s_delay_alu instid0(VALU_DEP_2) | instskip(NEXT) | instid1(VALU_DEP_1)
	v_add_f64_e64 v[45:46], v[45:46], -v[49:50]
	v_add_f64_e32 v[43:44], v[43:44], v[45:46]
	s_delay_alu instid0(VALU_DEP_1) | instskip(SKIP_1) | instid1(VALU_DEP_1)
	v_add_f64_e32 v[43:44], v[55:56], v[43:44]
	s_wait_alu 0xfffe
	v_cndmask_b32_e64 v43, 0, v43, s20
	v_cmp_neq_f64_e64 s20, -1.0, v[41:42]
	s_delay_alu instid0(VALU_DEP_3) | instskip(SKIP_1) | instid1(VALU_DEP_1)
	v_cndmask_b32_e64 v44, 0x7ff00000, v44, s21
	s_wait_alu 0xf1ff
	v_cndmask_b32_e64 v44, 0x7ff80000, v44, s22
	s_delay_alu instid0(VALU_DEP_1) | instskip(NEXT) | instid1(VALU_DEP_1)
	v_cndmask_b32_e64 v44, 0xfff00000, v44, s20
	v_add_f64_e32 v[69:70], v[39:40], v[43:44]
.LBB61_38:
	s_wait_alu 0xfffe
	s_or_b32 exec_lo, exec_lo, s26
	v_max_num_f64_e32 v[39:40], v[25:26], v[25:26]
	s_delay_alu instid0(VALU_DEP_2) | instskip(SKIP_2) | instid1(VALU_DEP_3)
	v_max_num_f64_e32 v[41:42], v[69:70], v[69:70]
	v_cmp_u_f64_e64 s21, v[69:70], v[69:70]
	v_cmp_u_f64_e64 s20, v[25:26], v[25:26]
	v_min_num_f64_e32 v[43:44], v[41:42], v[39:40]
	v_max_num_f64_e32 v[41:42], v[41:42], v[39:40]
	s_wait_alu 0xf1ff
	s_delay_alu instid0(VALU_DEP_2) | instskip(NEXT) | instid1(VALU_DEP_3)
	v_cndmask_b32_e64 v43, v43, v69, s21
	v_cndmask_b32_e64 v44, v44, v70, s21
	s_delay_alu instid0(VALU_DEP_3) | instskip(NEXT) | instid1(VALU_DEP_4)
	v_cndmask_b32_e64 v42, v42, v70, s21
	v_cndmask_b32_e64 v41, v41, v69, s21
	s_delay_alu instid0(VALU_DEP_4) | instskip(NEXT) | instid1(VALU_DEP_4)
	v_cndmask_b32_e64 v43, v43, v25, s20
	v_cndmask_b32_e64 v44, v44, v26, s20
	s_delay_alu instid0(VALU_DEP_4) | instskip(NEXT) | instid1(VALU_DEP_4)
	v_cndmask_b32_e64 v42, v42, v26, s20
	v_cndmask_b32_e64 v41, v41, v25, s20
	s_delay_alu instid0(VALU_DEP_3) | instskip(NEXT) | instid1(VALU_DEP_2)
	v_cmp_class_f64_e64 s22, v[43:44], 0x1f8
	v_cmp_neq_f64_e64 s21, v[43:44], v[41:42]
	s_or_b32 s21, s21, s22
	s_wait_alu 0xfffe
	s_and_saveexec_b32 s28, s21
	s_cbranch_execz .LBB61_40
; %bb.39:
	v_add_f64_e64 v[43:44], v[43:44], -v[41:42]
	s_mov_b32 s22, 0x652b82fe
	s_mov_b32 s23, 0x3ff71547
	;; [unrolled: 1-line block ×10, first 2 shown]
	s_wait_alu 0xfffe
	s_delay_alu instid0(VALU_DEP_1) | instskip(SKIP_3) | instid1(VALU_DEP_2)
	v_mul_f64_e32 v[45:46], s[22:23], v[43:44]
	s_mov_b32 s22, 0xfca7ab0c
	s_mov_b32 s23, 0x3e928af3
	v_cmp_nlt_f64_e64 s21, 0x40900000, v[43:44]
	v_rndne_f64_e32 v[45:46], v[45:46]
	s_delay_alu instid0(VALU_DEP_1) | instskip(SKIP_2) | instid1(VALU_DEP_2)
	v_fma_f64 v[47:48], v[45:46], s[24:25], v[43:44]
	v_cvt_i32_f64_e32 v51, v[45:46]
	s_mov_b32 s25, 0x3fe62e42
	v_fma_f64 v[47:48], v[45:46], s[26:27], v[47:48]
	s_mov_b32 s27, 0x3c7abc9e
	s_wait_alu 0xfffe
	s_delay_alu instid0(VALU_DEP_1)
	v_fma_f64 v[49:50], v[47:48], s[30:31], s[22:23]
	s_mov_b32 s22, 0x623fde64
	s_mov_b32 s23, 0x3ec71dee
	;; [unrolled: 1-line block ×4, first 2 shown]
	s_wait_alu 0xfffe
	s_delay_alu instid0(VALU_DEP_1) | instskip(SKIP_3) | instid1(VALU_DEP_1)
	v_fma_f64 v[49:50], v[47:48], v[49:50], s[22:23]
	s_mov_b32 s22, 0x7c89e6b0
	s_mov_b32 s23, 0x3efa0199
	s_wait_alu 0xfffe
	v_fma_f64 v[49:50], v[47:48], v[49:50], s[22:23]
	s_mov_b32 s22, 0x14761f6e
	s_mov_b32 s23, 0x3f2a01a0
	s_wait_alu 0xfffe
	s_delay_alu instid0(VALU_DEP_1) | instskip(SKIP_3) | instid1(VALU_DEP_1)
	v_fma_f64 v[49:50], v[47:48], v[49:50], s[22:23]
	s_mov_b32 s22, 0x1852b7b0
	s_mov_b32 s23, 0x3f56c16c
	s_wait_alu 0xfffe
	v_fma_f64 v[49:50], v[47:48], v[49:50], s[22:23]
	s_mov_b32 s22, 0x11122322
	s_mov_b32 s23, 0x3f811111
	;; [unrolled: 9-line block ×3, first 2 shown]
	s_wait_alu 0xfffe
	s_delay_alu instid0(VALU_DEP_1) | instskip(SKIP_3) | instid1(VALU_DEP_1)
	v_fma_f64 v[49:50], v[47:48], v[49:50], s[22:23]
	s_mov_b32 s22, 11
	s_mov_b32 s23, 0x3fe00000
	s_wait_alu 0xfffe
	v_fma_f64 v[49:50], v[47:48], v[49:50], s[22:23]
	v_cmp_ngt_f64_e64 s22, 0xc090cc00, v[43:44]
	s_mov_b32 s23, 0x3fe55555
	v_fma_f64 v[49:50], v[47:48], v[49:50], 1.0
	s_delay_alu instid0(VALU_DEP_1) | instskip(NEXT) | instid1(VALU_DEP_1)
	v_fma_f64 v[45:46], v[47:48], v[49:50], 1.0
	v_ldexp_f64 v[45:46], v[45:46], v51
	s_wait_alu 0xf1ff
	s_delay_alu instid0(VALU_DEP_1) | instskip(SKIP_2) | instid1(VALU_DEP_2)
	v_cndmask_b32_e64 v46, 0x7ff00000, v46, s21
	s_and_b32 s21, s22, s21
	s_wait_alu 0xfffe
	v_cndmask_b32_e64 v43, 0, v45, s21
	s_delay_alu instid0(VALU_DEP_2) | instskip(SKIP_1) | instid1(VALU_DEP_1)
	v_cndmask_b32_e64 v44, 0, v46, s22
	s_mov_b32 s22, 0x55555555
	v_add_f64_e32 v[45:46], 1.0, v[43:44]
	s_delay_alu instid0(VALU_DEP_1) | instskip(SKIP_3) | instid1(VALU_DEP_3)
	v_frexp_mant_f64_e32 v[47:48], v[45:46]
	v_frexp_exp_i32_f64_e32 v51, v[45:46]
	v_add_f64_e32 v[49:50], -1.0, v[45:46]
	s_wait_alu 0xfffe
	v_cmp_gt_f64_e64 s21, s[22:23], v[47:48]
	s_mov_b32 s22, 0x55555780
	v_add_f64_e64 v[47:48], v[49:50], -v[45:46]
	v_add_f64_e64 v[49:50], v[43:44], -v[49:50]
	s_wait_alu 0xf1ff
	v_subrev_co_ci_u32_e64 v73, null, 0, v51, s21
	s_delay_alu instid0(VALU_DEP_3) | instskip(SKIP_1) | instid1(VALU_DEP_3)
	v_add_f64_e32 v[47:48], 1.0, v[47:48]
	v_cmp_nge_f64_e64 s21, -1.0, v[43:44]
	v_sub_nc_u32_e32 v53, 0, v73
	s_delay_alu instid0(VALU_DEP_1) | instskip(NEXT) | instid1(VALU_DEP_4)
	v_ldexp_f64 v[45:46], v[45:46], v53
	v_add_f64_e32 v[47:48], v[49:50], v[47:48]
	s_delay_alu instid0(VALU_DEP_2) | instskip(SKIP_1) | instid1(VALU_DEP_3)
	v_add_f64_e32 v[51:52], 1.0, v[45:46]
	v_add_f64_e32 v[57:58], -1.0, v[45:46]
	v_ldexp_f64 v[47:48], v[47:48], v53
	s_delay_alu instid0(VALU_DEP_3) | instskip(NEXT) | instid1(VALU_DEP_3)
	v_add_f64_e32 v[49:50], -1.0, v[51:52]
	v_add_f64_e32 v[59:60], 1.0, v[57:58]
	s_delay_alu instid0(VALU_DEP_2) | instskip(NEXT) | instid1(VALU_DEP_2)
	v_add_f64_e64 v[49:50], v[45:46], -v[49:50]
	v_add_f64_e64 v[45:46], v[45:46], -v[59:60]
	s_delay_alu instid0(VALU_DEP_2) | instskip(NEXT) | instid1(VALU_DEP_2)
	v_add_f64_e32 v[49:50], v[47:48], v[49:50]
	v_add_f64_e32 v[45:46], v[47:48], v[45:46]
	s_delay_alu instid0(VALU_DEP_2) | instskip(NEXT) | instid1(VALU_DEP_2)
	v_add_f64_e32 v[53:54], v[51:52], v[49:50]
	v_add_f64_e32 v[59:60], v[57:58], v[45:46]
	s_delay_alu instid0(VALU_DEP_2) | instskip(SKIP_1) | instid1(VALU_DEP_2)
	v_rcp_f64_e32 v[55:56], v[53:54]
	v_add_f64_e64 v[51:52], v[53:54], -v[51:52]
	v_add_f64_e64 v[57:58], v[59:60], -v[57:58]
	s_delay_alu instid0(VALU_DEP_2) | instskip(NEXT) | instid1(TRANS32_DEP_1)
	v_add_f64_e64 v[49:50], v[49:50], -v[51:52]
	v_fma_f64 v[61:62], -v[53:54], v[55:56], 1.0
	s_delay_alu instid0(VALU_DEP_3) | instskip(NEXT) | instid1(VALU_DEP_2)
	v_add_f64_e64 v[45:46], v[45:46], -v[57:58]
	v_fma_f64 v[55:56], v[61:62], v[55:56], v[55:56]
	s_delay_alu instid0(VALU_DEP_1) | instskip(NEXT) | instid1(VALU_DEP_1)
	v_fma_f64 v[47:48], -v[53:54], v[55:56], 1.0
	v_fma_f64 v[47:48], v[47:48], v[55:56], v[55:56]
	s_delay_alu instid0(VALU_DEP_1) | instskip(NEXT) | instid1(VALU_DEP_1)
	v_mul_f64_e32 v[55:56], v[59:60], v[47:48]
	v_mul_f64_e32 v[61:62], v[53:54], v[55:56]
	s_delay_alu instid0(VALU_DEP_1) | instskip(NEXT) | instid1(VALU_DEP_1)
	v_fma_f64 v[51:52], v[55:56], v[53:54], -v[61:62]
	v_fma_f64 v[51:52], v[55:56], v[49:50], v[51:52]
	s_delay_alu instid0(VALU_DEP_1) | instskip(NEXT) | instid1(VALU_DEP_1)
	v_add_f64_e32 v[69:70], v[61:62], v[51:52]
	v_add_f64_e64 v[71:72], v[59:60], -v[69:70]
	v_add_f64_e64 v[57:58], v[69:70], -v[61:62]
	s_delay_alu instid0(VALU_DEP_2) | instskip(NEXT) | instid1(VALU_DEP_2)
	v_add_f64_e64 v[59:60], v[59:60], -v[71:72]
	v_add_f64_e64 v[51:52], v[57:58], -v[51:52]
	s_delay_alu instid0(VALU_DEP_2) | instskip(NEXT) | instid1(VALU_DEP_1)
	v_add_f64_e64 v[59:60], v[59:60], -v[69:70]
	v_add_f64_e32 v[45:46], v[45:46], v[59:60]
	s_delay_alu instid0(VALU_DEP_1) | instskip(NEXT) | instid1(VALU_DEP_1)
	v_add_f64_e32 v[45:46], v[51:52], v[45:46]
	v_add_f64_e32 v[51:52], v[71:72], v[45:46]
	s_delay_alu instid0(VALU_DEP_1) | instskip(SKIP_1) | instid1(VALU_DEP_2)
	v_mul_f64_e32 v[57:58], v[47:48], v[51:52]
	v_add_f64_e64 v[69:70], v[71:72], -v[51:52]
	v_mul_f64_e32 v[59:60], v[53:54], v[57:58]
	s_delay_alu instid0(VALU_DEP_2) | instskip(NEXT) | instid1(VALU_DEP_2)
	v_add_f64_e32 v[45:46], v[45:46], v[69:70]
	v_fma_f64 v[53:54], v[57:58], v[53:54], -v[59:60]
	s_delay_alu instid0(VALU_DEP_1) | instskip(NEXT) | instid1(VALU_DEP_1)
	v_fma_f64 v[49:50], v[57:58], v[49:50], v[53:54]
	v_add_f64_e32 v[53:54], v[59:60], v[49:50]
	s_delay_alu instid0(VALU_DEP_1) | instskip(SKIP_1) | instid1(VALU_DEP_2)
	v_add_f64_e64 v[61:62], v[51:52], -v[53:54]
	v_add_f64_e64 v[59:60], v[53:54], -v[59:60]
	;; [unrolled: 1-line block ×3, first 2 shown]
	s_delay_alu instid0(VALU_DEP_2) | instskip(NEXT) | instid1(VALU_DEP_2)
	v_add_f64_e64 v[49:50], v[59:60], -v[49:50]
	v_add_f64_e64 v[51:52], v[51:52], -v[53:54]
	s_delay_alu instid0(VALU_DEP_1) | instskip(SKIP_1) | instid1(VALU_DEP_2)
	v_add_f64_e32 v[45:46], v[45:46], v[51:52]
	v_add_f64_e32 v[51:52], v[55:56], v[57:58]
	v_add_f64_e32 v[45:46], v[49:50], v[45:46]
	s_delay_alu instid0(VALU_DEP_2) | instskip(NEXT) | instid1(VALU_DEP_2)
	v_add_f64_e64 v[49:50], v[51:52], -v[55:56]
	v_add_f64_e32 v[45:46], v[61:62], v[45:46]
	s_delay_alu instid0(VALU_DEP_2) | instskip(NEXT) | instid1(VALU_DEP_2)
	v_add_f64_e64 v[49:50], v[57:58], -v[49:50]
	v_mul_f64_e32 v[45:46], v[47:48], v[45:46]
	s_delay_alu instid0(VALU_DEP_1) | instskip(NEXT) | instid1(VALU_DEP_1)
	v_add_f64_e32 v[45:46], v[49:50], v[45:46]
	v_add_f64_e32 v[47:48], v[51:52], v[45:46]
	s_delay_alu instid0(VALU_DEP_1) | instskip(NEXT) | instid1(VALU_DEP_1)
	v_mul_f64_e32 v[49:50], v[47:48], v[47:48]
	v_fma_f64 v[53:54], v[49:50], s[34:35], s[30:31]
	s_mov_b32 s30, 0xd7f4df2e
	s_mov_b32 s31, 0x3fc7474d
	v_mul_f64_e32 v[55:56], v[47:48], v[49:50]
	s_wait_alu 0xfffe
	s_delay_alu instid0(VALU_DEP_2) | instskip(SKIP_3) | instid1(VALU_DEP_1)
	v_fma_f64 v[53:54], v[49:50], v[53:54], s[30:31]
	s_mov_b32 s30, 0x16291751
	s_mov_b32 s31, 0x3fcc71c0
	s_wait_alu 0xfffe
	v_fma_f64 v[53:54], v[49:50], v[53:54], s[30:31]
	s_mov_b32 s30, 0x9b27acf1
	s_mov_b32 s31, 0x3fd24924
	s_wait_alu 0xfffe
	s_delay_alu instid0(VALU_DEP_1) | instskip(SKIP_3) | instid1(VALU_DEP_1)
	v_fma_f64 v[53:54], v[49:50], v[53:54], s[30:31]
	s_mov_b32 s30, 0x998ef7b6
	s_mov_b32 s31, 0x3fd99999
	s_wait_alu 0xfffe
	v_fma_f64 v[53:54], v[49:50], v[53:54], s[30:31]
	s_delay_alu instid0(VALU_DEP_1)
	v_fma_f64 v[49:50], v[49:50], v[53:54], s[22:23]
	v_ldexp_f64 v[53:54], v[47:48], 1
	v_add_f64_e64 v[47:48], v[47:48], -v[51:52]
	v_cmp_neq_f64_e64 s22, 0x7ff00000, v[43:44]
	v_cmp_ngt_f64_e64 s23, -1.0, v[43:44]
	v_mul_f64_e32 v[49:50], v[55:56], v[49:50]
	v_cvt_f64_i32_e32 v[55:56], v73
	v_add_f64_e64 v[45:46], v[45:46], -v[47:48]
	s_and_b32 s21, s21, s22
	s_delay_alu instid0(VALU_DEP_3) | instskip(NEXT) | instid1(VALU_DEP_3)
	v_add_f64_e32 v[51:52], v[53:54], v[49:50]
	v_mul_f64_e32 v[57:58], s[24:25], v[55:56]
	s_delay_alu instid0(VALU_DEP_3) | instskip(NEXT) | instid1(VALU_DEP_3)
	v_ldexp_f64 v[45:46], v[45:46], 1
	v_add_f64_e64 v[47:48], v[51:52], -v[53:54]
	s_delay_alu instid0(VALU_DEP_3) | instskip(NEXT) | instid1(VALU_DEP_2)
	v_fma_f64 v[53:54], v[55:56], s[24:25], -v[57:58]
	v_add_f64_e64 v[47:48], v[49:50], -v[47:48]
	s_delay_alu instid0(VALU_DEP_2) | instskip(NEXT) | instid1(VALU_DEP_2)
	v_fma_f64 v[49:50], v[55:56], s[26:27], v[53:54]
	v_add_f64_e32 v[45:46], v[45:46], v[47:48]
	s_delay_alu instid0(VALU_DEP_2) | instskip(NEXT) | instid1(VALU_DEP_2)
	v_add_f64_e32 v[47:48], v[57:58], v[49:50]
	v_add_f64_e32 v[53:54], v[51:52], v[45:46]
	s_delay_alu instid0(VALU_DEP_2) | instskip(NEXT) | instid1(VALU_DEP_2)
	v_add_f64_e64 v[57:58], v[47:48], -v[57:58]
	v_add_f64_e32 v[55:56], v[47:48], v[53:54]
	v_add_f64_e64 v[51:52], v[53:54], -v[51:52]
	s_delay_alu instid0(VALU_DEP_3) | instskip(NEXT) | instid1(VALU_DEP_3)
	v_add_f64_e64 v[49:50], v[49:50], -v[57:58]
	v_add_f64_e64 v[59:60], v[55:56], -v[47:48]
	s_delay_alu instid0(VALU_DEP_3) | instskip(NEXT) | instid1(VALU_DEP_2)
	v_add_f64_e64 v[45:46], v[45:46], -v[51:52]
	v_add_f64_e64 v[61:62], v[55:56], -v[59:60]
	;; [unrolled: 1-line block ×3, first 2 shown]
	s_delay_alu instid0(VALU_DEP_3) | instskip(NEXT) | instid1(VALU_DEP_3)
	v_add_f64_e32 v[53:54], v[49:50], v[45:46]
	v_add_f64_e64 v[47:48], v[47:48], -v[61:62]
	s_delay_alu instid0(VALU_DEP_1) | instskip(NEXT) | instid1(VALU_DEP_3)
	v_add_f64_e32 v[47:48], v[51:52], v[47:48]
	v_add_f64_e64 v[51:52], v[53:54], -v[49:50]
	s_delay_alu instid0(VALU_DEP_2) | instskip(NEXT) | instid1(VALU_DEP_2)
	v_add_f64_e32 v[47:48], v[53:54], v[47:48]
	v_add_f64_e64 v[53:54], v[53:54], -v[51:52]
	v_add_f64_e64 v[45:46], v[45:46], -v[51:52]
	s_delay_alu instid0(VALU_DEP_3) | instskip(NEXT) | instid1(VALU_DEP_3)
	v_add_f64_e32 v[57:58], v[55:56], v[47:48]
	v_add_f64_e64 v[49:50], v[49:50], -v[53:54]
	s_delay_alu instid0(VALU_DEP_2) | instskip(NEXT) | instid1(VALU_DEP_2)
	v_add_f64_e64 v[51:52], v[57:58], -v[55:56]
	v_add_f64_e32 v[45:46], v[45:46], v[49:50]
	s_delay_alu instid0(VALU_DEP_2) | instskip(NEXT) | instid1(VALU_DEP_1)
	v_add_f64_e64 v[47:48], v[47:48], -v[51:52]
	v_add_f64_e32 v[45:46], v[45:46], v[47:48]
	s_delay_alu instid0(VALU_DEP_1) | instskip(SKIP_1) | instid1(VALU_DEP_1)
	v_add_f64_e32 v[45:46], v[57:58], v[45:46]
	s_wait_alu 0xfffe
	v_cndmask_b32_e64 v45, 0, v45, s21
	v_cmp_neq_f64_e64 s21, -1.0, v[43:44]
	s_delay_alu instid0(VALU_DEP_3) | instskip(NEXT) | instid1(VALU_DEP_1)
	v_cndmask_b32_e64 v46, 0x7ff00000, v46, s22
	v_cndmask_b32_e64 v46, 0x7ff80000, v46, s23
	s_wait_alu 0xf1ff
	s_delay_alu instid0(VALU_DEP_1) | instskip(NEXT) | instid1(VALU_DEP_1)
	v_cndmask_b32_e64 v46, 0xfff00000, v46, s21
	v_add_f64_e32 v[69:70], v[41:42], v[45:46]
.LBB61_40:
	s_wait_alu 0xfffe
	s_or_b32 exec_lo, exec_lo, s28
	v_max_num_f64_e32 v[41:42], v[27:28], v[27:28]
	s_delay_alu instid0(VALU_DEP_2) | instskip(SKIP_2) | instid1(VALU_DEP_3)
	v_max_num_f64_e32 v[43:44], v[69:70], v[69:70]
	v_cmp_u_f64_e64 s22, v[69:70], v[69:70]
	v_cmp_u_f64_e64 s21, v[27:28], v[27:28]
	v_min_num_f64_e32 v[45:46], v[43:44], v[41:42]
	v_max_num_f64_e32 v[43:44], v[43:44], v[41:42]
	s_wait_alu 0xf1ff
	s_delay_alu instid0(VALU_DEP_2) | instskip(NEXT) | instid1(VALU_DEP_3)
	v_cndmask_b32_e64 v45, v45, v69, s22
	v_cndmask_b32_e64 v46, v46, v70, s22
	s_delay_alu instid0(VALU_DEP_3) | instskip(NEXT) | instid1(VALU_DEP_4)
	v_cndmask_b32_e64 v44, v44, v70, s22
	v_cndmask_b32_e64 v43, v43, v69, s22
	s_delay_alu instid0(VALU_DEP_4) | instskip(NEXT) | instid1(VALU_DEP_4)
	v_cndmask_b32_e64 v45, v45, v27, s21
	v_cndmask_b32_e64 v46, v46, v28, s21
	s_delay_alu instid0(VALU_DEP_4) | instskip(NEXT) | instid1(VALU_DEP_4)
	v_cndmask_b32_e64 v44, v44, v28, s21
	v_cndmask_b32_e64 v43, v43, v27, s21
	s_delay_alu instid0(VALU_DEP_3) | instskip(NEXT) | instid1(VALU_DEP_2)
	v_cmp_class_f64_e64 s23, v[45:46], 0x1f8
	v_cmp_neq_f64_e64 s22, v[45:46], v[43:44]
	s_or_b32 s22, s22, s23
	s_wait_alu 0xfffe
	s_and_saveexec_b32 s28, s22
	s_cbranch_execz .LBB61_42
; %bb.41:
	v_add_f64_e64 v[45:46], v[45:46], -v[43:44]
	s_mov_b32 s22, 0x652b82fe
	s_mov_b32 s23, 0x3ff71547
	;; [unrolled: 1-line block ×10, first 2 shown]
	s_wait_alu 0xfffe
	s_delay_alu instid0(VALU_DEP_1) | instskip(SKIP_2) | instid1(VALU_DEP_1)
	v_mul_f64_e32 v[47:48], s[22:23], v[45:46]
	s_mov_b32 s22, 0xfca7ab0c
	s_mov_b32 s23, 0x3e928af3
	v_rndne_f64_e32 v[47:48], v[47:48]
	s_delay_alu instid0(VALU_DEP_1) | instskip(SKIP_2) | instid1(VALU_DEP_2)
	v_fma_f64 v[49:50], v[47:48], s[24:25], v[45:46]
	v_cvt_i32_f64_e32 v53, v[47:48]
	s_mov_b32 s25, 0x3fe62e42
	v_fma_f64 v[49:50], v[47:48], s[26:27], v[49:50]
	s_mov_b32 s27, 0x3c7abc9e
	s_wait_alu 0xfffe
	s_delay_alu instid0(VALU_DEP_1)
	v_fma_f64 v[51:52], v[49:50], s[30:31], s[22:23]
	s_mov_b32 s22, 0x623fde64
	s_mov_b32 s23, 0x3ec71dee
	;; [unrolled: 1-line block ×4, first 2 shown]
	s_wait_alu 0xfffe
	s_delay_alu instid0(VALU_DEP_1) | instskip(SKIP_3) | instid1(VALU_DEP_1)
	v_fma_f64 v[51:52], v[49:50], v[51:52], s[22:23]
	s_mov_b32 s22, 0x7c89e6b0
	s_mov_b32 s23, 0x3efa0199
	s_wait_alu 0xfffe
	v_fma_f64 v[51:52], v[49:50], v[51:52], s[22:23]
	s_mov_b32 s22, 0x14761f6e
	s_mov_b32 s23, 0x3f2a01a0
	s_wait_alu 0xfffe
	s_delay_alu instid0(VALU_DEP_1) | instskip(SKIP_3) | instid1(VALU_DEP_1)
	v_fma_f64 v[51:52], v[49:50], v[51:52], s[22:23]
	s_mov_b32 s22, 0x1852b7b0
	s_mov_b32 s23, 0x3f56c16c
	s_wait_alu 0xfffe
	v_fma_f64 v[51:52], v[49:50], v[51:52], s[22:23]
	s_mov_b32 s22, 0x11122322
	s_mov_b32 s23, 0x3f811111
	;; [unrolled: 9-line block ×3, first 2 shown]
	s_wait_alu 0xfffe
	s_delay_alu instid0(VALU_DEP_1) | instskip(SKIP_3) | instid1(VALU_DEP_1)
	v_fma_f64 v[51:52], v[49:50], v[51:52], s[22:23]
	s_mov_b32 s22, 11
	s_mov_b32 s23, 0x3fe00000
	s_wait_alu 0xfffe
	v_fma_f64 v[51:52], v[49:50], v[51:52], s[22:23]
	v_cmp_nlt_f64_e64 s22, 0x40900000, v[45:46]
	v_cmp_ngt_f64_e64 s23, 0xc090cc00, v[45:46]
	s_delay_alu instid0(VALU_DEP_3) | instskip(NEXT) | instid1(VALU_DEP_1)
	v_fma_f64 v[51:52], v[49:50], v[51:52], 1.0
	v_fma_f64 v[47:48], v[49:50], v[51:52], 1.0
	s_delay_alu instid0(VALU_DEP_1) | instskip(SKIP_1) | instid1(VALU_DEP_1)
	v_ldexp_f64 v[47:48], v[47:48], v53
	s_wait_alu 0xf1ff
	v_cndmask_b32_e64 v48, 0x7ff00000, v48, s22
	s_and_b32 s22, s23, s22
	s_wait_alu 0xfffe
	s_delay_alu instid0(VALU_DEP_2) | instskip(SKIP_3) | instid1(VALU_DEP_1)
	v_cndmask_b32_e64 v45, 0, v47, s22
	s_mov_b32 s22, 0x55555555
	v_cndmask_b32_e64 v46, 0, v48, s23
	s_mov_b32 s23, 0x3fe55555
	v_add_f64_e32 v[47:48], 1.0, v[45:46]
	s_delay_alu instid0(VALU_DEP_1) | instskip(SKIP_3) | instid1(VALU_DEP_3)
	v_frexp_mant_f64_e32 v[49:50], v[47:48]
	v_frexp_exp_i32_f64_e32 v53, v[47:48]
	v_add_f64_e32 v[51:52], -1.0, v[47:48]
	s_wait_alu 0xfffe
	v_cmp_gt_f64_e64 s22, s[22:23], v[49:50]
	s_delay_alu instid0(VALU_DEP_2) | instskip(SKIP_2) | instid1(VALU_DEP_3)
	v_add_f64_e64 v[49:50], v[51:52], -v[47:48]
	v_add_f64_e64 v[51:52], v[45:46], -v[51:52]
	s_wait_alu 0xf1ff
	v_subrev_co_ci_u32_e64 v75, null, 0, v53, s22
	s_delay_alu instid0(VALU_DEP_3) | instskip(SKIP_1) | instid1(VALU_DEP_2)
	v_add_f64_e32 v[49:50], 1.0, v[49:50]
	s_mov_b32 s22, 0x55555780
	v_sub_nc_u32_e32 v55, 0, v75
	s_delay_alu instid0(VALU_DEP_1) | instskip(NEXT) | instid1(VALU_DEP_3)
	v_ldexp_f64 v[47:48], v[47:48], v55
	v_add_f64_e32 v[49:50], v[51:52], v[49:50]
	s_delay_alu instid0(VALU_DEP_2) | instskip(SKIP_1) | instid1(VALU_DEP_3)
	v_add_f64_e32 v[53:54], 1.0, v[47:48]
	v_add_f64_e32 v[59:60], -1.0, v[47:48]
	v_ldexp_f64 v[49:50], v[49:50], v55
	s_delay_alu instid0(VALU_DEP_3) | instskip(NEXT) | instid1(VALU_DEP_3)
	v_add_f64_e32 v[51:52], -1.0, v[53:54]
	v_add_f64_e32 v[61:62], 1.0, v[59:60]
	s_delay_alu instid0(VALU_DEP_2) | instskip(NEXT) | instid1(VALU_DEP_2)
	v_add_f64_e64 v[51:52], v[47:48], -v[51:52]
	v_add_f64_e64 v[47:48], v[47:48], -v[61:62]
	s_delay_alu instid0(VALU_DEP_2) | instskip(NEXT) | instid1(VALU_DEP_2)
	v_add_f64_e32 v[51:52], v[49:50], v[51:52]
	v_add_f64_e32 v[47:48], v[49:50], v[47:48]
	s_delay_alu instid0(VALU_DEP_2) | instskip(NEXT) | instid1(VALU_DEP_2)
	v_add_f64_e32 v[55:56], v[53:54], v[51:52]
	v_add_f64_e32 v[61:62], v[59:60], v[47:48]
	s_delay_alu instid0(VALU_DEP_2) | instskip(SKIP_1) | instid1(VALU_DEP_2)
	v_rcp_f64_e32 v[57:58], v[55:56]
	v_add_f64_e64 v[53:54], v[55:56], -v[53:54]
	v_add_f64_e64 v[59:60], v[61:62], -v[59:60]
	s_delay_alu instid0(VALU_DEP_2) | instskip(NEXT) | instid1(TRANS32_DEP_1)
	v_add_f64_e64 v[51:52], v[51:52], -v[53:54]
	v_fma_f64 v[69:70], -v[55:56], v[57:58], 1.0
	s_delay_alu instid0(VALU_DEP_3) | instskip(NEXT) | instid1(VALU_DEP_2)
	v_add_f64_e64 v[47:48], v[47:48], -v[59:60]
	v_fma_f64 v[57:58], v[69:70], v[57:58], v[57:58]
	s_delay_alu instid0(VALU_DEP_1) | instskip(NEXT) | instid1(VALU_DEP_1)
	v_fma_f64 v[49:50], -v[55:56], v[57:58], 1.0
	v_fma_f64 v[49:50], v[49:50], v[57:58], v[57:58]
	s_delay_alu instid0(VALU_DEP_1) | instskip(NEXT) | instid1(VALU_DEP_1)
	v_mul_f64_e32 v[57:58], v[61:62], v[49:50]
	v_mul_f64_e32 v[69:70], v[55:56], v[57:58]
	s_delay_alu instid0(VALU_DEP_1) | instskip(NEXT) | instid1(VALU_DEP_1)
	v_fma_f64 v[53:54], v[57:58], v[55:56], -v[69:70]
	v_fma_f64 v[53:54], v[57:58], v[51:52], v[53:54]
	s_delay_alu instid0(VALU_DEP_1) | instskip(NEXT) | instid1(VALU_DEP_1)
	v_add_f64_e32 v[71:72], v[69:70], v[53:54]
	v_add_f64_e64 v[73:74], v[61:62], -v[71:72]
	v_add_f64_e64 v[59:60], v[71:72], -v[69:70]
	s_delay_alu instid0(VALU_DEP_2) | instskip(NEXT) | instid1(VALU_DEP_2)
	v_add_f64_e64 v[61:62], v[61:62], -v[73:74]
	v_add_f64_e64 v[53:54], v[59:60], -v[53:54]
	s_delay_alu instid0(VALU_DEP_2) | instskip(NEXT) | instid1(VALU_DEP_1)
	v_add_f64_e64 v[61:62], v[61:62], -v[71:72]
	v_add_f64_e32 v[47:48], v[47:48], v[61:62]
	s_delay_alu instid0(VALU_DEP_1) | instskip(NEXT) | instid1(VALU_DEP_1)
	v_add_f64_e32 v[47:48], v[53:54], v[47:48]
	v_add_f64_e32 v[53:54], v[73:74], v[47:48]
	s_delay_alu instid0(VALU_DEP_1) | instskip(SKIP_1) | instid1(VALU_DEP_2)
	v_mul_f64_e32 v[59:60], v[49:50], v[53:54]
	v_add_f64_e64 v[71:72], v[73:74], -v[53:54]
	v_mul_f64_e32 v[61:62], v[55:56], v[59:60]
	s_delay_alu instid0(VALU_DEP_2) | instskip(NEXT) | instid1(VALU_DEP_2)
	v_add_f64_e32 v[47:48], v[47:48], v[71:72]
	v_fma_f64 v[55:56], v[59:60], v[55:56], -v[61:62]
	s_delay_alu instid0(VALU_DEP_1) | instskip(NEXT) | instid1(VALU_DEP_1)
	v_fma_f64 v[51:52], v[59:60], v[51:52], v[55:56]
	v_add_f64_e32 v[55:56], v[61:62], v[51:52]
	s_delay_alu instid0(VALU_DEP_1) | instskip(SKIP_1) | instid1(VALU_DEP_2)
	v_add_f64_e64 v[69:70], v[53:54], -v[55:56]
	v_add_f64_e64 v[61:62], v[55:56], -v[61:62]
	;; [unrolled: 1-line block ×3, first 2 shown]
	s_delay_alu instid0(VALU_DEP_2) | instskip(NEXT) | instid1(VALU_DEP_2)
	v_add_f64_e64 v[51:52], v[61:62], -v[51:52]
	v_add_f64_e64 v[53:54], v[53:54], -v[55:56]
	s_delay_alu instid0(VALU_DEP_1) | instskip(SKIP_1) | instid1(VALU_DEP_2)
	v_add_f64_e32 v[47:48], v[47:48], v[53:54]
	v_add_f64_e32 v[53:54], v[57:58], v[59:60]
	;; [unrolled: 1-line block ×3, first 2 shown]
	s_delay_alu instid0(VALU_DEP_2) | instskip(NEXT) | instid1(VALU_DEP_2)
	v_add_f64_e64 v[51:52], v[53:54], -v[57:58]
	v_add_f64_e32 v[47:48], v[69:70], v[47:48]
	s_delay_alu instid0(VALU_DEP_2) | instskip(NEXT) | instid1(VALU_DEP_2)
	v_add_f64_e64 v[51:52], v[59:60], -v[51:52]
	v_mul_f64_e32 v[47:48], v[49:50], v[47:48]
	s_delay_alu instid0(VALU_DEP_1) | instskip(NEXT) | instid1(VALU_DEP_1)
	v_add_f64_e32 v[47:48], v[51:52], v[47:48]
	v_add_f64_e32 v[49:50], v[53:54], v[47:48]
	s_delay_alu instid0(VALU_DEP_1) | instskip(NEXT) | instid1(VALU_DEP_1)
	v_mul_f64_e32 v[51:52], v[49:50], v[49:50]
	v_fma_f64 v[55:56], v[51:52], s[34:35], s[30:31]
	s_mov_b32 s30, 0xd7f4df2e
	s_mov_b32 s31, 0x3fc7474d
	v_mul_f64_e32 v[57:58], v[49:50], v[51:52]
	s_wait_alu 0xfffe
	s_delay_alu instid0(VALU_DEP_2) | instskip(SKIP_3) | instid1(VALU_DEP_1)
	v_fma_f64 v[55:56], v[51:52], v[55:56], s[30:31]
	s_mov_b32 s30, 0x16291751
	s_mov_b32 s31, 0x3fcc71c0
	s_wait_alu 0xfffe
	v_fma_f64 v[55:56], v[51:52], v[55:56], s[30:31]
	s_mov_b32 s30, 0x9b27acf1
	s_mov_b32 s31, 0x3fd24924
	s_wait_alu 0xfffe
	s_delay_alu instid0(VALU_DEP_1) | instskip(SKIP_3) | instid1(VALU_DEP_1)
	v_fma_f64 v[55:56], v[51:52], v[55:56], s[30:31]
	s_mov_b32 s30, 0x998ef7b6
	s_mov_b32 s31, 0x3fd99999
	s_wait_alu 0xfffe
	v_fma_f64 v[55:56], v[51:52], v[55:56], s[30:31]
	s_delay_alu instid0(VALU_DEP_1)
	v_fma_f64 v[51:52], v[51:52], v[55:56], s[22:23]
	v_ldexp_f64 v[55:56], v[49:50], 1
	v_add_f64_e64 v[49:50], v[49:50], -v[53:54]
	v_cmp_nge_f64_e64 s22, -1.0, v[45:46]
	v_cmp_neq_f64_e64 s23, 0x7ff00000, v[45:46]
	v_mul_f64_e32 v[51:52], v[57:58], v[51:52]
	v_cvt_f64_i32_e32 v[57:58], v75
	v_add_f64_e64 v[47:48], v[47:48], -v[49:50]
	s_and_b32 s22, s22, s23
	s_delay_alu instid0(VALU_DEP_3) | instskip(NEXT) | instid1(VALU_DEP_3)
	v_add_f64_e32 v[53:54], v[55:56], v[51:52]
	v_mul_f64_e32 v[59:60], s[24:25], v[57:58]
	s_delay_alu instid0(VALU_DEP_3) | instskip(NEXT) | instid1(VALU_DEP_3)
	v_ldexp_f64 v[47:48], v[47:48], 1
	v_add_f64_e64 v[49:50], v[53:54], -v[55:56]
	s_delay_alu instid0(VALU_DEP_3) | instskip(SKIP_1) | instid1(VALU_DEP_3)
	v_fma_f64 v[55:56], v[57:58], s[24:25], -v[59:60]
	v_cmp_ngt_f64_e64 s24, -1.0, v[45:46]
	v_add_f64_e64 v[49:50], v[51:52], -v[49:50]
	s_delay_alu instid0(VALU_DEP_3) | instskip(NEXT) | instid1(VALU_DEP_2)
	v_fma_f64 v[51:52], v[57:58], s[26:27], v[55:56]
	v_add_f64_e32 v[47:48], v[47:48], v[49:50]
	s_delay_alu instid0(VALU_DEP_2) | instskip(NEXT) | instid1(VALU_DEP_2)
	v_add_f64_e32 v[49:50], v[59:60], v[51:52]
	v_add_f64_e32 v[55:56], v[53:54], v[47:48]
	s_delay_alu instid0(VALU_DEP_2) | instskip(NEXT) | instid1(VALU_DEP_2)
	v_add_f64_e64 v[59:60], v[49:50], -v[59:60]
	v_add_f64_e32 v[57:58], v[49:50], v[55:56]
	v_add_f64_e64 v[53:54], v[55:56], -v[53:54]
	s_delay_alu instid0(VALU_DEP_3) | instskip(NEXT) | instid1(VALU_DEP_3)
	v_add_f64_e64 v[51:52], v[51:52], -v[59:60]
	v_add_f64_e64 v[61:62], v[57:58], -v[49:50]
	s_delay_alu instid0(VALU_DEP_3) | instskip(NEXT) | instid1(VALU_DEP_2)
	v_add_f64_e64 v[47:48], v[47:48], -v[53:54]
	v_add_f64_e64 v[69:70], v[57:58], -v[61:62]
	;; [unrolled: 1-line block ×3, first 2 shown]
	s_delay_alu instid0(VALU_DEP_3) | instskip(NEXT) | instid1(VALU_DEP_3)
	v_add_f64_e32 v[55:56], v[51:52], v[47:48]
	v_add_f64_e64 v[49:50], v[49:50], -v[69:70]
	s_delay_alu instid0(VALU_DEP_1) | instskip(NEXT) | instid1(VALU_DEP_3)
	v_add_f64_e32 v[49:50], v[53:54], v[49:50]
	v_add_f64_e64 v[53:54], v[55:56], -v[51:52]
	s_delay_alu instid0(VALU_DEP_2) | instskip(NEXT) | instid1(VALU_DEP_2)
	v_add_f64_e32 v[49:50], v[55:56], v[49:50]
	v_add_f64_e64 v[55:56], v[55:56], -v[53:54]
	v_add_f64_e64 v[47:48], v[47:48], -v[53:54]
	s_delay_alu instid0(VALU_DEP_3) | instskip(NEXT) | instid1(VALU_DEP_3)
	v_add_f64_e32 v[59:60], v[57:58], v[49:50]
	v_add_f64_e64 v[51:52], v[51:52], -v[55:56]
	s_delay_alu instid0(VALU_DEP_2) | instskip(NEXT) | instid1(VALU_DEP_2)
	v_add_f64_e64 v[53:54], v[59:60], -v[57:58]
	v_add_f64_e32 v[47:48], v[47:48], v[51:52]
	s_delay_alu instid0(VALU_DEP_2) | instskip(NEXT) | instid1(VALU_DEP_1)
	v_add_f64_e64 v[49:50], v[49:50], -v[53:54]
	v_add_f64_e32 v[47:48], v[47:48], v[49:50]
	s_delay_alu instid0(VALU_DEP_1) | instskip(SKIP_1) | instid1(VALU_DEP_1)
	v_add_f64_e32 v[47:48], v[59:60], v[47:48]
	s_wait_alu 0xfffe
	v_cndmask_b32_e64 v47, 0, v47, s22
	v_cmp_neq_f64_e64 s22, -1.0, v[45:46]
	s_delay_alu instid0(VALU_DEP_3) | instskip(SKIP_1) | instid1(VALU_DEP_1)
	v_cndmask_b32_e64 v48, 0x7ff00000, v48, s23
	s_wait_alu 0xf1ff
	v_cndmask_b32_e64 v48, 0x7ff80000, v48, s24
	s_delay_alu instid0(VALU_DEP_1) | instskip(NEXT) | instid1(VALU_DEP_1)
	v_cndmask_b32_e64 v48, 0xfff00000, v48, s22
	v_add_f64_e32 v[69:70], v[43:44], v[47:48]
.LBB61_42:
	s_wait_alu 0xfffe
	s_or_b32 exec_lo, exec_lo, s28
	v_max_num_f64_e32 v[43:44], v[21:22], v[21:22]
	s_delay_alu instid0(VALU_DEP_2) | instskip(SKIP_2) | instid1(VALU_DEP_3)
	v_max_num_f64_e32 v[45:46], v[69:70], v[69:70]
	v_cmp_u_f64_e64 s23, v[69:70], v[69:70]
	v_cmp_u_f64_e64 s22, v[21:22], v[21:22]
	v_min_num_f64_e32 v[47:48], v[45:46], v[43:44]
	v_max_num_f64_e32 v[45:46], v[45:46], v[43:44]
	s_wait_alu 0xf1ff
	s_delay_alu instid0(VALU_DEP_2) | instskip(NEXT) | instid1(VALU_DEP_3)
	v_cndmask_b32_e64 v47, v47, v69, s23
	v_cndmask_b32_e64 v48, v48, v70, s23
	s_delay_alu instid0(VALU_DEP_3) | instskip(NEXT) | instid1(VALU_DEP_4)
	v_cndmask_b32_e64 v46, v46, v70, s23
	v_cndmask_b32_e64 v45, v45, v69, s23
	s_delay_alu instid0(VALU_DEP_4) | instskip(NEXT) | instid1(VALU_DEP_4)
	v_cndmask_b32_e64 v47, v47, v21, s22
	v_cndmask_b32_e64 v48, v48, v22, s22
	s_delay_alu instid0(VALU_DEP_4) | instskip(NEXT) | instid1(VALU_DEP_4)
	v_cndmask_b32_e64 v46, v46, v22, s22
	v_cndmask_b32_e64 v45, v45, v21, s22
	s_delay_alu instid0(VALU_DEP_3) | instskip(NEXT) | instid1(VALU_DEP_2)
	v_cmp_class_f64_e64 s24, v[47:48], 0x1f8
	v_cmp_neq_f64_e64 s23, v[47:48], v[45:46]
	s_or_b32 s23, s23, s24
	s_wait_alu 0xfffe
	s_and_saveexec_b32 s30, s23
	s_cbranch_execz .LBB61_44
; %bb.43:
	v_add_f64_e64 v[47:48], v[47:48], -v[45:46]
	s_mov_b32 s24, 0x652b82fe
	s_mov_b32 s25, 0x3ff71547
	;; [unrolled: 1-line block ×10, first 2 shown]
	s_wait_alu 0xfffe
	s_delay_alu instid0(VALU_DEP_1) | instskip(SKIP_3) | instid1(VALU_DEP_2)
	v_mul_f64_e32 v[49:50], s[24:25], v[47:48]
	s_mov_b32 s24, 0xfca7ab0c
	s_mov_b32 s25, 0x3e928af3
	v_cmp_nlt_f64_e64 s23, 0x40900000, v[47:48]
	v_rndne_f64_e32 v[49:50], v[49:50]
	s_delay_alu instid0(VALU_DEP_1) | instskip(SKIP_2) | instid1(VALU_DEP_2)
	v_fma_f64 v[51:52], v[49:50], s[26:27], v[47:48]
	v_cvt_i32_f64_e32 v55, v[49:50]
	s_mov_b32 s27, 0x3fe62e42
	v_fma_f64 v[51:52], v[49:50], s[28:29], v[51:52]
	s_mov_b32 s29, 0x3c7abc9e
	s_wait_alu 0xfffe
	s_delay_alu instid0(VALU_DEP_1)
	v_fma_f64 v[53:54], v[51:52], s[34:35], s[24:25]
	s_mov_b32 s24, 0x623fde64
	s_mov_b32 s25, 0x3ec71dee
	;; [unrolled: 1-line block ×4, first 2 shown]
	s_wait_alu 0xfffe
	s_delay_alu instid0(VALU_DEP_1) | instskip(SKIP_3) | instid1(VALU_DEP_1)
	v_fma_f64 v[53:54], v[51:52], v[53:54], s[24:25]
	s_mov_b32 s24, 0x7c89e6b0
	s_mov_b32 s25, 0x3efa0199
	s_wait_alu 0xfffe
	v_fma_f64 v[53:54], v[51:52], v[53:54], s[24:25]
	s_mov_b32 s24, 0x14761f6e
	s_mov_b32 s25, 0x3f2a01a0
	s_wait_alu 0xfffe
	s_delay_alu instid0(VALU_DEP_1) | instskip(SKIP_3) | instid1(VALU_DEP_1)
	v_fma_f64 v[53:54], v[51:52], v[53:54], s[24:25]
	s_mov_b32 s24, 0x1852b7b0
	s_mov_b32 s25, 0x3f56c16c
	s_wait_alu 0xfffe
	v_fma_f64 v[53:54], v[51:52], v[53:54], s[24:25]
	s_mov_b32 s24, 0x11122322
	s_mov_b32 s25, 0x3f811111
	;; [unrolled: 9-line block ×3, first 2 shown]
	s_wait_alu 0xfffe
	s_delay_alu instid0(VALU_DEP_1) | instskip(SKIP_3) | instid1(VALU_DEP_1)
	v_fma_f64 v[53:54], v[51:52], v[53:54], s[24:25]
	s_mov_b32 s24, 11
	s_mov_b32 s25, 0x3fe00000
	s_wait_alu 0xfffe
	v_fma_f64 v[53:54], v[51:52], v[53:54], s[24:25]
	v_cmp_ngt_f64_e64 s24, 0xc090cc00, v[47:48]
	s_mov_b32 s25, 0x3fe55555
	v_fma_f64 v[53:54], v[51:52], v[53:54], 1.0
	s_delay_alu instid0(VALU_DEP_1) | instskip(NEXT) | instid1(VALU_DEP_1)
	v_fma_f64 v[49:50], v[51:52], v[53:54], 1.0
	v_ldexp_f64 v[49:50], v[49:50], v55
	s_wait_alu 0xf1ff
	s_delay_alu instid0(VALU_DEP_1) | instskip(SKIP_2) | instid1(VALU_DEP_2)
	v_cndmask_b32_e64 v50, 0x7ff00000, v50, s23
	s_and_b32 s23, s24, s23
	s_wait_alu 0xfffe
	v_cndmask_b32_e64 v47, 0, v49, s23
	s_delay_alu instid0(VALU_DEP_2) | instskip(SKIP_1) | instid1(VALU_DEP_1)
	v_cndmask_b32_e64 v48, 0, v50, s24
	s_mov_b32 s24, 0x55555555
	v_add_f64_e32 v[49:50], 1.0, v[47:48]
	s_delay_alu instid0(VALU_DEP_1) | instskip(SKIP_3) | instid1(VALU_DEP_3)
	v_frexp_mant_f64_e32 v[51:52], v[49:50]
	v_frexp_exp_i32_f64_e32 v55, v[49:50]
	v_add_f64_e32 v[53:54], -1.0, v[49:50]
	s_wait_alu 0xfffe
	v_cmp_gt_f64_e64 s23, s[24:25], v[51:52]
	s_mov_b32 s24, 0x55555780
	v_add_f64_e64 v[51:52], v[53:54], -v[49:50]
	v_add_f64_e64 v[53:54], v[47:48], -v[53:54]
	s_wait_alu 0xf1ff
	v_subrev_co_ci_u32_e64 v96, null, 0, v55, s23
	s_delay_alu instid0(VALU_DEP_3) | instskip(SKIP_1) | instid1(VALU_DEP_3)
	v_add_f64_e32 v[51:52], 1.0, v[51:52]
	v_cmp_nge_f64_e64 s23, -1.0, v[47:48]
	v_sub_nc_u32_e32 v57, 0, v96
	s_delay_alu instid0(VALU_DEP_1) | instskip(NEXT) | instid1(VALU_DEP_4)
	v_ldexp_f64 v[49:50], v[49:50], v57
	v_add_f64_e32 v[51:52], v[53:54], v[51:52]
	s_delay_alu instid0(VALU_DEP_2) | instskip(SKIP_1) | instid1(VALU_DEP_3)
	v_add_f64_e32 v[55:56], 1.0, v[49:50]
	v_add_f64_e32 v[61:62], -1.0, v[49:50]
	v_ldexp_f64 v[51:52], v[51:52], v57
	s_delay_alu instid0(VALU_DEP_3) | instskip(NEXT) | instid1(VALU_DEP_3)
	v_add_f64_e32 v[53:54], -1.0, v[55:56]
	v_add_f64_e32 v[69:70], 1.0, v[61:62]
	s_delay_alu instid0(VALU_DEP_2) | instskip(NEXT) | instid1(VALU_DEP_2)
	v_add_f64_e64 v[53:54], v[49:50], -v[53:54]
	v_add_f64_e64 v[49:50], v[49:50], -v[69:70]
	s_delay_alu instid0(VALU_DEP_2) | instskip(NEXT) | instid1(VALU_DEP_2)
	v_add_f64_e32 v[53:54], v[51:52], v[53:54]
	v_add_f64_e32 v[49:50], v[51:52], v[49:50]
	s_delay_alu instid0(VALU_DEP_2) | instskip(NEXT) | instid1(VALU_DEP_2)
	v_add_f64_e32 v[57:58], v[55:56], v[53:54]
	v_add_f64_e32 v[69:70], v[61:62], v[49:50]
	s_delay_alu instid0(VALU_DEP_2) | instskip(SKIP_1) | instid1(VALU_DEP_2)
	v_rcp_f64_e32 v[59:60], v[57:58]
	v_add_f64_e64 v[55:56], v[57:58], -v[55:56]
	v_add_f64_e64 v[61:62], v[69:70], -v[61:62]
	s_delay_alu instid0(VALU_DEP_2) | instskip(NEXT) | instid1(TRANS32_DEP_1)
	v_add_f64_e64 v[53:54], v[53:54], -v[55:56]
	v_fma_f64 v[71:72], -v[57:58], v[59:60], 1.0
	s_delay_alu instid0(VALU_DEP_3) | instskip(NEXT) | instid1(VALU_DEP_2)
	v_add_f64_e64 v[49:50], v[49:50], -v[61:62]
	v_fma_f64 v[59:60], v[71:72], v[59:60], v[59:60]
	s_delay_alu instid0(VALU_DEP_1) | instskip(NEXT) | instid1(VALU_DEP_1)
	v_fma_f64 v[51:52], -v[57:58], v[59:60], 1.0
	v_fma_f64 v[51:52], v[51:52], v[59:60], v[59:60]
	s_delay_alu instid0(VALU_DEP_1) | instskip(NEXT) | instid1(VALU_DEP_1)
	v_mul_f64_e32 v[59:60], v[69:70], v[51:52]
	v_mul_f64_e32 v[71:72], v[57:58], v[59:60]
	s_delay_alu instid0(VALU_DEP_1) | instskip(NEXT) | instid1(VALU_DEP_1)
	v_fma_f64 v[55:56], v[59:60], v[57:58], -v[71:72]
	v_fma_f64 v[55:56], v[59:60], v[53:54], v[55:56]
	s_delay_alu instid0(VALU_DEP_1) | instskip(NEXT) | instid1(VALU_DEP_1)
	v_add_f64_e32 v[73:74], v[71:72], v[55:56]
	v_add_f64_e64 v[75:76], v[69:70], -v[73:74]
	v_add_f64_e64 v[61:62], v[73:74], -v[71:72]
	s_delay_alu instid0(VALU_DEP_2) | instskip(NEXT) | instid1(VALU_DEP_2)
	v_add_f64_e64 v[69:70], v[69:70], -v[75:76]
	v_add_f64_e64 v[55:56], v[61:62], -v[55:56]
	s_delay_alu instid0(VALU_DEP_2) | instskip(NEXT) | instid1(VALU_DEP_1)
	v_add_f64_e64 v[69:70], v[69:70], -v[73:74]
	v_add_f64_e32 v[49:50], v[49:50], v[69:70]
	s_delay_alu instid0(VALU_DEP_1) | instskip(NEXT) | instid1(VALU_DEP_1)
	v_add_f64_e32 v[49:50], v[55:56], v[49:50]
	v_add_f64_e32 v[55:56], v[75:76], v[49:50]
	s_delay_alu instid0(VALU_DEP_1) | instskip(SKIP_1) | instid1(VALU_DEP_2)
	v_mul_f64_e32 v[61:62], v[51:52], v[55:56]
	v_add_f64_e64 v[73:74], v[75:76], -v[55:56]
	v_mul_f64_e32 v[69:70], v[57:58], v[61:62]
	s_delay_alu instid0(VALU_DEP_2) | instskip(NEXT) | instid1(VALU_DEP_2)
	v_add_f64_e32 v[49:50], v[49:50], v[73:74]
	v_fma_f64 v[57:58], v[61:62], v[57:58], -v[69:70]
	s_delay_alu instid0(VALU_DEP_1) | instskip(NEXT) | instid1(VALU_DEP_1)
	v_fma_f64 v[53:54], v[61:62], v[53:54], v[57:58]
	v_add_f64_e32 v[57:58], v[69:70], v[53:54]
	s_delay_alu instid0(VALU_DEP_1) | instskip(SKIP_1) | instid1(VALU_DEP_2)
	v_add_f64_e64 v[71:72], v[55:56], -v[57:58]
	v_add_f64_e64 v[69:70], v[57:58], -v[69:70]
	;; [unrolled: 1-line block ×3, first 2 shown]
	s_delay_alu instid0(VALU_DEP_2) | instskip(NEXT) | instid1(VALU_DEP_2)
	v_add_f64_e64 v[53:54], v[69:70], -v[53:54]
	v_add_f64_e64 v[55:56], v[55:56], -v[57:58]
	s_delay_alu instid0(VALU_DEP_1) | instskip(SKIP_1) | instid1(VALU_DEP_2)
	v_add_f64_e32 v[49:50], v[49:50], v[55:56]
	v_add_f64_e32 v[55:56], v[59:60], v[61:62]
	;; [unrolled: 1-line block ×3, first 2 shown]
	s_delay_alu instid0(VALU_DEP_2) | instskip(NEXT) | instid1(VALU_DEP_2)
	v_add_f64_e64 v[53:54], v[55:56], -v[59:60]
	v_add_f64_e32 v[49:50], v[71:72], v[49:50]
	s_delay_alu instid0(VALU_DEP_2) | instskip(NEXT) | instid1(VALU_DEP_2)
	v_add_f64_e64 v[53:54], v[61:62], -v[53:54]
	v_mul_f64_e32 v[49:50], v[51:52], v[49:50]
	s_delay_alu instid0(VALU_DEP_1) | instskip(NEXT) | instid1(VALU_DEP_1)
	v_add_f64_e32 v[49:50], v[53:54], v[49:50]
	v_add_f64_e32 v[51:52], v[55:56], v[49:50]
	s_delay_alu instid0(VALU_DEP_1) | instskip(NEXT) | instid1(VALU_DEP_1)
	v_mul_f64_e32 v[53:54], v[51:52], v[51:52]
	v_fma_f64 v[57:58], v[53:54], s[36:37], s[34:35]
	s_mov_b32 s34, 0xd7f4df2e
	s_mov_b32 s35, 0x3fc7474d
	v_mul_f64_e32 v[59:60], v[51:52], v[53:54]
	s_wait_alu 0xfffe
	s_delay_alu instid0(VALU_DEP_2) | instskip(SKIP_3) | instid1(VALU_DEP_1)
	v_fma_f64 v[57:58], v[53:54], v[57:58], s[34:35]
	s_mov_b32 s34, 0x16291751
	s_mov_b32 s35, 0x3fcc71c0
	s_wait_alu 0xfffe
	v_fma_f64 v[57:58], v[53:54], v[57:58], s[34:35]
	s_mov_b32 s34, 0x9b27acf1
	s_mov_b32 s35, 0x3fd24924
	s_wait_alu 0xfffe
	s_delay_alu instid0(VALU_DEP_1) | instskip(SKIP_3) | instid1(VALU_DEP_1)
	v_fma_f64 v[57:58], v[53:54], v[57:58], s[34:35]
	s_mov_b32 s34, 0x998ef7b6
	s_mov_b32 s35, 0x3fd99999
	s_wait_alu 0xfffe
	v_fma_f64 v[57:58], v[53:54], v[57:58], s[34:35]
	s_delay_alu instid0(VALU_DEP_1)
	v_fma_f64 v[53:54], v[53:54], v[57:58], s[24:25]
	v_ldexp_f64 v[57:58], v[51:52], 1
	v_add_f64_e64 v[51:52], v[51:52], -v[55:56]
	v_cmp_neq_f64_e64 s24, 0x7ff00000, v[47:48]
	v_cmp_ngt_f64_e64 s25, -1.0, v[47:48]
	v_mul_f64_e32 v[53:54], v[59:60], v[53:54]
	v_cvt_f64_i32_e32 v[59:60], v96
	v_add_f64_e64 v[49:50], v[49:50], -v[51:52]
	s_and_b32 s23, s23, s24
	s_delay_alu instid0(VALU_DEP_3) | instskip(NEXT) | instid1(VALU_DEP_3)
	v_add_f64_e32 v[55:56], v[57:58], v[53:54]
	v_mul_f64_e32 v[61:62], s[26:27], v[59:60]
	s_delay_alu instid0(VALU_DEP_3) | instskip(NEXT) | instid1(VALU_DEP_3)
	v_ldexp_f64 v[49:50], v[49:50], 1
	v_add_f64_e64 v[51:52], v[55:56], -v[57:58]
	s_delay_alu instid0(VALU_DEP_3) | instskip(NEXT) | instid1(VALU_DEP_2)
	v_fma_f64 v[57:58], v[59:60], s[26:27], -v[61:62]
	v_add_f64_e64 v[51:52], v[53:54], -v[51:52]
	s_delay_alu instid0(VALU_DEP_2) | instskip(NEXT) | instid1(VALU_DEP_2)
	v_fma_f64 v[53:54], v[59:60], s[28:29], v[57:58]
	v_add_f64_e32 v[49:50], v[49:50], v[51:52]
	s_delay_alu instid0(VALU_DEP_2) | instskip(NEXT) | instid1(VALU_DEP_2)
	v_add_f64_e32 v[51:52], v[61:62], v[53:54]
	v_add_f64_e32 v[57:58], v[55:56], v[49:50]
	s_delay_alu instid0(VALU_DEP_2) | instskip(NEXT) | instid1(VALU_DEP_2)
	v_add_f64_e64 v[61:62], v[51:52], -v[61:62]
	v_add_f64_e32 v[59:60], v[51:52], v[57:58]
	v_add_f64_e64 v[55:56], v[57:58], -v[55:56]
	s_delay_alu instid0(VALU_DEP_3) | instskip(NEXT) | instid1(VALU_DEP_3)
	v_add_f64_e64 v[53:54], v[53:54], -v[61:62]
	v_add_f64_e64 v[69:70], v[59:60], -v[51:52]
	s_delay_alu instid0(VALU_DEP_3) | instskip(NEXT) | instid1(VALU_DEP_2)
	v_add_f64_e64 v[49:50], v[49:50], -v[55:56]
	v_add_f64_e64 v[71:72], v[59:60], -v[69:70]
	;; [unrolled: 1-line block ×3, first 2 shown]
	s_delay_alu instid0(VALU_DEP_3) | instskip(NEXT) | instid1(VALU_DEP_3)
	v_add_f64_e32 v[57:58], v[53:54], v[49:50]
	v_add_f64_e64 v[51:52], v[51:52], -v[71:72]
	s_delay_alu instid0(VALU_DEP_1) | instskip(NEXT) | instid1(VALU_DEP_3)
	v_add_f64_e32 v[51:52], v[55:56], v[51:52]
	v_add_f64_e64 v[55:56], v[57:58], -v[53:54]
	s_delay_alu instid0(VALU_DEP_2) | instskip(NEXT) | instid1(VALU_DEP_2)
	v_add_f64_e32 v[51:52], v[57:58], v[51:52]
	v_add_f64_e64 v[57:58], v[57:58], -v[55:56]
	v_add_f64_e64 v[49:50], v[49:50], -v[55:56]
	s_delay_alu instid0(VALU_DEP_3) | instskip(NEXT) | instid1(VALU_DEP_3)
	v_add_f64_e32 v[61:62], v[59:60], v[51:52]
	v_add_f64_e64 v[53:54], v[53:54], -v[57:58]
	s_delay_alu instid0(VALU_DEP_2) | instskip(NEXT) | instid1(VALU_DEP_2)
	v_add_f64_e64 v[55:56], v[61:62], -v[59:60]
	v_add_f64_e32 v[49:50], v[49:50], v[53:54]
	s_delay_alu instid0(VALU_DEP_2) | instskip(NEXT) | instid1(VALU_DEP_1)
	v_add_f64_e64 v[51:52], v[51:52], -v[55:56]
	v_add_f64_e32 v[49:50], v[49:50], v[51:52]
	s_delay_alu instid0(VALU_DEP_1) | instskip(SKIP_1) | instid1(VALU_DEP_1)
	v_add_f64_e32 v[49:50], v[61:62], v[49:50]
	s_wait_alu 0xfffe
	v_cndmask_b32_e64 v49, 0, v49, s23
	v_cmp_neq_f64_e64 s23, -1.0, v[47:48]
	s_delay_alu instid0(VALU_DEP_3) | instskip(NEXT) | instid1(VALU_DEP_1)
	v_cndmask_b32_e64 v50, 0x7ff00000, v50, s24
	v_cndmask_b32_e64 v50, 0x7ff80000, v50, s25
	s_wait_alu 0xf1ff
	s_delay_alu instid0(VALU_DEP_1) | instskip(NEXT) | instid1(VALU_DEP_1)
	v_cndmask_b32_e64 v50, 0xfff00000, v50, s23
	v_add_f64_e32 v[69:70], v[45:46], v[49:50]
.LBB61_44:
	s_wait_alu 0xfffe
	s_or_b32 exec_lo, exec_lo, s30
	v_max_num_f64_e32 v[45:46], v[23:24], v[23:24]
	s_delay_alu instid0(VALU_DEP_2) | instskip(SKIP_2) | instid1(VALU_DEP_3)
	v_max_num_f64_e32 v[47:48], v[69:70], v[69:70]
	v_cmp_u_f64_e64 s24, v[69:70], v[69:70]
	v_cmp_u_f64_e64 s23, v[23:24], v[23:24]
	v_min_num_f64_e32 v[49:50], v[47:48], v[45:46]
	v_max_num_f64_e32 v[47:48], v[47:48], v[45:46]
	s_wait_alu 0xf1ff
	s_delay_alu instid0(VALU_DEP_2) | instskip(NEXT) | instid1(VALU_DEP_3)
	v_cndmask_b32_e64 v49, v49, v69, s24
	v_cndmask_b32_e64 v50, v50, v70, s24
	s_delay_alu instid0(VALU_DEP_3) | instskip(NEXT) | instid1(VALU_DEP_4)
	v_cndmask_b32_e64 v48, v48, v70, s24
	v_cndmask_b32_e64 v47, v47, v69, s24
	s_delay_alu instid0(VALU_DEP_4) | instskip(NEXT) | instid1(VALU_DEP_4)
	v_cndmask_b32_e64 v49, v49, v23, s23
	v_cndmask_b32_e64 v50, v50, v24, s23
	s_delay_alu instid0(VALU_DEP_4) | instskip(NEXT) | instid1(VALU_DEP_4)
	v_cndmask_b32_e64 v48, v48, v24, s23
	v_cndmask_b32_e64 v47, v47, v23, s23
	s_delay_alu instid0(VALU_DEP_3) | instskip(NEXT) | instid1(VALU_DEP_2)
	v_cmp_class_f64_e64 s25, v[49:50], 0x1f8
	v_cmp_neq_f64_e64 s24, v[49:50], v[47:48]
	s_or_b32 s24, s24, s25
	s_wait_alu 0xfffe
	s_and_saveexec_b32 s30, s24
	s_cbranch_execz .LBB61_46
; %bb.45:
	v_add_f64_e64 v[49:50], v[49:50], -v[47:48]
	s_mov_b32 s24, 0x652b82fe
	s_mov_b32 s25, 0x3ff71547
	s_mov_b32 s27, 0xbfe62e42
	s_mov_b32 s26, 0xfefa39ef
	s_mov_b32 s29, 0xbc7abc9e
	s_mov_b32 s28, 0x3b39803f
	s_mov_b32 s34, 0x6a5dcb37
	s_mov_b32 s35, 0x3e5ade15
	s_mov_b32 s36, 0xbf559e2b
	s_mov_b32 s37, 0x3fc3ab76
	s_wait_alu 0xfffe
	s_delay_alu instid0(VALU_DEP_1) | instskip(SKIP_2) | instid1(VALU_DEP_1)
	v_mul_f64_e32 v[51:52], s[24:25], v[49:50]
	s_mov_b32 s24, 0xfca7ab0c
	s_mov_b32 s25, 0x3e928af3
	v_rndne_f64_e32 v[51:52], v[51:52]
	s_delay_alu instid0(VALU_DEP_1) | instskip(SKIP_2) | instid1(VALU_DEP_2)
	v_fma_f64 v[53:54], v[51:52], s[26:27], v[49:50]
	v_cvt_i32_f64_e32 v57, v[51:52]
	s_mov_b32 s27, 0x3fe62e42
	v_fma_f64 v[53:54], v[51:52], s[28:29], v[53:54]
	s_mov_b32 s29, 0x3c7abc9e
	s_wait_alu 0xfffe
	s_delay_alu instid0(VALU_DEP_1)
	v_fma_f64 v[55:56], v[53:54], s[34:35], s[24:25]
	s_mov_b32 s24, 0x623fde64
	s_mov_b32 s25, 0x3ec71dee
	;; [unrolled: 1-line block ×4, first 2 shown]
	s_wait_alu 0xfffe
	s_delay_alu instid0(VALU_DEP_1) | instskip(SKIP_3) | instid1(VALU_DEP_1)
	v_fma_f64 v[55:56], v[53:54], v[55:56], s[24:25]
	s_mov_b32 s24, 0x7c89e6b0
	s_mov_b32 s25, 0x3efa0199
	s_wait_alu 0xfffe
	v_fma_f64 v[55:56], v[53:54], v[55:56], s[24:25]
	s_mov_b32 s24, 0x14761f6e
	s_mov_b32 s25, 0x3f2a01a0
	s_wait_alu 0xfffe
	s_delay_alu instid0(VALU_DEP_1) | instskip(SKIP_3) | instid1(VALU_DEP_1)
	v_fma_f64 v[55:56], v[53:54], v[55:56], s[24:25]
	s_mov_b32 s24, 0x1852b7b0
	s_mov_b32 s25, 0x3f56c16c
	s_wait_alu 0xfffe
	v_fma_f64 v[55:56], v[53:54], v[55:56], s[24:25]
	s_mov_b32 s24, 0x11122322
	s_mov_b32 s25, 0x3f811111
	;; [unrolled: 9-line block ×3, first 2 shown]
	s_wait_alu 0xfffe
	s_delay_alu instid0(VALU_DEP_1) | instskip(SKIP_3) | instid1(VALU_DEP_1)
	v_fma_f64 v[55:56], v[53:54], v[55:56], s[24:25]
	s_mov_b32 s24, 11
	s_mov_b32 s25, 0x3fe00000
	s_wait_alu 0xfffe
	v_fma_f64 v[55:56], v[53:54], v[55:56], s[24:25]
	v_cmp_nlt_f64_e64 s24, 0x40900000, v[49:50]
	v_cmp_ngt_f64_e64 s25, 0xc090cc00, v[49:50]
	s_delay_alu instid0(VALU_DEP_3) | instskip(NEXT) | instid1(VALU_DEP_1)
	v_fma_f64 v[55:56], v[53:54], v[55:56], 1.0
	v_fma_f64 v[51:52], v[53:54], v[55:56], 1.0
	s_delay_alu instid0(VALU_DEP_1) | instskip(SKIP_1) | instid1(VALU_DEP_1)
	v_ldexp_f64 v[51:52], v[51:52], v57
	s_wait_alu 0xf1ff
	v_cndmask_b32_e64 v52, 0x7ff00000, v52, s24
	s_and_b32 s24, s25, s24
	s_wait_alu 0xfffe
	s_delay_alu instid0(VALU_DEP_2) | instskip(SKIP_3) | instid1(VALU_DEP_1)
	v_cndmask_b32_e64 v49, 0, v51, s24
	s_mov_b32 s24, 0x55555555
	v_cndmask_b32_e64 v50, 0, v52, s25
	s_mov_b32 s25, 0x3fe55555
	v_add_f64_e32 v[51:52], 1.0, v[49:50]
	s_delay_alu instid0(VALU_DEP_1) | instskip(SKIP_3) | instid1(VALU_DEP_3)
	v_frexp_mant_f64_e32 v[53:54], v[51:52]
	v_frexp_exp_i32_f64_e32 v57, v[51:52]
	v_add_f64_e32 v[55:56], -1.0, v[51:52]
	s_wait_alu 0xfffe
	v_cmp_gt_f64_e64 s24, s[24:25], v[53:54]
	s_delay_alu instid0(VALU_DEP_2) | instskip(SKIP_2) | instid1(VALU_DEP_3)
	v_add_f64_e64 v[53:54], v[55:56], -v[51:52]
	v_add_f64_e64 v[55:56], v[49:50], -v[55:56]
	s_wait_alu 0xf1ff
	v_subrev_co_ci_u32_e64 v98, null, 0, v57, s24
	s_delay_alu instid0(VALU_DEP_3) | instskip(SKIP_1) | instid1(VALU_DEP_2)
	v_add_f64_e32 v[53:54], 1.0, v[53:54]
	s_mov_b32 s24, 0x55555780
	v_sub_nc_u32_e32 v59, 0, v98
	s_delay_alu instid0(VALU_DEP_1) | instskip(NEXT) | instid1(VALU_DEP_3)
	v_ldexp_f64 v[51:52], v[51:52], v59
	v_add_f64_e32 v[53:54], v[55:56], v[53:54]
	s_delay_alu instid0(VALU_DEP_2) | instskip(SKIP_1) | instid1(VALU_DEP_3)
	v_add_f64_e32 v[57:58], 1.0, v[51:52]
	v_add_f64_e32 v[69:70], -1.0, v[51:52]
	v_ldexp_f64 v[53:54], v[53:54], v59
	s_delay_alu instid0(VALU_DEP_3) | instskip(NEXT) | instid1(VALU_DEP_3)
	v_add_f64_e32 v[55:56], -1.0, v[57:58]
	v_add_f64_e32 v[71:72], 1.0, v[69:70]
	s_delay_alu instid0(VALU_DEP_2) | instskip(NEXT) | instid1(VALU_DEP_2)
	v_add_f64_e64 v[55:56], v[51:52], -v[55:56]
	v_add_f64_e64 v[51:52], v[51:52], -v[71:72]
	s_delay_alu instid0(VALU_DEP_2) | instskip(NEXT) | instid1(VALU_DEP_2)
	v_add_f64_e32 v[55:56], v[53:54], v[55:56]
	v_add_f64_e32 v[51:52], v[53:54], v[51:52]
	s_delay_alu instid0(VALU_DEP_2) | instskip(NEXT) | instid1(VALU_DEP_2)
	v_add_f64_e32 v[59:60], v[57:58], v[55:56]
	v_add_f64_e32 v[71:72], v[69:70], v[51:52]
	s_delay_alu instid0(VALU_DEP_2) | instskip(SKIP_1) | instid1(VALU_DEP_2)
	v_rcp_f64_e32 v[61:62], v[59:60]
	v_add_f64_e64 v[57:58], v[59:60], -v[57:58]
	v_add_f64_e64 v[69:70], v[71:72], -v[69:70]
	s_delay_alu instid0(VALU_DEP_2) | instskip(NEXT) | instid1(TRANS32_DEP_1)
	v_add_f64_e64 v[55:56], v[55:56], -v[57:58]
	v_fma_f64 v[73:74], -v[59:60], v[61:62], 1.0
	s_delay_alu instid0(VALU_DEP_3) | instskip(NEXT) | instid1(VALU_DEP_2)
	v_add_f64_e64 v[51:52], v[51:52], -v[69:70]
	v_fma_f64 v[61:62], v[73:74], v[61:62], v[61:62]
	s_delay_alu instid0(VALU_DEP_1) | instskip(NEXT) | instid1(VALU_DEP_1)
	v_fma_f64 v[53:54], -v[59:60], v[61:62], 1.0
	v_fma_f64 v[53:54], v[53:54], v[61:62], v[61:62]
	s_delay_alu instid0(VALU_DEP_1) | instskip(NEXT) | instid1(VALU_DEP_1)
	v_mul_f64_e32 v[61:62], v[71:72], v[53:54]
	v_mul_f64_e32 v[73:74], v[59:60], v[61:62]
	s_delay_alu instid0(VALU_DEP_1) | instskip(NEXT) | instid1(VALU_DEP_1)
	v_fma_f64 v[57:58], v[61:62], v[59:60], -v[73:74]
	v_fma_f64 v[57:58], v[61:62], v[55:56], v[57:58]
	s_delay_alu instid0(VALU_DEP_1) | instskip(NEXT) | instid1(VALU_DEP_1)
	v_add_f64_e32 v[75:76], v[73:74], v[57:58]
	v_add_f64_e64 v[96:97], v[71:72], -v[75:76]
	v_add_f64_e64 v[69:70], v[75:76], -v[73:74]
	s_delay_alu instid0(VALU_DEP_2) | instskip(NEXT) | instid1(VALU_DEP_2)
	v_add_f64_e64 v[71:72], v[71:72], -v[96:97]
	v_add_f64_e64 v[57:58], v[69:70], -v[57:58]
	s_delay_alu instid0(VALU_DEP_2) | instskip(NEXT) | instid1(VALU_DEP_1)
	v_add_f64_e64 v[71:72], v[71:72], -v[75:76]
	v_add_f64_e32 v[51:52], v[51:52], v[71:72]
	s_delay_alu instid0(VALU_DEP_1) | instskip(NEXT) | instid1(VALU_DEP_1)
	v_add_f64_e32 v[51:52], v[57:58], v[51:52]
	v_add_f64_e32 v[57:58], v[96:97], v[51:52]
	s_delay_alu instid0(VALU_DEP_1) | instskip(SKIP_1) | instid1(VALU_DEP_2)
	v_mul_f64_e32 v[69:70], v[53:54], v[57:58]
	v_add_f64_e64 v[75:76], v[96:97], -v[57:58]
	v_mul_f64_e32 v[71:72], v[59:60], v[69:70]
	s_delay_alu instid0(VALU_DEP_2) | instskip(NEXT) | instid1(VALU_DEP_2)
	v_add_f64_e32 v[51:52], v[51:52], v[75:76]
	v_fma_f64 v[59:60], v[69:70], v[59:60], -v[71:72]
	s_delay_alu instid0(VALU_DEP_1) | instskip(NEXT) | instid1(VALU_DEP_1)
	v_fma_f64 v[55:56], v[69:70], v[55:56], v[59:60]
	v_add_f64_e32 v[59:60], v[71:72], v[55:56]
	s_delay_alu instid0(VALU_DEP_1) | instskip(SKIP_1) | instid1(VALU_DEP_2)
	v_add_f64_e64 v[73:74], v[57:58], -v[59:60]
	v_add_f64_e64 v[71:72], v[59:60], -v[71:72]
	;; [unrolled: 1-line block ×3, first 2 shown]
	s_delay_alu instid0(VALU_DEP_2) | instskip(NEXT) | instid1(VALU_DEP_2)
	v_add_f64_e64 v[55:56], v[71:72], -v[55:56]
	v_add_f64_e64 v[57:58], v[57:58], -v[59:60]
	s_delay_alu instid0(VALU_DEP_1) | instskip(SKIP_1) | instid1(VALU_DEP_2)
	v_add_f64_e32 v[51:52], v[51:52], v[57:58]
	v_add_f64_e32 v[57:58], v[61:62], v[69:70]
	;; [unrolled: 1-line block ×3, first 2 shown]
	s_delay_alu instid0(VALU_DEP_2) | instskip(NEXT) | instid1(VALU_DEP_2)
	v_add_f64_e64 v[55:56], v[57:58], -v[61:62]
	v_add_f64_e32 v[51:52], v[73:74], v[51:52]
	s_delay_alu instid0(VALU_DEP_2) | instskip(NEXT) | instid1(VALU_DEP_2)
	v_add_f64_e64 v[55:56], v[69:70], -v[55:56]
	v_mul_f64_e32 v[51:52], v[53:54], v[51:52]
	s_delay_alu instid0(VALU_DEP_1) | instskip(NEXT) | instid1(VALU_DEP_1)
	v_add_f64_e32 v[51:52], v[55:56], v[51:52]
	v_add_f64_e32 v[53:54], v[57:58], v[51:52]
	s_delay_alu instid0(VALU_DEP_1) | instskip(NEXT) | instid1(VALU_DEP_1)
	v_mul_f64_e32 v[55:56], v[53:54], v[53:54]
	v_fma_f64 v[59:60], v[55:56], s[36:37], s[34:35]
	s_mov_b32 s34, 0xd7f4df2e
	s_mov_b32 s35, 0x3fc7474d
	v_mul_f64_e32 v[61:62], v[53:54], v[55:56]
	s_wait_alu 0xfffe
	s_delay_alu instid0(VALU_DEP_2) | instskip(SKIP_3) | instid1(VALU_DEP_1)
	v_fma_f64 v[59:60], v[55:56], v[59:60], s[34:35]
	s_mov_b32 s34, 0x16291751
	s_mov_b32 s35, 0x3fcc71c0
	s_wait_alu 0xfffe
	v_fma_f64 v[59:60], v[55:56], v[59:60], s[34:35]
	s_mov_b32 s34, 0x9b27acf1
	s_mov_b32 s35, 0x3fd24924
	s_wait_alu 0xfffe
	s_delay_alu instid0(VALU_DEP_1) | instskip(SKIP_3) | instid1(VALU_DEP_1)
	v_fma_f64 v[59:60], v[55:56], v[59:60], s[34:35]
	s_mov_b32 s34, 0x998ef7b6
	s_mov_b32 s35, 0x3fd99999
	s_wait_alu 0xfffe
	v_fma_f64 v[59:60], v[55:56], v[59:60], s[34:35]
	s_delay_alu instid0(VALU_DEP_1)
	v_fma_f64 v[55:56], v[55:56], v[59:60], s[24:25]
	v_ldexp_f64 v[59:60], v[53:54], 1
	v_add_f64_e64 v[53:54], v[53:54], -v[57:58]
	v_cmp_nge_f64_e64 s24, -1.0, v[49:50]
	v_cmp_neq_f64_e64 s25, 0x7ff00000, v[49:50]
	v_mul_f64_e32 v[55:56], v[61:62], v[55:56]
	v_cvt_f64_i32_e32 v[61:62], v98
	v_add_f64_e64 v[51:52], v[51:52], -v[53:54]
	s_and_b32 s24, s24, s25
	s_delay_alu instid0(VALU_DEP_3) | instskip(NEXT) | instid1(VALU_DEP_3)
	v_add_f64_e32 v[57:58], v[59:60], v[55:56]
	v_mul_f64_e32 v[69:70], s[26:27], v[61:62]
	s_delay_alu instid0(VALU_DEP_3) | instskip(NEXT) | instid1(VALU_DEP_3)
	v_ldexp_f64 v[51:52], v[51:52], 1
	v_add_f64_e64 v[53:54], v[57:58], -v[59:60]
	s_delay_alu instid0(VALU_DEP_3) | instskip(SKIP_1) | instid1(VALU_DEP_3)
	v_fma_f64 v[59:60], v[61:62], s[26:27], -v[69:70]
	v_cmp_ngt_f64_e64 s26, -1.0, v[49:50]
	v_add_f64_e64 v[53:54], v[55:56], -v[53:54]
	s_delay_alu instid0(VALU_DEP_3) | instskip(NEXT) | instid1(VALU_DEP_2)
	v_fma_f64 v[55:56], v[61:62], s[28:29], v[59:60]
	v_add_f64_e32 v[51:52], v[51:52], v[53:54]
	s_delay_alu instid0(VALU_DEP_2) | instskip(NEXT) | instid1(VALU_DEP_2)
	v_add_f64_e32 v[53:54], v[69:70], v[55:56]
	v_add_f64_e32 v[59:60], v[57:58], v[51:52]
	s_delay_alu instid0(VALU_DEP_2) | instskip(NEXT) | instid1(VALU_DEP_2)
	v_add_f64_e64 v[69:70], v[53:54], -v[69:70]
	v_add_f64_e32 v[61:62], v[53:54], v[59:60]
	v_add_f64_e64 v[57:58], v[59:60], -v[57:58]
	s_delay_alu instid0(VALU_DEP_3) | instskip(NEXT) | instid1(VALU_DEP_3)
	v_add_f64_e64 v[55:56], v[55:56], -v[69:70]
	v_add_f64_e64 v[71:72], v[61:62], -v[53:54]
	s_delay_alu instid0(VALU_DEP_3) | instskip(NEXT) | instid1(VALU_DEP_2)
	v_add_f64_e64 v[51:52], v[51:52], -v[57:58]
	v_add_f64_e64 v[73:74], v[61:62], -v[71:72]
	;; [unrolled: 1-line block ×3, first 2 shown]
	s_delay_alu instid0(VALU_DEP_3) | instskip(NEXT) | instid1(VALU_DEP_3)
	v_add_f64_e32 v[59:60], v[55:56], v[51:52]
	v_add_f64_e64 v[53:54], v[53:54], -v[73:74]
	s_delay_alu instid0(VALU_DEP_1) | instskip(NEXT) | instid1(VALU_DEP_3)
	v_add_f64_e32 v[53:54], v[57:58], v[53:54]
	v_add_f64_e64 v[57:58], v[59:60], -v[55:56]
	s_delay_alu instid0(VALU_DEP_2) | instskip(NEXT) | instid1(VALU_DEP_2)
	v_add_f64_e32 v[53:54], v[59:60], v[53:54]
	v_add_f64_e64 v[59:60], v[59:60], -v[57:58]
	v_add_f64_e64 v[51:52], v[51:52], -v[57:58]
	s_delay_alu instid0(VALU_DEP_3) | instskip(NEXT) | instid1(VALU_DEP_3)
	v_add_f64_e32 v[69:70], v[61:62], v[53:54]
	v_add_f64_e64 v[55:56], v[55:56], -v[59:60]
	s_delay_alu instid0(VALU_DEP_2) | instskip(NEXT) | instid1(VALU_DEP_2)
	v_add_f64_e64 v[57:58], v[69:70], -v[61:62]
	v_add_f64_e32 v[51:52], v[51:52], v[55:56]
	s_delay_alu instid0(VALU_DEP_2) | instskip(NEXT) | instid1(VALU_DEP_1)
	v_add_f64_e64 v[53:54], v[53:54], -v[57:58]
	v_add_f64_e32 v[51:52], v[51:52], v[53:54]
	s_delay_alu instid0(VALU_DEP_1) | instskip(SKIP_1) | instid1(VALU_DEP_1)
	v_add_f64_e32 v[51:52], v[69:70], v[51:52]
	s_wait_alu 0xfffe
	v_cndmask_b32_e64 v51, 0, v51, s24
	v_cmp_neq_f64_e64 s24, -1.0, v[49:50]
	s_delay_alu instid0(VALU_DEP_3) | instskip(SKIP_1) | instid1(VALU_DEP_1)
	v_cndmask_b32_e64 v52, 0x7ff00000, v52, s25
	s_wait_alu 0xf1ff
	v_cndmask_b32_e64 v52, 0x7ff80000, v52, s26
	s_delay_alu instid0(VALU_DEP_1) | instskip(NEXT) | instid1(VALU_DEP_1)
	v_cndmask_b32_e64 v52, 0xfff00000, v52, s24
	v_add_f64_e32 v[69:70], v[47:48], v[51:52]
.LBB61_46:
	s_wait_alu 0xfffe
	s_or_b32 exec_lo, exec_lo, s30
	v_max_num_f64_e32 v[47:48], v[17:18], v[17:18]
	s_delay_alu instid0(VALU_DEP_2) | instskip(SKIP_2) | instid1(VALU_DEP_3)
	v_max_num_f64_e32 v[49:50], v[69:70], v[69:70]
	v_cmp_u_f64_e64 s25, v[69:70], v[69:70]
	v_cmp_u_f64_e64 s24, v[17:18], v[17:18]
	v_min_num_f64_e32 v[51:52], v[49:50], v[47:48]
	v_max_num_f64_e32 v[49:50], v[49:50], v[47:48]
	s_wait_alu 0xf1ff
	s_delay_alu instid0(VALU_DEP_2) | instskip(NEXT) | instid1(VALU_DEP_3)
	v_cndmask_b32_e64 v51, v51, v69, s25
	v_cndmask_b32_e64 v52, v52, v70, s25
	s_delay_alu instid0(VALU_DEP_3) | instskip(NEXT) | instid1(VALU_DEP_4)
	v_cndmask_b32_e64 v50, v50, v70, s25
	v_cndmask_b32_e64 v49, v49, v69, s25
	s_delay_alu instid0(VALU_DEP_4) | instskip(NEXT) | instid1(VALU_DEP_4)
	v_cndmask_b32_e64 v51, v51, v17, s24
	v_cndmask_b32_e64 v52, v52, v18, s24
	s_delay_alu instid0(VALU_DEP_4) | instskip(NEXT) | instid1(VALU_DEP_4)
	v_cndmask_b32_e64 v50, v50, v18, s24
	v_cndmask_b32_e64 v49, v49, v17, s24
	s_delay_alu instid0(VALU_DEP_3) | instskip(NEXT) | instid1(VALU_DEP_2)
	v_cmp_class_f64_e64 s26, v[51:52], 0x1f8
	v_cmp_neq_f64_e64 s25, v[51:52], v[49:50]
	s_or_b32 s25, s25, s26
	s_wait_alu 0xfffe
	s_and_saveexec_b32 s34, s25
	s_cbranch_execz .LBB61_48
; %bb.47:
	v_add_f64_e64 v[51:52], v[51:52], -v[49:50]
	s_mov_b32 s26, 0x652b82fe
	s_mov_b32 s27, 0x3ff71547
	;; [unrolled: 1-line block ×10, first 2 shown]
	s_wait_alu 0xfffe
	s_delay_alu instid0(VALU_DEP_1) | instskip(SKIP_3) | instid1(VALU_DEP_2)
	v_mul_f64_e32 v[53:54], s[26:27], v[51:52]
	s_mov_b32 s26, 0xfca7ab0c
	s_mov_b32 s27, 0x3e928af3
	v_cmp_nlt_f64_e64 s25, 0x40900000, v[51:52]
	v_rndne_f64_e32 v[53:54], v[53:54]
	s_delay_alu instid0(VALU_DEP_1) | instskip(SKIP_2) | instid1(VALU_DEP_2)
	v_fma_f64 v[55:56], v[53:54], s[28:29], v[51:52]
	v_cvt_i32_f64_e32 v59, v[53:54]
	s_mov_b32 s29, 0x3fe62e42
	v_fma_f64 v[55:56], v[53:54], s[30:31], v[55:56]
	s_mov_b32 s31, 0x3c7abc9e
	s_wait_alu 0xfffe
	s_delay_alu instid0(VALU_DEP_1)
	v_fma_f64 v[57:58], v[55:56], s[36:37], s[26:27]
	s_mov_b32 s26, 0x623fde64
	s_mov_b32 s27, 0x3ec71dee
	;; [unrolled: 1-line block ×4, first 2 shown]
	s_wait_alu 0xfffe
	s_delay_alu instid0(VALU_DEP_1) | instskip(SKIP_3) | instid1(VALU_DEP_1)
	v_fma_f64 v[57:58], v[55:56], v[57:58], s[26:27]
	s_mov_b32 s26, 0x7c89e6b0
	s_mov_b32 s27, 0x3efa0199
	s_wait_alu 0xfffe
	v_fma_f64 v[57:58], v[55:56], v[57:58], s[26:27]
	s_mov_b32 s26, 0x14761f6e
	s_mov_b32 s27, 0x3f2a01a0
	s_wait_alu 0xfffe
	s_delay_alu instid0(VALU_DEP_1) | instskip(SKIP_3) | instid1(VALU_DEP_1)
	v_fma_f64 v[57:58], v[55:56], v[57:58], s[26:27]
	s_mov_b32 s26, 0x1852b7b0
	s_mov_b32 s27, 0x3f56c16c
	s_wait_alu 0xfffe
	v_fma_f64 v[57:58], v[55:56], v[57:58], s[26:27]
	s_mov_b32 s26, 0x11122322
	s_mov_b32 s27, 0x3f811111
	s_wait_alu 0xfffe
	s_delay_alu instid0(VALU_DEP_1) | instskip(SKIP_3) | instid1(VALU_DEP_1)
	v_fma_f64 v[57:58], v[55:56], v[57:58], s[26:27]
	s_mov_b32 s26, 0x555502a1
	s_mov_b32 s27, 0x3fa55555
	s_wait_alu 0xfffe
	v_fma_f64 v[57:58], v[55:56], v[57:58], s[26:27]
	s_mov_b32 s26, 0x55555511
	s_mov_b32 s27, 0x3fc55555
	s_wait_alu 0xfffe
	s_delay_alu instid0(VALU_DEP_1) | instskip(SKIP_3) | instid1(VALU_DEP_1)
	v_fma_f64 v[57:58], v[55:56], v[57:58], s[26:27]
	s_mov_b32 s26, 11
	s_mov_b32 s27, 0x3fe00000
	s_wait_alu 0xfffe
	v_fma_f64 v[57:58], v[55:56], v[57:58], s[26:27]
	v_cmp_ngt_f64_e64 s26, 0xc090cc00, v[51:52]
	s_mov_b32 s27, 0x3fe55555
	v_fma_f64 v[57:58], v[55:56], v[57:58], 1.0
	s_delay_alu instid0(VALU_DEP_1) | instskip(NEXT) | instid1(VALU_DEP_1)
	v_fma_f64 v[53:54], v[55:56], v[57:58], 1.0
	v_ldexp_f64 v[53:54], v[53:54], v59
	s_wait_alu 0xf1ff
	s_delay_alu instid0(VALU_DEP_1) | instskip(SKIP_2) | instid1(VALU_DEP_2)
	v_cndmask_b32_e64 v54, 0x7ff00000, v54, s25
	s_and_b32 s25, s26, s25
	s_wait_alu 0xfffe
	v_cndmask_b32_e64 v51, 0, v53, s25
	s_delay_alu instid0(VALU_DEP_2) | instskip(SKIP_1) | instid1(VALU_DEP_1)
	v_cndmask_b32_e64 v52, 0, v54, s26
	s_mov_b32 s26, 0x55555555
	v_add_f64_e32 v[53:54], 1.0, v[51:52]
	s_delay_alu instid0(VALU_DEP_1) | instskip(SKIP_3) | instid1(VALU_DEP_3)
	v_frexp_mant_f64_e32 v[55:56], v[53:54]
	v_frexp_exp_i32_f64_e32 v59, v[53:54]
	v_add_f64_e32 v[57:58], -1.0, v[53:54]
	s_wait_alu 0xfffe
	v_cmp_gt_f64_e64 s25, s[26:27], v[55:56]
	s_mov_b32 s26, 0x55555780
	v_add_f64_e64 v[55:56], v[57:58], -v[53:54]
	v_add_f64_e64 v[57:58], v[51:52], -v[57:58]
	s_wait_alu 0xf1ff
	v_subrev_co_ci_u32_e64 v100, null, 0, v59, s25
	s_delay_alu instid0(VALU_DEP_3) | instskip(SKIP_1) | instid1(VALU_DEP_3)
	v_add_f64_e32 v[55:56], 1.0, v[55:56]
	v_cmp_nge_f64_e64 s25, -1.0, v[51:52]
	v_sub_nc_u32_e32 v61, 0, v100
	s_delay_alu instid0(VALU_DEP_1) | instskip(NEXT) | instid1(VALU_DEP_4)
	v_ldexp_f64 v[53:54], v[53:54], v61
	v_add_f64_e32 v[55:56], v[57:58], v[55:56]
	s_delay_alu instid0(VALU_DEP_2) | instskip(SKIP_1) | instid1(VALU_DEP_3)
	v_add_f64_e32 v[59:60], 1.0, v[53:54]
	v_add_f64_e32 v[71:72], -1.0, v[53:54]
	v_ldexp_f64 v[55:56], v[55:56], v61
	s_delay_alu instid0(VALU_DEP_3) | instskip(NEXT) | instid1(VALU_DEP_3)
	v_add_f64_e32 v[57:58], -1.0, v[59:60]
	v_add_f64_e32 v[73:74], 1.0, v[71:72]
	s_delay_alu instid0(VALU_DEP_2) | instskip(NEXT) | instid1(VALU_DEP_2)
	v_add_f64_e64 v[57:58], v[53:54], -v[57:58]
	v_add_f64_e64 v[53:54], v[53:54], -v[73:74]
	s_delay_alu instid0(VALU_DEP_2) | instskip(NEXT) | instid1(VALU_DEP_2)
	v_add_f64_e32 v[57:58], v[55:56], v[57:58]
	v_add_f64_e32 v[53:54], v[55:56], v[53:54]
	s_delay_alu instid0(VALU_DEP_2) | instskip(NEXT) | instid1(VALU_DEP_2)
	v_add_f64_e32 v[61:62], v[59:60], v[57:58]
	v_add_f64_e32 v[73:74], v[71:72], v[53:54]
	s_delay_alu instid0(VALU_DEP_2) | instskip(SKIP_1) | instid1(VALU_DEP_2)
	v_rcp_f64_e32 v[69:70], v[61:62]
	v_add_f64_e64 v[59:60], v[61:62], -v[59:60]
	v_add_f64_e64 v[71:72], v[73:74], -v[71:72]
	s_delay_alu instid0(VALU_DEP_2) | instskip(NEXT) | instid1(TRANS32_DEP_1)
	v_add_f64_e64 v[57:58], v[57:58], -v[59:60]
	v_fma_f64 v[75:76], -v[61:62], v[69:70], 1.0
	s_delay_alu instid0(VALU_DEP_3) | instskip(NEXT) | instid1(VALU_DEP_2)
	v_add_f64_e64 v[53:54], v[53:54], -v[71:72]
	v_fma_f64 v[69:70], v[75:76], v[69:70], v[69:70]
	s_delay_alu instid0(VALU_DEP_1) | instskip(NEXT) | instid1(VALU_DEP_1)
	v_fma_f64 v[55:56], -v[61:62], v[69:70], 1.0
	v_fma_f64 v[55:56], v[55:56], v[69:70], v[69:70]
	s_delay_alu instid0(VALU_DEP_1) | instskip(NEXT) | instid1(VALU_DEP_1)
	v_mul_f64_e32 v[69:70], v[73:74], v[55:56]
	v_mul_f64_e32 v[75:76], v[61:62], v[69:70]
	s_delay_alu instid0(VALU_DEP_1) | instskip(NEXT) | instid1(VALU_DEP_1)
	v_fma_f64 v[59:60], v[69:70], v[61:62], -v[75:76]
	v_fma_f64 v[59:60], v[69:70], v[57:58], v[59:60]
	s_delay_alu instid0(VALU_DEP_1) | instskip(NEXT) | instid1(VALU_DEP_1)
	v_add_f64_e32 v[96:97], v[75:76], v[59:60]
	v_add_f64_e64 v[98:99], v[73:74], -v[96:97]
	v_add_f64_e64 v[71:72], v[96:97], -v[75:76]
	s_delay_alu instid0(VALU_DEP_2) | instskip(NEXT) | instid1(VALU_DEP_2)
	v_add_f64_e64 v[73:74], v[73:74], -v[98:99]
	v_add_f64_e64 v[59:60], v[71:72], -v[59:60]
	s_delay_alu instid0(VALU_DEP_2) | instskip(NEXT) | instid1(VALU_DEP_1)
	v_add_f64_e64 v[73:74], v[73:74], -v[96:97]
	v_add_f64_e32 v[53:54], v[53:54], v[73:74]
	s_delay_alu instid0(VALU_DEP_1) | instskip(NEXT) | instid1(VALU_DEP_1)
	v_add_f64_e32 v[53:54], v[59:60], v[53:54]
	v_add_f64_e32 v[59:60], v[98:99], v[53:54]
	s_delay_alu instid0(VALU_DEP_1) | instskip(SKIP_1) | instid1(VALU_DEP_2)
	v_mul_f64_e32 v[71:72], v[55:56], v[59:60]
	v_add_f64_e64 v[96:97], v[98:99], -v[59:60]
	v_mul_f64_e32 v[73:74], v[61:62], v[71:72]
	s_delay_alu instid0(VALU_DEP_2) | instskip(NEXT) | instid1(VALU_DEP_2)
	v_add_f64_e32 v[53:54], v[53:54], v[96:97]
	v_fma_f64 v[61:62], v[71:72], v[61:62], -v[73:74]
	s_delay_alu instid0(VALU_DEP_1) | instskip(NEXT) | instid1(VALU_DEP_1)
	v_fma_f64 v[57:58], v[71:72], v[57:58], v[61:62]
	v_add_f64_e32 v[61:62], v[73:74], v[57:58]
	s_delay_alu instid0(VALU_DEP_1) | instskip(SKIP_1) | instid1(VALU_DEP_2)
	v_add_f64_e64 v[75:76], v[59:60], -v[61:62]
	v_add_f64_e64 v[73:74], v[61:62], -v[73:74]
	;; [unrolled: 1-line block ×3, first 2 shown]
	s_delay_alu instid0(VALU_DEP_2) | instskip(NEXT) | instid1(VALU_DEP_2)
	v_add_f64_e64 v[57:58], v[73:74], -v[57:58]
	v_add_f64_e64 v[59:60], v[59:60], -v[61:62]
	s_delay_alu instid0(VALU_DEP_1) | instskip(SKIP_1) | instid1(VALU_DEP_2)
	v_add_f64_e32 v[53:54], v[53:54], v[59:60]
	v_add_f64_e32 v[59:60], v[69:70], v[71:72]
	;; [unrolled: 1-line block ×3, first 2 shown]
	s_delay_alu instid0(VALU_DEP_2) | instskip(NEXT) | instid1(VALU_DEP_2)
	v_add_f64_e64 v[57:58], v[59:60], -v[69:70]
	v_add_f64_e32 v[53:54], v[75:76], v[53:54]
	s_delay_alu instid0(VALU_DEP_2) | instskip(NEXT) | instid1(VALU_DEP_2)
	v_add_f64_e64 v[57:58], v[71:72], -v[57:58]
	v_mul_f64_e32 v[53:54], v[55:56], v[53:54]
	s_delay_alu instid0(VALU_DEP_1) | instskip(NEXT) | instid1(VALU_DEP_1)
	v_add_f64_e32 v[53:54], v[57:58], v[53:54]
	v_add_f64_e32 v[55:56], v[59:60], v[53:54]
	s_delay_alu instid0(VALU_DEP_1) | instskip(NEXT) | instid1(VALU_DEP_1)
	v_mul_f64_e32 v[57:58], v[55:56], v[55:56]
	v_fma_f64 v[61:62], v[57:58], s[38:39], s[36:37]
	s_mov_b32 s36, 0xd7f4df2e
	s_mov_b32 s37, 0x3fc7474d
	v_mul_f64_e32 v[69:70], v[55:56], v[57:58]
	s_wait_alu 0xfffe
	s_delay_alu instid0(VALU_DEP_2) | instskip(SKIP_3) | instid1(VALU_DEP_1)
	v_fma_f64 v[61:62], v[57:58], v[61:62], s[36:37]
	s_mov_b32 s36, 0x16291751
	s_mov_b32 s37, 0x3fcc71c0
	s_wait_alu 0xfffe
	v_fma_f64 v[61:62], v[57:58], v[61:62], s[36:37]
	s_mov_b32 s36, 0x9b27acf1
	s_mov_b32 s37, 0x3fd24924
	s_wait_alu 0xfffe
	s_delay_alu instid0(VALU_DEP_1) | instskip(SKIP_3) | instid1(VALU_DEP_1)
	v_fma_f64 v[61:62], v[57:58], v[61:62], s[36:37]
	s_mov_b32 s36, 0x998ef7b6
	s_mov_b32 s37, 0x3fd99999
	s_wait_alu 0xfffe
	v_fma_f64 v[61:62], v[57:58], v[61:62], s[36:37]
	s_delay_alu instid0(VALU_DEP_1)
	v_fma_f64 v[57:58], v[57:58], v[61:62], s[26:27]
	v_ldexp_f64 v[61:62], v[55:56], 1
	v_add_f64_e64 v[55:56], v[55:56], -v[59:60]
	v_cmp_neq_f64_e64 s26, 0x7ff00000, v[51:52]
	v_cmp_ngt_f64_e64 s27, -1.0, v[51:52]
	v_mul_f64_e32 v[57:58], v[69:70], v[57:58]
	v_cvt_f64_i32_e32 v[69:70], v100
	v_add_f64_e64 v[53:54], v[53:54], -v[55:56]
	s_and_b32 s25, s25, s26
	s_delay_alu instid0(VALU_DEP_3) | instskip(NEXT) | instid1(VALU_DEP_3)
	v_add_f64_e32 v[59:60], v[61:62], v[57:58]
	v_mul_f64_e32 v[71:72], s[28:29], v[69:70]
	s_delay_alu instid0(VALU_DEP_3) | instskip(NEXT) | instid1(VALU_DEP_3)
	v_ldexp_f64 v[53:54], v[53:54], 1
	v_add_f64_e64 v[55:56], v[59:60], -v[61:62]
	s_delay_alu instid0(VALU_DEP_3) | instskip(NEXT) | instid1(VALU_DEP_2)
	v_fma_f64 v[61:62], v[69:70], s[28:29], -v[71:72]
	v_add_f64_e64 v[55:56], v[57:58], -v[55:56]
	s_delay_alu instid0(VALU_DEP_2) | instskip(NEXT) | instid1(VALU_DEP_2)
	v_fma_f64 v[57:58], v[69:70], s[30:31], v[61:62]
	v_add_f64_e32 v[53:54], v[53:54], v[55:56]
	s_delay_alu instid0(VALU_DEP_2) | instskip(NEXT) | instid1(VALU_DEP_2)
	v_add_f64_e32 v[55:56], v[71:72], v[57:58]
	v_add_f64_e32 v[61:62], v[59:60], v[53:54]
	s_delay_alu instid0(VALU_DEP_2) | instskip(NEXT) | instid1(VALU_DEP_2)
	v_add_f64_e64 v[71:72], v[55:56], -v[71:72]
	v_add_f64_e32 v[69:70], v[55:56], v[61:62]
	v_add_f64_e64 v[59:60], v[61:62], -v[59:60]
	s_delay_alu instid0(VALU_DEP_3) | instskip(NEXT) | instid1(VALU_DEP_3)
	v_add_f64_e64 v[57:58], v[57:58], -v[71:72]
	v_add_f64_e64 v[73:74], v[69:70], -v[55:56]
	s_delay_alu instid0(VALU_DEP_3) | instskip(NEXT) | instid1(VALU_DEP_2)
	v_add_f64_e64 v[53:54], v[53:54], -v[59:60]
	v_add_f64_e64 v[75:76], v[69:70], -v[73:74]
	;; [unrolled: 1-line block ×3, first 2 shown]
	s_delay_alu instid0(VALU_DEP_3) | instskip(NEXT) | instid1(VALU_DEP_3)
	v_add_f64_e32 v[61:62], v[57:58], v[53:54]
	v_add_f64_e64 v[55:56], v[55:56], -v[75:76]
	s_delay_alu instid0(VALU_DEP_1) | instskip(NEXT) | instid1(VALU_DEP_3)
	v_add_f64_e32 v[55:56], v[59:60], v[55:56]
	v_add_f64_e64 v[59:60], v[61:62], -v[57:58]
	s_delay_alu instid0(VALU_DEP_2) | instskip(NEXT) | instid1(VALU_DEP_2)
	v_add_f64_e32 v[55:56], v[61:62], v[55:56]
	v_add_f64_e64 v[61:62], v[61:62], -v[59:60]
	v_add_f64_e64 v[53:54], v[53:54], -v[59:60]
	s_delay_alu instid0(VALU_DEP_3) | instskip(NEXT) | instid1(VALU_DEP_3)
	v_add_f64_e32 v[71:72], v[69:70], v[55:56]
	v_add_f64_e64 v[57:58], v[57:58], -v[61:62]
	s_delay_alu instid0(VALU_DEP_2) | instskip(NEXT) | instid1(VALU_DEP_2)
	v_add_f64_e64 v[59:60], v[71:72], -v[69:70]
	v_add_f64_e32 v[53:54], v[53:54], v[57:58]
	s_delay_alu instid0(VALU_DEP_2) | instskip(NEXT) | instid1(VALU_DEP_1)
	v_add_f64_e64 v[55:56], v[55:56], -v[59:60]
	v_add_f64_e32 v[53:54], v[53:54], v[55:56]
	s_delay_alu instid0(VALU_DEP_1) | instskip(SKIP_1) | instid1(VALU_DEP_1)
	v_add_f64_e32 v[53:54], v[71:72], v[53:54]
	s_wait_alu 0xfffe
	v_cndmask_b32_e64 v53, 0, v53, s25
	v_cmp_neq_f64_e64 s25, -1.0, v[51:52]
	s_delay_alu instid0(VALU_DEP_3) | instskip(NEXT) | instid1(VALU_DEP_1)
	v_cndmask_b32_e64 v54, 0x7ff00000, v54, s26
	v_cndmask_b32_e64 v54, 0x7ff80000, v54, s27
	s_wait_alu 0xf1ff
	s_delay_alu instid0(VALU_DEP_1) | instskip(NEXT) | instid1(VALU_DEP_1)
	v_cndmask_b32_e64 v54, 0xfff00000, v54, s25
	v_add_f64_e32 v[69:70], v[49:50], v[53:54]
.LBB61_48:
	s_wait_alu 0xfffe
	s_or_b32 exec_lo, exec_lo, s34
	v_max_num_f64_e32 v[49:50], v[19:20], v[19:20]
	s_delay_alu instid0(VALU_DEP_2) | instskip(SKIP_2) | instid1(VALU_DEP_3)
	v_max_num_f64_e32 v[51:52], v[69:70], v[69:70]
	v_cmp_u_f64_e64 s26, v[69:70], v[69:70]
	v_cmp_u_f64_e64 s25, v[19:20], v[19:20]
	v_min_num_f64_e32 v[53:54], v[51:52], v[49:50]
	v_max_num_f64_e32 v[51:52], v[51:52], v[49:50]
	s_wait_alu 0xf1ff
	s_delay_alu instid0(VALU_DEP_2) | instskip(NEXT) | instid1(VALU_DEP_3)
	v_cndmask_b32_e64 v53, v53, v69, s26
	v_cndmask_b32_e64 v54, v54, v70, s26
	s_delay_alu instid0(VALU_DEP_3) | instskip(NEXT) | instid1(VALU_DEP_4)
	v_cndmask_b32_e64 v52, v52, v70, s26
	v_cndmask_b32_e64 v51, v51, v69, s26
	s_delay_alu instid0(VALU_DEP_4) | instskip(NEXT) | instid1(VALU_DEP_4)
	v_cndmask_b32_e64 v53, v53, v19, s25
	v_cndmask_b32_e64 v54, v54, v20, s25
	s_delay_alu instid0(VALU_DEP_4) | instskip(NEXT) | instid1(VALU_DEP_4)
	v_cndmask_b32_e64 v52, v52, v20, s25
	v_cndmask_b32_e64 v51, v51, v19, s25
	s_delay_alu instid0(VALU_DEP_3) | instskip(NEXT) | instid1(VALU_DEP_2)
	v_cmp_class_f64_e64 s27, v[53:54], 0x1f8
	v_cmp_neq_f64_e64 s26, v[53:54], v[51:52]
	s_or_b32 s26, s26, s27
	s_wait_alu 0xfffe
	s_and_saveexec_b32 s34, s26
	s_cbranch_execz .LBB61_50
; %bb.49:
	v_add_f64_e64 v[53:54], v[53:54], -v[51:52]
	s_mov_b32 s26, 0x652b82fe
	s_mov_b32 s27, 0x3ff71547
	;; [unrolled: 1-line block ×10, first 2 shown]
	s_wait_alu 0xfffe
	s_delay_alu instid0(VALU_DEP_1) | instskip(SKIP_2) | instid1(VALU_DEP_1)
	v_mul_f64_e32 v[55:56], s[26:27], v[53:54]
	s_mov_b32 s26, 0xfca7ab0c
	s_mov_b32 s27, 0x3e928af3
	v_rndne_f64_e32 v[55:56], v[55:56]
	s_delay_alu instid0(VALU_DEP_1) | instskip(SKIP_2) | instid1(VALU_DEP_2)
	v_fma_f64 v[57:58], v[55:56], s[28:29], v[53:54]
	v_cvt_i32_f64_e32 v61, v[55:56]
	s_mov_b32 s29, 0x3fe62e42
	v_fma_f64 v[57:58], v[55:56], s[30:31], v[57:58]
	s_mov_b32 s31, 0x3c7abc9e
	s_wait_alu 0xfffe
	s_delay_alu instid0(VALU_DEP_1)
	v_fma_f64 v[59:60], v[57:58], s[36:37], s[26:27]
	s_mov_b32 s26, 0x623fde64
	s_mov_b32 s27, 0x3ec71dee
	;; [unrolled: 1-line block ×4, first 2 shown]
	s_wait_alu 0xfffe
	s_delay_alu instid0(VALU_DEP_1) | instskip(SKIP_3) | instid1(VALU_DEP_1)
	v_fma_f64 v[59:60], v[57:58], v[59:60], s[26:27]
	s_mov_b32 s26, 0x7c89e6b0
	s_mov_b32 s27, 0x3efa0199
	s_wait_alu 0xfffe
	v_fma_f64 v[59:60], v[57:58], v[59:60], s[26:27]
	s_mov_b32 s26, 0x14761f6e
	s_mov_b32 s27, 0x3f2a01a0
	s_wait_alu 0xfffe
	s_delay_alu instid0(VALU_DEP_1) | instskip(SKIP_3) | instid1(VALU_DEP_1)
	v_fma_f64 v[59:60], v[57:58], v[59:60], s[26:27]
	s_mov_b32 s26, 0x1852b7b0
	s_mov_b32 s27, 0x3f56c16c
	s_wait_alu 0xfffe
	v_fma_f64 v[59:60], v[57:58], v[59:60], s[26:27]
	s_mov_b32 s26, 0x11122322
	s_mov_b32 s27, 0x3f811111
	;; [unrolled: 9-line block ×3, first 2 shown]
	s_wait_alu 0xfffe
	s_delay_alu instid0(VALU_DEP_1) | instskip(SKIP_3) | instid1(VALU_DEP_1)
	v_fma_f64 v[59:60], v[57:58], v[59:60], s[26:27]
	s_mov_b32 s26, 11
	s_mov_b32 s27, 0x3fe00000
	s_wait_alu 0xfffe
	v_fma_f64 v[59:60], v[57:58], v[59:60], s[26:27]
	v_cmp_nlt_f64_e64 s26, 0x40900000, v[53:54]
	v_cmp_ngt_f64_e64 s27, 0xc090cc00, v[53:54]
	s_delay_alu instid0(VALU_DEP_3) | instskip(NEXT) | instid1(VALU_DEP_1)
	v_fma_f64 v[59:60], v[57:58], v[59:60], 1.0
	v_fma_f64 v[55:56], v[57:58], v[59:60], 1.0
	s_delay_alu instid0(VALU_DEP_1) | instskip(SKIP_1) | instid1(VALU_DEP_1)
	v_ldexp_f64 v[55:56], v[55:56], v61
	s_wait_alu 0xf1ff
	v_cndmask_b32_e64 v56, 0x7ff00000, v56, s26
	s_and_b32 s26, s27, s26
	s_wait_alu 0xfffe
	s_delay_alu instid0(VALU_DEP_2) | instskip(SKIP_3) | instid1(VALU_DEP_1)
	v_cndmask_b32_e64 v53, 0, v55, s26
	s_mov_b32 s26, 0x55555555
	v_cndmask_b32_e64 v54, 0, v56, s27
	s_mov_b32 s27, 0x3fe55555
	v_add_f64_e32 v[55:56], 1.0, v[53:54]
	s_delay_alu instid0(VALU_DEP_1) | instskip(SKIP_3) | instid1(VALU_DEP_3)
	v_frexp_mant_f64_e32 v[57:58], v[55:56]
	v_frexp_exp_i32_f64_e32 v61, v[55:56]
	v_add_f64_e32 v[59:60], -1.0, v[55:56]
	s_wait_alu 0xfffe
	v_cmp_gt_f64_e64 s26, s[26:27], v[57:58]
	s_delay_alu instid0(VALU_DEP_2) | instskip(SKIP_2) | instid1(VALU_DEP_3)
	v_add_f64_e64 v[57:58], v[59:60], -v[55:56]
	v_add_f64_e64 v[59:60], v[53:54], -v[59:60]
	s_wait_alu 0xf1ff
	v_subrev_co_ci_u32_e64 v102, null, 0, v61, s26
	s_delay_alu instid0(VALU_DEP_3) | instskip(SKIP_1) | instid1(VALU_DEP_2)
	v_add_f64_e32 v[57:58], 1.0, v[57:58]
	s_mov_b32 s26, 0x55555780
	v_sub_nc_u32_e32 v69, 0, v102
	s_delay_alu instid0(VALU_DEP_1) | instskip(NEXT) | instid1(VALU_DEP_3)
	v_ldexp_f64 v[55:56], v[55:56], v69
	v_add_f64_e32 v[57:58], v[59:60], v[57:58]
	s_delay_alu instid0(VALU_DEP_2) | instskip(SKIP_1) | instid1(VALU_DEP_3)
	v_add_f64_e32 v[61:62], 1.0, v[55:56]
	v_add_f64_e32 v[73:74], -1.0, v[55:56]
	v_ldexp_f64 v[57:58], v[57:58], v69
	s_delay_alu instid0(VALU_DEP_3) | instskip(NEXT) | instid1(VALU_DEP_3)
	v_add_f64_e32 v[59:60], -1.0, v[61:62]
	v_add_f64_e32 v[75:76], 1.0, v[73:74]
	s_delay_alu instid0(VALU_DEP_2) | instskip(NEXT) | instid1(VALU_DEP_2)
	v_add_f64_e64 v[59:60], v[55:56], -v[59:60]
	v_add_f64_e64 v[55:56], v[55:56], -v[75:76]
	s_delay_alu instid0(VALU_DEP_2) | instskip(NEXT) | instid1(VALU_DEP_2)
	v_add_f64_e32 v[59:60], v[57:58], v[59:60]
	v_add_f64_e32 v[55:56], v[57:58], v[55:56]
	s_delay_alu instid0(VALU_DEP_2) | instskip(NEXT) | instid1(VALU_DEP_2)
	v_add_f64_e32 v[69:70], v[61:62], v[59:60]
	v_add_f64_e32 v[75:76], v[73:74], v[55:56]
	s_delay_alu instid0(VALU_DEP_2) | instskip(SKIP_1) | instid1(VALU_DEP_2)
	v_rcp_f64_e32 v[71:72], v[69:70]
	v_add_f64_e64 v[61:62], v[69:70], -v[61:62]
	v_add_f64_e64 v[73:74], v[75:76], -v[73:74]
	s_delay_alu instid0(VALU_DEP_2) | instskip(NEXT) | instid1(TRANS32_DEP_1)
	v_add_f64_e64 v[59:60], v[59:60], -v[61:62]
	v_fma_f64 v[96:97], -v[69:70], v[71:72], 1.0
	s_delay_alu instid0(VALU_DEP_3) | instskip(NEXT) | instid1(VALU_DEP_2)
	v_add_f64_e64 v[55:56], v[55:56], -v[73:74]
	v_fma_f64 v[71:72], v[96:97], v[71:72], v[71:72]
	s_delay_alu instid0(VALU_DEP_1) | instskip(NEXT) | instid1(VALU_DEP_1)
	v_fma_f64 v[57:58], -v[69:70], v[71:72], 1.0
	v_fma_f64 v[57:58], v[57:58], v[71:72], v[71:72]
	s_delay_alu instid0(VALU_DEP_1) | instskip(NEXT) | instid1(VALU_DEP_1)
	v_mul_f64_e32 v[71:72], v[75:76], v[57:58]
	v_mul_f64_e32 v[96:97], v[69:70], v[71:72]
	s_delay_alu instid0(VALU_DEP_1) | instskip(NEXT) | instid1(VALU_DEP_1)
	v_fma_f64 v[61:62], v[71:72], v[69:70], -v[96:97]
	v_fma_f64 v[61:62], v[71:72], v[59:60], v[61:62]
	s_delay_alu instid0(VALU_DEP_1) | instskip(NEXT) | instid1(VALU_DEP_1)
	v_add_f64_e32 v[98:99], v[96:97], v[61:62]
	v_add_f64_e64 v[100:101], v[75:76], -v[98:99]
	v_add_f64_e64 v[73:74], v[98:99], -v[96:97]
	s_delay_alu instid0(VALU_DEP_2) | instskip(NEXT) | instid1(VALU_DEP_2)
	v_add_f64_e64 v[75:76], v[75:76], -v[100:101]
	v_add_f64_e64 v[61:62], v[73:74], -v[61:62]
	s_delay_alu instid0(VALU_DEP_2) | instskip(NEXT) | instid1(VALU_DEP_1)
	v_add_f64_e64 v[75:76], v[75:76], -v[98:99]
	v_add_f64_e32 v[55:56], v[55:56], v[75:76]
	s_delay_alu instid0(VALU_DEP_1) | instskip(NEXT) | instid1(VALU_DEP_1)
	v_add_f64_e32 v[55:56], v[61:62], v[55:56]
	v_add_f64_e32 v[61:62], v[100:101], v[55:56]
	s_delay_alu instid0(VALU_DEP_1) | instskip(SKIP_1) | instid1(VALU_DEP_2)
	v_mul_f64_e32 v[73:74], v[57:58], v[61:62]
	v_add_f64_e64 v[98:99], v[100:101], -v[61:62]
	v_mul_f64_e32 v[75:76], v[69:70], v[73:74]
	s_delay_alu instid0(VALU_DEP_2) | instskip(NEXT) | instid1(VALU_DEP_2)
	v_add_f64_e32 v[55:56], v[55:56], v[98:99]
	v_fma_f64 v[69:70], v[73:74], v[69:70], -v[75:76]
	s_delay_alu instid0(VALU_DEP_1) | instskip(NEXT) | instid1(VALU_DEP_1)
	v_fma_f64 v[59:60], v[73:74], v[59:60], v[69:70]
	v_add_f64_e32 v[69:70], v[75:76], v[59:60]
	s_delay_alu instid0(VALU_DEP_1) | instskip(SKIP_1) | instid1(VALU_DEP_2)
	v_add_f64_e64 v[96:97], v[61:62], -v[69:70]
	v_add_f64_e64 v[75:76], v[69:70], -v[75:76]
	;; [unrolled: 1-line block ×3, first 2 shown]
	s_delay_alu instid0(VALU_DEP_2) | instskip(NEXT) | instid1(VALU_DEP_2)
	v_add_f64_e64 v[59:60], v[75:76], -v[59:60]
	v_add_f64_e64 v[61:62], v[61:62], -v[69:70]
	s_delay_alu instid0(VALU_DEP_1) | instskip(SKIP_1) | instid1(VALU_DEP_2)
	v_add_f64_e32 v[55:56], v[55:56], v[61:62]
	v_add_f64_e32 v[61:62], v[71:72], v[73:74]
	;; [unrolled: 1-line block ×3, first 2 shown]
	s_delay_alu instid0(VALU_DEP_2) | instskip(NEXT) | instid1(VALU_DEP_2)
	v_add_f64_e64 v[59:60], v[61:62], -v[71:72]
	v_add_f64_e32 v[55:56], v[96:97], v[55:56]
	s_delay_alu instid0(VALU_DEP_2) | instskip(NEXT) | instid1(VALU_DEP_2)
	v_add_f64_e64 v[59:60], v[73:74], -v[59:60]
	v_mul_f64_e32 v[55:56], v[57:58], v[55:56]
	s_delay_alu instid0(VALU_DEP_1) | instskip(NEXT) | instid1(VALU_DEP_1)
	v_add_f64_e32 v[55:56], v[59:60], v[55:56]
	v_add_f64_e32 v[57:58], v[61:62], v[55:56]
	s_delay_alu instid0(VALU_DEP_1) | instskip(NEXT) | instid1(VALU_DEP_1)
	v_mul_f64_e32 v[59:60], v[57:58], v[57:58]
	v_fma_f64 v[69:70], v[59:60], s[38:39], s[36:37]
	s_mov_b32 s36, 0xd7f4df2e
	s_mov_b32 s37, 0x3fc7474d
	v_mul_f64_e32 v[71:72], v[57:58], v[59:60]
	s_wait_alu 0xfffe
	s_delay_alu instid0(VALU_DEP_2) | instskip(SKIP_3) | instid1(VALU_DEP_1)
	v_fma_f64 v[69:70], v[59:60], v[69:70], s[36:37]
	s_mov_b32 s36, 0x16291751
	s_mov_b32 s37, 0x3fcc71c0
	s_wait_alu 0xfffe
	v_fma_f64 v[69:70], v[59:60], v[69:70], s[36:37]
	s_mov_b32 s36, 0x9b27acf1
	s_mov_b32 s37, 0x3fd24924
	s_wait_alu 0xfffe
	s_delay_alu instid0(VALU_DEP_1) | instskip(SKIP_3) | instid1(VALU_DEP_1)
	v_fma_f64 v[69:70], v[59:60], v[69:70], s[36:37]
	s_mov_b32 s36, 0x998ef7b6
	s_mov_b32 s37, 0x3fd99999
	s_wait_alu 0xfffe
	v_fma_f64 v[69:70], v[59:60], v[69:70], s[36:37]
	s_delay_alu instid0(VALU_DEP_1)
	v_fma_f64 v[59:60], v[59:60], v[69:70], s[26:27]
	v_ldexp_f64 v[69:70], v[57:58], 1
	v_add_f64_e64 v[57:58], v[57:58], -v[61:62]
	v_cmp_nge_f64_e64 s26, -1.0, v[53:54]
	v_cmp_neq_f64_e64 s27, 0x7ff00000, v[53:54]
	v_mul_f64_e32 v[59:60], v[71:72], v[59:60]
	v_cvt_f64_i32_e32 v[71:72], v102
	v_add_f64_e64 v[55:56], v[55:56], -v[57:58]
	s_and_b32 s26, s26, s27
	s_delay_alu instid0(VALU_DEP_3) | instskip(NEXT) | instid1(VALU_DEP_3)
	v_add_f64_e32 v[61:62], v[69:70], v[59:60]
	v_mul_f64_e32 v[73:74], s[28:29], v[71:72]
	s_delay_alu instid0(VALU_DEP_3) | instskip(NEXT) | instid1(VALU_DEP_3)
	v_ldexp_f64 v[55:56], v[55:56], 1
	v_add_f64_e64 v[57:58], v[61:62], -v[69:70]
	s_delay_alu instid0(VALU_DEP_3) | instskip(SKIP_1) | instid1(VALU_DEP_3)
	v_fma_f64 v[69:70], v[71:72], s[28:29], -v[73:74]
	v_cmp_ngt_f64_e64 s28, -1.0, v[53:54]
	v_add_f64_e64 v[57:58], v[59:60], -v[57:58]
	s_delay_alu instid0(VALU_DEP_3) | instskip(NEXT) | instid1(VALU_DEP_2)
	v_fma_f64 v[59:60], v[71:72], s[30:31], v[69:70]
	v_add_f64_e32 v[55:56], v[55:56], v[57:58]
	s_delay_alu instid0(VALU_DEP_2) | instskip(NEXT) | instid1(VALU_DEP_2)
	v_add_f64_e32 v[57:58], v[73:74], v[59:60]
	v_add_f64_e32 v[69:70], v[61:62], v[55:56]
	s_delay_alu instid0(VALU_DEP_2) | instskip(NEXT) | instid1(VALU_DEP_2)
	v_add_f64_e64 v[73:74], v[57:58], -v[73:74]
	v_add_f64_e32 v[71:72], v[57:58], v[69:70]
	v_add_f64_e64 v[61:62], v[69:70], -v[61:62]
	s_delay_alu instid0(VALU_DEP_3) | instskip(NEXT) | instid1(VALU_DEP_3)
	v_add_f64_e64 v[59:60], v[59:60], -v[73:74]
	v_add_f64_e64 v[75:76], v[71:72], -v[57:58]
	s_delay_alu instid0(VALU_DEP_3) | instskip(NEXT) | instid1(VALU_DEP_2)
	v_add_f64_e64 v[55:56], v[55:56], -v[61:62]
	v_add_f64_e64 v[96:97], v[71:72], -v[75:76]
	;; [unrolled: 1-line block ×3, first 2 shown]
	s_delay_alu instid0(VALU_DEP_3) | instskip(NEXT) | instid1(VALU_DEP_3)
	v_add_f64_e32 v[69:70], v[59:60], v[55:56]
	v_add_f64_e64 v[57:58], v[57:58], -v[96:97]
	s_delay_alu instid0(VALU_DEP_1) | instskip(NEXT) | instid1(VALU_DEP_3)
	v_add_f64_e32 v[57:58], v[61:62], v[57:58]
	v_add_f64_e64 v[61:62], v[69:70], -v[59:60]
	s_delay_alu instid0(VALU_DEP_2) | instskip(NEXT) | instid1(VALU_DEP_2)
	v_add_f64_e32 v[57:58], v[69:70], v[57:58]
	v_add_f64_e64 v[69:70], v[69:70], -v[61:62]
	v_add_f64_e64 v[55:56], v[55:56], -v[61:62]
	s_delay_alu instid0(VALU_DEP_3) | instskip(NEXT) | instid1(VALU_DEP_3)
	v_add_f64_e32 v[73:74], v[71:72], v[57:58]
	v_add_f64_e64 v[59:60], v[59:60], -v[69:70]
	s_delay_alu instid0(VALU_DEP_2) | instskip(NEXT) | instid1(VALU_DEP_2)
	v_add_f64_e64 v[61:62], v[73:74], -v[71:72]
	v_add_f64_e32 v[55:56], v[55:56], v[59:60]
	s_delay_alu instid0(VALU_DEP_2) | instskip(NEXT) | instid1(VALU_DEP_1)
	v_add_f64_e64 v[57:58], v[57:58], -v[61:62]
	v_add_f64_e32 v[55:56], v[55:56], v[57:58]
	s_delay_alu instid0(VALU_DEP_1) | instskip(SKIP_1) | instid1(VALU_DEP_1)
	v_add_f64_e32 v[55:56], v[73:74], v[55:56]
	s_wait_alu 0xfffe
	v_cndmask_b32_e64 v55, 0, v55, s26
	v_cmp_neq_f64_e64 s26, -1.0, v[53:54]
	s_delay_alu instid0(VALU_DEP_3) | instskip(SKIP_1) | instid1(VALU_DEP_1)
	v_cndmask_b32_e64 v56, 0x7ff00000, v56, s27
	s_wait_alu 0xf1ff
	v_cndmask_b32_e64 v56, 0x7ff80000, v56, s28
	s_delay_alu instid0(VALU_DEP_1) | instskip(NEXT) | instid1(VALU_DEP_1)
	v_cndmask_b32_e64 v56, 0xfff00000, v56, s26
	v_add_f64_e32 v[69:70], v[51:52], v[55:56]
.LBB61_50:
	s_wait_alu 0xfffe
	s_or_b32 exec_lo, exec_lo, s34
	v_max_num_f64_e32 v[51:52], v[13:14], v[13:14]
	s_delay_alu instid0(VALU_DEP_2) | instskip(SKIP_2) | instid1(VALU_DEP_3)
	v_max_num_f64_e32 v[53:54], v[69:70], v[69:70]
	v_cmp_u_f64_e64 s27, v[69:70], v[69:70]
	v_cmp_u_f64_e64 s26, v[13:14], v[13:14]
	v_min_num_f64_e32 v[55:56], v[53:54], v[51:52]
	v_max_num_f64_e32 v[53:54], v[53:54], v[51:52]
	s_wait_alu 0xf1ff
	s_delay_alu instid0(VALU_DEP_2) | instskip(NEXT) | instid1(VALU_DEP_3)
	v_cndmask_b32_e64 v55, v55, v69, s27
	v_cndmask_b32_e64 v56, v56, v70, s27
	s_delay_alu instid0(VALU_DEP_3) | instskip(NEXT) | instid1(VALU_DEP_4)
	v_cndmask_b32_e64 v54, v54, v70, s27
	v_cndmask_b32_e64 v53, v53, v69, s27
	s_delay_alu instid0(VALU_DEP_4) | instskip(NEXT) | instid1(VALU_DEP_4)
	v_cndmask_b32_e64 v55, v55, v13, s26
	v_cndmask_b32_e64 v56, v56, v14, s26
	s_delay_alu instid0(VALU_DEP_4) | instskip(NEXT) | instid1(VALU_DEP_4)
	v_cndmask_b32_e64 v54, v54, v14, s26
	v_cndmask_b32_e64 v53, v53, v13, s26
	s_delay_alu instid0(VALU_DEP_3) | instskip(NEXT) | instid1(VALU_DEP_2)
	v_cmp_class_f64_e64 s28, v[55:56], 0x1f8
	v_cmp_neq_f64_e64 s27, v[55:56], v[53:54]
	s_or_b32 s27, s27, s28
	s_wait_alu 0xfffe
	s_and_saveexec_b32 s36, s27
	s_cbranch_execz .LBB61_52
; %bb.51:
	v_add_f64_e64 v[55:56], v[55:56], -v[53:54]
	s_mov_b32 s28, 0x652b82fe
	s_mov_b32 s29, 0x3ff71547
	;; [unrolled: 1-line block ×10, first 2 shown]
	s_wait_alu 0xfffe
	s_delay_alu instid0(VALU_DEP_1) | instskip(SKIP_3) | instid1(VALU_DEP_2)
	v_mul_f64_e32 v[57:58], s[28:29], v[55:56]
	s_mov_b32 s28, 0xfca7ab0c
	s_mov_b32 s29, 0x3e928af3
	v_cmp_nlt_f64_e64 s27, 0x40900000, v[55:56]
	v_rndne_f64_e32 v[57:58], v[57:58]
	s_delay_alu instid0(VALU_DEP_1) | instskip(SKIP_2) | instid1(VALU_DEP_2)
	v_fma_f64 v[59:60], v[57:58], s[30:31], v[55:56]
	v_cvt_i32_f64_e32 v69, v[57:58]
	s_mov_b32 s31, 0x3fe62e42
	v_fma_f64 v[59:60], v[57:58], s[34:35], v[59:60]
	s_mov_b32 s35, 0x3c7abc9e
	s_wait_alu 0xfffe
	s_delay_alu instid0(VALU_DEP_1)
	v_fma_f64 v[61:62], v[59:60], s[38:39], s[28:29]
	s_mov_b32 s28, 0x623fde64
	s_mov_b32 s29, 0x3ec71dee
	;; [unrolled: 1-line block ×4, first 2 shown]
	s_wait_alu 0xfffe
	s_delay_alu instid0(VALU_DEP_1) | instskip(SKIP_3) | instid1(VALU_DEP_1)
	v_fma_f64 v[61:62], v[59:60], v[61:62], s[28:29]
	s_mov_b32 s28, 0x7c89e6b0
	s_mov_b32 s29, 0x3efa0199
	s_wait_alu 0xfffe
	v_fma_f64 v[61:62], v[59:60], v[61:62], s[28:29]
	s_mov_b32 s28, 0x14761f6e
	s_mov_b32 s29, 0x3f2a01a0
	s_wait_alu 0xfffe
	s_delay_alu instid0(VALU_DEP_1) | instskip(SKIP_3) | instid1(VALU_DEP_1)
	v_fma_f64 v[61:62], v[59:60], v[61:62], s[28:29]
	s_mov_b32 s28, 0x1852b7b0
	s_mov_b32 s29, 0x3f56c16c
	s_wait_alu 0xfffe
	v_fma_f64 v[61:62], v[59:60], v[61:62], s[28:29]
	s_mov_b32 s28, 0x11122322
	s_mov_b32 s29, 0x3f811111
	;; [unrolled: 9-line block ×3, first 2 shown]
	s_wait_alu 0xfffe
	s_delay_alu instid0(VALU_DEP_1) | instskip(SKIP_3) | instid1(VALU_DEP_1)
	v_fma_f64 v[61:62], v[59:60], v[61:62], s[28:29]
	s_mov_b32 s28, 11
	s_mov_b32 s29, 0x3fe00000
	s_wait_alu 0xfffe
	v_fma_f64 v[61:62], v[59:60], v[61:62], s[28:29]
	v_cmp_ngt_f64_e64 s28, 0xc090cc00, v[55:56]
	s_mov_b32 s29, 0x3fe55555
	v_fma_f64 v[61:62], v[59:60], v[61:62], 1.0
	s_delay_alu instid0(VALU_DEP_1) | instskip(NEXT) | instid1(VALU_DEP_1)
	v_fma_f64 v[57:58], v[59:60], v[61:62], 1.0
	v_ldexp_f64 v[57:58], v[57:58], v69
	s_wait_alu 0xf1ff
	s_delay_alu instid0(VALU_DEP_1) | instskip(SKIP_2) | instid1(VALU_DEP_2)
	v_cndmask_b32_e64 v58, 0x7ff00000, v58, s27
	s_and_b32 s27, s28, s27
	s_wait_alu 0xfffe
	v_cndmask_b32_e64 v55, 0, v57, s27
	s_delay_alu instid0(VALU_DEP_2) | instskip(SKIP_1) | instid1(VALU_DEP_1)
	v_cndmask_b32_e64 v56, 0, v58, s28
	s_mov_b32 s28, 0x55555555
	v_add_f64_e32 v[57:58], 1.0, v[55:56]
	s_delay_alu instid0(VALU_DEP_1) | instskip(SKIP_3) | instid1(VALU_DEP_3)
	v_frexp_mant_f64_e32 v[59:60], v[57:58]
	v_frexp_exp_i32_f64_e32 v69, v[57:58]
	v_add_f64_e32 v[61:62], -1.0, v[57:58]
	s_wait_alu 0xfffe
	v_cmp_gt_f64_e64 s27, s[28:29], v[59:60]
	s_mov_b32 s28, 0x55555780
	v_add_f64_e64 v[59:60], v[61:62], -v[57:58]
	v_add_f64_e64 v[61:62], v[55:56], -v[61:62]
	s_wait_alu 0xf1ff
	v_subrev_co_ci_u32_e64 v104, null, 0, v69, s27
	s_delay_alu instid0(VALU_DEP_3) | instskip(SKIP_1) | instid1(VALU_DEP_3)
	v_add_f64_e32 v[59:60], 1.0, v[59:60]
	v_cmp_nge_f64_e64 s27, -1.0, v[55:56]
	v_sub_nc_u32_e32 v71, 0, v104
	s_delay_alu instid0(VALU_DEP_1) | instskip(NEXT) | instid1(VALU_DEP_4)
	v_ldexp_f64 v[57:58], v[57:58], v71
	v_add_f64_e32 v[59:60], v[61:62], v[59:60]
	s_delay_alu instid0(VALU_DEP_2) | instskip(SKIP_1) | instid1(VALU_DEP_3)
	v_add_f64_e32 v[69:70], 1.0, v[57:58]
	v_add_f64_e32 v[75:76], -1.0, v[57:58]
	v_ldexp_f64 v[59:60], v[59:60], v71
	s_delay_alu instid0(VALU_DEP_3) | instskip(NEXT) | instid1(VALU_DEP_3)
	v_add_f64_e32 v[61:62], -1.0, v[69:70]
	v_add_f64_e32 v[96:97], 1.0, v[75:76]
	s_delay_alu instid0(VALU_DEP_2) | instskip(NEXT) | instid1(VALU_DEP_2)
	v_add_f64_e64 v[61:62], v[57:58], -v[61:62]
	v_add_f64_e64 v[57:58], v[57:58], -v[96:97]
	s_delay_alu instid0(VALU_DEP_2) | instskip(NEXT) | instid1(VALU_DEP_2)
	v_add_f64_e32 v[61:62], v[59:60], v[61:62]
	v_add_f64_e32 v[57:58], v[59:60], v[57:58]
	s_delay_alu instid0(VALU_DEP_2) | instskip(NEXT) | instid1(VALU_DEP_2)
	v_add_f64_e32 v[71:72], v[69:70], v[61:62]
	v_add_f64_e32 v[96:97], v[75:76], v[57:58]
	s_delay_alu instid0(VALU_DEP_2) | instskip(SKIP_1) | instid1(VALU_DEP_2)
	v_rcp_f64_e32 v[73:74], v[71:72]
	v_add_f64_e64 v[69:70], v[71:72], -v[69:70]
	v_add_f64_e64 v[75:76], v[96:97], -v[75:76]
	s_delay_alu instid0(VALU_DEP_2) | instskip(NEXT) | instid1(TRANS32_DEP_1)
	v_add_f64_e64 v[61:62], v[61:62], -v[69:70]
	v_fma_f64 v[98:99], -v[71:72], v[73:74], 1.0
	s_delay_alu instid0(VALU_DEP_3) | instskip(NEXT) | instid1(VALU_DEP_2)
	v_add_f64_e64 v[57:58], v[57:58], -v[75:76]
	v_fma_f64 v[73:74], v[98:99], v[73:74], v[73:74]
	s_delay_alu instid0(VALU_DEP_1) | instskip(NEXT) | instid1(VALU_DEP_1)
	v_fma_f64 v[59:60], -v[71:72], v[73:74], 1.0
	v_fma_f64 v[59:60], v[59:60], v[73:74], v[73:74]
	s_delay_alu instid0(VALU_DEP_1) | instskip(NEXT) | instid1(VALU_DEP_1)
	v_mul_f64_e32 v[73:74], v[96:97], v[59:60]
	v_mul_f64_e32 v[98:99], v[71:72], v[73:74]
	s_delay_alu instid0(VALU_DEP_1) | instskip(NEXT) | instid1(VALU_DEP_1)
	v_fma_f64 v[69:70], v[73:74], v[71:72], -v[98:99]
	v_fma_f64 v[69:70], v[73:74], v[61:62], v[69:70]
	s_delay_alu instid0(VALU_DEP_1) | instskip(NEXT) | instid1(VALU_DEP_1)
	v_add_f64_e32 v[100:101], v[98:99], v[69:70]
	v_add_f64_e64 v[102:103], v[96:97], -v[100:101]
	v_add_f64_e64 v[75:76], v[100:101], -v[98:99]
	s_delay_alu instid0(VALU_DEP_2) | instskip(NEXT) | instid1(VALU_DEP_2)
	v_add_f64_e64 v[96:97], v[96:97], -v[102:103]
	v_add_f64_e64 v[69:70], v[75:76], -v[69:70]
	s_delay_alu instid0(VALU_DEP_2) | instskip(NEXT) | instid1(VALU_DEP_1)
	v_add_f64_e64 v[96:97], v[96:97], -v[100:101]
	v_add_f64_e32 v[57:58], v[57:58], v[96:97]
	s_delay_alu instid0(VALU_DEP_1) | instskip(NEXT) | instid1(VALU_DEP_1)
	v_add_f64_e32 v[57:58], v[69:70], v[57:58]
	v_add_f64_e32 v[69:70], v[102:103], v[57:58]
	s_delay_alu instid0(VALU_DEP_1) | instskip(SKIP_1) | instid1(VALU_DEP_2)
	v_mul_f64_e32 v[75:76], v[59:60], v[69:70]
	v_add_f64_e64 v[100:101], v[102:103], -v[69:70]
	v_mul_f64_e32 v[96:97], v[71:72], v[75:76]
	s_delay_alu instid0(VALU_DEP_2) | instskip(NEXT) | instid1(VALU_DEP_2)
	v_add_f64_e32 v[57:58], v[57:58], v[100:101]
	v_fma_f64 v[71:72], v[75:76], v[71:72], -v[96:97]
	s_delay_alu instid0(VALU_DEP_1) | instskip(NEXT) | instid1(VALU_DEP_1)
	v_fma_f64 v[61:62], v[75:76], v[61:62], v[71:72]
	v_add_f64_e32 v[71:72], v[96:97], v[61:62]
	s_delay_alu instid0(VALU_DEP_1) | instskip(SKIP_1) | instid1(VALU_DEP_2)
	v_add_f64_e64 v[98:99], v[69:70], -v[71:72]
	v_add_f64_e64 v[96:97], v[71:72], -v[96:97]
	;; [unrolled: 1-line block ×3, first 2 shown]
	s_delay_alu instid0(VALU_DEP_2) | instskip(NEXT) | instid1(VALU_DEP_2)
	v_add_f64_e64 v[61:62], v[96:97], -v[61:62]
	v_add_f64_e64 v[69:70], v[69:70], -v[71:72]
	s_delay_alu instid0(VALU_DEP_1) | instskip(SKIP_1) | instid1(VALU_DEP_2)
	v_add_f64_e32 v[57:58], v[57:58], v[69:70]
	v_add_f64_e32 v[69:70], v[73:74], v[75:76]
	;; [unrolled: 1-line block ×3, first 2 shown]
	s_delay_alu instid0(VALU_DEP_2) | instskip(NEXT) | instid1(VALU_DEP_2)
	v_add_f64_e64 v[61:62], v[69:70], -v[73:74]
	v_add_f64_e32 v[57:58], v[98:99], v[57:58]
	s_delay_alu instid0(VALU_DEP_2) | instskip(NEXT) | instid1(VALU_DEP_2)
	v_add_f64_e64 v[61:62], v[75:76], -v[61:62]
	v_mul_f64_e32 v[57:58], v[59:60], v[57:58]
	s_delay_alu instid0(VALU_DEP_1) | instskip(NEXT) | instid1(VALU_DEP_1)
	v_add_f64_e32 v[57:58], v[61:62], v[57:58]
	v_add_f64_e32 v[59:60], v[69:70], v[57:58]
	s_delay_alu instid0(VALU_DEP_1) | instskip(NEXT) | instid1(VALU_DEP_1)
	v_mul_f64_e32 v[61:62], v[59:60], v[59:60]
	v_fma_f64 v[71:72], v[61:62], s[40:41], s[38:39]
	s_mov_b32 s38, 0xd7f4df2e
	s_mov_b32 s39, 0x3fc7474d
	v_mul_f64_e32 v[73:74], v[59:60], v[61:62]
	s_wait_alu 0xfffe
	s_delay_alu instid0(VALU_DEP_2) | instskip(SKIP_3) | instid1(VALU_DEP_1)
	v_fma_f64 v[71:72], v[61:62], v[71:72], s[38:39]
	s_mov_b32 s38, 0x16291751
	s_mov_b32 s39, 0x3fcc71c0
	s_wait_alu 0xfffe
	v_fma_f64 v[71:72], v[61:62], v[71:72], s[38:39]
	s_mov_b32 s38, 0x9b27acf1
	s_mov_b32 s39, 0x3fd24924
	s_wait_alu 0xfffe
	s_delay_alu instid0(VALU_DEP_1) | instskip(SKIP_3) | instid1(VALU_DEP_1)
	v_fma_f64 v[71:72], v[61:62], v[71:72], s[38:39]
	s_mov_b32 s38, 0x998ef7b6
	s_mov_b32 s39, 0x3fd99999
	s_wait_alu 0xfffe
	v_fma_f64 v[71:72], v[61:62], v[71:72], s[38:39]
	s_delay_alu instid0(VALU_DEP_1)
	v_fma_f64 v[61:62], v[61:62], v[71:72], s[28:29]
	v_ldexp_f64 v[71:72], v[59:60], 1
	v_add_f64_e64 v[59:60], v[59:60], -v[69:70]
	v_cmp_neq_f64_e64 s28, 0x7ff00000, v[55:56]
	v_cmp_ngt_f64_e64 s29, -1.0, v[55:56]
	v_mul_f64_e32 v[61:62], v[73:74], v[61:62]
	v_cvt_f64_i32_e32 v[73:74], v104
	v_add_f64_e64 v[57:58], v[57:58], -v[59:60]
	s_and_b32 s27, s27, s28
	s_delay_alu instid0(VALU_DEP_3) | instskip(NEXT) | instid1(VALU_DEP_3)
	v_add_f64_e32 v[69:70], v[71:72], v[61:62]
	v_mul_f64_e32 v[75:76], s[30:31], v[73:74]
	s_delay_alu instid0(VALU_DEP_3) | instskip(NEXT) | instid1(VALU_DEP_3)
	v_ldexp_f64 v[57:58], v[57:58], 1
	v_add_f64_e64 v[59:60], v[69:70], -v[71:72]
	s_delay_alu instid0(VALU_DEP_3) | instskip(NEXT) | instid1(VALU_DEP_2)
	v_fma_f64 v[71:72], v[73:74], s[30:31], -v[75:76]
	v_add_f64_e64 v[59:60], v[61:62], -v[59:60]
	s_delay_alu instid0(VALU_DEP_2) | instskip(NEXT) | instid1(VALU_DEP_2)
	v_fma_f64 v[61:62], v[73:74], s[34:35], v[71:72]
	v_add_f64_e32 v[57:58], v[57:58], v[59:60]
	s_delay_alu instid0(VALU_DEP_2) | instskip(NEXT) | instid1(VALU_DEP_2)
	v_add_f64_e32 v[59:60], v[75:76], v[61:62]
	v_add_f64_e32 v[71:72], v[69:70], v[57:58]
	s_delay_alu instid0(VALU_DEP_2) | instskip(NEXT) | instid1(VALU_DEP_2)
	v_add_f64_e64 v[75:76], v[59:60], -v[75:76]
	v_add_f64_e32 v[73:74], v[59:60], v[71:72]
	v_add_f64_e64 v[69:70], v[71:72], -v[69:70]
	s_delay_alu instid0(VALU_DEP_3) | instskip(NEXT) | instid1(VALU_DEP_3)
	v_add_f64_e64 v[61:62], v[61:62], -v[75:76]
	v_add_f64_e64 v[96:97], v[73:74], -v[59:60]
	s_delay_alu instid0(VALU_DEP_3) | instskip(NEXT) | instid1(VALU_DEP_2)
	v_add_f64_e64 v[57:58], v[57:58], -v[69:70]
	v_add_f64_e64 v[98:99], v[73:74], -v[96:97]
	;; [unrolled: 1-line block ×3, first 2 shown]
	s_delay_alu instid0(VALU_DEP_3) | instskip(NEXT) | instid1(VALU_DEP_3)
	v_add_f64_e32 v[71:72], v[61:62], v[57:58]
	v_add_f64_e64 v[59:60], v[59:60], -v[98:99]
	s_delay_alu instid0(VALU_DEP_1) | instskip(NEXT) | instid1(VALU_DEP_3)
	v_add_f64_e32 v[59:60], v[69:70], v[59:60]
	v_add_f64_e64 v[69:70], v[71:72], -v[61:62]
	s_delay_alu instid0(VALU_DEP_2) | instskip(NEXT) | instid1(VALU_DEP_2)
	v_add_f64_e32 v[59:60], v[71:72], v[59:60]
	v_add_f64_e64 v[71:72], v[71:72], -v[69:70]
	v_add_f64_e64 v[57:58], v[57:58], -v[69:70]
	s_delay_alu instid0(VALU_DEP_3) | instskip(NEXT) | instid1(VALU_DEP_3)
	v_add_f64_e32 v[75:76], v[73:74], v[59:60]
	v_add_f64_e64 v[61:62], v[61:62], -v[71:72]
	s_delay_alu instid0(VALU_DEP_2) | instskip(NEXT) | instid1(VALU_DEP_2)
	v_add_f64_e64 v[69:70], v[75:76], -v[73:74]
	v_add_f64_e32 v[57:58], v[57:58], v[61:62]
	s_delay_alu instid0(VALU_DEP_2) | instskip(NEXT) | instid1(VALU_DEP_1)
	v_add_f64_e64 v[59:60], v[59:60], -v[69:70]
	v_add_f64_e32 v[57:58], v[57:58], v[59:60]
	s_delay_alu instid0(VALU_DEP_1) | instskip(SKIP_1) | instid1(VALU_DEP_1)
	v_add_f64_e32 v[57:58], v[75:76], v[57:58]
	s_wait_alu 0xfffe
	v_cndmask_b32_e64 v57, 0, v57, s27
	v_cmp_neq_f64_e64 s27, -1.0, v[55:56]
	s_delay_alu instid0(VALU_DEP_3) | instskip(NEXT) | instid1(VALU_DEP_1)
	v_cndmask_b32_e64 v58, 0x7ff00000, v58, s28
	v_cndmask_b32_e64 v58, 0x7ff80000, v58, s29
	s_wait_alu 0xf1ff
	s_delay_alu instid0(VALU_DEP_1) | instskip(NEXT) | instid1(VALU_DEP_1)
	v_cndmask_b32_e64 v58, 0xfff00000, v58, s27
	v_add_f64_e32 v[69:70], v[53:54], v[57:58]
.LBB61_52:
	s_wait_alu 0xfffe
	s_or_b32 exec_lo, exec_lo, s36
	v_max_num_f64_e32 v[53:54], v[15:16], v[15:16]
	s_delay_alu instid0(VALU_DEP_2) | instskip(SKIP_2) | instid1(VALU_DEP_3)
	v_max_num_f64_e32 v[55:56], v[69:70], v[69:70]
	v_cmp_u_f64_e64 s28, v[69:70], v[69:70]
	v_cmp_u_f64_e64 s27, v[15:16], v[15:16]
	v_min_num_f64_e32 v[57:58], v[55:56], v[53:54]
	v_max_num_f64_e32 v[55:56], v[55:56], v[53:54]
	s_wait_alu 0xf1ff
	s_delay_alu instid0(VALU_DEP_2) | instskip(NEXT) | instid1(VALU_DEP_3)
	v_cndmask_b32_e64 v57, v57, v69, s28
	v_cndmask_b32_e64 v58, v58, v70, s28
	s_delay_alu instid0(VALU_DEP_3) | instskip(NEXT) | instid1(VALU_DEP_4)
	v_cndmask_b32_e64 v56, v56, v70, s28
	v_cndmask_b32_e64 v55, v55, v69, s28
	s_delay_alu instid0(VALU_DEP_4) | instskip(NEXT) | instid1(VALU_DEP_4)
	v_cndmask_b32_e64 v57, v57, v15, s27
	v_cndmask_b32_e64 v58, v58, v16, s27
	s_delay_alu instid0(VALU_DEP_4) | instskip(NEXT) | instid1(VALU_DEP_4)
	v_cndmask_b32_e64 v56, v56, v16, s27
	v_cndmask_b32_e64 v55, v55, v15, s27
	s_delay_alu instid0(VALU_DEP_3) | instskip(NEXT) | instid1(VALU_DEP_2)
	v_cmp_class_f64_e64 s29, v[57:58], 0x1f8
	v_cmp_neq_f64_e64 s28, v[57:58], v[55:56]
	s_or_b32 s28, s28, s29
	s_wait_alu 0xfffe
	s_and_saveexec_b32 s36, s28
	s_cbranch_execz .LBB61_54
; %bb.53:
	v_add_f64_e64 v[57:58], v[57:58], -v[55:56]
	s_mov_b32 s28, 0x652b82fe
	s_mov_b32 s29, 0x3ff71547
	s_mov_b32 s31, 0xbfe62e42
	s_mov_b32 s30, 0xfefa39ef
	s_mov_b32 s35, 0xbc7abc9e
	s_mov_b32 s34, 0x3b39803f
	s_mov_b32 s38, 0x6a5dcb37
	s_mov_b32 s39, 0x3e5ade15
	s_mov_b32 s40, 0xbf559e2b
	s_mov_b32 s41, 0x3fc3ab76
	s_wait_alu 0xfffe
	s_delay_alu instid0(VALU_DEP_1) | instskip(SKIP_2) | instid1(VALU_DEP_1)
	v_mul_f64_e32 v[59:60], s[28:29], v[57:58]
	s_mov_b32 s28, 0xfca7ab0c
	s_mov_b32 s29, 0x3e928af3
	v_rndne_f64_e32 v[59:60], v[59:60]
	s_delay_alu instid0(VALU_DEP_1) | instskip(SKIP_2) | instid1(VALU_DEP_2)
	v_fma_f64 v[61:62], v[59:60], s[30:31], v[57:58]
	v_cvt_i32_f64_e32 v71, v[59:60]
	s_mov_b32 s31, 0x3fe62e42
	v_fma_f64 v[61:62], v[59:60], s[34:35], v[61:62]
	s_mov_b32 s35, 0x3c7abc9e
	s_wait_alu 0xfffe
	s_delay_alu instid0(VALU_DEP_1)
	v_fma_f64 v[69:70], v[61:62], s[38:39], s[28:29]
	s_mov_b32 s28, 0x623fde64
	s_mov_b32 s29, 0x3ec71dee
	;; [unrolled: 1-line block ×4, first 2 shown]
	s_wait_alu 0xfffe
	s_delay_alu instid0(VALU_DEP_1) | instskip(SKIP_3) | instid1(VALU_DEP_1)
	v_fma_f64 v[69:70], v[61:62], v[69:70], s[28:29]
	s_mov_b32 s28, 0x7c89e6b0
	s_mov_b32 s29, 0x3efa0199
	s_wait_alu 0xfffe
	v_fma_f64 v[69:70], v[61:62], v[69:70], s[28:29]
	s_mov_b32 s28, 0x14761f6e
	s_mov_b32 s29, 0x3f2a01a0
	s_wait_alu 0xfffe
	s_delay_alu instid0(VALU_DEP_1) | instskip(SKIP_3) | instid1(VALU_DEP_1)
	v_fma_f64 v[69:70], v[61:62], v[69:70], s[28:29]
	s_mov_b32 s28, 0x1852b7b0
	s_mov_b32 s29, 0x3f56c16c
	s_wait_alu 0xfffe
	v_fma_f64 v[69:70], v[61:62], v[69:70], s[28:29]
	s_mov_b32 s28, 0x11122322
	s_mov_b32 s29, 0x3f811111
	;; [unrolled: 9-line block ×3, first 2 shown]
	s_wait_alu 0xfffe
	s_delay_alu instid0(VALU_DEP_1) | instskip(SKIP_3) | instid1(VALU_DEP_1)
	v_fma_f64 v[69:70], v[61:62], v[69:70], s[28:29]
	s_mov_b32 s28, 11
	s_mov_b32 s29, 0x3fe00000
	s_wait_alu 0xfffe
	v_fma_f64 v[69:70], v[61:62], v[69:70], s[28:29]
	v_cmp_nlt_f64_e64 s28, 0x40900000, v[57:58]
	v_cmp_ngt_f64_e64 s29, 0xc090cc00, v[57:58]
	s_delay_alu instid0(VALU_DEP_3) | instskip(NEXT) | instid1(VALU_DEP_1)
	v_fma_f64 v[69:70], v[61:62], v[69:70], 1.0
	v_fma_f64 v[59:60], v[61:62], v[69:70], 1.0
	s_delay_alu instid0(VALU_DEP_1) | instskip(SKIP_1) | instid1(VALU_DEP_1)
	v_ldexp_f64 v[59:60], v[59:60], v71
	s_wait_alu 0xf1ff
	v_cndmask_b32_e64 v60, 0x7ff00000, v60, s28
	s_and_b32 s28, s29, s28
	s_wait_alu 0xfffe
	s_delay_alu instid0(VALU_DEP_2) | instskip(SKIP_3) | instid1(VALU_DEP_1)
	v_cndmask_b32_e64 v57, 0, v59, s28
	s_mov_b32 s28, 0x55555555
	v_cndmask_b32_e64 v58, 0, v60, s29
	s_mov_b32 s29, 0x3fe55555
	v_add_f64_e32 v[59:60], 1.0, v[57:58]
	s_delay_alu instid0(VALU_DEP_1) | instskip(SKIP_3) | instid1(VALU_DEP_3)
	v_frexp_mant_f64_e32 v[61:62], v[59:60]
	v_frexp_exp_i32_f64_e32 v71, v[59:60]
	v_add_f64_e32 v[69:70], -1.0, v[59:60]
	s_wait_alu 0xfffe
	v_cmp_gt_f64_e64 s28, s[28:29], v[61:62]
	s_delay_alu instid0(VALU_DEP_2) | instskip(SKIP_2) | instid1(VALU_DEP_3)
	v_add_f64_e64 v[61:62], v[69:70], -v[59:60]
	v_add_f64_e64 v[69:70], v[57:58], -v[69:70]
	s_wait_alu 0xf1ff
	v_subrev_co_ci_u32_e64 v106, null, 0, v71, s28
	s_delay_alu instid0(VALU_DEP_3) | instskip(SKIP_1) | instid1(VALU_DEP_2)
	v_add_f64_e32 v[61:62], 1.0, v[61:62]
	s_mov_b32 s28, 0x55555780
	v_sub_nc_u32_e32 v73, 0, v106
	s_delay_alu instid0(VALU_DEP_1) | instskip(NEXT) | instid1(VALU_DEP_3)
	v_ldexp_f64 v[59:60], v[59:60], v73
	v_add_f64_e32 v[61:62], v[69:70], v[61:62]
	s_delay_alu instid0(VALU_DEP_2) | instskip(SKIP_1) | instid1(VALU_DEP_3)
	v_add_f64_e32 v[71:72], 1.0, v[59:60]
	v_add_f64_e32 v[96:97], -1.0, v[59:60]
	v_ldexp_f64 v[61:62], v[61:62], v73
	s_delay_alu instid0(VALU_DEP_3) | instskip(NEXT) | instid1(VALU_DEP_3)
	v_add_f64_e32 v[69:70], -1.0, v[71:72]
	v_add_f64_e32 v[98:99], 1.0, v[96:97]
	s_delay_alu instid0(VALU_DEP_2) | instskip(NEXT) | instid1(VALU_DEP_2)
	v_add_f64_e64 v[69:70], v[59:60], -v[69:70]
	v_add_f64_e64 v[59:60], v[59:60], -v[98:99]
	s_delay_alu instid0(VALU_DEP_2) | instskip(NEXT) | instid1(VALU_DEP_2)
	v_add_f64_e32 v[69:70], v[61:62], v[69:70]
	v_add_f64_e32 v[59:60], v[61:62], v[59:60]
	s_delay_alu instid0(VALU_DEP_2) | instskip(NEXT) | instid1(VALU_DEP_2)
	v_add_f64_e32 v[73:74], v[71:72], v[69:70]
	v_add_f64_e32 v[98:99], v[96:97], v[59:60]
	s_delay_alu instid0(VALU_DEP_2) | instskip(SKIP_1) | instid1(VALU_DEP_2)
	v_rcp_f64_e32 v[75:76], v[73:74]
	v_add_f64_e64 v[71:72], v[73:74], -v[71:72]
	v_add_f64_e64 v[96:97], v[98:99], -v[96:97]
	s_delay_alu instid0(VALU_DEP_2) | instskip(NEXT) | instid1(TRANS32_DEP_1)
	v_add_f64_e64 v[69:70], v[69:70], -v[71:72]
	v_fma_f64 v[100:101], -v[73:74], v[75:76], 1.0
	s_delay_alu instid0(VALU_DEP_3) | instskip(NEXT) | instid1(VALU_DEP_2)
	v_add_f64_e64 v[59:60], v[59:60], -v[96:97]
	v_fma_f64 v[75:76], v[100:101], v[75:76], v[75:76]
	s_delay_alu instid0(VALU_DEP_1) | instskip(NEXT) | instid1(VALU_DEP_1)
	v_fma_f64 v[61:62], -v[73:74], v[75:76], 1.0
	v_fma_f64 v[61:62], v[61:62], v[75:76], v[75:76]
	s_delay_alu instid0(VALU_DEP_1) | instskip(NEXT) | instid1(VALU_DEP_1)
	v_mul_f64_e32 v[75:76], v[98:99], v[61:62]
	v_mul_f64_e32 v[100:101], v[73:74], v[75:76]
	s_delay_alu instid0(VALU_DEP_1) | instskip(NEXT) | instid1(VALU_DEP_1)
	v_fma_f64 v[71:72], v[75:76], v[73:74], -v[100:101]
	v_fma_f64 v[71:72], v[75:76], v[69:70], v[71:72]
	s_delay_alu instid0(VALU_DEP_1) | instskip(NEXT) | instid1(VALU_DEP_1)
	v_add_f64_e32 v[102:103], v[100:101], v[71:72]
	v_add_f64_e64 v[104:105], v[98:99], -v[102:103]
	v_add_f64_e64 v[96:97], v[102:103], -v[100:101]
	s_delay_alu instid0(VALU_DEP_2) | instskip(NEXT) | instid1(VALU_DEP_2)
	v_add_f64_e64 v[98:99], v[98:99], -v[104:105]
	v_add_f64_e64 v[71:72], v[96:97], -v[71:72]
	s_delay_alu instid0(VALU_DEP_2) | instskip(NEXT) | instid1(VALU_DEP_1)
	v_add_f64_e64 v[98:99], v[98:99], -v[102:103]
	v_add_f64_e32 v[59:60], v[59:60], v[98:99]
	s_delay_alu instid0(VALU_DEP_1) | instskip(NEXT) | instid1(VALU_DEP_1)
	v_add_f64_e32 v[59:60], v[71:72], v[59:60]
	v_add_f64_e32 v[71:72], v[104:105], v[59:60]
	s_delay_alu instid0(VALU_DEP_1) | instskip(SKIP_1) | instid1(VALU_DEP_2)
	v_mul_f64_e32 v[96:97], v[61:62], v[71:72]
	v_add_f64_e64 v[102:103], v[104:105], -v[71:72]
	v_mul_f64_e32 v[98:99], v[73:74], v[96:97]
	s_delay_alu instid0(VALU_DEP_2) | instskip(NEXT) | instid1(VALU_DEP_2)
	v_add_f64_e32 v[59:60], v[59:60], v[102:103]
	v_fma_f64 v[73:74], v[96:97], v[73:74], -v[98:99]
	s_delay_alu instid0(VALU_DEP_1) | instskip(NEXT) | instid1(VALU_DEP_1)
	v_fma_f64 v[69:70], v[96:97], v[69:70], v[73:74]
	v_add_f64_e32 v[73:74], v[98:99], v[69:70]
	s_delay_alu instid0(VALU_DEP_1) | instskip(SKIP_1) | instid1(VALU_DEP_2)
	v_add_f64_e64 v[100:101], v[71:72], -v[73:74]
	v_add_f64_e64 v[98:99], v[73:74], -v[98:99]
	;; [unrolled: 1-line block ×3, first 2 shown]
	s_delay_alu instid0(VALU_DEP_2) | instskip(NEXT) | instid1(VALU_DEP_2)
	v_add_f64_e64 v[69:70], v[98:99], -v[69:70]
	v_add_f64_e64 v[71:72], v[71:72], -v[73:74]
	s_delay_alu instid0(VALU_DEP_1) | instskip(SKIP_1) | instid1(VALU_DEP_2)
	v_add_f64_e32 v[59:60], v[59:60], v[71:72]
	v_add_f64_e32 v[71:72], v[75:76], v[96:97]
	;; [unrolled: 1-line block ×3, first 2 shown]
	s_delay_alu instid0(VALU_DEP_2) | instskip(NEXT) | instid1(VALU_DEP_2)
	v_add_f64_e64 v[69:70], v[71:72], -v[75:76]
	v_add_f64_e32 v[59:60], v[100:101], v[59:60]
	s_delay_alu instid0(VALU_DEP_2) | instskip(NEXT) | instid1(VALU_DEP_2)
	v_add_f64_e64 v[69:70], v[96:97], -v[69:70]
	v_mul_f64_e32 v[59:60], v[61:62], v[59:60]
	s_delay_alu instid0(VALU_DEP_1) | instskip(NEXT) | instid1(VALU_DEP_1)
	v_add_f64_e32 v[59:60], v[69:70], v[59:60]
	v_add_f64_e32 v[61:62], v[71:72], v[59:60]
	s_delay_alu instid0(VALU_DEP_1) | instskip(NEXT) | instid1(VALU_DEP_1)
	v_mul_f64_e32 v[69:70], v[61:62], v[61:62]
	v_fma_f64 v[73:74], v[69:70], s[40:41], s[38:39]
	s_mov_b32 s38, 0xd7f4df2e
	s_mov_b32 s39, 0x3fc7474d
	v_mul_f64_e32 v[75:76], v[61:62], v[69:70]
	s_wait_alu 0xfffe
	s_delay_alu instid0(VALU_DEP_2) | instskip(SKIP_3) | instid1(VALU_DEP_1)
	v_fma_f64 v[73:74], v[69:70], v[73:74], s[38:39]
	s_mov_b32 s38, 0x16291751
	s_mov_b32 s39, 0x3fcc71c0
	s_wait_alu 0xfffe
	v_fma_f64 v[73:74], v[69:70], v[73:74], s[38:39]
	s_mov_b32 s38, 0x9b27acf1
	s_mov_b32 s39, 0x3fd24924
	s_wait_alu 0xfffe
	s_delay_alu instid0(VALU_DEP_1) | instskip(SKIP_3) | instid1(VALU_DEP_1)
	v_fma_f64 v[73:74], v[69:70], v[73:74], s[38:39]
	s_mov_b32 s38, 0x998ef7b6
	s_mov_b32 s39, 0x3fd99999
	s_wait_alu 0xfffe
	v_fma_f64 v[73:74], v[69:70], v[73:74], s[38:39]
	s_delay_alu instid0(VALU_DEP_1)
	v_fma_f64 v[69:70], v[69:70], v[73:74], s[28:29]
	v_ldexp_f64 v[73:74], v[61:62], 1
	v_add_f64_e64 v[61:62], v[61:62], -v[71:72]
	v_cmp_nge_f64_e64 s28, -1.0, v[57:58]
	v_cmp_neq_f64_e64 s29, 0x7ff00000, v[57:58]
	v_mul_f64_e32 v[69:70], v[75:76], v[69:70]
	v_cvt_f64_i32_e32 v[75:76], v106
	v_add_f64_e64 v[59:60], v[59:60], -v[61:62]
	s_and_b32 s28, s28, s29
	s_delay_alu instid0(VALU_DEP_3) | instskip(NEXT) | instid1(VALU_DEP_3)
	v_add_f64_e32 v[71:72], v[73:74], v[69:70]
	v_mul_f64_e32 v[96:97], s[30:31], v[75:76]
	s_delay_alu instid0(VALU_DEP_3) | instskip(NEXT) | instid1(VALU_DEP_3)
	v_ldexp_f64 v[59:60], v[59:60], 1
	v_add_f64_e64 v[61:62], v[71:72], -v[73:74]
	s_delay_alu instid0(VALU_DEP_3) | instskip(SKIP_1) | instid1(VALU_DEP_3)
	v_fma_f64 v[73:74], v[75:76], s[30:31], -v[96:97]
	v_cmp_ngt_f64_e64 s30, -1.0, v[57:58]
	v_add_f64_e64 v[61:62], v[69:70], -v[61:62]
	s_delay_alu instid0(VALU_DEP_3) | instskip(NEXT) | instid1(VALU_DEP_2)
	v_fma_f64 v[69:70], v[75:76], s[34:35], v[73:74]
	v_add_f64_e32 v[59:60], v[59:60], v[61:62]
	s_delay_alu instid0(VALU_DEP_2) | instskip(NEXT) | instid1(VALU_DEP_2)
	v_add_f64_e32 v[61:62], v[96:97], v[69:70]
	v_add_f64_e32 v[73:74], v[71:72], v[59:60]
	s_delay_alu instid0(VALU_DEP_2) | instskip(NEXT) | instid1(VALU_DEP_2)
	v_add_f64_e64 v[96:97], v[61:62], -v[96:97]
	v_add_f64_e32 v[75:76], v[61:62], v[73:74]
	v_add_f64_e64 v[71:72], v[73:74], -v[71:72]
	s_delay_alu instid0(VALU_DEP_3) | instskip(NEXT) | instid1(VALU_DEP_3)
	v_add_f64_e64 v[69:70], v[69:70], -v[96:97]
	v_add_f64_e64 v[98:99], v[75:76], -v[61:62]
	s_delay_alu instid0(VALU_DEP_3) | instskip(NEXT) | instid1(VALU_DEP_2)
	v_add_f64_e64 v[59:60], v[59:60], -v[71:72]
	v_add_f64_e64 v[100:101], v[75:76], -v[98:99]
	;; [unrolled: 1-line block ×3, first 2 shown]
	s_delay_alu instid0(VALU_DEP_3) | instskip(NEXT) | instid1(VALU_DEP_3)
	v_add_f64_e32 v[73:74], v[69:70], v[59:60]
	v_add_f64_e64 v[61:62], v[61:62], -v[100:101]
	s_delay_alu instid0(VALU_DEP_1) | instskip(NEXT) | instid1(VALU_DEP_3)
	v_add_f64_e32 v[61:62], v[71:72], v[61:62]
	v_add_f64_e64 v[71:72], v[73:74], -v[69:70]
	s_delay_alu instid0(VALU_DEP_2) | instskip(NEXT) | instid1(VALU_DEP_2)
	v_add_f64_e32 v[61:62], v[73:74], v[61:62]
	v_add_f64_e64 v[73:74], v[73:74], -v[71:72]
	v_add_f64_e64 v[59:60], v[59:60], -v[71:72]
	s_delay_alu instid0(VALU_DEP_3) | instskip(NEXT) | instid1(VALU_DEP_3)
	v_add_f64_e32 v[96:97], v[75:76], v[61:62]
	v_add_f64_e64 v[69:70], v[69:70], -v[73:74]
	s_delay_alu instid0(VALU_DEP_2) | instskip(NEXT) | instid1(VALU_DEP_2)
	v_add_f64_e64 v[71:72], v[96:97], -v[75:76]
	v_add_f64_e32 v[59:60], v[59:60], v[69:70]
	s_delay_alu instid0(VALU_DEP_2) | instskip(NEXT) | instid1(VALU_DEP_1)
	v_add_f64_e64 v[61:62], v[61:62], -v[71:72]
	v_add_f64_e32 v[59:60], v[59:60], v[61:62]
	s_delay_alu instid0(VALU_DEP_1) | instskip(SKIP_1) | instid1(VALU_DEP_1)
	v_add_f64_e32 v[59:60], v[96:97], v[59:60]
	s_wait_alu 0xfffe
	v_cndmask_b32_e64 v59, 0, v59, s28
	v_cmp_neq_f64_e64 s28, -1.0, v[57:58]
	s_delay_alu instid0(VALU_DEP_3) | instskip(SKIP_1) | instid1(VALU_DEP_1)
	v_cndmask_b32_e64 v60, 0x7ff00000, v60, s29
	s_wait_alu 0xf1ff
	v_cndmask_b32_e64 v60, 0x7ff80000, v60, s30
	s_delay_alu instid0(VALU_DEP_1) | instskip(NEXT) | instid1(VALU_DEP_1)
	v_cndmask_b32_e64 v60, 0xfff00000, v60, s28
	v_add_f64_e32 v[69:70], v[55:56], v[59:60]
.LBB61_54:
	s_wait_alu 0xfffe
	s_or_b32 exec_lo, exec_lo, s36
	v_max_num_f64_e32 v[55:56], v[9:10], v[9:10]
	s_delay_alu instid0(VALU_DEP_2) | instskip(SKIP_2) | instid1(VALU_DEP_3)
	v_max_num_f64_e32 v[57:58], v[69:70], v[69:70]
	v_cmp_u_f64_e64 s29, v[69:70], v[69:70]
	v_cmp_u_f64_e64 s28, v[9:10], v[9:10]
	v_min_num_f64_e32 v[59:60], v[57:58], v[55:56]
	v_max_num_f64_e32 v[57:58], v[57:58], v[55:56]
	s_wait_alu 0xf1ff
	s_delay_alu instid0(VALU_DEP_2) | instskip(NEXT) | instid1(VALU_DEP_3)
	v_cndmask_b32_e64 v59, v59, v69, s29
	v_cndmask_b32_e64 v60, v60, v70, s29
	s_delay_alu instid0(VALU_DEP_3) | instskip(NEXT) | instid1(VALU_DEP_4)
	v_cndmask_b32_e64 v58, v58, v70, s29
	v_cndmask_b32_e64 v57, v57, v69, s29
	s_delay_alu instid0(VALU_DEP_4) | instskip(NEXT) | instid1(VALU_DEP_4)
	v_cndmask_b32_e64 v59, v59, v9, s28
	v_cndmask_b32_e64 v60, v60, v10, s28
	s_delay_alu instid0(VALU_DEP_4) | instskip(NEXT) | instid1(VALU_DEP_4)
	v_cndmask_b32_e64 v58, v58, v10, s28
	v_cndmask_b32_e64 v57, v57, v9, s28
	s_delay_alu instid0(VALU_DEP_3) | instskip(NEXT) | instid1(VALU_DEP_2)
	v_cmp_class_f64_e64 s30, v[59:60], 0x1f8
	v_cmp_neq_f64_e64 s29, v[59:60], v[57:58]
	s_or_b32 s29, s29, s30
	s_wait_alu 0xfffe
	s_and_saveexec_b32 s38, s29
	s_cbranch_execz .LBB61_56
; %bb.55:
	v_add_f64_e64 v[59:60], v[59:60], -v[57:58]
	s_mov_b32 s30, 0x652b82fe
	s_mov_b32 s31, 0x3ff71547
	;; [unrolled: 1-line block ×10, first 2 shown]
	s_wait_alu 0xfffe
	s_delay_alu instid0(VALU_DEP_1) | instskip(SKIP_3) | instid1(VALU_DEP_2)
	v_mul_f64_e32 v[61:62], s[30:31], v[59:60]
	s_mov_b32 s30, 0xfca7ab0c
	s_mov_b32 s31, 0x3e928af3
	v_cmp_nlt_f64_e64 s29, 0x40900000, v[59:60]
	v_rndne_f64_e32 v[61:62], v[61:62]
	s_delay_alu instid0(VALU_DEP_1) | instskip(SKIP_2) | instid1(VALU_DEP_2)
	v_fma_f64 v[69:70], v[61:62], s[34:35], v[59:60]
	v_cvt_i32_f64_e32 v73, v[61:62]
	s_mov_b32 s35, 0x3fe62e42
	v_fma_f64 v[69:70], v[61:62], s[36:37], v[69:70]
	s_mov_b32 s37, 0x3c7abc9e
	s_wait_alu 0xfffe
	s_delay_alu instid0(VALU_DEP_1)
	v_fma_f64 v[71:72], v[69:70], s[40:41], s[30:31]
	s_mov_b32 s30, 0x623fde64
	s_mov_b32 s31, 0x3ec71dee
	;; [unrolled: 1-line block ×4, first 2 shown]
	s_wait_alu 0xfffe
	s_delay_alu instid0(VALU_DEP_1) | instskip(SKIP_3) | instid1(VALU_DEP_1)
	v_fma_f64 v[71:72], v[69:70], v[71:72], s[30:31]
	s_mov_b32 s30, 0x7c89e6b0
	s_mov_b32 s31, 0x3efa0199
	s_wait_alu 0xfffe
	v_fma_f64 v[71:72], v[69:70], v[71:72], s[30:31]
	s_mov_b32 s30, 0x14761f6e
	s_mov_b32 s31, 0x3f2a01a0
	s_wait_alu 0xfffe
	s_delay_alu instid0(VALU_DEP_1) | instskip(SKIP_3) | instid1(VALU_DEP_1)
	v_fma_f64 v[71:72], v[69:70], v[71:72], s[30:31]
	s_mov_b32 s30, 0x1852b7b0
	s_mov_b32 s31, 0x3f56c16c
	s_wait_alu 0xfffe
	v_fma_f64 v[71:72], v[69:70], v[71:72], s[30:31]
	s_mov_b32 s30, 0x11122322
	s_mov_b32 s31, 0x3f811111
	;; [unrolled: 9-line block ×3, first 2 shown]
	s_wait_alu 0xfffe
	s_delay_alu instid0(VALU_DEP_1) | instskip(SKIP_3) | instid1(VALU_DEP_1)
	v_fma_f64 v[71:72], v[69:70], v[71:72], s[30:31]
	s_mov_b32 s30, 11
	s_mov_b32 s31, 0x3fe00000
	s_wait_alu 0xfffe
	v_fma_f64 v[71:72], v[69:70], v[71:72], s[30:31]
	v_cmp_ngt_f64_e64 s30, 0xc090cc00, v[59:60]
	s_mov_b32 s31, 0x3fe55555
	v_fma_f64 v[71:72], v[69:70], v[71:72], 1.0
	s_delay_alu instid0(VALU_DEP_1) | instskip(NEXT) | instid1(VALU_DEP_1)
	v_fma_f64 v[61:62], v[69:70], v[71:72], 1.0
	v_ldexp_f64 v[61:62], v[61:62], v73
	s_wait_alu 0xf1ff
	s_delay_alu instid0(VALU_DEP_1) | instskip(SKIP_2) | instid1(VALU_DEP_2)
	v_cndmask_b32_e64 v62, 0x7ff00000, v62, s29
	s_and_b32 s29, s30, s29
	s_wait_alu 0xfffe
	v_cndmask_b32_e64 v59, 0, v61, s29
	s_delay_alu instid0(VALU_DEP_2) | instskip(SKIP_1) | instid1(VALU_DEP_1)
	v_cndmask_b32_e64 v60, 0, v62, s30
	s_mov_b32 s30, 0x55555555
	v_add_f64_e32 v[61:62], 1.0, v[59:60]
	s_delay_alu instid0(VALU_DEP_1) | instskip(SKIP_3) | instid1(VALU_DEP_3)
	v_frexp_mant_f64_e32 v[69:70], v[61:62]
	v_frexp_exp_i32_f64_e32 v73, v[61:62]
	v_add_f64_e32 v[71:72], -1.0, v[61:62]
	s_wait_alu 0xfffe
	v_cmp_gt_f64_e64 s29, s[30:31], v[69:70]
	s_mov_b32 s30, 0x55555780
	v_add_f64_e64 v[69:70], v[71:72], -v[61:62]
	v_add_f64_e64 v[71:72], v[59:60], -v[71:72]
	s_wait_alu 0xf1ff
	v_subrev_co_ci_u32_e64 v108, null, 0, v73, s29
	s_delay_alu instid0(VALU_DEP_3) | instskip(SKIP_1) | instid1(VALU_DEP_3)
	v_add_f64_e32 v[69:70], 1.0, v[69:70]
	v_cmp_nge_f64_e64 s29, -1.0, v[59:60]
	v_sub_nc_u32_e32 v75, 0, v108
	s_delay_alu instid0(VALU_DEP_1) | instskip(NEXT) | instid1(VALU_DEP_4)
	v_ldexp_f64 v[61:62], v[61:62], v75
	v_add_f64_e32 v[69:70], v[71:72], v[69:70]
	s_delay_alu instid0(VALU_DEP_2) | instskip(SKIP_1) | instid1(VALU_DEP_3)
	v_add_f64_e32 v[73:74], 1.0, v[61:62]
	v_add_f64_e32 v[98:99], -1.0, v[61:62]
	v_ldexp_f64 v[69:70], v[69:70], v75
	s_delay_alu instid0(VALU_DEP_3) | instskip(NEXT) | instid1(VALU_DEP_3)
	v_add_f64_e32 v[71:72], -1.0, v[73:74]
	v_add_f64_e32 v[100:101], 1.0, v[98:99]
	s_delay_alu instid0(VALU_DEP_2) | instskip(NEXT) | instid1(VALU_DEP_2)
	v_add_f64_e64 v[71:72], v[61:62], -v[71:72]
	v_add_f64_e64 v[61:62], v[61:62], -v[100:101]
	s_delay_alu instid0(VALU_DEP_2) | instskip(NEXT) | instid1(VALU_DEP_2)
	v_add_f64_e32 v[71:72], v[69:70], v[71:72]
	v_add_f64_e32 v[61:62], v[69:70], v[61:62]
	s_delay_alu instid0(VALU_DEP_2) | instskip(NEXT) | instid1(VALU_DEP_2)
	v_add_f64_e32 v[75:76], v[73:74], v[71:72]
	v_add_f64_e32 v[100:101], v[98:99], v[61:62]
	s_delay_alu instid0(VALU_DEP_2) | instskip(SKIP_1) | instid1(VALU_DEP_2)
	v_rcp_f64_e32 v[96:97], v[75:76]
	v_add_f64_e64 v[73:74], v[75:76], -v[73:74]
	v_add_f64_e64 v[98:99], v[100:101], -v[98:99]
	s_delay_alu instid0(VALU_DEP_2) | instskip(NEXT) | instid1(TRANS32_DEP_1)
	v_add_f64_e64 v[71:72], v[71:72], -v[73:74]
	v_fma_f64 v[102:103], -v[75:76], v[96:97], 1.0
	s_delay_alu instid0(VALU_DEP_3) | instskip(NEXT) | instid1(VALU_DEP_2)
	v_add_f64_e64 v[61:62], v[61:62], -v[98:99]
	v_fma_f64 v[96:97], v[102:103], v[96:97], v[96:97]
	s_delay_alu instid0(VALU_DEP_1) | instskip(NEXT) | instid1(VALU_DEP_1)
	v_fma_f64 v[69:70], -v[75:76], v[96:97], 1.0
	v_fma_f64 v[69:70], v[69:70], v[96:97], v[96:97]
	s_delay_alu instid0(VALU_DEP_1) | instskip(NEXT) | instid1(VALU_DEP_1)
	v_mul_f64_e32 v[96:97], v[100:101], v[69:70]
	v_mul_f64_e32 v[102:103], v[75:76], v[96:97]
	s_delay_alu instid0(VALU_DEP_1) | instskip(NEXT) | instid1(VALU_DEP_1)
	v_fma_f64 v[73:74], v[96:97], v[75:76], -v[102:103]
	v_fma_f64 v[73:74], v[96:97], v[71:72], v[73:74]
	s_delay_alu instid0(VALU_DEP_1) | instskip(NEXT) | instid1(VALU_DEP_1)
	v_add_f64_e32 v[104:105], v[102:103], v[73:74]
	v_add_f64_e64 v[106:107], v[100:101], -v[104:105]
	v_add_f64_e64 v[98:99], v[104:105], -v[102:103]
	s_delay_alu instid0(VALU_DEP_2) | instskip(NEXT) | instid1(VALU_DEP_2)
	v_add_f64_e64 v[100:101], v[100:101], -v[106:107]
	v_add_f64_e64 v[73:74], v[98:99], -v[73:74]
	s_delay_alu instid0(VALU_DEP_2) | instskip(NEXT) | instid1(VALU_DEP_1)
	v_add_f64_e64 v[100:101], v[100:101], -v[104:105]
	v_add_f64_e32 v[61:62], v[61:62], v[100:101]
	s_delay_alu instid0(VALU_DEP_1) | instskip(NEXT) | instid1(VALU_DEP_1)
	v_add_f64_e32 v[61:62], v[73:74], v[61:62]
	v_add_f64_e32 v[73:74], v[106:107], v[61:62]
	s_delay_alu instid0(VALU_DEP_1) | instskip(SKIP_1) | instid1(VALU_DEP_2)
	v_mul_f64_e32 v[98:99], v[69:70], v[73:74]
	v_add_f64_e64 v[104:105], v[106:107], -v[73:74]
	v_mul_f64_e32 v[100:101], v[75:76], v[98:99]
	s_delay_alu instid0(VALU_DEP_2) | instskip(NEXT) | instid1(VALU_DEP_2)
	v_add_f64_e32 v[61:62], v[61:62], v[104:105]
	v_fma_f64 v[75:76], v[98:99], v[75:76], -v[100:101]
	s_delay_alu instid0(VALU_DEP_1) | instskip(NEXT) | instid1(VALU_DEP_1)
	v_fma_f64 v[71:72], v[98:99], v[71:72], v[75:76]
	v_add_f64_e32 v[75:76], v[100:101], v[71:72]
	s_delay_alu instid0(VALU_DEP_1) | instskip(SKIP_1) | instid1(VALU_DEP_2)
	v_add_f64_e64 v[102:103], v[73:74], -v[75:76]
	v_add_f64_e64 v[100:101], v[75:76], -v[100:101]
	;; [unrolled: 1-line block ×3, first 2 shown]
	s_delay_alu instid0(VALU_DEP_2) | instskip(NEXT) | instid1(VALU_DEP_2)
	v_add_f64_e64 v[71:72], v[100:101], -v[71:72]
	v_add_f64_e64 v[73:74], v[73:74], -v[75:76]
	s_delay_alu instid0(VALU_DEP_1) | instskip(SKIP_1) | instid1(VALU_DEP_2)
	v_add_f64_e32 v[61:62], v[61:62], v[73:74]
	v_add_f64_e32 v[73:74], v[96:97], v[98:99]
	;; [unrolled: 1-line block ×3, first 2 shown]
	s_delay_alu instid0(VALU_DEP_2) | instskip(NEXT) | instid1(VALU_DEP_2)
	v_add_f64_e64 v[71:72], v[73:74], -v[96:97]
	v_add_f64_e32 v[61:62], v[102:103], v[61:62]
	s_delay_alu instid0(VALU_DEP_2) | instskip(NEXT) | instid1(VALU_DEP_2)
	v_add_f64_e64 v[71:72], v[98:99], -v[71:72]
	v_mul_f64_e32 v[61:62], v[69:70], v[61:62]
	s_delay_alu instid0(VALU_DEP_1) | instskip(NEXT) | instid1(VALU_DEP_1)
	v_add_f64_e32 v[61:62], v[71:72], v[61:62]
	v_add_f64_e32 v[69:70], v[73:74], v[61:62]
	s_delay_alu instid0(VALU_DEP_1) | instskip(NEXT) | instid1(VALU_DEP_1)
	v_mul_f64_e32 v[71:72], v[69:70], v[69:70]
	v_fma_f64 v[75:76], v[71:72], s[42:43], s[40:41]
	s_mov_b32 s40, 0xd7f4df2e
	s_mov_b32 s41, 0x3fc7474d
	v_mul_f64_e32 v[96:97], v[69:70], v[71:72]
	s_wait_alu 0xfffe
	s_delay_alu instid0(VALU_DEP_2) | instskip(SKIP_3) | instid1(VALU_DEP_1)
	v_fma_f64 v[75:76], v[71:72], v[75:76], s[40:41]
	s_mov_b32 s40, 0x16291751
	s_mov_b32 s41, 0x3fcc71c0
	s_wait_alu 0xfffe
	v_fma_f64 v[75:76], v[71:72], v[75:76], s[40:41]
	s_mov_b32 s40, 0x9b27acf1
	s_mov_b32 s41, 0x3fd24924
	s_wait_alu 0xfffe
	s_delay_alu instid0(VALU_DEP_1) | instskip(SKIP_3) | instid1(VALU_DEP_1)
	v_fma_f64 v[75:76], v[71:72], v[75:76], s[40:41]
	s_mov_b32 s40, 0x998ef7b6
	s_mov_b32 s41, 0x3fd99999
	s_wait_alu 0xfffe
	v_fma_f64 v[75:76], v[71:72], v[75:76], s[40:41]
	s_delay_alu instid0(VALU_DEP_1)
	v_fma_f64 v[71:72], v[71:72], v[75:76], s[30:31]
	v_ldexp_f64 v[75:76], v[69:70], 1
	v_add_f64_e64 v[69:70], v[69:70], -v[73:74]
	v_cmp_neq_f64_e64 s30, 0x7ff00000, v[59:60]
	v_cmp_ngt_f64_e64 s31, -1.0, v[59:60]
	v_mul_f64_e32 v[71:72], v[96:97], v[71:72]
	v_cvt_f64_i32_e32 v[96:97], v108
	v_add_f64_e64 v[61:62], v[61:62], -v[69:70]
	s_and_b32 s29, s29, s30
	s_delay_alu instid0(VALU_DEP_3) | instskip(NEXT) | instid1(VALU_DEP_3)
	v_add_f64_e32 v[73:74], v[75:76], v[71:72]
	v_mul_f64_e32 v[98:99], s[34:35], v[96:97]
	s_delay_alu instid0(VALU_DEP_3) | instskip(NEXT) | instid1(VALU_DEP_3)
	v_ldexp_f64 v[61:62], v[61:62], 1
	v_add_f64_e64 v[69:70], v[73:74], -v[75:76]
	s_delay_alu instid0(VALU_DEP_3) | instskip(NEXT) | instid1(VALU_DEP_2)
	v_fma_f64 v[75:76], v[96:97], s[34:35], -v[98:99]
	v_add_f64_e64 v[69:70], v[71:72], -v[69:70]
	s_delay_alu instid0(VALU_DEP_2) | instskip(NEXT) | instid1(VALU_DEP_2)
	v_fma_f64 v[71:72], v[96:97], s[36:37], v[75:76]
	v_add_f64_e32 v[61:62], v[61:62], v[69:70]
	s_delay_alu instid0(VALU_DEP_2) | instskip(NEXT) | instid1(VALU_DEP_2)
	v_add_f64_e32 v[69:70], v[98:99], v[71:72]
	v_add_f64_e32 v[75:76], v[73:74], v[61:62]
	s_delay_alu instid0(VALU_DEP_2) | instskip(NEXT) | instid1(VALU_DEP_2)
	v_add_f64_e64 v[98:99], v[69:70], -v[98:99]
	v_add_f64_e32 v[96:97], v[69:70], v[75:76]
	v_add_f64_e64 v[73:74], v[75:76], -v[73:74]
	s_delay_alu instid0(VALU_DEP_3) | instskip(NEXT) | instid1(VALU_DEP_3)
	v_add_f64_e64 v[71:72], v[71:72], -v[98:99]
	v_add_f64_e64 v[100:101], v[96:97], -v[69:70]
	s_delay_alu instid0(VALU_DEP_3) | instskip(NEXT) | instid1(VALU_DEP_2)
	v_add_f64_e64 v[61:62], v[61:62], -v[73:74]
	v_add_f64_e64 v[102:103], v[96:97], -v[100:101]
	;; [unrolled: 1-line block ×3, first 2 shown]
	s_delay_alu instid0(VALU_DEP_3) | instskip(NEXT) | instid1(VALU_DEP_3)
	v_add_f64_e32 v[75:76], v[71:72], v[61:62]
	v_add_f64_e64 v[69:70], v[69:70], -v[102:103]
	s_delay_alu instid0(VALU_DEP_1) | instskip(NEXT) | instid1(VALU_DEP_3)
	v_add_f64_e32 v[69:70], v[73:74], v[69:70]
	v_add_f64_e64 v[73:74], v[75:76], -v[71:72]
	s_delay_alu instid0(VALU_DEP_2) | instskip(NEXT) | instid1(VALU_DEP_2)
	v_add_f64_e32 v[69:70], v[75:76], v[69:70]
	v_add_f64_e64 v[75:76], v[75:76], -v[73:74]
	v_add_f64_e64 v[61:62], v[61:62], -v[73:74]
	s_delay_alu instid0(VALU_DEP_3) | instskip(NEXT) | instid1(VALU_DEP_3)
	v_add_f64_e32 v[98:99], v[96:97], v[69:70]
	v_add_f64_e64 v[71:72], v[71:72], -v[75:76]
	s_delay_alu instid0(VALU_DEP_2) | instskip(NEXT) | instid1(VALU_DEP_2)
	v_add_f64_e64 v[73:74], v[98:99], -v[96:97]
	v_add_f64_e32 v[61:62], v[61:62], v[71:72]
	s_delay_alu instid0(VALU_DEP_2) | instskip(NEXT) | instid1(VALU_DEP_1)
	v_add_f64_e64 v[69:70], v[69:70], -v[73:74]
	v_add_f64_e32 v[61:62], v[61:62], v[69:70]
	s_delay_alu instid0(VALU_DEP_1) | instskip(SKIP_1) | instid1(VALU_DEP_1)
	v_add_f64_e32 v[61:62], v[98:99], v[61:62]
	s_wait_alu 0xfffe
	v_cndmask_b32_e64 v61, 0, v61, s29
	v_cmp_neq_f64_e64 s29, -1.0, v[59:60]
	s_delay_alu instid0(VALU_DEP_3) | instskip(NEXT) | instid1(VALU_DEP_1)
	v_cndmask_b32_e64 v62, 0x7ff00000, v62, s30
	v_cndmask_b32_e64 v62, 0x7ff80000, v62, s31
	s_wait_alu 0xf1ff
	s_delay_alu instid0(VALU_DEP_1) | instskip(NEXT) | instid1(VALU_DEP_1)
	v_cndmask_b32_e64 v62, 0xfff00000, v62, s29
	v_add_f64_e32 v[69:70], v[57:58], v[61:62]
.LBB61_56:
	s_wait_alu 0xfffe
	s_or_b32 exec_lo, exec_lo, s38
	v_max_num_f64_e32 v[57:58], v[11:12], v[11:12]
	s_delay_alu instid0(VALU_DEP_2) | instskip(SKIP_2) | instid1(VALU_DEP_3)
	v_max_num_f64_e32 v[59:60], v[69:70], v[69:70]
	v_cmp_u_f64_e64 s30, v[69:70], v[69:70]
	v_cmp_u_f64_e64 s29, v[11:12], v[11:12]
	v_min_num_f64_e32 v[61:62], v[59:60], v[57:58]
	v_max_num_f64_e32 v[59:60], v[59:60], v[57:58]
	s_wait_alu 0xf1ff
	s_delay_alu instid0(VALU_DEP_2) | instskip(NEXT) | instid1(VALU_DEP_3)
	v_cndmask_b32_e64 v61, v61, v69, s30
	v_cndmask_b32_e64 v62, v62, v70, s30
	s_delay_alu instid0(VALU_DEP_3) | instskip(NEXT) | instid1(VALU_DEP_4)
	v_cndmask_b32_e64 v60, v60, v70, s30
	v_cndmask_b32_e64 v59, v59, v69, s30
	s_delay_alu instid0(VALU_DEP_4) | instskip(NEXT) | instid1(VALU_DEP_4)
	v_cndmask_b32_e64 v61, v61, v11, s29
	v_cndmask_b32_e64 v62, v62, v12, s29
	s_delay_alu instid0(VALU_DEP_4) | instskip(NEXT) | instid1(VALU_DEP_4)
	v_cndmask_b32_e64 v60, v60, v12, s29
	v_cndmask_b32_e64 v59, v59, v11, s29
	s_delay_alu instid0(VALU_DEP_3) | instskip(NEXT) | instid1(VALU_DEP_2)
	v_cmp_class_f64_e64 s31, v[61:62], 0x1f8
	v_cmp_neq_f64_e64 s30, v[61:62], v[59:60]
	s_or_b32 s30, s30, s31
	s_wait_alu 0xfffe
	s_and_saveexec_b32 s38, s30
	s_cbranch_execz .LBB61_58
; %bb.57:
	v_add_f64_e64 v[61:62], v[61:62], -v[59:60]
	s_mov_b32 s30, 0x652b82fe
	s_mov_b32 s31, 0x3ff71547
	;; [unrolled: 1-line block ×10, first 2 shown]
	s_wait_alu 0xfffe
	s_delay_alu instid0(VALU_DEP_1) | instskip(SKIP_2) | instid1(VALU_DEP_1)
	v_mul_f64_e32 v[69:70], s[30:31], v[61:62]
	s_mov_b32 s30, 0xfca7ab0c
	s_mov_b32 s31, 0x3e928af3
	v_rndne_f64_e32 v[69:70], v[69:70]
	s_delay_alu instid0(VALU_DEP_1) | instskip(SKIP_2) | instid1(VALU_DEP_2)
	v_fma_f64 v[71:72], v[69:70], s[34:35], v[61:62]
	v_cvt_i32_f64_e32 v75, v[69:70]
	s_mov_b32 s35, 0x3fe62e42
	v_fma_f64 v[71:72], v[69:70], s[36:37], v[71:72]
	s_mov_b32 s37, 0x3c7abc9e
	s_wait_alu 0xfffe
	s_delay_alu instid0(VALU_DEP_1)
	v_fma_f64 v[73:74], v[71:72], s[40:41], s[30:31]
	s_mov_b32 s30, 0x623fde64
	s_mov_b32 s31, 0x3ec71dee
	;; [unrolled: 1-line block ×4, first 2 shown]
	s_wait_alu 0xfffe
	s_delay_alu instid0(VALU_DEP_1) | instskip(SKIP_3) | instid1(VALU_DEP_1)
	v_fma_f64 v[73:74], v[71:72], v[73:74], s[30:31]
	s_mov_b32 s30, 0x7c89e6b0
	s_mov_b32 s31, 0x3efa0199
	s_wait_alu 0xfffe
	v_fma_f64 v[73:74], v[71:72], v[73:74], s[30:31]
	s_mov_b32 s30, 0x14761f6e
	s_mov_b32 s31, 0x3f2a01a0
	s_wait_alu 0xfffe
	s_delay_alu instid0(VALU_DEP_1) | instskip(SKIP_3) | instid1(VALU_DEP_1)
	v_fma_f64 v[73:74], v[71:72], v[73:74], s[30:31]
	s_mov_b32 s30, 0x1852b7b0
	s_mov_b32 s31, 0x3f56c16c
	s_wait_alu 0xfffe
	v_fma_f64 v[73:74], v[71:72], v[73:74], s[30:31]
	s_mov_b32 s30, 0x11122322
	s_mov_b32 s31, 0x3f811111
	s_wait_alu 0xfffe
	s_delay_alu instid0(VALU_DEP_1) | instskip(SKIP_3) | instid1(VALU_DEP_1)
	v_fma_f64 v[73:74], v[71:72], v[73:74], s[30:31]
	s_mov_b32 s30, 0x555502a1
	s_mov_b32 s31, 0x3fa55555
	s_wait_alu 0xfffe
	v_fma_f64 v[73:74], v[71:72], v[73:74], s[30:31]
	s_mov_b32 s30, 0x55555511
	s_mov_b32 s31, 0x3fc55555
	s_wait_alu 0xfffe
	s_delay_alu instid0(VALU_DEP_1) | instskip(SKIP_3) | instid1(VALU_DEP_1)
	v_fma_f64 v[73:74], v[71:72], v[73:74], s[30:31]
	s_mov_b32 s30, 11
	s_mov_b32 s31, 0x3fe00000
	s_wait_alu 0xfffe
	v_fma_f64 v[73:74], v[71:72], v[73:74], s[30:31]
	v_cmp_nlt_f64_e64 s30, 0x40900000, v[61:62]
	v_cmp_ngt_f64_e64 s31, 0xc090cc00, v[61:62]
	s_delay_alu instid0(VALU_DEP_3) | instskip(NEXT) | instid1(VALU_DEP_1)
	v_fma_f64 v[73:74], v[71:72], v[73:74], 1.0
	v_fma_f64 v[69:70], v[71:72], v[73:74], 1.0
	s_delay_alu instid0(VALU_DEP_1) | instskip(SKIP_1) | instid1(VALU_DEP_1)
	v_ldexp_f64 v[69:70], v[69:70], v75
	s_wait_alu 0xf1ff
	v_cndmask_b32_e64 v70, 0x7ff00000, v70, s30
	s_and_b32 s30, s31, s30
	s_wait_alu 0xfffe
	s_delay_alu instid0(VALU_DEP_2) | instskip(SKIP_3) | instid1(VALU_DEP_1)
	v_cndmask_b32_e64 v61, 0, v69, s30
	s_mov_b32 s30, 0x55555555
	v_cndmask_b32_e64 v62, 0, v70, s31
	s_mov_b32 s31, 0x3fe55555
	v_add_f64_e32 v[69:70], 1.0, v[61:62]
	s_delay_alu instid0(VALU_DEP_1) | instskip(SKIP_3) | instid1(VALU_DEP_3)
	v_frexp_mant_f64_e32 v[71:72], v[69:70]
	v_frexp_exp_i32_f64_e32 v75, v[69:70]
	v_add_f64_e32 v[73:74], -1.0, v[69:70]
	s_wait_alu 0xfffe
	v_cmp_gt_f64_e64 s30, s[30:31], v[71:72]
	s_delay_alu instid0(VALU_DEP_2) | instskip(SKIP_2) | instid1(VALU_DEP_3)
	v_add_f64_e64 v[71:72], v[73:74], -v[69:70]
	v_add_f64_e64 v[73:74], v[61:62], -v[73:74]
	s_wait_alu 0xf1ff
	v_subrev_co_ci_u32_e64 v110, null, 0, v75, s30
	s_delay_alu instid0(VALU_DEP_3) | instskip(SKIP_1) | instid1(VALU_DEP_2)
	v_add_f64_e32 v[71:72], 1.0, v[71:72]
	s_mov_b32 s30, 0x55555780
	v_sub_nc_u32_e32 v96, 0, v110
	s_delay_alu instid0(VALU_DEP_1) | instskip(NEXT) | instid1(VALU_DEP_3)
	v_ldexp_f64 v[69:70], v[69:70], v96
	v_add_f64_e32 v[71:72], v[73:74], v[71:72]
	s_delay_alu instid0(VALU_DEP_2) | instskip(SKIP_1) | instid1(VALU_DEP_3)
	v_add_f64_e32 v[75:76], 1.0, v[69:70]
	v_add_f64_e32 v[100:101], -1.0, v[69:70]
	v_ldexp_f64 v[71:72], v[71:72], v96
	s_delay_alu instid0(VALU_DEP_3) | instskip(NEXT) | instid1(VALU_DEP_3)
	v_add_f64_e32 v[73:74], -1.0, v[75:76]
	v_add_f64_e32 v[102:103], 1.0, v[100:101]
	s_delay_alu instid0(VALU_DEP_2) | instskip(NEXT) | instid1(VALU_DEP_2)
	v_add_f64_e64 v[73:74], v[69:70], -v[73:74]
	v_add_f64_e64 v[69:70], v[69:70], -v[102:103]
	s_delay_alu instid0(VALU_DEP_2) | instskip(NEXT) | instid1(VALU_DEP_2)
	v_add_f64_e32 v[73:74], v[71:72], v[73:74]
	v_add_f64_e32 v[69:70], v[71:72], v[69:70]
	s_delay_alu instid0(VALU_DEP_2) | instskip(NEXT) | instid1(VALU_DEP_2)
	v_add_f64_e32 v[96:97], v[75:76], v[73:74]
	v_add_f64_e32 v[102:103], v[100:101], v[69:70]
	s_delay_alu instid0(VALU_DEP_2) | instskip(SKIP_1) | instid1(VALU_DEP_2)
	v_rcp_f64_e32 v[98:99], v[96:97]
	v_add_f64_e64 v[75:76], v[96:97], -v[75:76]
	v_add_f64_e64 v[100:101], v[102:103], -v[100:101]
	s_delay_alu instid0(VALU_DEP_2) | instskip(NEXT) | instid1(TRANS32_DEP_1)
	v_add_f64_e64 v[73:74], v[73:74], -v[75:76]
	v_fma_f64 v[104:105], -v[96:97], v[98:99], 1.0
	s_delay_alu instid0(VALU_DEP_3) | instskip(NEXT) | instid1(VALU_DEP_2)
	v_add_f64_e64 v[69:70], v[69:70], -v[100:101]
	v_fma_f64 v[98:99], v[104:105], v[98:99], v[98:99]
	s_delay_alu instid0(VALU_DEP_1) | instskip(NEXT) | instid1(VALU_DEP_1)
	v_fma_f64 v[71:72], -v[96:97], v[98:99], 1.0
	v_fma_f64 v[71:72], v[71:72], v[98:99], v[98:99]
	s_delay_alu instid0(VALU_DEP_1) | instskip(NEXT) | instid1(VALU_DEP_1)
	v_mul_f64_e32 v[98:99], v[102:103], v[71:72]
	v_mul_f64_e32 v[104:105], v[96:97], v[98:99]
	s_delay_alu instid0(VALU_DEP_1) | instskip(NEXT) | instid1(VALU_DEP_1)
	v_fma_f64 v[75:76], v[98:99], v[96:97], -v[104:105]
	v_fma_f64 v[75:76], v[98:99], v[73:74], v[75:76]
	s_delay_alu instid0(VALU_DEP_1) | instskip(NEXT) | instid1(VALU_DEP_1)
	v_add_f64_e32 v[106:107], v[104:105], v[75:76]
	v_add_f64_e64 v[108:109], v[102:103], -v[106:107]
	v_add_f64_e64 v[100:101], v[106:107], -v[104:105]
	s_delay_alu instid0(VALU_DEP_2) | instskip(NEXT) | instid1(VALU_DEP_2)
	v_add_f64_e64 v[102:103], v[102:103], -v[108:109]
	v_add_f64_e64 v[75:76], v[100:101], -v[75:76]
	s_delay_alu instid0(VALU_DEP_2) | instskip(NEXT) | instid1(VALU_DEP_1)
	v_add_f64_e64 v[102:103], v[102:103], -v[106:107]
	v_add_f64_e32 v[69:70], v[69:70], v[102:103]
	s_delay_alu instid0(VALU_DEP_1) | instskip(NEXT) | instid1(VALU_DEP_1)
	v_add_f64_e32 v[69:70], v[75:76], v[69:70]
	v_add_f64_e32 v[75:76], v[108:109], v[69:70]
	s_delay_alu instid0(VALU_DEP_1) | instskip(SKIP_1) | instid1(VALU_DEP_2)
	v_mul_f64_e32 v[100:101], v[71:72], v[75:76]
	v_add_f64_e64 v[106:107], v[108:109], -v[75:76]
	v_mul_f64_e32 v[102:103], v[96:97], v[100:101]
	s_delay_alu instid0(VALU_DEP_2) | instskip(NEXT) | instid1(VALU_DEP_2)
	v_add_f64_e32 v[69:70], v[69:70], v[106:107]
	v_fma_f64 v[96:97], v[100:101], v[96:97], -v[102:103]
	s_delay_alu instid0(VALU_DEP_1) | instskip(NEXT) | instid1(VALU_DEP_1)
	v_fma_f64 v[73:74], v[100:101], v[73:74], v[96:97]
	v_add_f64_e32 v[96:97], v[102:103], v[73:74]
	s_delay_alu instid0(VALU_DEP_1) | instskip(SKIP_1) | instid1(VALU_DEP_2)
	v_add_f64_e64 v[104:105], v[75:76], -v[96:97]
	v_add_f64_e64 v[102:103], v[96:97], -v[102:103]
	;; [unrolled: 1-line block ×3, first 2 shown]
	s_delay_alu instid0(VALU_DEP_2) | instskip(NEXT) | instid1(VALU_DEP_2)
	v_add_f64_e64 v[73:74], v[102:103], -v[73:74]
	v_add_f64_e64 v[75:76], v[75:76], -v[96:97]
	s_delay_alu instid0(VALU_DEP_1) | instskip(SKIP_1) | instid1(VALU_DEP_2)
	v_add_f64_e32 v[69:70], v[69:70], v[75:76]
	v_add_f64_e32 v[75:76], v[98:99], v[100:101]
	;; [unrolled: 1-line block ×3, first 2 shown]
	s_delay_alu instid0(VALU_DEP_2) | instskip(NEXT) | instid1(VALU_DEP_2)
	v_add_f64_e64 v[73:74], v[75:76], -v[98:99]
	v_add_f64_e32 v[69:70], v[104:105], v[69:70]
	s_delay_alu instid0(VALU_DEP_2) | instskip(NEXT) | instid1(VALU_DEP_2)
	v_add_f64_e64 v[73:74], v[100:101], -v[73:74]
	v_mul_f64_e32 v[69:70], v[71:72], v[69:70]
	s_delay_alu instid0(VALU_DEP_1) | instskip(NEXT) | instid1(VALU_DEP_1)
	v_add_f64_e32 v[69:70], v[73:74], v[69:70]
	v_add_f64_e32 v[71:72], v[75:76], v[69:70]
	s_delay_alu instid0(VALU_DEP_1) | instskip(NEXT) | instid1(VALU_DEP_1)
	v_mul_f64_e32 v[73:74], v[71:72], v[71:72]
	v_fma_f64 v[96:97], v[73:74], s[42:43], s[40:41]
	s_mov_b32 s40, 0xd7f4df2e
	s_mov_b32 s41, 0x3fc7474d
	v_mul_f64_e32 v[98:99], v[71:72], v[73:74]
	s_wait_alu 0xfffe
	s_delay_alu instid0(VALU_DEP_2) | instskip(SKIP_3) | instid1(VALU_DEP_1)
	v_fma_f64 v[96:97], v[73:74], v[96:97], s[40:41]
	s_mov_b32 s40, 0x16291751
	s_mov_b32 s41, 0x3fcc71c0
	s_wait_alu 0xfffe
	v_fma_f64 v[96:97], v[73:74], v[96:97], s[40:41]
	s_mov_b32 s40, 0x9b27acf1
	s_mov_b32 s41, 0x3fd24924
	s_wait_alu 0xfffe
	s_delay_alu instid0(VALU_DEP_1) | instskip(SKIP_3) | instid1(VALU_DEP_1)
	v_fma_f64 v[96:97], v[73:74], v[96:97], s[40:41]
	s_mov_b32 s40, 0x998ef7b6
	s_mov_b32 s41, 0x3fd99999
	s_wait_alu 0xfffe
	v_fma_f64 v[96:97], v[73:74], v[96:97], s[40:41]
	s_delay_alu instid0(VALU_DEP_1)
	v_fma_f64 v[73:74], v[73:74], v[96:97], s[30:31]
	v_ldexp_f64 v[96:97], v[71:72], 1
	v_add_f64_e64 v[71:72], v[71:72], -v[75:76]
	v_cmp_nge_f64_e64 s30, -1.0, v[61:62]
	v_cmp_neq_f64_e64 s31, 0x7ff00000, v[61:62]
	v_mul_f64_e32 v[73:74], v[98:99], v[73:74]
	v_cvt_f64_i32_e32 v[98:99], v110
	v_add_f64_e64 v[69:70], v[69:70], -v[71:72]
	s_and_b32 s30, s30, s31
	s_delay_alu instid0(VALU_DEP_3) | instskip(NEXT) | instid1(VALU_DEP_3)
	v_add_f64_e32 v[75:76], v[96:97], v[73:74]
	v_mul_f64_e32 v[100:101], s[34:35], v[98:99]
	s_delay_alu instid0(VALU_DEP_3) | instskip(NEXT) | instid1(VALU_DEP_3)
	v_ldexp_f64 v[69:70], v[69:70], 1
	v_add_f64_e64 v[71:72], v[75:76], -v[96:97]
	s_delay_alu instid0(VALU_DEP_3) | instskip(SKIP_1) | instid1(VALU_DEP_3)
	v_fma_f64 v[96:97], v[98:99], s[34:35], -v[100:101]
	v_cmp_ngt_f64_e64 s34, -1.0, v[61:62]
	v_add_f64_e64 v[71:72], v[73:74], -v[71:72]
	s_delay_alu instid0(VALU_DEP_3) | instskip(NEXT) | instid1(VALU_DEP_2)
	v_fma_f64 v[73:74], v[98:99], s[36:37], v[96:97]
	v_add_f64_e32 v[69:70], v[69:70], v[71:72]
	s_delay_alu instid0(VALU_DEP_2) | instskip(NEXT) | instid1(VALU_DEP_2)
	v_add_f64_e32 v[71:72], v[100:101], v[73:74]
	v_add_f64_e32 v[96:97], v[75:76], v[69:70]
	s_delay_alu instid0(VALU_DEP_2) | instskip(NEXT) | instid1(VALU_DEP_2)
	v_add_f64_e64 v[100:101], v[71:72], -v[100:101]
	v_add_f64_e32 v[98:99], v[71:72], v[96:97]
	v_add_f64_e64 v[75:76], v[96:97], -v[75:76]
	s_delay_alu instid0(VALU_DEP_3) | instskip(NEXT) | instid1(VALU_DEP_3)
	v_add_f64_e64 v[73:74], v[73:74], -v[100:101]
	v_add_f64_e64 v[102:103], v[98:99], -v[71:72]
	s_delay_alu instid0(VALU_DEP_3) | instskip(NEXT) | instid1(VALU_DEP_2)
	v_add_f64_e64 v[69:70], v[69:70], -v[75:76]
	v_add_f64_e64 v[104:105], v[98:99], -v[102:103]
	;; [unrolled: 1-line block ×3, first 2 shown]
	s_delay_alu instid0(VALU_DEP_3) | instskip(NEXT) | instid1(VALU_DEP_3)
	v_add_f64_e32 v[96:97], v[73:74], v[69:70]
	v_add_f64_e64 v[71:72], v[71:72], -v[104:105]
	s_delay_alu instid0(VALU_DEP_1) | instskip(NEXT) | instid1(VALU_DEP_3)
	v_add_f64_e32 v[71:72], v[75:76], v[71:72]
	v_add_f64_e64 v[75:76], v[96:97], -v[73:74]
	s_delay_alu instid0(VALU_DEP_2) | instskip(NEXT) | instid1(VALU_DEP_2)
	v_add_f64_e32 v[71:72], v[96:97], v[71:72]
	v_add_f64_e64 v[96:97], v[96:97], -v[75:76]
	v_add_f64_e64 v[69:70], v[69:70], -v[75:76]
	s_delay_alu instid0(VALU_DEP_3) | instskip(NEXT) | instid1(VALU_DEP_3)
	v_add_f64_e32 v[100:101], v[98:99], v[71:72]
	v_add_f64_e64 v[73:74], v[73:74], -v[96:97]
	s_delay_alu instid0(VALU_DEP_2) | instskip(NEXT) | instid1(VALU_DEP_2)
	v_add_f64_e64 v[75:76], v[100:101], -v[98:99]
	v_add_f64_e32 v[69:70], v[69:70], v[73:74]
	s_delay_alu instid0(VALU_DEP_2) | instskip(NEXT) | instid1(VALU_DEP_1)
	v_add_f64_e64 v[71:72], v[71:72], -v[75:76]
	v_add_f64_e32 v[69:70], v[69:70], v[71:72]
	s_delay_alu instid0(VALU_DEP_1) | instskip(SKIP_1) | instid1(VALU_DEP_1)
	v_add_f64_e32 v[69:70], v[100:101], v[69:70]
	s_wait_alu 0xfffe
	v_cndmask_b32_e64 v69, 0, v69, s30
	v_cmp_neq_f64_e64 s30, -1.0, v[61:62]
	s_delay_alu instid0(VALU_DEP_3) | instskip(SKIP_1) | instid1(VALU_DEP_1)
	v_cndmask_b32_e64 v70, 0x7ff00000, v70, s31
	s_wait_alu 0xf1ff
	v_cndmask_b32_e64 v70, 0x7ff80000, v70, s34
	s_delay_alu instid0(VALU_DEP_1) | instskip(NEXT) | instid1(VALU_DEP_1)
	v_cndmask_b32_e64 v70, 0xfff00000, v70, s30
	v_add_f64_e32 v[69:70], v[59:60], v[69:70]
.LBB61_58:
	s_wait_alu 0xfffe
	s_or_b32 exec_lo, exec_lo, s38
	v_max_num_f64_e32 v[59:60], v[5:6], v[5:6]
	s_delay_alu instid0(VALU_DEP_2) | instskip(SKIP_2) | instid1(VALU_DEP_3)
	v_max_num_f64_e32 v[61:62], v[69:70], v[69:70]
	v_cmp_u_f64_e64 s31, v[69:70], v[69:70]
	v_cmp_u_f64_e64 s30, v[5:6], v[5:6]
	v_min_num_f64_e32 v[71:72], v[61:62], v[59:60]
	v_max_num_f64_e32 v[61:62], v[61:62], v[59:60]
	s_wait_alu 0xf1ff
	s_delay_alu instid0(VALU_DEP_2) | instskip(NEXT) | instid1(VALU_DEP_3)
	v_cndmask_b32_e64 v71, v71, v69, s31
	v_cndmask_b32_e64 v72, v72, v70, s31
	s_delay_alu instid0(VALU_DEP_3) | instskip(NEXT) | instid1(VALU_DEP_4)
	v_cndmask_b32_e64 v62, v62, v70, s31
	v_cndmask_b32_e64 v61, v61, v69, s31
	s_delay_alu instid0(VALU_DEP_4) | instskip(NEXT) | instid1(VALU_DEP_4)
	v_cndmask_b32_e64 v71, v71, v5, s30
	v_cndmask_b32_e64 v72, v72, v6, s30
	s_delay_alu instid0(VALU_DEP_4) | instskip(NEXT) | instid1(VALU_DEP_4)
	v_cndmask_b32_e64 v62, v62, v6, s30
	v_cndmask_b32_e64 v61, v61, v5, s30
	s_delay_alu instid0(VALU_DEP_3) | instskip(NEXT) | instid1(VALU_DEP_2)
	v_cmp_class_f64_e64 s34, v[71:72], 0x1f8
	v_cmp_neq_f64_e64 s31, v[71:72], v[61:62]
	s_or_b32 s31, s31, s34
	s_wait_alu 0xfffe
	s_and_saveexec_b32 s40, s31
	s_cbranch_execz .LBB61_60
; %bb.59:
	v_add_f64_e64 v[69:70], v[71:72], -v[61:62]
	s_mov_b32 s34, 0x652b82fe
	s_mov_b32 s35, 0x3ff71547
	;; [unrolled: 1-line block ×10, first 2 shown]
	s_wait_alu 0xfffe
	s_delay_alu instid0(VALU_DEP_1) | instskip(SKIP_3) | instid1(VALU_DEP_2)
	v_mul_f64_e32 v[71:72], s[34:35], v[69:70]
	s_mov_b32 s34, 0xfca7ab0c
	s_mov_b32 s35, 0x3e928af3
	v_cmp_nlt_f64_e64 s31, 0x40900000, v[69:70]
	v_rndne_f64_e32 v[71:72], v[71:72]
	s_delay_alu instid0(VALU_DEP_1) | instskip(SKIP_2) | instid1(VALU_DEP_2)
	v_fma_f64 v[73:74], v[71:72], s[36:37], v[69:70]
	v_cvt_i32_f64_e32 v96, v[71:72]
	s_mov_b32 s37, 0x3fe62e42
	v_fma_f64 v[73:74], v[71:72], s[38:39], v[73:74]
	s_mov_b32 s39, 0x3c7abc9e
	s_wait_alu 0xfffe
	s_delay_alu instid0(VALU_DEP_1)
	v_fma_f64 v[75:76], v[73:74], s[42:43], s[34:35]
	s_mov_b32 s34, 0x623fde64
	s_mov_b32 s35, 0x3ec71dee
	;; [unrolled: 1-line block ×4, first 2 shown]
	s_wait_alu 0xfffe
	s_delay_alu instid0(VALU_DEP_1) | instskip(SKIP_3) | instid1(VALU_DEP_1)
	v_fma_f64 v[75:76], v[73:74], v[75:76], s[34:35]
	s_mov_b32 s34, 0x7c89e6b0
	s_mov_b32 s35, 0x3efa0199
	s_wait_alu 0xfffe
	v_fma_f64 v[75:76], v[73:74], v[75:76], s[34:35]
	s_mov_b32 s34, 0x14761f6e
	s_mov_b32 s35, 0x3f2a01a0
	s_wait_alu 0xfffe
	s_delay_alu instid0(VALU_DEP_1) | instskip(SKIP_3) | instid1(VALU_DEP_1)
	v_fma_f64 v[75:76], v[73:74], v[75:76], s[34:35]
	s_mov_b32 s34, 0x1852b7b0
	s_mov_b32 s35, 0x3f56c16c
	s_wait_alu 0xfffe
	v_fma_f64 v[75:76], v[73:74], v[75:76], s[34:35]
	s_mov_b32 s34, 0x11122322
	s_mov_b32 s35, 0x3f811111
	s_wait_alu 0xfffe
	s_delay_alu instid0(VALU_DEP_1) | instskip(SKIP_3) | instid1(VALU_DEP_1)
	v_fma_f64 v[75:76], v[73:74], v[75:76], s[34:35]
	s_mov_b32 s34, 0x555502a1
	s_mov_b32 s35, 0x3fa55555
	s_wait_alu 0xfffe
	v_fma_f64 v[75:76], v[73:74], v[75:76], s[34:35]
	s_mov_b32 s34, 0x55555511
	s_mov_b32 s35, 0x3fc55555
	s_wait_alu 0xfffe
	s_delay_alu instid0(VALU_DEP_1) | instskip(SKIP_3) | instid1(VALU_DEP_1)
	v_fma_f64 v[75:76], v[73:74], v[75:76], s[34:35]
	s_mov_b32 s34, 11
	s_mov_b32 s35, 0x3fe00000
	s_wait_alu 0xfffe
	v_fma_f64 v[75:76], v[73:74], v[75:76], s[34:35]
	v_cmp_ngt_f64_e64 s34, 0xc090cc00, v[69:70]
	s_mov_b32 s35, 0x3fe55555
	v_fma_f64 v[75:76], v[73:74], v[75:76], 1.0
	s_delay_alu instid0(VALU_DEP_1) | instskip(NEXT) | instid1(VALU_DEP_1)
	v_fma_f64 v[71:72], v[73:74], v[75:76], 1.0
	v_ldexp_f64 v[71:72], v[71:72], v96
	s_wait_alu 0xf1ff
	s_delay_alu instid0(VALU_DEP_1) | instskip(SKIP_2) | instid1(VALU_DEP_2)
	v_cndmask_b32_e64 v72, 0x7ff00000, v72, s31
	s_and_b32 s31, s34, s31
	s_wait_alu 0xfffe
	v_cndmask_b32_e64 v69, 0, v71, s31
	s_delay_alu instid0(VALU_DEP_2) | instskip(SKIP_1) | instid1(VALU_DEP_1)
	v_cndmask_b32_e64 v70, 0, v72, s34
	s_mov_b32 s34, 0x55555555
	v_add_f64_e32 v[71:72], 1.0, v[69:70]
	s_delay_alu instid0(VALU_DEP_1) | instskip(SKIP_3) | instid1(VALU_DEP_3)
	v_frexp_mant_f64_e32 v[73:74], v[71:72]
	v_frexp_exp_i32_f64_e32 v96, v[71:72]
	v_add_f64_e32 v[75:76], -1.0, v[71:72]
	s_wait_alu 0xfffe
	v_cmp_gt_f64_e64 s31, s[34:35], v[73:74]
	s_mov_b32 s34, 0x55555780
	v_add_f64_e64 v[73:74], v[75:76], -v[71:72]
	v_add_f64_e64 v[75:76], v[69:70], -v[75:76]
	s_wait_alu 0xf1ff
	v_subrev_co_ci_u32_e64 v112, null, 0, v96, s31
	s_delay_alu instid0(VALU_DEP_3) | instskip(SKIP_1) | instid1(VALU_DEP_3)
	v_add_f64_e32 v[73:74], 1.0, v[73:74]
	v_cmp_nge_f64_e64 s31, -1.0, v[69:70]
	v_sub_nc_u32_e32 v98, 0, v112
	s_delay_alu instid0(VALU_DEP_1) | instskip(NEXT) | instid1(VALU_DEP_4)
	v_ldexp_f64 v[71:72], v[71:72], v98
	v_add_f64_e32 v[73:74], v[75:76], v[73:74]
	s_delay_alu instid0(VALU_DEP_2) | instskip(SKIP_1) | instid1(VALU_DEP_3)
	v_add_f64_e32 v[96:97], 1.0, v[71:72]
	v_add_f64_e32 v[102:103], -1.0, v[71:72]
	v_ldexp_f64 v[73:74], v[73:74], v98
	s_delay_alu instid0(VALU_DEP_3) | instskip(NEXT) | instid1(VALU_DEP_3)
	v_add_f64_e32 v[75:76], -1.0, v[96:97]
	v_add_f64_e32 v[104:105], 1.0, v[102:103]
	s_delay_alu instid0(VALU_DEP_2) | instskip(NEXT) | instid1(VALU_DEP_2)
	v_add_f64_e64 v[75:76], v[71:72], -v[75:76]
	v_add_f64_e64 v[71:72], v[71:72], -v[104:105]
	s_delay_alu instid0(VALU_DEP_2) | instskip(NEXT) | instid1(VALU_DEP_2)
	v_add_f64_e32 v[75:76], v[73:74], v[75:76]
	v_add_f64_e32 v[71:72], v[73:74], v[71:72]
	s_delay_alu instid0(VALU_DEP_2) | instskip(NEXT) | instid1(VALU_DEP_2)
	v_add_f64_e32 v[98:99], v[96:97], v[75:76]
	v_add_f64_e32 v[104:105], v[102:103], v[71:72]
	s_delay_alu instid0(VALU_DEP_2) | instskip(SKIP_1) | instid1(VALU_DEP_2)
	v_rcp_f64_e32 v[100:101], v[98:99]
	v_add_f64_e64 v[96:97], v[98:99], -v[96:97]
	v_add_f64_e64 v[102:103], v[104:105], -v[102:103]
	s_delay_alu instid0(VALU_DEP_2) | instskip(NEXT) | instid1(TRANS32_DEP_1)
	v_add_f64_e64 v[75:76], v[75:76], -v[96:97]
	v_fma_f64 v[106:107], -v[98:99], v[100:101], 1.0
	s_delay_alu instid0(VALU_DEP_3) | instskip(NEXT) | instid1(VALU_DEP_2)
	v_add_f64_e64 v[71:72], v[71:72], -v[102:103]
	v_fma_f64 v[100:101], v[106:107], v[100:101], v[100:101]
	s_delay_alu instid0(VALU_DEP_1) | instskip(NEXT) | instid1(VALU_DEP_1)
	v_fma_f64 v[73:74], -v[98:99], v[100:101], 1.0
	v_fma_f64 v[73:74], v[73:74], v[100:101], v[100:101]
	s_delay_alu instid0(VALU_DEP_1) | instskip(NEXT) | instid1(VALU_DEP_1)
	v_mul_f64_e32 v[100:101], v[104:105], v[73:74]
	v_mul_f64_e32 v[106:107], v[98:99], v[100:101]
	s_delay_alu instid0(VALU_DEP_1) | instskip(NEXT) | instid1(VALU_DEP_1)
	v_fma_f64 v[96:97], v[100:101], v[98:99], -v[106:107]
	v_fma_f64 v[96:97], v[100:101], v[75:76], v[96:97]
	s_delay_alu instid0(VALU_DEP_1) | instskip(NEXT) | instid1(VALU_DEP_1)
	v_add_f64_e32 v[108:109], v[106:107], v[96:97]
	v_add_f64_e64 v[110:111], v[104:105], -v[108:109]
	v_add_f64_e64 v[102:103], v[108:109], -v[106:107]
	s_delay_alu instid0(VALU_DEP_2) | instskip(NEXT) | instid1(VALU_DEP_2)
	v_add_f64_e64 v[104:105], v[104:105], -v[110:111]
	v_add_f64_e64 v[96:97], v[102:103], -v[96:97]
	s_delay_alu instid0(VALU_DEP_2) | instskip(NEXT) | instid1(VALU_DEP_1)
	v_add_f64_e64 v[104:105], v[104:105], -v[108:109]
	v_add_f64_e32 v[71:72], v[71:72], v[104:105]
	s_delay_alu instid0(VALU_DEP_1) | instskip(NEXT) | instid1(VALU_DEP_1)
	v_add_f64_e32 v[71:72], v[96:97], v[71:72]
	v_add_f64_e32 v[96:97], v[110:111], v[71:72]
	s_delay_alu instid0(VALU_DEP_1) | instskip(SKIP_1) | instid1(VALU_DEP_2)
	v_mul_f64_e32 v[102:103], v[73:74], v[96:97]
	v_add_f64_e64 v[108:109], v[110:111], -v[96:97]
	v_mul_f64_e32 v[104:105], v[98:99], v[102:103]
	s_delay_alu instid0(VALU_DEP_2) | instskip(NEXT) | instid1(VALU_DEP_2)
	v_add_f64_e32 v[71:72], v[71:72], v[108:109]
	v_fma_f64 v[98:99], v[102:103], v[98:99], -v[104:105]
	s_delay_alu instid0(VALU_DEP_1) | instskip(NEXT) | instid1(VALU_DEP_1)
	v_fma_f64 v[75:76], v[102:103], v[75:76], v[98:99]
	v_add_f64_e32 v[98:99], v[104:105], v[75:76]
	s_delay_alu instid0(VALU_DEP_1) | instskip(SKIP_1) | instid1(VALU_DEP_2)
	v_add_f64_e64 v[106:107], v[96:97], -v[98:99]
	v_add_f64_e64 v[104:105], v[98:99], -v[104:105]
	;; [unrolled: 1-line block ×3, first 2 shown]
	s_delay_alu instid0(VALU_DEP_2) | instskip(NEXT) | instid1(VALU_DEP_2)
	v_add_f64_e64 v[75:76], v[104:105], -v[75:76]
	v_add_f64_e64 v[96:97], v[96:97], -v[98:99]
	s_delay_alu instid0(VALU_DEP_1) | instskip(SKIP_1) | instid1(VALU_DEP_2)
	v_add_f64_e32 v[71:72], v[71:72], v[96:97]
	v_add_f64_e32 v[96:97], v[100:101], v[102:103]
	;; [unrolled: 1-line block ×3, first 2 shown]
	s_delay_alu instid0(VALU_DEP_2) | instskip(NEXT) | instid1(VALU_DEP_2)
	v_add_f64_e64 v[75:76], v[96:97], -v[100:101]
	v_add_f64_e32 v[71:72], v[106:107], v[71:72]
	s_delay_alu instid0(VALU_DEP_2) | instskip(NEXT) | instid1(VALU_DEP_2)
	v_add_f64_e64 v[75:76], v[102:103], -v[75:76]
	v_mul_f64_e32 v[71:72], v[73:74], v[71:72]
	s_delay_alu instid0(VALU_DEP_1) | instskip(NEXT) | instid1(VALU_DEP_1)
	v_add_f64_e32 v[71:72], v[75:76], v[71:72]
	v_add_f64_e32 v[73:74], v[96:97], v[71:72]
	s_delay_alu instid0(VALU_DEP_1) | instskip(NEXT) | instid1(VALU_DEP_1)
	v_mul_f64_e32 v[75:76], v[73:74], v[73:74]
	v_fma_f64 v[98:99], v[75:76], s[44:45], s[42:43]
	s_mov_b32 s42, 0xd7f4df2e
	s_mov_b32 s43, 0x3fc7474d
	v_mul_f64_e32 v[100:101], v[73:74], v[75:76]
	s_wait_alu 0xfffe
	s_delay_alu instid0(VALU_DEP_2) | instskip(SKIP_3) | instid1(VALU_DEP_1)
	v_fma_f64 v[98:99], v[75:76], v[98:99], s[42:43]
	s_mov_b32 s42, 0x16291751
	s_mov_b32 s43, 0x3fcc71c0
	s_wait_alu 0xfffe
	v_fma_f64 v[98:99], v[75:76], v[98:99], s[42:43]
	s_mov_b32 s42, 0x9b27acf1
	s_mov_b32 s43, 0x3fd24924
	s_wait_alu 0xfffe
	s_delay_alu instid0(VALU_DEP_1) | instskip(SKIP_3) | instid1(VALU_DEP_1)
	v_fma_f64 v[98:99], v[75:76], v[98:99], s[42:43]
	s_mov_b32 s42, 0x998ef7b6
	s_mov_b32 s43, 0x3fd99999
	s_wait_alu 0xfffe
	v_fma_f64 v[98:99], v[75:76], v[98:99], s[42:43]
	s_delay_alu instid0(VALU_DEP_1)
	v_fma_f64 v[75:76], v[75:76], v[98:99], s[34:35]
	v_ldexp_f64 v[98:99], v[73:74], 1
	v_add_f64_e64 v[73:74], v[73:74], -v[96:97]
	v_cmp_neq_f64_e64 s34, 0x7ff00000, v[69:70]
	v_cmp_ngt_f64_e64 s35, -1.0, v[69:70]
	v_mul_f64_e32 v[75:76], v[100:101], v[75:76]
	v_cvt_f64_i32_e32 v[100:101], v112
	v_add_f64_e64 v[71:72], v[71:72], -v[73:74]
	s_and_b32 s31, s31, s34
	s_delay_alu instid0(VALU_DEP_3) | instskip(NEXT) | instid1(VALU_DEP_3)
	v_add_f64_e32 v[96:97], v[98:99], v[75:76]
	v_mul_f64_e32 v[102:103], s[36:37], v[100:101]
	s_delay_alu instid0(VALU_DEP_3) | instskip(NEXT) | instid1(VALU_DEP_3)
	v_ldexp_f64 v[71:72], v[71:72], 1
	v_add_f64_e64 v[73:74], v[96:97], -v[98:99]
	s_delay_alu instid0(VALU_DEP_3) | instskip(NEXT) | instid1(VALU_DEP_2)
	v_fma_f64 v[98:99], v[100:101], s[36:37], -v[102:103]
	v_add_f64_e64 v[73:74], v[75:76], -v[73:74]
	s_delay_alu instid0(VALU_DEP_2) | instskip(NEXT) | instid1(VALU_DEP_2)
	v_fma_f64 v[75:76], v[100:101], s[38:39], v[98:99]
	v_add_f64_e32 v[71:72], v[71:72], v[73:74]
	s_delay_alu instid0(VALU_DEP_2) | instskip(NEXT) | instid1(VALU_DEP_2)
	v_add_f64_e32 v[73:74], v[102:103], v[75:76]
	v_add_f64_e32 v[98:99], v[96:97], v[71:72]
	s_delay_alu instid0(VALU_DEP_2) | instskip(NEXT) | instid1(VALU_DEP_2)
	v_add_f64_e64 v[102:103], v[73:74], -v[102:103]
	v_add_f64_e32 v[100:101], v[73:74], v[98:99]
	v_add_f64_e64 v[96:97], v[98:99], -v[96:97]
	s_delay_alu instid0(VALU_DEP_3) | instskip(NEXT) | instid1(VALU_DEP_3)
	v_add_f64_e64 v[75:76], v[75:76], -v[102:103]
	v_add_f64_e64 v[104:105], v[100:101], -v[73:74]
	s_delay_alu instid0(VALU_DEP_3) | instskip(NEXT) | instid1(VALU_DEP_2)
	v_add_f64_e64 v[71:72], v[71:72], -v[96:97]
	v_add_f64_e64 v[106:107], v[100:101], -v[104:105]
	;; [unrolled: 1-line block ×3, first 2 shown]
	s_delay_alu instid0(VALU_DEP_3) | instskip(NEXT) | instid1(VALU_DEP_3)
	v_add_f64_e32 v[98:99], v[75:76], v[71:72]
	v_add_f64_e64 v[73:74], v[73:74], -v[106:107]
	s_delay_alu instid0(VALU_DEP_1) | instskip(NEXT) | instid1(VALU_DEP_3)
	v_add_f64_e32 v[73:74], v[96:97], v[73:74]
	v_add_f64_e64 v[96:97], v[98:99], -v[75:76]
	s_delay_alu instid0(VALU_DEP_2) | instskip(NEXT) | instid1(VALU_DEP_2)
	v_add_f64_e32 v[73:74], v[98:99], v[73:74]
	v_add_f64_e64 v[98:99], v[98:99], -v[96:97]
	v_add_f64_e64 v[71:72], v[71:72], -v[96:97]
	s_delay_alu instid0(VALU_DEP_3) | instskip(NEXT) | instid1(VALU_DEP_3)
	v_add_f64_e32 v[102:103], v[100:101], v[73:74]
	v_add_f64_e64 v[75:76], v[75:76], -v[98:99]
	s_delay_alu instid0(VALU_DEP_2) | instskip(NEXT) | instid1(VALU_DEP_2)
	v_add_f64_e64 v[96:97], v[102:103], -v[100:101]
	v_add_f64_e32 v[71:72], v[71:72], v[75:76]
	s_delay_alu instid0(VALU_DEP_2) | instskip(NEXT) | instid1(VALU_DEP_1)
	v_add_f64_e64 v[73:74], v[73:74], -v[96:97]
	v_add_f64_e32 v[71:72], v[71:72], v[73:74]
	s_delay_alu instid0(VALU_DEP_1) | instskip(SKIP_1) | instid1(VALU_DEP_1)
	v_add_f64_e32 v[71:72], v[102:103], v[71:72]
	s_wait_alu 0xfffe
	v_cndmask_b32_e64 v71, 0, v71, s31
	v_cmp_neq_f64_e64 s31, -1.0, v[69:70]
	s_delay_alu instid0(VALU_DEP_3) | instskip(NEXT) | instid1(VALU_DEP_1)
	v_cndmask_b32_e64 v72, 0x7ff00000, v72, s34
	v_cndmask_b32_e64 v72, 0x7ff80000, v72, s35
	s_wait_alu 0xf1ff
	s_delay_alu instid0(VALU_DEP_1) | instskip(NEXT) | instid1(VALU_DEP_1)
	v_cndmask_b32_e64 v72, 0xfff00000, v72, s31
	v_add_f64_e32 v[69:70], v[61:62], v[71:72]
.LBB61_60:
	s_wait_alu 0xfffe
	s_or_b32 exec_lo, exec_lo, s40
	v_max_num_f64_e32 v[61:62], v[7:8], v[7:8]
	s_delay_alu instid0(VALU_DEP_2) | instskip(SKIP_2) | instid1(VALU_DEP_3)
	v_max_num_f64_e32 v[71:72], v[69:70], v[69:70]
	v_cmp_u_f64_e64 s34, v[69:70], v[69:70]
	v_cmp_u_f64_e64 s31, v[7:8], v[7:8]
	v_min_num_f64_e32 v[73:74], v[71:72], v[61:62]
	v_max_num_f64_e32 v[71:72], v[71:72], v[61:62]
	s_wait_alu 0xf1ff
	s_delay_alu instid0(VALU_DEP_2) | instskip(NEXT) | instid1(VALU_DEP_3)
	v_cndmask_b32_e64 v73, v73, v69, s34
	v_cndmask_b32_e64 v74, v74, v70, s34
	s_delay_alu instid0(VALU_DEP_3) | instskip(NEXT) | instid1(VALU_DEP_4)
	v_cndmask_b32_e64 v72, v72, v70, s34
	v_cndmask_b32_e64 v71, v71, v69, s34
	s_delay_alu instid0(VALU_DEP_4) | instskip(NEXT) | instid1(VALU_DEP_4)
	v_cndmask_b32_e64 v73, v73, v7, s31
	v_cndmask_b32_e64 v74, v74, v8, s31
	s_delay_alu instid0(VALU_DEP_4) | instskip(NEXT) | instid1(VALU_DEP_4)
	v_cndmask_b32_e64 v72, v72, v8, s31
	v_cndmask_b32_e64 v71, v71, v7, s31
	s_delay_alu instid0(VALU_DEP_3) | instskip(NEXT) | instid1(VALU_DEP_2)
	v_cmp_class_f64_e64 s35, v[73:74], 0x1f8
	v_cmp_neq_f64_e64 s34, v[73:74], v[71:72]
	s_or_b32 s34, s34, s35
	s_wait_alu 0xfffe
	s_and_saveexec_b32 s40, s34
	s_cbranch_execz .LBB61_62
; %bb.61:
	v_add_f64_e64 v[69:70], v[73:74], -v[71:72]
	s_mov_b32 s34, 0x652b82fe
	s_mov_b32 s35, 0x3ff71547
	;; [unrolled: 1-line block ×10, first 2 shown]
	s_wait_alu 0xfffe
	s_delay_alu instid0(VALU_DEP_1) | instskip(SKIP_2) | instid1(VALU_DEP_1)
	v_mul_f64_e32 v[73:74], s[34:35], v[69:70]
	s_mov_b32 s34, 0xfca7ab0c
	s_mov_b32 s35, 0x3e928af3
	v_rndne_f64_e32 v[73:74], v[73:74]
	s_delay_alu instid0(VALU_DEP_1) | instskip(SKIP_2) | instid1(VALU_DEP_2)
	v_fma_f64 v[75:76], v[73:74], s[36:37], v[69:70]
	v_cvt_i32_f64_e32 v98, v[73:74]
	s_mov_b32 s37, 0x3fe62e42
	v_fma_f64 v[75:76], v[73:74], s[38:39], v[75:76]
	s_mov_b32 s39, 0x3c7abc9e
	s_wait_alu 0xfffe
	s_delay_alu instid0(VALU_DEP_1)
	v_fma_f64 v[96:97], v[75:76], s[42:43], s[34:35]
	s_mov_b32 s34, 0x623fde64
	s_mov_b32 s35, 0x3ec71dee
	;; [unrolled: 1-line block ×4, first 2 shown]
	s_wait_alu 0xfffe
	s_delay_alu instid0(VALU_DEP_1) | instskip(SKIP_3) | instid1(VALU_DEP_1)
	v_fma_f64 v[96:97], v[75:76], v[96:97], s[34:35]
	s_mov_b32 s34, 0x7c89e6b0
	s_mov_b32 s35, 0x3efa0199
	s_wait_alu 0xfffe
	v_fma_f64 v[96:97], v[75:76], v[96:97], s[34:35]
	s_mov_b32 s34, 0x14761f6e
	s_mov_b32 s35, 0x3f2a01a0
	s_wait_alu 0xfffe
	s_delay_alu instid0(VALU_DEP_1) | instskip(SKIP_3) | instid1(VALU_DEP_1)
	v_fma_f64 v[96:97], v[75:76], v[96:97], s[34:35]
	s_mov_b32 s34, 0x1852b7b0
	s_mov_b32 s35, 0x3f56c16c
	s_wait_alu 0xfffe
	v_fma_f64 v[96:97], v[75:76], v[96:97], s[34:35]
	s_mov_b32 s34, 0x11122322
	s_mov_b32 s35, 0x3f811111
	;; [unrolled: 9-line block ×3, first 2 shown]
	s_wait_alu 0xfffe
	s_delay_alu instid0(VALU_DEP_1) | instskip(SKIP_3) | instid1(VALU_DEP_1)
	v_fma_f64 v[96:97], v[75:76], v[96:97], s[34:35]
	s_mov_b32 s34, 11
	s_mov_b32 s35, 0x3fe00000
	s_wait_alu 0xfffe
	v_fma_f64 v[96:97], v[75:76], v[96:97], s[34:35]
	v_cmp_nlt_f64_e64 s34, 0x40900000, v[69:70]
	v_cmp_ngt_f64_e64 s35, 0xc090cc00, v[69:70]
	s_delay_alu instid0(VALU_DEP_3) | instskip(NEXT) | instid1(VALU_DEP_1)
	v_fma_f64 v[96:97], v[75:76], v[96:97], 1.0
	v_fma_f64 v[73:74], v[75:76], v[96:97], 1.0
	s_delay_alu instid0(VALU_DEP_1) | instskip(SKIP_1) | instid1(VALU_DEP_1)
	v_ldexp_f64 v[73:74], v[73:74], v98
	s_wait_alu 0xf1ff
	v_cndmask_b32_e64 v74, 0x7ff00000, v74, s34
	s_and_b32 s34, s35, s34
	s_wait_alu 0xfffe
	s_delay_alu instid0(VALU_DEP_2) | instskip(SKIP_3) | instid1(VALU_DEP_1)
	v_cndmask_b32_e64 v69, 0, v73, s34
	s_mov_b32 s34, 0x55555555
	v_cndmask_b32_e64 v70, 0, v74, s35
	s_mov_b32 s35, 0x3fe55555
	v_add_f64_e32 v[73:74], 1.0, v[69:70]
	s_delay_alu instid0(VALU_DEP_1) | instskip(SKIP_3) | instid1(VALU_DEP_3)
	v_frexp_mant_f64_e32 v[75:76], v[73:74]
	v_frexp_exp_i32_f64_e32 v98, v[73:74]
	v_add_f64_e32 v[96:97], -1.0, v[73:74]
	s_wait_alu 0xfffe
	v_cmp_gt_f64_e64 s34, s[34:35], v[75:76]
	s_delay_alu instid0(VALU_DEP_2) | instskip(SKIP_2) | instid1(VALU_DEP_3)
	v_add_f64_e64 v[75:76], v[96:97], -v[73:74]
	v_add_f64_e64 v[96:97], v[69:70], -v[96:97]
	s_wait_alu 0xf1ff
	v_subrev_co_ci_u32_e64 v114, null, 0, v98, s34
	s_delay_alu instid0(VALU_DEP_3) | instskip(SKIP_1) | instid1(VALU_DEP_2)
	v_add_f64_e32 v[75:76], 1.0, v[75:76]
	s_mov_b32 s34, 0x55555780
	v_sub_nc_u32_e32 v100, 0, v114
	s_delay_alu instid0(VALU_DEP_1) | instskip(NEXT) | instid1(VALU_DEP_3)
	v_ldexp_f64 v[73:74], v[73:74], v100
	v_add_f64_e32 v[75:76], v[96:97], v[75:76]
	s_delay_alu instid0(VALU_DEP_2) | instskip(SKIP_1) | instid1(VALU_DEP_3)
	v_add_f64_e32 v[98:99], 1.0, v[73:74]
	v_add_f64_e32 v[104:105], -1.0, v[73:74]
	v_ldexp_f64 v[75:76], v[75:76], v100
	s_delay_alu instid0(VALU_DEP_3) | instskip(NEXT) | instid1(VALU_DEP_3)
	v_add_f64_e32 v[96:97], -1.0, v[98:99]
	v_add_f64_e32 v[106:107], 1.0, v[104:105]
	s_delay_alu instid0(VALU_DEP_2) | instskip(NEXT) | instid1(VALU_DEP_2)
	v_add_f64_e64 v[96:97], v[73:74], -v[96:97]
	v_add_f64_e64 v[73:74], v[73:74], -v[106:107]
	s_delay_alu instid0(VALU_DEP_2) | instskip(NEXT) | instid1(VALU_DEP_2)
	v_add_f64_e32 v[96:97], v[75:76], v[96:97]
	v_add_f64_e32 v[73:74], v[75:76], v[73:74]
	s_delay_alu instid0(VALU_DEP_2) | instskip(NEXT) | instid1(VALU_DEP_2)
	v_add_f64_e32 v[100:101], v[98:99], v[96:97]
	v_add_f64_e32 v[106:107], v[104:105], v[73:74]
	s_delay_alu instid0(VALU_DEP_2) | instskip(SKIP_1) | instid1(VALU_DEP_2)
	v_rcp_f64_e32 v[102:103], v[100:101]
	v_add_f64_e64 v[98:99], v[100:101], -v[98:99]
	v_add_f64_e64 v[104:105], v[106:107], -v[104:105]
	s_delay_alu instid0(VALU_DEP_2) | instskip(NEXT) | instid1(TRANS32_DEP_1)
	v_add_f64_e64 v[96:97], v[96:97], -v[98:99]
	v_fma_f64 v[108:109], -v[100:101], v[102:103], 1.0
	s_delay_alu instid0(VALU_DEP_3) | instskip(NEXT) | instid1(VALU_DEP_2)
	v_add_f64_e64 v[73:74], v[73:74], -v[104:105]
	v_fma_f64 v[102:103], v[108:109], v[102:103], v[102:103]
	s_delay_alu instid0(VALU_DEP_1) | instskip(NEXT) | instid1(VALU_DEP_1)
	v_fma_f64 v[75:76], -v[100:101], v[102:103], 1.0
	v_fma_f64 v[75:76], v[75:76], v[102:103], v[102:103]
	s_delay_alu instid0(VALU_DEP_1) | instskip(NEXT) | instid1(VALU_DEP_1)
	v_mul_f64_e32 v[102:103], v[106:107], v[75:76]
	v_mul_f64_e32 v[108:109], v[100:101], v[102:103]
	s_delay_alu instid0(VALU_DEP_1) | instskip(NEXT) | instid1(VALU_DEP_1)
	v_fma_f64 v[98:99], v[102:103], v[100:101], -v[108:109]
	v_fma_f64 v[98:99], v[102:103], v[96:97], v[98:99]
	s_delay_alu instid0(VALU_DEP_1) | instskip(NEXT) | instid1(VALU_DEP_1)
	v_add_f64_e32 v[110:111], v[108:109], v[98:99]
	v_add_f64_e64 v[112:113], v[106:107], -v[110:111]
	v_add_f64_e64 v[104:105], v[110:111], -v[108:109]
	s_delay_alu instid0(VALU_DEP_2) | instskip(NEXT) | instid1(VALU_DEP_2)
	v_add_f64_e64 v[106:107], v[106:107], -v[112:113]
	v_add_f64_e64 v[98:99], v[104:105], -v[98:99]
	s_delay_alu instid0(VALU_DEP_2) | instskip(NEXT) | instid1(VALU_DEP_1)
	v_add_f64_e64 v[106:107], v[106:107], -v[110:111]
	v_add_f64_e32 v[73:74], v[73:74], v[106:107]
	s_delay_alu instid0(VALU_DEP_1) | instskip(NEXT) | instid1(VALU_DEP_1)
	v_add_f64_e32 v[73:74], v[98:99], v[73:74]
	v_add_f64_e32 v[98:99], v[112:113], v[73:74]
	s_delay_alu instid0(VALU_DEP_1) | instskip(SKIP_1) | instid1(VALU_DEP_2)
	v_mul_f64_e32 v[104:105], v[75:76], v[98:99]
	v_add_f64_e64 v[110:111], v[112:113], -v[98:99]
	v_mul_f64_e32 v[106:107], v[100:101], v[104:105]
	s_delay_alu instid0(VALU_DEP_2) | instskip(NEXT) | instid1(VALU_DEP_2)
	v_add_f64_e32 v[73:74], v[73:74], v[110:111]
	v_fma_f64 v[100:101], v[104:105], v[100:101], -v[106:107]
	s_delay_alu instid0(VALU_DEP_1) | instskip(NEXT) | instid1(VALU_DEP_1)
	v_fma_f64 v[96:97], v[104:105], v[96:97], v[100:101]
	v_add_f64_e32 v[100:101], v[106:107], v[96:97]
	s_delay_alu instid0(VALU_DEP_1) | instskip(SKIP_1) | instid1(VALU_DEP_2)
	v_add_f64_e64 v[108:109], v[98:99], -v[100:101]
	v_add_f64_e64 v[106:107], v[100:101], -v[106:107]
	;; [unrolled: 1-line block ×3, first 2 shown]
	s_delay_alu instid0(VALU_DEP_2) | instskip(NEXT) | instid1(VALU_DEP_2)
	v_add_f64_e64 v[96:97], v[106:107], -v[96:97]
	v_add_f64_e64 v[98:99], v[98:99], -v[100:101]
	s_delay_alu instid0(VALU_DEP_1) | instskip(SKIP_1) | instid1(VALU_DEP_2)
	v_add_f64_e32 v[73:74], v[73:74], v[98:99]
	v_add_f64_e32 v[98:99], v[102:103], v[104:105]
	;; [unrolled: 1-line block ×3, first 2 shown]
	s_delay_alu instid0(VALU_DEP_2) | instskip(NEXT) | instid1(VALU_DEP_2)
	v_add_f64_e64 v[96:97], v[98:99], -v[102:103]
	v_add_f64_e32 v[73:74], v[108:109], v[73:74]
	s_delay_alu instid0(VALU_DEP_2) | instskip(NEXT) | instid1(VALU_DEP_2)
	v_add_f64_e64 v[96:97], v[104:105], -v[96:97]
	v_mul_f64_e32 v[73:74], v[75:76], v[73:74]
	s_delay_alu instid0(VALU_DEP_1) | instskip(NEXT) | instid1(VALU_DEP_1)
	v_add_f64_e32 v[73:74], v[96:97], v[73:74]
	v_add_f64_e32 v[75:76], v[98:99], v[73:74]
	s_delay_alu instid0(VALU_DEP_1) | instskip(NEXT) | instid1(VALU_DEP_1)
	v_mul_f64_e32 v[96:97], v[75:76], v[75:76]
	v_fma_f64 v[100:101], v[96:97], s[44:45], s[42:43]
	s_mov_b32 s42, 0xd7f4df2e
	s_mov_b32 s43, 0x3fc7474d
	v_mul_f64_e32 v[102:103], v[75:76], v[96:97]
	s_wait_alu 0xfffe
	s_delay_alu instid0(VALU_DEP_2) | instskip(SKIP_3) | instid1(VALU_DEP_1)
	v_fma_f64 v[100:101], v[96:97], v[100:101], s[42:43]
	s_mov_b32 s42, 0x16291751
	s_mov_b32 s43, 0x3fcc71c0
	s_wait_alu 0xfffe
	v_fma_f64 v[100:101], v[96:97], v[100:101], s[42:43]
	s_mov_b32 s42, 0x9b27acf1
	s_mov_b32 s43, 0x3fd24924
	s_wait_alu 0xfffe
	s_delay_alu instid0(VALU_DEP_1) | instskip(SKIP_3) | instid1(VALU_DEP_1)
	v_fma_f64 v[100:101], v[96:97], v[100:101], s[42:43]
	s_mov_b32 s42, 0x998ef7b6
	s_mov_b32 s43, 0x3fd99999
	s_wait_alu 0xfffe
	v_fma_f64 v[100:101], v[96:97], v[100:101], s[42:43]
	s_delay_alu instid0(VALU_DEP_1)
	v_fma_f64 v[96:97], v[96:97], v[100:101], s[34:35]
	v_ldexp_f64 v[100:101], v[75:76], 1
	v_add_f64_e64 v[75:76], v[75:76], -v[98:99]
	v_cmp_nge_f64_e64 s34, -1.0, v[69:70]
	v_cmp_neq_f64_e64 s35, 0x7ff00000, v[69:70]
	v_mul_f64_e32 v[96:97], v[102:103], v[96:97]
	v_cvt_f64_i32_e32 v[102:103], v114
	v_add_f64_e64 v[73:74], v[73:74], -v[75:76]
	s_and_b32 s34, s34, s35
	s_delay_alu instid0(VALU_DEP_3) | instskip(NEXT) | instid1(VALU_DEP_3)
	v_add_f64_e32 v[98:99], v[100:101], v[96:97]
	v_mul_f64_e32 v[104:105], s[36:37], v[102:103]
	s_delay_alu instid0(VALU_DEP_3) | instskip(NEXT) | instid1(VALU_DEP_3)
	v_ldexp_f64 v[73:74], v[73:74], 1
	v_add_f64_e64 v[75:76], v[98:99], -v[100:101]
	s_delay_alu instid0(VALU_DEP_3) | instskip(SKIP_1) | instid1(VALU_DEP_3)
	v_fma_f64 v[100:101], v[102:103], s[36:37], -v[104:105]
	v_cmp_ngt_f64_e64 s36, -1.0, v[69:70]
	v_add_f64_e64 v[75:76], v[96:97], -v[75:76]
	s_delay_alu instid0(VALU_DEP_3) | instskip(NEXT) | instid1(VALU_DEP_2)
	v_fma_f64 v[96:97], v[102:103], s[38:39], v[100:101]
	v_add_f64_e32 v[73:74], v[73:74], v[75:76]
	s_delay_alu instid0(VALU_DEP_2) | instskip(NEXT) | instid1(VALU_DEP_2)
	v_add_f64_e32 v[75:76], v[104:105], v[96:97]
	v_add_f64_e32 v[100:101], v[98:99], v[73:74]
	s_delay_alu instid0(VALU_DEP_2) | instskip(NEXT) | instid1(VALU_DEP_2)
	v_add_f64_e64 v[104:105], v[75:76], -v[104:105]
	v_add_f64_e32 v[102:103], v[75:76], v[100:101]
	v_add_f64_e64 v[98:99], v[100:101], -v[98:99]
	s_delay_alu instid0(VALU_DEP_3) | instskip(NEXT) | instid1(VALU_DEP_3)
	v_add_f64_e64 v[96:97], v[96:97], -v[104:105]
	v_add_f64_e64 v[106:107], v[102:103], -v[75:76]
	s_delay_alu instid0(VALU_DEP_3) | instskip(NEXT) | instid1(VALU_DEP_2)
	v_add_f64_e64 v[73:74], v[73:74], -v[98:99]
	v_add_f64_e64 v[108:109], v[102:103], -v[106:107]
	;; [unrolled: 1-line block ×3, first 2 shown]
	s_delay_alu instid0(VALU_DEP_3) | instskip(NEXT) | instid1(VALU_DEP_3)
	v_add_f64_e32 v[100:101], v[96:97], v[73:74]
	v_add_f64_e64 v[75:76], v[75:76], -v[108:109]
	s_delay_alu instid0(VALU_DEP_1) | instskip(NEXT) | instid1(VALU_DEP_3)
	v_add_f64_e32 v[75:76], v[98:99], v[75:76]
	v_add_f64_e64 v[98:99], v[100:101], -v[96:97]
	s_delay_alu instid0(VALU_DEP_2) | instskip(NEXT) | instid1(VALU_DEP_2)
	v_add_f64_e32 v[75:76], v[100:101], v[75:76]
	v_add_f64_e64 v[100:101], v[100:101], -v[98:99]
	v_add_f64_e64 v[73:74], v[73:74], -v[98:99]
	s_delay_alu instid0(VALU_DEP_3) | instskip(NEXT) | instid1(VALU_DEP_3)
	v_add_f64_e32 v[104:105], v[102:103], v[75:76]
	v_add_f64_e64 v[96:97], v[96:97], -v[100:101]
	s_delay_alu instid0(VALU_DEP_2) | instskip(NEXT) | instid1(VALU_DEP_2)
	v_add_f64_e64 v[98:99], v[104:105], -v[102:103]
	v_add_f64_e32 v[73:74], v[73:74], v[96:97]
	s_delay_alu instid0(VALU_DEP_2) | instskip(NEXT) | instid1(VALU_DEP_1)
	v_add_f64_e64 v[75:76], v[75:76], -v[98:99]
	v_add_f64_e32 v[73:74], v[73:74], v[75:76]
	s_delay_alu instid0(VALU_DEP_1) | instskip(SKIP_1) | instid1(VALU_DEP_1)
	v_add_f64_e32 v[73:74], v[104:105], v[73:74]
	s_wait_alu 0xfffe
	v_cndmask_b32_e64 v73, 0, v73, s34
	v_cmp_neq_f64_e64 s34, -1.0, v[69:70]
	s_delay_alu instid0(VALU_DEP_3) | instskip(SKIP_1) | instid1(VALU_DEP_1)
	v_cndmask_b32_e64 v74, 0x7ff00000, v74, s35
	s_wait_alu 0xf1ff
	v_cndmask_b32_e64 v74, 0x7ff80000, v74, s36
	s_delay_alu instid0(VALU_DEP_1) | instskip(NEXT) | instid1(VALU_DEP_1)
	v_cndmask_b32_e64 v74, 0xfff00000, v74, s34
	v_add_f64_e32 v[69:70], v[71:72], v[73:74]
.LBB61_62:
	s_wait_alu 0xfffe
	s_or_b32 exec_lo, exec_lo, s40
	s_load_b64 s[36:37], s[0:1], 0x20
	v_mbcnt_lo_u32_b32 v96, -1, 0
	s_delay_alu instid0(VALU_DEP_2) | instskip(NEXT) | instid1(VALU_DEP_3)
	v_mov_b32_dpp v71, v69 row_shr:1 row_mask:0xf bank_mask:0xf
	v_mov_b32_dpp v72, v70 row_shr:1 row_mask:0xf bank_mask:0xf
	v_dual_mov_b32 v73, v69 :: v_dual_mov_b32 v74, v70
	s_delay_alu instid0(VALU_DEP_4) | instskip(SKIP_1) | instid1(VALU_DEP_1)
	v_and_b32_e32 v75, 15, v96
	s_mov_b32 s40, exec_lo
	v_cmpx_ne_u32_e32 0, v75
	s_cbranch_execz .LBB61_66
; %bb.63:
	v_max_num_f64_e32 v[73:74], v[71:72], v[71:72]
	v_max_num_f64_e32 v[97:98], v[69:70], v[69:70]
	v_cmp_u_f64_e64 s0, v[71:72], v[71:72]
	v_cmp_u_f64_e64 s1, v[69:70], v[69:70]
	s_delay_alu instid0(VALU_DEP_3) | instskip(SKIP_1) | instid1(VALU_DEP_2)
	v_min_num_f64_e32 v[99:100], v[73:74], v[97:98]
	v_max_num_f64_e32 v[73:74], v[73:74], v[97:98]
	v_cndmask_b32_e64 v76, v100, v72, s0
	s_delay_alu instid0(VALU_DEP_3) | instskip(NEXT) | instid1(VALU_DEP_3)
	v_cndmask_b32_e64 v97, v99, v71, s0
	v_cndmask_b32_e64 v98, v74, v72, s0
	s_delay_alu instid0(VALU_DEP_4) | instskip(NEXT) | instid1(VALU_DEP_4)
	v_cndmask_b32_e64 v99, v73, v71, s0
	v_cndmask_b32_e64 v74, v76, v70, s1
	s_delay_alu instid0(VALU_DEP_4) | instskip(NEXT) | instid1(VALU_DEP_4)
	v_cndmask_b32_e64 v73, v97, v69, s1
	v_cndmask_b32_e64 v70, v98, v70, s1
	s_delay_alu instid0(VALU_DEP_4) | instskip(NEXT) | instid1(VALU_DEP_3)
	v_cndmask_b32_e64 v69, v99, v69, s1
	v_cmp_class_f64_e64 s1, v[73:74], 0x1f8
	s_delay_alu instid0(VALU_DEP_2)
	v_cmp_neq_f64_e64 s0, v[73:74], v[69:70]
	s_or_b32 s0, s0, s1
	s_wait_alu 0xfffe
	s_and_saveexec_b32 s41, s0
	s_cbranch_execz .LBB61_65
; %bb.64:
	v_add_f64_e64 v[71:72], v[73:74], -v[69:70]
	s_mov_b32 s0, 0x652b82fe
	s_mov_b32 s1, 0x3ff71547
	;; [unrolled: 1-line block ×10, first 2 shown]
	s_wait_alu 0xfffe
	s_delay_alu instid0(VALU_DEP_1) | instskip(SKIP_2) | instid1(VALU_DEP_1)
	v_mul_f64_e32 v[73:74], s[0:1], v[71:72]
	s_mov_b32 s0, 0xfca7ab0c
	s_mov_b32 s1, 0x3e928af3
	v_rndne_f64_e32 v[73:74], v[73:74]
	s_delay_alu instid0(VALU_DEP_1) | instskip(SKIP_2) | instid1(VALU_DEP_2)
	v_fma_f64 v[97:98], v[73:74], s[34:35], v[71:72]
	v_cvt_i32_f64_e32 v76, v[73:74]
	s_mov_b32 s35, 0x3fe62e42
	v_fma_f64 v[97:98], v[73:74], s[38:39], v[97:98]
	s_mov_b32 s39, 0x3c7abc9e
	s_wait_alu 0xfffe
	s_delay_alu instid0(VALU_DEP_1)
	v_fma_f64 v[99:100], v[97:98], s[42:43], s[0:1]
	s_mov_b32 s0, 0x623fde64
	s_mov_b32 s1, 0x3ec71dee
	;; [unrolled: 1-line block ×4, first 2 shown]
	s_wait_alu 0xfffe
	s_delay_alu instid0(VALU_DEP_1) | instskip(SKIP_3) | instid1(VALU_DEP_1)
	v_fma_f64 v[99:100], v[97:98], v[99:100], s[0:1]
	s_mov_b32 s0, 0x7c89e6b0
	s_mov_b32 s1, 0x3efa0199
	s_wait_alu 0xfffe
	v_fma_f64 v[99:100], v[97:98], v[99:100], s[0:1]
	s_mov_b32 s0, 0x14761f6e
	s_mov_b32 s1, 0x3f2a01a0
	s_wait_alu 0xfffe
	s_delay_alu instid0(VALU_DEP_1) | instskip(SKIP_3) | instid1(VALU_DEP_1)
	v_fma_f64 v[99:100], v[97:98], v[99:100], s[0:1]
	s_mov_b32 s0, 0x1852b7b0
	s_mov_b32 s1, 0x3f56c16c
	s_wait_alu 0xfffe
	v_fma_f64 v[99:100], v[97:98], v[99:100], s[0:1]
	s_mov_b32 s0, 0x11122322
	s_mov_b32 s1, 0x3f811111
	;; [unrolled: 9-line block ×3, first 2 shown]
	s_wait_alu 0xfffe
	s_delay_alu instid0(VALU_DEP_1) | instskip(SKIP_3) | instid1(VALU_DEP_1)
	v_fma_f64 v[99:100], v[97:98], v[99:100], s[0:1]
	s_mov_b32 s0, 11
	s_mov_b32 s1, 0x3fe00000
	s_wait_alu 0xfffe
	v_fma_f64 v[99:100], v[97:98], v[99:100], s[0:1]
	v_cmp_nlt_f64_e64 s0, 0x40900000, v[71:72]
	v_cmp_ngt_f64_e64 s1, 0xc090cc00, v[71:72]
	s_delay_alu instid0(VALU_DEP_3) | instskip(NEXT) | instid1(VALU_DEP_1)
	v_fma_f64 v[99:100], v[97:98], v[99:100], 1.0
	v_fma_f64 v[73:74], v[97:98], v[99:100], 1.0
	s_delay_alu instid0(VALU_DEP_1) | instskip(SKIP_1) | instid1(VALU_DEP_1)
	v_ldexp_f64 v[73:74], v[73:74], v76
	s_wait_alu 0xf1ff
	v_cndmask_b32_e64 v74, 0x7ff00000, v74, s0
	s_and_b32 s0, s1, s0
	s_wait_alu 0xfffe
	s_delay_alu instid0(VALU_DEP_2) | instskip(SKIP_3) | instid1(VALU_DEP_1)
	v_cndmask_b32_e64 v71, 0, v73, s0
	s_mov_b32 s0, 0x55555555
	v_cndmask_b32_e64 v72, 0, v74, s1
	s_mov_b32 s1, 0x3fe55555
	v_add_f64_e32 v[73:74], 1.0, v[71:72]
	s_delay_alu instid0(VALU_DEP_1) | instskip(SKIP_3) | instid1(VALU_DEP_3)
	v_frexp_mant_f64_e32 v[97:98], v[73:74]
	v_frexp_exp_i32_f64_e32 v76, v[73:74]
	v_add_f64_e32 v[99:100], -1.0, v[73:74]
	s_wait_alu 0xfffe
	v_cmp_gt_f64_e64 s0, s[0:1], v[97:98]
	s_delay_alu instid0(VALU_DEP_2) | instskip(SKIP_2) | instid1(VALU_DEP_3)
	v_add_f64_e64 v[97:98], v[99:100], -v[73:74]
	v_add_f64_e64 v[99:100], v[71:72], -v[99:100]
	s_wait_alu 0xf1ff
	v_subrev_co_ci_u32_e64 v76, null, 0, v76, s0
	s_delay_alu instid0(VALU_DEP_3) | instskip(SKIP_1) | instid1(VALU_DEP_2)
	v_add_f64_e32 v[97:98], 1.0, v[97:98]
	s_mov_b32 s0, 0x55555780
	v_sub_nc_u32_e32 v103, 0, v76
	s_delay_alu instid0(VALU_DEP_1) | instskip(NEXT) | instid1(VALU_DEP_3)
	v_ldexp_f64 v[73:74], v[73:74], v103
	v_add_f64_e32 v[97:98], v[99:100], v[97:98]
	s_delay_alu instid0(VALU_DEP_2) | instskip(SKIP_1) | instid1(VALU_DEP_3)
	v_add_f64_e32 v[101:102], 1.0, v[73:74]
	v_add_f64_e32 v[107:108], -1.0, v[73:74]
	v_ldexp_f64 v[97:98], v[97:98], v103
	s_delay_alu instid0(VALU_DEP_3) | instskip(NEXT) | instid1(VALU_DEP_3)
	v_add_f64_e32 v[99:100], -1.0, v[101:102]
	v_add_f64_e32 v[109:110], 1.0, v[107:108]
	s_delay_alu instid0(VALU_DEP_2) | instskip(NEXT) | instid1(VALU_DEP_2)
	v_add_f64_e64 v[99:100], v[73:74], -v[99:100]
	v_add_f64_e64 v[73:74], v[73:74], -v[109:110]
	s_delay_alu instid0(VALU_DEP_2) | instskip(NEXT) | instid1(VALU_DEP_2)
	v_add_f64_e32 v[99:100], v[97:98], v[99:100]
	v_add_f64_e32 v[73:74], v[97:98], v[73:74]
	s_delay_alu instid0(VALU_DEP_2) | instskip(NEXT) | instid1(VALU_DEP_2)
	v_add_f64_e32 v[103:104], v[101:102], v[99:100]
	v_add_f64_e32 v[109:110], v[107:108], v[73:74]
	s_delay_alu instid0(VALU_DEP_2) | instskip(SKIP_1) | instid1(VALU_DEP_2)
	v_rcp_f64_e32 v[105:106], v[103:104]
	v_add_f64_e64 v[101:102], v[103:104], -v[101:102]
	v_add_f64_e64 v[107:108], v[109:110], -v[107:108]
	s_delay_alu instid0(VALU_DEP_2) | instskip(NEXT) | instid1(TRANS32_DEP_1)
	v_add_f64_e64 v[99:100], v[99:100], -v[101:102]
	v_fma_f64 v[111:112], -v[103:104], v[105:106], 1.0
	s_delay_alu instid0(VALU_DEP_3) | instskip(NEXT) | instid1(VALU_DEP_2)
	v_add_f64_e64 v[73:74], v[73:74], -v[107:108]
	v_fma_f64 v[105:106], v[111:112], v[105:106], v[105:106]
	s_delay_alu instid0(VALU_DEP_1) | instskip(NEXT) | instid1(VALU_DEP_1)
	v_fma_f64 v[97:98], -v[103:104], v[105:106], 1.0
	v_fma_f64 v[97:98], v[97:98], v[105:106], v[105:106]
	s_delay_alu instid0(VALU_DEP_1) | instskip(NEXT) | instid1(VALU_DEP_1)
	v_mul_f64_e32 v[105:106], v[109:110], v[97:98]
	v_mul_f64_e32 v[111:112], v[103:104], v[105:106]
	s_delay_alu instid0(VALU_DEP_1) | instskip(NEXT) | instid1(VALU_DEP_1)
	v_fma_f64 v[101:102], v[105:106], v[103:104], -v[111:112]
	v_fma_f64 v[101:102], v[105:106], v[99:100], v[101:102]
	s_delay_alu instid0(VALU_DEP_1) | instskip(NEXT) | instid1(VALU_DEP_1)
	v_add_f64_e32 v[113:114], v[111:112], v[101:102]
	v_add_f64_e64 v[115:116], v[109:110], -v[113:114]
	v_add_f64_e64 v[107:108], v[113:114], -v[111:112]
	s_delay_alu instid0(VALU_DEP_2) | instskip(NEXT) | instid1(VALU_DEP_2)
	v_add_f64_e64 v[109:110], v[109:110], -v[115:116]
	v_add_f64_e64 v[101:102], v[107:108], -v[101:102]
	s_delay_alu instid0(VALU_DEP_2) | instskip(NEXT) | instid1(VALU_DEP_1)
	v_add_f64_e64 v[109:110], v[109:110], -v[113:114]
	v_add_f64_e32 v[73:74], v[73:74], v[109:110]
	s_delay_alu instid0(VALU_DEP_1) | instskip(NEXT) | instid1(VALU_DEP_1)
	v_add_f64_e32 v[73:74], v[101:102], v[73:74]
	v_add_f64_e32 v[101:102], v[115:116], v[73:74]
	s_delay_alu instid0(VALU_DEP_1) | instskip(SKIP_1) | instid1(VALU_DEP_2)
	v_mul_f64_e32 v[107:108], v[97:98], v[101:102]
	v_add_f64_e64 v[113:114], v[115:116], -v[101:102]
	v_mul_f64_e32 v[109:110], v[103:104], v[107:108]
	s_delay_alu instid0(VALU_DEP_2) | instskip(NEXT) | instid1(VALU_DEP_2)
	v_add_f64_e32 v[73:74], v[73:74], v[113:114]
	v_fma_f64 v[103:104], v[107:108], v[103:104], -v[109:110]
	s_delay_alu instid0(VALU_DEP_1) | instskip(NEXT) | instid1(VALU_DEP_1)
	v_fma_f64 v[99:100], v[107:108], v[99:100], v[103:104]
	v_add_f64_e32 v[103:104], v[109:110], v[99:100]
	s_delay_alu instid0(VALU_DEP_1) | instskip(SKIP_1) | instid1(VALU_DEP_2)
	v_add_f64_e64 v[111:112], v[101:102], -v[103:104]
	v_add_f64_e64 v[109:110], v[103:104], -v[109:110]
	;; [unrolled: 1-line block ×3, first 2 shown]
	s_delay_alu instid0(VALU_DEP_2) | instskip(NEXT) | instid1(VALU_DEP_2)
	v_add_f64_e64 v[99:100], v[109:110], -v[99:100]
	v_add_f64_e64 v[101:102], v[101:102], -v[103:104]
	s_delay_alu instid0(VALU_DEP_1) | instskip(SKIP_1) | instid1(VALU_DEP_2)
	v_add_f64_e32 v[73:74], v[73:74], v[101:102]
	v_add_f64_e32 v[101:102], v[105:106], v[107:108]
	v_add_f64_e32 v[73:74], v[99:100], v[73:74]
	s_delay_alu instid0(VALU_DEP_2) | instskip(NEXT) | instid1(VALU_DEP_2)
	v_add_f64_e64 v[99:100], v[101:102], -v[105:106]
	v_add_f64_e32 v[73:74], v[111:112], v[73:74]
	s_delay_alu instid0(VALU_DEP_2) | instskip(NEXT) | instid1(VALU_DEP_2)
	v_add_f64_e64 v[99:100], v[107:108], -v[99:100]
	v_mul_f64_e32 v[73:74], v[97:98], v[73:74]
	s_delay_alu instid0(VALU_DEP_1) | instskip(NEXT) | instid1(VALU_DEP_1)
	v_add_f64_e32 v[73:74], v[99:100], v[73:74]
	v_add_f64_e32 v[97:98], v[101:102], v[73:74]
	s_delay_alu instid0(VALU_DEP_1) | instskip(NEXT) | instid1(VALU_DEP_1)
	v_mul_f64_e32 v[99:100], v[97:98], v[97:98]
	v_fma_f64 v[103:104], v[99:100], s[44:45], s[42:43]
	s_mov_b32 s42, 0xd7f4df2e
	s_mov_b32 s43, 0x3fc7474d
	v_mul_f64_e32 v[105:106], v[97:98], v[99:100]
	s_wait_alu 0xfffe
	s_delay_alu instid0(VALU_DEP_2) | instskip(SKIP_3) | instid1(VALU_DEP_1)
	v_fma_f64 v[103:104], v[99:100], v[103:104], s[42:43]
	s_mov_b32 s42, 0x16291751
	s_mov_b32 s43, 0x3fcc71c0
	s_wait_alu 0xfffe
	v_fma_f64 v[103:104], v[99:100], v[103:104], s[42:43]
	s_mov_b32 s42, 0x9b27acf1
	s_mov_b32 s43, 0x3fd24924
	s_wait_alu 0xfffe
	s_delay_alu instid0(VALU_DEP_1) | instskip(SKIP_3) | instid1(VALU_DEP_1)
	v_fma_f64 v[103:104], v[99:100], v[103:104], s[42:43]
	s_mov_b32 s42, 0x998ef7b6
	s_mov_b32 s43, 0x3fd99999
	s_wait_alu 0xfffe
	v_fma_f64 v[103:104], v[99:100], v[103:104], s[42:43]
	s_delay_alu instid0(VALU_DEP_1)
	v_fma_f64 v[99:100], v[99:100], v[103:104], s[0:1]
	v_ldexp_f64 v[103:104], v[97:98], 1
	v_add_f64_e64 v[97:98], v[97:98], -v[101:102]
	v_cmp_nge_f64_e64 s0, -1.0, v[71:72]
	v_cmp_neq_f64_e64 s1, 0x7ff00000, v[71:72]
	v_mul_f64_e32 v[99:100], v[105:106], v[99:100]
	v_cvt_f64_i32_e32 v[105:106], v76
	v_add_f64_e64 v[73:74], v[73:74], -v[97:98]
	s_and_b32 s0, s0, s1
	s_delay_alu instid0(VALU_DEP_3) | instskip(NEXT) | instid1(VALU_DEP_3)
	v_add_f64_e32 v[101:102], v[103:104], v[99:100]
	v_mul_f64_e32 v[107:108], s[34:35], v[105:106]
	s_delay_alu instid0(VALU_DEP_3) | instskip(NEXT) | instid1(VALU_DEP_3)
	v_ldexp_f64 v[73:74], v[73:74], 1
	v_add_f64_e64 v[97:98], v[101:102], -v[103:104]
	s_delay_alu instid0(VALU_DEP_3) | instskip(SKIP_1) | instid1(VALU_DEP_3)
	v_fma_f64 v[103:104], v[105:106], s[34:35], -v[107:108]
	v_cmp_ngt_f64_e64 s34, -1.0, v[71:72]
	v_add_f64_e64 v[97:98], v[99:100], -v[97:98]
	s_delay_alu instid0(VALU_DEP_3) | instskip(NEXT) | instid1(VALU_DEP_2)
	v_fma_f64 v[99:100], v[105:106], s[38:39], v[103:104]
	v_add_f64_e32 v[73:74], v[73:74], v[97:98]
	s_delay_alu instid0(VALU_DEP_2) | instskip(NEXT) | instid1(VALU_DEP_2)
	v_add_f64_e32 v[97:98], v[107:108], v[99:100]
	v_add_f64_e32 v[103:104], v[101:102], v[73:74]
	s_delay_alu instid0(VALU_DEP_2) | instskip(NEXT) | instid1(VALU_DEP_2)
	v_add_f64_e64 v[107:108], v[97:98], -v[107:108]
	v_add_f64_e32 v[105:106], v[97:98], v[103:104]
	v_add_f64_e64 v[101:102], v[103:104], -v[101:102]
	s_delay_alu instid0(VALU_DEP_3) | instskip(NEXT) | instid1(VALU_DEP_3)
	v_add_f64_e64 v[99:100], v[99:100], -v[107:108]
	v_add_f64_e64 v[109:110], v[105:106], -v[97:98]
	s_delay_alu instid0(VALU_DEP_3) | instskip(NEXT) | instid1(VALU_DEP_2)
	v_add_f64_e64 v[73:74], v[73:74], -v[101:102]
	v_add_f64_e64 v[111:112], v[105:106], -v[109:110]
	v_add_f64_e64 v[101:102], v[103:104], -v[109:110]
	s_delay_alu instid0(VALU_DEP_3) | instskip(NEXT) | instid1(VALU_DEP_3)
	v_add_f64_e32 v[103:104], v[99:100], v[73:74]
	v_add_f64_e64 v[97:98], v[97:98], -v[111:112]
	s_delay_alu instid0(VALU_DEP_1) | instskip(NEXT) | instid1(VALU_DEP_3)
	v_add_f64_e32 v[97:98], v[101:102], v[97:98]
	v_add_f64_e64 v[101:102], v[103:104], -v[99:100]
	s_delay_alu instid0(VALU_DEP_2) | instskip(NEXT) | instid1(VALU_DEP_2)
	v_add_f64_e32 v[97:98], v[103:104], v[97:98]
	v_add_f64_e64 v[103:104], v[103:104], -v[101:102]
	v_add_f64_e64 v[73:74], v[73:74], -v[101:102]
	s_delay_alu instid0(VALU_DEP_3) | instskip(NEXT) | instid1(VALU_DEP_3)
	v_add_f64_e32 v[107:108], v[105:106], v[97:98]
	v_add_f64_e64 v[99:100], v[99:100], -v[103:104]
	s_delay_alu instid0(VALU_DEP_2) | instskip(NEXT) | instid1(VALU_DEP_2)
	v_add_f64_e64 v[101:102], v[107:108], -v[105:106]
	v_add_f64_e32 v[73:74], v[73:74], v[99:100]
	s_delay_alu instid0(VALU_DEP_2) | instskip(NEXT) | instid1(VALU_DEP_1)
	v_add_f64_e64 v[97:98], v[97:98], -v[101:102]
	v_add_f64_e32 v[73:74], v[73:74], v[97:98]
	s_delay_alu instid0(VALU_DEP_1) | instskip(SKIP_1) | instid1(VALU_DEP_1)
	v_add_f64_e32 v[73:74], v[107:108], v[73:74]
	s_wait_alu 0xfffe
	v_cndmask_b32_e64 v73, 0, v73, s0
	v_cmp_neq_f64_e64 s0, -1.0, v[71:72]
	s_delay_alu instid0(VALU_DEP_3) | instskip(SKIP_1) | instid1(VALU_DEP_1)
	v_cndmask_b32_e64 v74, 0x7ff00000, v74, s1
	s_wait_alu 0xf1ff
	v_cndmask_b32_e64 v74, 0x7ff80000, v74, s34
	s_delay_alu instid0(VALU_DEP_1) | instskip(NEXT) | instid1(VALU_DEP_1)
	v_cndmask_b32_e64 v74, 0xfff00000, v74, s0
	v_add_f64_e32 v[71:72], v[69:70], v[73:74]
.LBB61_65:
	s_wait_alu 0xfffe
	s_or_b32 exec_lo, exec_lo, s41
	s_delay_alu instid0(VALU_DEP_1)
	v_dual_mov_b32 v73, v71 :: v_dual_mov_b32 v74, v72
	v_dual_mov_b32 v69, v71 :: v_dual_mov_b32 v70, v72
.LBB61_66:
	s_wait_alu 0xfffe
	s_or_b32 exec_lo, exec_lo, s40
	s_delay_alu instid0(VALU_DEP_2)
	v_mov_b32_dpp v71, v73 row_shr:2 row_mask:0xf bank_mask:0xf
	v_mov_b32_dpp v72, v74 row_shr:2 row_mask:0xf bank_mask:0xf
	s_mov_b32 s40, exec_lo
	v_cmpx_lt_u32_e32 1, v75
	s_cbranch_execz .LBB61_70
; %bb.67:
	s_delay_alu instid0(VALU_DEP_2) | instskip(SKIP_3) | instid1(VALU_DEP_3)
	v_max_num_f64_e32 v[73:74], v[71:72], v[71:72]
	v_max_num_f64_e32 v[97:98], v[69:70], v[69:70]
	v_cmp_u_f64_e64 s0, v[71:72], v[71:72]
	v_cmp_u_f64_e64 s1, v[69:70], v[69:70]
	v_min_num_f64_e32 v[99:100], v[73:74], v[97:98]
	v_max_num_f64_e32 v[73:74], v[73:74], v[97:98]
	s_wait_alu 0xf1ff
	s_delay_alu instid0(VALU_DEP_2) | instskip(NEXT) | instid1(VALU_DEP_3)
	v_cndmask_b32_e64 v76, v100, v72, s0
	v_cndmask_b32_e64 v97, v99, v71, s0
	s_delay_alu instid0(VALU_DEP_3) | instskip(NEXT) | instid1(VALU_DEP_4)
	v_cndmask_b32_e64 v98, v74, v72, s0
	v_cndmask_b32_e64 v99, v73, v71, s0
	s_delay_alu instid0(VALU_DEP_4) | instskip(NEXT) | instid1(VALU_DEP_4)
	v_cndmask_b32_e64 v74, v76, v70, s1
	v_cndmask_b32_e64 v73, v97, v69, s1
	s_delay_alu instid0(VALU_DEP_4) | instskip(NEXT) | instid1(VALU_DEP_4)
	v_cndmask_b32_e64 v70, v98, v70, s1
	v_cndmask_b32_e64 v69, v99, v69, s1
	s_delay_alu instid0(VALU_DEP_3) | instskip(NEXT) | instid1(VALU_DEP_2)
	v_cmp_class_f64_e64 s1, v[73:74], 0x1f8
	v_cmp_neq_f64_e64 s0, v[73:74], v[69:70]
	s_or_b32 s0, s0, s1
	s_wait_alu 0xfffe
	s_and_saveexec_b32 s41, s0
	s_cbranch_execz .LBB61_69
; %bb.68:
	v_add_f64_e64 v[71:72], v[73:74], -v[69:70]
	s_mov_b32 s0, 0x652b82fe
	s_mov_b32 s1, 0x3ff71547
	;; [unrolled: 1-line block ×10, first 2 shown]
	s_wait_alu 0xfffe
	s_delay_alu instid0(VALU_DEP_1) | instskip(SKIP_2) | instid1(VALU_DEP_1)
	v_mul_f64_e32 v[73:74], s[0:1], v[71:72]
	s_mov_b32 s0, 0xfca7ab0c
	s_mov_b32 s1, 0x3e928af3
	v_rndne_f64_e32 v[73:74], v[73:74]
	s_delay_alu instid0(VALU_DEP_1) | instskip(SKIP_2) | instid1(VALU_DEP_2)
	v_fma_f64 v[97:98], v[73:74], s[34:35], v[71:72]
	v_cvt_i32_f64_e32 v76, v[73:74]
	s_mov_b32 s35, 0x3fe62e42
	v_fma_f64 v[97:98], v[73:74], s[38:39], v[97:98]
	s_mov_b32 s39, 0x3c7abc9e
	s_wait_alu 0xfffe
	s_delay_alu instid0(VALU_DEP_1)
	v_fma_f64 v[99:100], v[97:98], s[42:43], s[0:1]
	s_mov_b32 s0, 0x623fde64
	s_mov_b32 s1, 0x3ec71dee
	;; [unrolled: 1-line block ×4, first 2 shown]
	s_wait_alu 0xfffe
	s_delay_alu instid0(VALU_DEP_1) | instskip(SKIP_3) | instid1(VALU_DEP_1)
	v_fma_f64 v[99:100], v[97:98], v[99:100], s[0:1]
	s_mov_b32 s0, 0x7c89e6b0
	s_mov_b32 s1, 0x3efa0199
	s_wait_alu 0xfffe
	v_fma_f64 v[99:100], v[97:98], v[99:100], s[0:1]
	s_mov_b32 s0, 0x14761f6e
	s_mov_b32 s1, 0x3f2a01a0
	s_wait_alu 0xfffe
	s_delay_alu instid0(VALU_DEP_1) | instskip(SKIP_3) | instid1(VALU_DEP_1)
	v_fma_f64 v[99:100], v[97:98], v[99:100], s[0:1]
	s_mov_b32 s0, 0x1852b7b0
	s_mov_b32 s1, 0x3f56c16c
	s_wait_alu 0xfffe
	v_fma_f64 v[99:100], v[97:98], v[99:100], s[0:1]
	s_mov_b32 s0, 0x11122322
	s_mov_b32 s1, 0x3f811111
	;; [unrolled: 9-line block ×3, first 2 shown]
	s_wait_alu 0xfffe
	s_delay_alu instid0(VALU_DEP_1) | instskip(SKIP_3) | instid1(VALU_DEP_1)
	v_fma_f64 v[99:100], v[97:98], v[99:100], s[0:1]
	s_mov_b32 s0, 11
	s_mov_b32 s1, 0x3fe00000
	s_wait_alu 0xfffe
	v_fma_f64 v[99:100], v[97:98], v[99:100], s[0:1]
	v_cmp_nlt_f64_e64 s0, 0x40900000, v[71:72]
	v_cmp_ngt_f64_e64 s1, 0xc090cc00, v[71:72]
	s_delay_alu instid0(VALU_DEP_3) | instskip(NEXT) | instid1(VALU_DEP_1)
	v_fma_f64 v[99:100], v[97:98], v[99:100], 1.0
	v_fma_f64 v[73:74], v[97:98], v[99:100], 1.0
	s_delay_alu instid0(VALU_DEP_1) | instskip(SKIP_1) | instid1(VALU_DEP_1)
	v_ldexp_f64 v[73:74], v[73:74], v76
	s_wait_alu 0xf1ff
	v_cndmask_b32_e64 v74, 0x7ff00000, v74, s0
	s_and_b32 s0, s1, s0
	s_wait_alu 0xfffe
	s_delay_alu instid0(VALU_DEP_2) | instskip(SKIP_3) | instid1(VALU_DEP_1)
	v_cndmask_b32_e64 v71, 0, v73, s0
	s_mov_b32 s0, 0x55555555
	v_cndmask_b32_e64 v72, 0, v74, s1
	s_mov_b32 s1, 0x3fe55555
	v_add_f64_e32 v[73:74], 1.0, v[71:72]
	s_delay_alu instid0(VALU_DEP_1) | instskip(SKIP_3) | instid1(VALU_DEP_3)
	v_frexp_mant_f64_e32 v[97:98], v[73:74]
	v_frexp_exp_i32_f64_e32 v76, v[73:74]
	v_add_f64_e32 v[99:100], -1.0, v[73:74]
	s_wait_alu 0xfffe
	v_cmp_gt_f64_e64 s0, s[0:1], v[97:98]
	s_delay_alu instid0(VALU_DEP_2) | instskip(SKIP_2) | instid1(VALU_DEP_3)
	v_add_f64_e64 v[97:98], v[99:100], -v[73:74]
	v_add_f64_e64 v[99:100], v[71:72], -v[99:100]
	s_wait_alu 0xf1ff
	v_subrev_co_ci_u32_e64 v76, null, 0, v76, s0
	s_delay_alu instid0(VALU_DEP_3) | instskip(SKIP_1) | instid1(VALU_DEP_2)
	v_add_f64_e32 v[97:98], 1.0, v[97:98]
	s_mov_b32 s0, 0x55555780
	v_sub_nc_u32_e32 v103, 0, v76
	s_delay_alu instid0(VALU_DEP_1) | instskip(NEXT) | instid1(VALU_DEP_3)
	v_ldexp_f64 v[73:74], v[73:74], v103
	v_add_f64_e32 v[97:98], v[99:100], v[97:98]
	s_delay_alu instid0(VALU_DEP_2) | instskip(SKIP_1) | instid1(VALU_DEP_3)
	v_add_f64_e32 v[101:102], 1.0, v[73:74]
	v_add_f64_e32 v[107:108], -1.0, v[73:74]
	v_ldexp_f64 v[97:98], v[97:98], v103
	s_delay_alu instid0(VALU_DEP_3) | instskip(NEXT) | instid1(VALU_DEP_3)
	v_add_f64_e32 v[99:100], -1.0, v[101:102]
	v_add_f64_e32 v[109:110], 1.0, v[107:108]
	s_delay_alu instid0(VALU_DEP_2) | instskip(NEXT) | instid1(VALU_DEP_2)
	v_add_f64_e64 v[99:100], v[73:74], -v[99:100]
	v_add_f64_e64 v[73:74], v[73:74], -v[109:110]
	s_delay_alu instid0(VALU_DEP_2) | instskip(NEXT) | instid1(VALU_DEP_2)
	v_add_f64_e32 v[99:100], v[97:98], v[99:100]
	v_add_f64_e32 v[73:74], v[97:98], v[73:74]
	s_delay_alu instid0(VALU_DEP_2) | instskip(NEXT) | instid1(VALU_DEP_2)
	v_add_f64_e32 v[103:104], v[101:102], v[99:100]
	v_add_f64_e32 v[109:110], v[107:108], v[73:74]
	s_delay_alu instid0(VALU_DEP_2) | instskip(SKIP_1) | instid1(VALU_DEP_2)
	v_rcp_f64_e32 v[105:106], v[103:104]
	v_add_f64_e64 v[101:102], v[103:104], -v[101:102]
	v_add_f64_e64 v[107:108], v[109:110], -v[107:108]
	s_delay_alu instid0(VALU_DEP_2) | instskip(NEXT) | instid1(TRANS32_DEP_1)
	v_add_f64_e64 v[99:100], v[99:100], -v[101:102]
	v_fma_f64 v[111:112], -v[103:104], v[105:106], 1.0
	s_delay_alu instid0(VALU_DEP_3) | instskip(NEXT) | instid1(VALU_DEP_2)
	v_add_f64_e64 v[73:74], v[73:74], -v[107:108]
	v_fma_f64 v[105:106], v[111:112], v[105:106], v[105:106]
	s_delay_alu instid0(VALU_DEP_1) | instskip(NEXT) | instid1(VALU_DEP_1)
	v_fma_f64 v[97:98], -v[103:104], v[105:106], 1.0
	v_fma_f64 v[97:98], v[97:98], v[105:106], v[105:106]
	s_delay_alu instid0(VALU_DEP_1) | instskip(NEXT) | instid1(VALU_DEP_1)
	v_mul_f64_e32 v[105:106], v[109:110], v[97:98]
	v_mul_f64_e32 v[111:112], v[103:104], v[105:106]
	s_delay_alu instid0(VALU_DEP_1) | instskip(NEXT) | instid1(VALU_DEP_1)
	v_fma_f64 v[101:102], v[105:106], v[103:104], -v[111:112]
	v_fma_f64 v[101:102], v[105:106], v[99:100], v[101:102]
	s_delay_alu instid0(VALU_DEP_1) | instskip(NEXT) | instid1(VALU_DEP_1)
	v_add_f64_e32 v[113:114], v[111:112], v[101:102]
	v_add_f64_e64 v[115:116], v[109:110], -v[113:114]
	v_add_f64_e64 v[107:108], v[113:114], -v[111:112]
	s_delay_alu instid0(VALU_DEP_2) | instskip(NEXT) | instid1(VALU_DEP_2)
	v_add_f64_e64 v[109:110], v[109:110], -v[115:116]
	v_add_f64_e64 v[101:102], v[107:108], -v[101:102]
	s_delay_alu instid0(VALU_DEP_2) | instskip(NEXT) | instid1(VALU_DEP_1)
	v_add_f64_e64 v[109:110], v[109:110], -v[113:114]
	v_add_f64_e32 v[73:74], v[73:74], v[109:110]
	s_delay_alu instid0(VALU_DEP_1) | instskip(NEXT) | instid1(VALU_DEP_1)
	v_add_f64_e32 v[73:74], v[101:102], v[73:74]
	v_add_f64_e32 v[101:102], v[115:116], v[73:74]
	s_delay_alu instid0(VALU_DEP_1) | instskip(SKIP_1) | instid1(VALU_DEP_2)
	v_mul_f64_e32 v[107:108], v[97:98], v[101:102]
	v_add_f64_e64 v[113:114], v[115:116], -v[101:102]
	v_mul_f64_e32 v[109:110], v[103:104], v[107:108]
	s_delay_alu instid0(VALU_DEP_2) | instskip(NEXT) | instid1(VALU_DEP_2)
	v_add_f64_e32 v[73:74], v[73:74], v[113:114]
	v_fma_f64 v[103:104], v[107:108], v[103:104], -v[109:110]
	s_delay_alu instid0(VALU_DEP_1) | instskip(NEXT) | instid1(VALU_DEP_1)
	v_fma_f64 v[99:100], v[107:108], v[99:100], v[103:104]
	v_add_f64_e32 v[103:104], v[109:110], v[99:100]
	s_delay_alu instid0(VALU_DEP_1) | instskip(SKIP_1) | instid1(VALU_DEP_2)
	v_add_f64_e64 v[111:112], v[101:102], -v[103:104]
	v_add_f64_e64 v[109:110], v[103:104], -v[109:110]
	;; [unrolled: 1-line block ×3, first 2 shown]
	s_delay_alu instid0(VALU_DEP_2) | instskip(NEXT) | instid1(VALU_DEP_2)
	v_add_f64_e64 v[99:100], v[109:110], -v[99:100]
	v_add_f64_e64 v[101:102], v[101:102], -v[103:104]
	s_delay_alu instid0(VALU_DEP_1) | instskip(SKIP_1) | instid1(VALU_DEP_2)
	v_add_f64_e32 v[73:74], v[73:74], v[101:102]
	v_add_f64_e32 v[101:102], v[105:106], v[107:108]
	;; [unrolled: 1-line block ×3, first 2 shown]
	s_delay_alu instid0(VALU_DEP_2) | instskip(NEXT) | instid1(VALU_DEP_2)
	v_add_f64_e64 v[99:100], v[101:102], -v[105:106]
	v_add_f64_e32 v[73:74], v[111:112], v[73:74]
	s_delay_alu instid0(VALU_DEP_2) | instskip(NEXT) | instid1(VALU_DEP_2)
	v_add_f64_e64 v[99:100], v[107:108], -v[99:100]
	v_mul_f64_e32 v[73:74], v[97:98], v[73:74]
	s_delay_alu instid0(VALU_DEP_1) | instskip(NEXT) | instid1(VALU_DEP_1)
	v_add_f64_e32 v[73:74], v[99:100], v[73:74]
	v_add_f64_e32 v[97:98], v[101:102], v[73:74]
	s_delay_alu instid0(VALU_DEP_1) | instskip(NEXT) | instid1(VALU_DEP_1)
	v_mul_f64_e32 v[99:100], v[97:98], v[97:98]
	v_fma_f64 v[103:104], v[99:100], s[44:45], s[42:43]
	s_mov_b32 s42, 0xd7f4df2e
	s_mov_b32 s43, 0x3fc7474d
	v_mul_f64_e32 v[105:106], v[97:98], v[99:100]
	s_wait_alu 0xfffe
	s_delay_alu instid0(VALU_DEP_2) | instskip(SKIP_3) | instid1(VALU_DEP_1)
	v_fma_f64 v[103:104], v[99:100], v[103:104], s[42:43]
	s_mov_b32 s42, 0x16291751
	s_mov_b32 s43, 0x3fcc71c0
	s_wait_alu 0xfffe
	v_fma_f64 v[103:104], v[99:100], v[103:104], s[42:43]
	s_mov_b32 s42, 0x9b27acf1
	s_mov_b32 s43, 0x3fd24924
	s_wait_alu 0xfffe
	s_delay_alu instid0(VALU_DEP_1) | instskip(SKIP_3) | instid1(VALU_DEP_1)
	v_fma_f64 v[103:104], v[99:100], v[103:104], s[42:43]
	s_mov_b32 s42, 0x998ef7b6
	s_mov_b32 s43, 0x3fd99999
	s_wait_alu 0xfffe
	v_fma_f64 v[103:104], v[99:100], v[103:104], s[42:43]
	s_delay_alu instid0(VALU_DEP_1)
	v_fma_f64 v[99:100], v[99:100], v[103:104], s[0:1]
	v_ldexp_f64 v[103:104], v[97:98], 1
	v_add_f64_e64 v[97:98], v[97:98], -v[101:102]
	v_cmp_nge_f64_e64 s0, -1.0, v[71:72]
	v_cmp_neq_f64_e64 s1, 0x7ff00000, v[71:72]
	v_mul_f64_e32 v[99:100], v[105:106], v[99:100]
	v_cvt_f64_i32_e32 v[105:106], v76
	v_add_f64_e64 v[73:74], v[73:74], -v[97:98]
	s_and_b32 s0, s0, s1
	s_delay_alu instid0(VALU_DEP_3) | instskip(NEXT) | instid1(VALU_DEP_3)
	v_add_f64_e32 v[101:102], v[103:104], v[99:100]
	v_mul_f64_e32 v[107:108], s[34:35], v[105:106]
	s_delay_alu instid0(VALU_DEP_3) | instskip(NEXT) | instid1(VALU_DEP_3)
	v_ldexp_f64 v[73:74], v[73:74], 1
	v_add_f64_e64 v[97:98], v[101:102], -v[103:104]
	s_delay_alu instid0(VALU_DEP_3) | instskip(SKIP_1) | instid1(VALU_DEP_3)
	v_fma_f64 v[103:104], v[105:106], s[34:35], -v[107:108]
	v_cmp_ngt_f64_e64 s34, -1.0, v[71:72]
	v_add_f64_e64 v[97:98], v[99:100], -v[97:98]
	s_delay_alu instid0(VALU_DEP_3) | instskip(NEXT) | instid1(VALU_DEP_2)
	v_fma_f64 v[99:100], v[105:106], s[38:39], v[103:104]
	v_add_f64_e32 v[73:74], v[73:74], v[97:98]
	s_delay_alu instid0(VALU_DEP_2) | instskip(NEXT) | instid1(VALU_DEP_2)
	v_add_f64_e32 v[97:98], v[107:108], v[99:100]
	v_add_f64_e32 v[103:104], v[101:102], v[73:74]
	s_delay_alu instid0(VALU_DEP_2) | instskip(NEXT) | instid1(VALU_DEP_2)
	v_add_f64_e64 v[107:108], v[97:98], -v[107:108]
	v_add_f64_e32 v[105:106], v[97:98], v[103:104]
	v_add_f64_e64 v[101:102], v[103:104], -v[101:102]
	s_delay_alu instid0(VALU_DEP_3) | instskip(NEXT) | instid1(VALU_DEP_3)
	v_add_f64_e64 v[99:100], v[99:100], -v[107:108]
	v_add_f64_e64 v[109:110], v[105:106], -v[97:98]
	s_delay_alu instid0(VALU_DEP_3) | instskip(NEXT) | instid1(VALU_DEP_2)
	v_add_f64_e64 v[73:74], v[73:74], -v[101:102]
	v_add_f64_e64 v[111:112], v[105:106], -v[109:110]
	;; [unrolled: 1-line block ×3, first 2 shown]
	s_delay_alu instid0(VALU_DEP_3) | instskip(NEXT) | instid1(VALU_DEP_3)
	v_add_f64_e32 v[103:104], v[99:100], v[73:74]
	v_add_f64_e64 v[97:98], v[97:98], -v[111:112]
	s_delay_alu instid0(VALU_DEP_1) | instskip(NEXT) | instid1(VALU_DEP_3)
	v_add_f64_e32 v[97:98], v[101:102], v[97:98]
	v_add_f64_e64 v[101:102], v[103:104], -v[99:100]
	s_delay_alu instid0(VALU_DEP_2) | instskip(NEXT) | instid1(VALU_DEP_2)
	v_add_f64_e32 v[97:98], v[103:104], v[97:98]
	v_add_f64_e64 v[103:104], v[103:104], -v[101:102]
	v_add_f64_e64 v[73:74], v[73:74], -v[101:102]
	s_delay_alu instid0(VALU_DEP_3) | instskip(NEXT) | instid1(VALU_DEP_3)
	v_add_f64_e32 v[107:108], v[105:106], v[97:98]
	v_add_f64_e64 v[99:100], v[99:100], -v[103:104]
	s_delay_alu instid0(VALU_DEP_2) | instskip(NEXT) | instid1(VALU_DEP_2)
	v_add_f64_e64 v[101:102], v[107:108], -v[105:106]
	v_add_f64_e32 v[73:74], v[73:74], v[99:100]
	s_delay_alu instid0(VALU_DEP_2) | instskip(NEXT) | instid1(VALU_DEP_1)
	v_add_f64_e64 v[97:98], v[97:98], -v[101:102]
	v_add_f64_e32 v[73:74], v[73:74], v[97:98]
	s_delay_alu instid0(VALU_DEP_1) | instskip(SKIP_1) | instid1(VALU_DEP_1)
	v_add_f64_e32 v[73:74], v[107:108], v[73:74]
	s_wait_alu 0xfffe
	v_cndmask_b32_e64 v73, 0, v73, s0
	v_cmp_neq_f64_e64 s0, -1.0, v[71:72]
	s_delay_alu instid0(VALU_DEP_3) | instskip(SKIP_1) | instid1(VALU_DEP_1)
	v_cndmask_b32_e64 v74, 0x7ff00000, v74, s1
	s_wait_alu 0xf1ff
	v_cndmask_b32_e64 v74, 0x7ff80000, v74, s34
	s_delay_alu instid0(VALU_DEP_1) | instskip(NEXT) | instid1(VALU_DEP_1)
	v_cndmask_b32_e64 v74, 0xfff00000, v74, s0
	v_add_f64_e32 v[71:72], v[69:70], v[73:74]
.LBB61_69:
	s_wait_alu 0xfffe
	s_or_b32 exec_lo, exec_lo, s41
	s_delay_alu instid0(VALU_DEP_1)
	v_dual_mov_b32 v69, v71 :: v_dual_mov_b32 v70, v72
	v_dual_mov_b32 v73, v71 :: v_dual_mov_b32 v74, v72
.LBB61_70:
	s_wait_alu 0xfffe
	s_or_b32 exec_lo, exec_lo, s40
	s_delay_alu instid0(VALU_DEP_1) | instskip(NEXT) | instid1(VALU_DEP_2)
	v_mov_b32_dpp v71, v73 row_shr:4 row_mask:0xf bank_mask:0xf
	v_mov_b32_dpp v72, v74 row_shr:4 row_mask:0xf bank_mask:0xf
	s_mov_b32 s40, exec_lo
	v_cmpx_lt_u32_e32 3, v75
	s_cbranch_execz .LBB61_74
; %bb.71:
	s_delay_alu instid0(VALU_DEP_2) | instskip(SKIP_3) | instid1(VALU_DEP_3)
	v_max_num_f64_e32 v[73:74], v[71:72], v[71:72]
	v_max_num_f64_e32 v[97:98], v[69:70], v[69:70]
	v_cmp_u_f64_e64 s0, v[71:72], v[71:72]
	v_cmp_u_f64_e64 s1, v[69:70], v[69:70]
	v_min_num_f64_e32 v[99:100], v[73:74], v[97:98]
	v_max_num_f64_e32 v[73:74], v[73:74], v[97:98]
	s_wait_alu 0xf1ff
	s_delay_alu instid0(VALU_DEP_2) | instskip(NEXT) | instid1(VALU_DEP_3)
	v_cndmask_b32_e64 v76, v100, v72, s0
	v_cndmask_b32_e64 v97, v99, v71, s0
	s_delay_alu instid0(VALU_DEP_3) | instskip(NEXT) | instid1(VALU_DEP_4)
	v_cndmask_b32_e64 v98, v74, v72, s0
	v_cndmask_b32_e64 v99, v73, v71, s0
	s_delay_alu instid0(VALU_DEP_4) | instskip(NEXT) | instid1(VALU_DEP_4)
	v_cndmask_b32_e64 v74, v76, v70, s1
	v_cndmask_b32_e64 v73, v97, v69, s1
	s_delay_alu instid0(VALU_DEP_4) | instskip(NEXT) | instid1(VALU_DEP_4)
	v_cndmask_b32_e64 v70, v98, v70, s1
	v_cndmask_b32_e64 v69, v99, v69, s1
	s_delay_alu instid0(VALU_DEP_3) | instskip(NEXT) | instid1(VALU_DEP_2)
	v_cmp_class_f64_e64 s1, v[73:74], 0x1f8
	v_cmp_neq_f64_e64 s0, v[73:74], v[69:70]
	s_or_b32 s0, s0, s1
	s_wait_alu 0xfffe
	s_and_saveexec_b32 s41, s0
	s_cbranch_execz .LBB61_73
; %bb.72:
	v_add_f64_e64 v[71:72], v[73:74], -v[69:70]
	s_mov_b32 s0, 0x652b82fe
	s_mov_b32 s1, 0x3ff71547
	;; [unrolled: 1-line block ×10, first 2 shown]
	s_wait_alu 0xfffe
	s_delay_alu instid0(VALU_DEP_1) | instskip(SKIP_2) | instid1(VALU_DEP_1)
	v_mul_f64_e32 v[73:74], s[0:1], v[71:72]
	s_mov_b32 s0, 0xfca7ab0c
	s_mov_b32 s1, 0x3e928af3
	v_rndne_f64_e32 v[73:74], v[73:74]
	s_delay_alu instid0(VALU_DEP_1) | instskip(SKIP_2) | instid1(VALU_DEP_2)
	v_fma_f64 v[97:98], v[73:74], s[34:35], v[71:72]
	v_cvt_i32_f64_e32 v76, v[73:74]
	s_mov_b32 s35, 0x3fe62e42
	v_fma_f64 v[97:98], v[73:74], s[38:39], v[97:98]
	s_mov_b32 s39, 0x3c7abc9e
	s_wait_alu 0xfffe
	s_delay_alu instid0(VALU_DEP_1)
	v_fma_f64 v[99:100], v[97:98], s[42:43], s[0:1]
	s_mov_b32 s0, 0x623fde64
	s_mov_b32 s1, 0x3ec71dee
	;; [unrolled: 1-line block ×4, first 2 shown]
	s_wait_alu 0xfffe
	s_delay_alu instid0(VALU_DEP_1) | instskip(SKIP_3) | instid1(VALU_DEP_1)
	v_fma_f64 v[99:100], v[97:98], v[99:100], s[0:1]
	s_mov_b32 s0, 0x7c89e6b0
	s_mov_b32 s1, 0x3efa0199
	s_wait_alu 0xfffe
	v_fma_f64 v[99:100], v[97:98], v[99:100], s[0:1]
	s_mov_b32 s0, 0x14761f6e
	s_mov_b32 s1, 0x3f2a01a0
	s_wait_alu 0xfffe
	s_delay_alu instid0(VALU_DEP_1) | instskip(SKIP_3) | instid1(VALU_DEP_1)
	v_fma_f64 v[99:100], v[97:98], v[99:100], s[0:1]
	s_mov_b32 s0, 0x1852b7b0
	s_mov_b32 s1, 0x3f56c16c
	s_wait_alu 0xfffe
	v_fma_f64 v[99:100], v[97:98], v[99:100], s[0:1]
	s_mov_b32 s0, 0x11122322
	s_mov_b32 s1, 0x3f811111
	s_wait_alu 0xfffe
	s_delay_alu instid0(VALU_DEP_1) | instskip(SKIP_3) | instid1(VALU_DEP_1)
	v_fma_f64 v[99:100], v[97:98], v[99:100], s[0:1]
	s_mov_b32 s0, 0x555502a1
	s_mov_b32 s1, 0x3fa55555
	s_wait_alu 0xfffe
	v_fma_f64 v[99:100], v[97:98], v[99:100], s[0:1]
	s_mov_b32 s0, 0x55555511
	s_mov_b32 s1, 0x3fc55555
	s_wait_alu 0xfffe
	s_delay_alu instid0(VALU_DEP_1) | instskip(SKIP_3) | instid1(VALU_DEP_1)
	v_fma_f64 v[99:100], v[97:98], v[99:100], s[0:1]
	s_mov_b32 s0, 11
	s_mov_b32 s1, 0x3fe00000
	s_wait_alu 0xfffe
	v_fma_f64 v[99:100], v[97:98], v[99:100], s[0:1]
	v_cmp_nlt_f64_e64 s0, 0x40900000, v[71:72]
	v_cmp_ngt_f64_e64 s1, 0xc090cc00, v[71:72]
	s_delay_alu instid0(VALU_DEP_3) | instskip(NEXT) | instid1(VALU_DEP_1)
	v_fma_f64 v[99:100], v[97:98], v[99:100], 1.0
	v_fma_f64 v[73:74], v[97:98], v[99:100], 1.0
	s_delay_alu instid0(VALU_DEP_1) | instskip(SKIP_1) | instid1(VALU_DEP_1)
	v_ldexp_f64 v[73:74], v[73:74], v76
	s_wait_alu 0xf1ff
	v_cndmask_b32_e64 v74, 0x7ff00000, v74, s0
	s_and_b32 s0, s1, s0
	s_wait_alu 0xfffe
	s_delay_alu instid0(VALU_DEP_2) | instskip(SKIP_3) | instid1(VALU_DEP_1)
	v_cndmask_b32_e64 v71, 0, v73, s0
	s_mov_b32 s0, 0x55555555
	v_cndmask_b32_e64 v72, 0, v74, s1
	s_mov_b32 s1, 0x3fe55555
	v_add_f64_e32 v[73:74], 1.0, v[71:72]
	s_delay_alu instid0(VALU_DEP_1) | instskip(SKIP_3) | instid1(VALU_DEP_3)
	v_frexp_mant_f64_e32 v[97:98], v[73:74]
	v_frexp_exp_i32_f64_e32 v76, v[73:74]
	v_add_f64_e32 v[99:100], -1.0, v[73:74]
	s_wait_alu 0xfffe
	v_cmp_gt_f64_e64 s0, s[0:1], v[97:98]
	s_delay_alu instid0(VALU_DEP_2) | instskip(SKIP_2) | instid1(VALU_DEP_3)
	v_add_f64_e64 v[97:98], v[99:100], -v[73:74]
	v_add_f64_e64 v[99:100], v[71:72], -v[99:100]
	s_wait_alu 0xf1ff
	v_subrev_co_ci_u32_e64 v76, null, 0, v76, s0
	s_delay_alu instid0(VALU_DEP_3) | instskip(SKIP_1) | instid1(VALU_DEP_2)
	v_add_f64_e32 v[97:98], 1.0, v[97:98]
	s_mov_b32 s0, 0x55555780
	v_sub_nc_u32_e32 v103, 0, v76
	s_delay_alu instid0(VALU_DEP_1) | instskip(NEXT) | instid1(VALU_DEP_3)
	v_ldexp_f64 v[73:74], v[73:74], v103
	v_add_f64_e32 v[97:98], v[99:100], v[97:98]
	s_delay_alu instid0(VALU_DEP_2) | instskip(SKIP_1) | instid1(VALU_DEP_3)
	v_add_f64_e32 v[101:102], 1.0, v[73:74]
	v_add_f64_e32 v[107:108], -1.0, v[73:74]
	v_ldexp_f64 v[97:98], v[97:98], v103
	s_delay_alu instid0(VALU_DEP_3) | instskip(NEXT) | instid1(VALU_DEP_3)
	v_add_f64_e32 v[99:100], -1.0, v[101:102]
	v_add_f64_e32 v[109:110], 1.0, v[107:108]
	s_delay_alu instid0(VALU_DEP_2) | instskip(NEXT) | instid1(VALU_DEP_2)
	v_add_f64_e64 v[99:100], v[73:74], -v[99:100]
	v_add_f64_e64 v[73:74], v[73:74], -v[109:110]
	s_delay_alu instid0(VALU_DEP_2) | instskip(NEXT) | instid1(VALU_DEP_2)
	v_add_f64_e32 v[99:100], v[97:98], v[99:100]
	v_add_f64_e32 v[73:74], v[97:98], v[73:74]
	s_delay_alu instid0(VALU_DEP_2) | instskip(NEXT) | instid1(VALU_DEP_2)
	v_add_f64_e32 v[103:104], v[101:102], v[99:100]
	v_add_f64_e32 v[109:110], v[107:108], v[73:74]
	s_delay_alu instid0(VALU_DEP_2) | instskip(SKIP_1) | instid1(VALU_DEP_2)
	v_rcp_f64_e32 v[105:106], v[103:104]
	v_add_f64_e64 v[101:102], v[103:104], -v[101:102]
	v_add_f64_e64 v[107:108], v[109:110], -v[107:108]
	s_delay_alu instid0(VALU_DEP_2) | instskip(NEXT) | instid1(TRANS32_DEP_1)
	v_add_f64_e64 v[99:100], v[99:100], -v[101:102]
	v_fma_f64 v[111:112], -v[103:104], v[105:106], 1.0
	s_delay_alu instid0(VALU_DEP_3) | instskip(NEXT) | instid1(VALU_DEP_2)
	v_add_f64_e64 v[73:74], v[73:74], -v[107:108]
	v_fma_f64 v[105:106], v[111:112], v[105:106], v[105:106]
	s_delay_alu instid0(VALU_DEP_1) | instskip(NEXT) | instid1(VALU_DEP_1)
	v_fma_f64 v[97:98], -v[103:104], v[105:106], 1.0
	v_fma_f64 v[97:98], v[97:98], v[105:106], v[105:106]
	s_delay_alu instid0(VALU_DEP_1) | instskip(NEXT) | instid1(VALU_DEP_1)
	v_mul_f64_e32 v[105:106], v[109:110], v[97:98]
	v_mul_f64_e32 v[111:112], v[103:104], v[105:106]
	s_delay_alu instid0(VALU_DEP_1) | instskip(NEXT) | instid1(VALU_DEP_1)
	v_fma_f64 v[101:102], v[105:106], v[103:104], -v[111:112]
	v_fma_f64 v[101:102], v[105:106], v[99:100], v[101:102]
	s_delay_alu instid0(VALU_DEP_1) | instskip(NEXT) | instid1(VALU_DEP_1)
	v_add_f64_e32 v[113:114], v[111:112], v[101:102]
	v_add_f64_e64 v[115:116], v[109:110], -v[113:114]
	v_add_f64_e64 v[107:108], v[113:114], -v[111:112]
	s_delay_alu instid0(VALU_DEP_2) | instskip(NEXT) | instid1(VALU_DEP_2)
	v_add_f64_e64 v[109:110], v[109:110], -v[115:116]
	v_add_f64_e64 v[101:102], v[107:108], -v[101:102]
	s_delay_alu instid0(VALU_DEP_2) | instskip(NEXT) | instid1(VALU_DEP_1)
	v_add_f64_e64 v[109:110], v[109:110], -v[113:114]
	v_add_f64_e32 v[73:74], v[73:74], v[109:110]
	s_delay_alu instid0(VALU_DEP_1) | instskip(NEXT) | instid1(VALU_DEP_1)
	v_add_f64_e32 v[73:74], v[101:102], v[73:74]
	v_add_f64_e32 v[101:102], v[115:116], v[73:74]
	s_delay_alu instid0(VALU_DEP_1) | instskip(SKIP_1) | instid1(VALU_DEP_2)
	v_mul_f64_e32 v[107:108], v[97:98], v[101:102]
	v_add_f64_e64 v[113:114], v[115:116], -v[101:102]
	v_mul_f64_e32 v[109:110], v[103:104], v[107:108]
	s_delay_alu instid0(VALU_DEP_2) | instskip(NEXT) | instid1(VALU_DEP_2)
	v_add_f64_e32 v[73:74], v[73:74], v[113:114]
	v_fma_f64 v[103:104], v[107:108], v[103:104], -v[109:110]
	s_delay_alu instid0(VALU_DEP_1) | instskip(NEXT) | instid1(VALU_DEP_1)
	v_fma_f64 v[99:100], v[107:108], v[99:100], v[103:104]
	v_add_f64_e32 v[103:104], v[109:110], v[99:100]
	s_delay_alu instid0(VALU_DEP_1) | instskip(SKIP_1) | instid1(VALU_DEP_2)
	v_add_f64_e64 v[111:112], v[101:102], -v[103:104]
	v_add_f64_e64 v[109:110], v[103:104], -v[109:110]
	;; [unrolled: 1-line block ×3, first 2 shown]
	s_delay_alu instid0(VALU_DEP_2) | instskip(NEXT) | instid1(VALU_DEP_2)
	v_add_f64_e64 v[99:100], v[109:110], -v[99:100]
	v_add_f64_e64 v[101:102], v[101:102], -v[103:104]
	s_delay_alu instid0(VALU_DEP_1) | instskip(SKIP_1) | instid1(VALU_DEP_2)
	v_add_f64_e32 v[73:74], v[73:74], v[101:102]
	v_add_f64_e32 v[101:102], v[105:106], v[107:108]
	;; [unrolled: 1-line block ×3, first 2 shown]
	s_delay_alu instid0(VALU_DEP_2) | instskip(NEXT) | instid1(VALU_DEP_2)
	v_add_f64_e64 v[99:100], v[101:102], -v[105:106]
	v_add_f64_e32 v[73:74], v[111:112], v[73:74]
	s_delay_alu instid0(VALU_DEP_2) | instskip(NEXT) | instid1(VALU_DEP_2)
	v_add_f64_e64 v[99:100], v[107:108], -v[99:100]
	v_mul_f64_e32 v[73:74], v[97:98], v[73:74]
	s_delay_alu instid0(VALU_DEP_1) | instskip(NEXT) | instid1(VALU_DEP_1)
	v_add_f64_e32 v[73:74], v[99:100], v[73:74]
	v_add_f64_e32 v[97:98], v[101:102], v[73:74]
	s_delay_alu instid0(VALU_DEP_1) | instskip(NEXT) | instid1(VALU_DEP_1)
	v_mul_f64_e32 v[99:100], v[97:98], v[97:98]
	v_fma_f64 v[103:104], v[99:100], s[44:45], s[42:43]
	s_mov_b32 s42, 0xd7f4df2e
	s_mov_b32 s43, 0x3fc7474d
	v_mul_f64_e32 v[105:106], v[97:98], v[99:100]
	s_wait_alu 0xfffe
	s_delay_alu instid0(VALU_DEP_2) | instskip(SKIP_3) | instid1(VALU_DEP_1)
	v_fma_f64 v[103:104], v[99:100], v[103:104], s[42:43]
	s_mov_b32 s42, 0x16291751
	s_mov_b32 s43, 0x3fcc71c0
	s_wait_alu 0xfffe
	v_fma_f64 v[103:104], v[99:100], v[103:104], s[42:43]
	s_mov_b32 s42, 0x9b27acf1
	s_mov_b32 s43, 0x3fd24924
	s_wait_alu 0xfffe
	s_delay_alu instid0(VALU_DEP_1) | instskip(SKIP_3) | instid1(VALU_DEP_1)
	v_fma_f64 v[103:104], v[99:100], v[103:104], s[42:43]
	s_mov_b32 s42, 0x998ef7b6
	s_mov_b32 s43, 0x3fd99999
	s_wait_alu 0xfffe
	v_fma_f64 v[103:104], v[99:100], v[103:104], s[42:43]
	s_delay_alu instid0(VALU_DEP_1)
	v_fma_f64 v[99:100], v[99:100], v[103:104], s[0:1]
	v_ldexp_f64 v[103:104], v[97:98], 1
	v_add_f64_e64 v[97:98], v[97:98], -v[101:102]
	v_cmp_nge_f64_e64 s0, -1.0, v[71:72]
	v_cmp_neq_f64_e64 s1, 0x7ff00000, v[71:72]
	v_mul_f64_e32 v[99:100], v[105:106], v[99:100]
	v_cvt_f64_i32_e32 v[105:106], v76
	v_add_f64_e64 v[73:74], v[73:74], -v[97:98]
	s_and_b32 s0, s0, s1
	s_delay_alu instid0(VALU_DEP_3) | instskip(NEXT) | instid1(VALU_DEP_3)
	v_add_f64_e32 v[101:102], v[103:104], v[99:100]
	v_mul_f64_e32 v[107:108], s[34:35], v[105:106]
	s_delay_alu instid0(VALU_DEP_3) | instskip(NEXT) | instid1(VALU_DEP_3)
	v_ldexp_f64 v[73:74], v[73:74], 1
	v_add_f64_e64 v[97:98], v[101:102], -v[103:104]
	s_delay_alu instid0(VALU_DEP_3) | instskip(SKIP_1) | instid1(VALU_DEP_3)
	v_fma_f64 v[103:104], v[105:106], s[34:35], -v[107:108]
	v_cmp_ngt_f64_e64 s34, -1.0, v[71:72]
	v_add_f64_e64 v[97:98], v[99:100], -v[97:98]
	s_delay_alu instid0(VALU_DEP_3) | instskip(NEXT) | instid1(VALU_DEP_2)
	v_fma_f64 v[99:100], v[105:106], s[38:39], v[103:104]
	v_add_f64_e32 v[73:74], v[73:74], v[97:98]
	s_delay_alu instid0(VALU_DEP_2) | instskip(NEXT) | instid1(VALU_DEP_2)
	v_add_f64_e32 v[97:98], v[107:108], v[99:100]
	v_add_f64_e32 v[103:104], v[101:102], v[73:74]
	s_delay_alu instid0(VALU_DEP_2) | instskip(NEXT) | instid1(VALU_DEP_2)
	v_add_f64_e64 v[107:108], v[97:98], -v[107:108]
	v_add_f64_e32 v[105:106], v[97:98], v[103:104]
	v_add_f64_e64 v[101:102], v[103:104], -v[101:102]
	s_delay_alu instid0(VALU_DEP_3) | instskip(NEXT) | instid1(VALU_DEP_3)
	v_add_f64_e64 v[99:100], v[99:100], -v[107:108]
	v_add_f64_e64 v[109:110], v[105:106], -v[97:98]
	s_delay_alu instid0(VALU_DEP_3) | instskip(NEXT) | instid1(VALU_DEP_2)
	v_add_f64_e64 v[73:74], v[73:74], -v[101:102]
	v_add_f64_e64 v[111:112], v[105:106], -v[109:110]
	;; [unrolled: 1-line block ×3, first 2 shown]
	s_delay_alu instid0(VALU_DEP_3) | instskip(NEXT) | instid1(VALU_DEP_3)
	v_add_f64_e32 v[103:104], v[99:100], v[73:74]
	v_add_f64_e64 v[97:98], v[97:98], -v[111:112]
	s_delay_alu instid0(VALU_DEP_1) | instskip(NEXT) | instid1(VALU_DEP_3)
	v_add_f64_e32 v[97:98], v[101:102], v[97:98]
	v_add_f64_e64 v[101:102], v[103:104], -v[99:100]
	s_delay_alu instid0(VALU_DEP_2) | instskip(NEXT) | instid1(VALU_DEP_2)
	v_add_f64_e32 v[97:98], v[103:104], v[97:98]
	v_add_f64_e64 v[103:104], v[103:104], -v[101:102]
	v_add_f64_e64 v[73:74], v[73:74], -v[101:102]
	s_delay_alu instid0(VALU_DEP_3) | instskip(NEXT) | instid1(VALU_DEP_3)
	v_add_f64_e32 v[107:108], v[105:106], v[97:98]
	v_add_f64_e64 v[99:100], v[99:100], -v[103:104]
	s_delay_alu instid0(VALU_DEP_2) | instskip(NEXT) | instid1(VALU_DEP_2)
	v_add_f64_e64 v[101:102], v[107:108], -v[105:106]
	v_add_f64_e32 v[73:74], v[73:74], v[99:100]
	s_delay_alu instid0(VALU_DEP_2) | instskip(NEXT) | instid1(VALU_DEP_1)
	v_add_f64_e64 v[97:98], v[97:98], -v[101:102]
	v_add_f64_e32 v[73:74], v[73:74], v[97:98]
	s_delay_alu instid0(VALU_DEP_1) | instskip(SKIP_1) | instid1(VALU_DEP_1)
	v_add_f64_e32 v[73:74], v[107:108], v[73:74]
	s_wait_alu 0xfffe
	v_cndmask_b32_e64 v73, 0, v73, s0
	v_cmp_neq_f64_e64 s0, -1.0, v[71:72]
	s_delay_alu instid0(VALU_DEP_3) | instskip(SKIP_1) | instid1(VALU_DEP_1)
	v_cndmask_b32_e64 v74, 0x7ff00000, v74, s1
	s_wait_alu 0xf1ff
	v_cndmask_b32_e64 v74, 0x7ff80000, v74, s34
	s_delay_alu instid0(VALU_DEP_1) | instskip(NEXT) | instid1(VALU_DEP_1)
	v_cndmask_b32_e64 v74, 0xfff00000, v74, s0
	v_add_f64_e32 v[71:72], v[69:70], v[73:74]
.LBB61_73:
	s_wait_alu 0xfffe
	s_or_b32 exec_lo, exec_lo, s41
	s_delay_alu instid0(VALU_DEP_1)
	v_dual_mov_b32 v69, v71 :: v_dual_mov_b32 v70, v72
	v_dual_mov_b32 v73, v71 :: v_dual_mov_b32 v74, v72
.LBB61_74:
	s_wait_alu 0xfffe
	s_or_b32 exec_lo, exec_lo, s40
	s_delay_alu instid0(VALU_DEP_1) | instskip(NEXT) | instid1(VALU_DEP_2)
	v_mov_b32_dpp v71, v73 row_shr:8 row_mask:0xf bank_mask:0xf
	v_mov_b32_dpp v72, v74 row_shr:8 row_mask:0xf bank_mask:0xf
	s_mov_b32 s40, exec_lo
	v_cmpx_lt_u32_e32 7, v75
	s_cbranch_execz .LBB61_78
; %bb.75:
	s_delay_alu instid0(VALU_DEP_2) | instskip(SKIP_3) | instid1(VALU_DEP_3)
	v_max_num_f64_e32 v[73:74], v[71:72], v[71:72]
	v_max_num_f64_e32 v[75:76], v[69:70], v[69:70]
	v_cmp_u_f64_e64 s0, v[71:72], v[71:72]
	v_cmp_u_f64_e64 s1, v[69:70], v[69:70]
	v_min_num_f64_e32 v[97:98], v[73:74], v[75:76]
	v_max_num_f64_e32 v[73:74], v[73:74], v[75:76]
	s_wait_alu 0xf1ff
	s_delay_alu instid0(VALU_DEP_2) | instskip(NEXT) | instid1(VALU_DEP_3)
	v_cndmask_b32_e64 v75, v98, v72, s0
	v_cndmask_b32_e64 v76, v97, v71, s0
	s_delay_alu instid0(VALU_DEP_3) | instskip(NEXT) | instid1(VALU_DEP_4)
	v_cndmask_b32_e64 v97, v74, v72, s0
	v_cndmask_b32_e64 v98, v73, v71, s0
	s_delay_alu instid0(VALU_DEP_4) | instskip(NEXT) | instid1(VALU_DEP_4)
	v_cndmask_b32_e64 v74, v75, v70, s1
	v_cndmask_b32_e64 v73, v76, v69, s1
	s_delay_alu instid0(VALU_DEP_4) | instskip(NEXT) | instid1(VALU_DEP_4)
	v_cndmask_b32_e64 v70, v97, v70, s1
	v_cndmask_b32_e64 v69, v98, v69, s1
	s_delay_alu instid0(VALU_DEP_3) | instskip(NEXT) | instid1(VALU_DEP_2)
	v_cmp_class_f64_e64 s1, v[73:74], 0x1f8
	v_cmp_neq_f64_e64 s0, v[73:74], v[69:70]
	s_or_b32 s0, s0, s1
	s_wait_alu 0xfffe
	s_and_saveexec_b32 s41, s0
	s_cbranch_execz .LBB61_77
; %bb.76:
	v_add_f64_e64 v[71:72], v[73:74], -v[69:70]
	s_mov_b32 s0, 0x652b82fe
	s_mov_b32 s1, 0x3ff71547
	;; [unrolled: 1-line block ×10, first 2 shown]
	s_wait_alu 0xfffe
	s_delay_alu instid0(VALU_DEP_1) | instskip(SKIP_2) | instid1(VALU_DEP_1)
	v_mul_f64_e32 v[73:74], s[0:1], v[71:72]
	s_mov_b32 s0, 0xfca7ab0c
	s_mov_b32 s1, 0x3e928af3
	v_rndne_f64_e32 v[73:74], v[73:74]
	s_delay_alu instid0(VALU_DEP_1) | instskip(SKIP_2) | instid1(VALU_DEP_2)
	v_fma_f64 v[75:76], v[73:74], s[34:35], v[71:72]
	v_cvt_i32_f64_e32 v99, v[73:74]
	s_mov_b32 s35, 0x3fe62e42
	v_fma_f64 v[75:76], v[73:74], s[38:39], v[75:76]
	s_mov_b32 s39, 0x3c7abc9e
	s_wait_alu 0xfffe
	s_delay_alu instid0(VALU_DEP_1)
	v_fma_f64 v[97:98], v[75:76], s[42:43], s[0:1]
	s_mov_b32 s0, 0x623fde64
	s_mov_b32 s1, 0x3ec71dee
	;; [unrolled: 1-line block ×4, first 2 shown]
	s_wait_alu 0xfffe
	s_delay_alu instid0(VALU_DEP_1) | instskip(SKIP_3) | instid1(VALU_DEP_1)
	v_fma_f64 v[97:98], v[75:76], v[97:98], s[0:1]
	s_mov_b32 s0, 0x7c89e6b0
	s_mov_b32 s1, 0x3efa0199
	s_wait_alu 0xfffe
	v_fma_f64 v[97:98], v[75:76], v[97:98], s[0:1]
	s_mov_b32 s0, 0x14761f6e
	s_mov_b32 s1, 0x3f2a01a0
	s_wait_alu 0xfffe
	s_delay_alu instid0(VALU_DEP_1) | instskip(SKIP_3) | instid1(VALU_DEP_1)
	v_fma_f64 v[97:98], v[75:76], v[97:98], s[0:1]
	s_mov_b32 s0, 0x1852b7b0
	s_mov_b32 s1, 0x3f56c16c
	s_wait_alu 0xfffe
	v_fma_f64 v[97:98], v[75:76], v[97:98], s[0:1]
	s_mov_b32 s0, 0x11122322
	s_mov_b32 s1, 0x3f811111
	;; [unrolled: 9-line block ×3, first 2 shown]
	s_wait_alu 0xfffe
	s_delay_alu instid0(VALU_DEP_1) | instskip(SKIP_3) | instid1(VALU_DEP_1)
	v_fma_f64 v[97:98], v[75:76], v[97:98], s[0:1]
	s_mov_b32 s0, 11
	s_mov_b32 s1, 0x3fe00000
	s_wait_alu 0xfffe
	v_fma_f64 v[97:98], v[75:76], v[97:98], s[0:1]
	v_cmp_nlt_f64_e64 s0, 0x40900000, v[71:72]
	v_cmp_ngt_f64_e64 s1, 0xc090cc00, v[71:72]
	s_delay_alu instid0(VALU_DEP_3) | instskip(NEXT) | instid1(VALU_DEP_1)
	v_fma_f64 v[97:98], v[75:76], v[97:98], 1.0
	v_fma_f64 v[73:74], v[75:76], v[97:98], 1.0
	s_delay_alu instid0(VALU_DEP_1) | instskip(SKIP_1) | instid1(VALU_DEP_1)
	v_ldexp_f64 v[73:74], v[73:74], v99
	s_wait_alu 0xf1ff
	v_cndmask_b32_e64 v74, 0x7ff00000, v74, s0
	s_and_b32 s0, s1, s0
	s_wait_alu 0xfffe
	s_delay_alu instid0(VALU_DEP_2) | instskip(SKIP_3) | instid1(VALU_DEP_1)
	v_cndmask_b32_e64 v71, 0, v73, s0
	s_mov_b32 s0, 0x55555555
	v_cndmask_b32_e64 v72, 0, v74, s1
	s_mov_b32 s1, 0x3fe55555
	v_add_f64_e32 v[73:74], 1.0, v[71:72]
	s_delay_alu instid0(VALU_DEP_1) | instskip(SKIP_3) | instid1(VALU_DEP_3)
	v_frexp_mant_f64_e32 v[75:76], v[73:74]
	v_frexp_exp_i32_f64_e32 v99, v[73:74]
	v_add_f64_e32 v[97:98], -1.0, v[73:74]
	s_wait_alu 0xfffe
	v_cmp_gt_f64_e64 s0, s[0:1], v[75:76]
	s_delay_alu instid0(VALU_DEP_2) | instskip(SKIP_2) | instid1(VALU_DEP_3)
	v_add_f64_e64 v[75:76], v[97:98], -v[73:74]
	v_add_f64_e64 v[97:98], v[71:72], -v[97:98]
	s_wait_alu 0xf1ff
	v_subrev_co_ci_u32_e64 v115, null, 0, v99, s0
	s_delay_alu instid0(VALU_DEP_3) | instskip(SKIP_1) | instid1(VALU_DEP_2)
	v_add_f64_e32 v[75:76], 1.0, v[75:76]
	s_mov_b32 s0, 0x55555780
	v_sub_nc_u32_e32 v101, 0, v115
	s_delay_alu instid0(VALU_DEP_1) | instskip(NEXT) | instid1(VALU_DEP_3)
	v_ldexp_f64 v[73:74], v[73:74], v101
	v_add_f64_e32 v[75:76], v[97:98], v[75:76]
	s_delay_alu instid0(VALU_DEP_2) | instskip(SKIP_1) | instid1(VALU_DEP_3)
	v_add_f64_e32 v[99:100], 1.0, v[73:74]
	v_add_f64_e32 v[105:106], -1.0, v[73:74]
	v_ldexp_f64 v[75:76], v[75:76], v101
	s_delay_alu instid0(VALU_DEP_3) | instskip(NEXT) | instid1(VALU_DEP_3)
	v_add_f64_e32 v[97:98], -1.0, v[99:100]
	v_add_f64_e32 v[107:108], 1.0, v[105:106]
	s_delay_alu instid0(VALU_DEP_2) | instskip(NEXT) | instid1(VALU_DEP_2)
	v_add_f64_e64 v[97:98], v[73:74], -v[97:98]
	v_add_f64_e64 v[73:74], v[73:74], -v[107:108]
	s_delay_alu instid0(VALU_DEP_2) | instskip(NEXT) | instid1(VALU_DEP_2)
	v_add_f64_e32 v[97:98], v[75:76], v[97:98]
	v_add_f64_e32 v[73:74], v[75:76], v[73:74]
	s_delay_alu instid0(VALU_DEP_2) | instskip(NEXT) | instid1(VALU_DEP_2)
	v_add_f64_e32 v[101:102], v[99:100], v[97:98]
	v_add_f64_e32 v[107:108], v[105:106], v[73:74]
	s_delay_alu instid0(VALU_DEP_2) | instskip(SKIP_1) | instid1(VALU_DEP_2)
	v_rcp_f64_e32 v[103:104], v[101:102]
	v_add_f64_e64 v[99:100], v[101:102], -v[99:100]
	v_add_f64_e64 v[105:106], v[107:108], -v[105:106]
	s_delay_alu instid0(VALU_DEP_2) | instskip(NEXT) | instid1(TRANS32_DEP_1)
	v_add_f64_e64 v[97:98], v[97:98], -v[99:100]
	v_fma_f64 v[109:110], -v[101:102], v[103:104], 1.0
	s_delay_alu instid0(VALU_DEP_3) | instskip(NEXT) | instid1(VALU_DEP_2)
	v_add_f64_e64 v[73:74], v[73:74], -v[105:106]
	v_fma_f64 v[103:104], v[109:110], v[103:104], v[103:104]
	s_delay_alu instid0(VALU_DEP_1) | instskip(NEXT) | instid1(VALU_DEP_1)
	v_fma_f64 v[75:76], -v[101:102], v[103:104], 1.0
	v_fma_f64 v[75:76], v[75:76], v[103:104], v[103:104]
	s_delay_alu instid0(VALU_DEP_1) | instskip(NEXT) | instid1(VALU_DEP_1)
	v_mul_f64_e32 v[103:104], v[107:108], v[75:76]
	v_mul_f64_e32 v[109:110], v[101:102], v[103:104]
	s_delay_alu instid0(VALU_DEP_1) | instskip(NEXT) | instid1(VALU_DEP_1)
	v_fma_f64 v[99:100], v[103:104], v[101:102], -v[109:110]
	v_fma_f64 v[99:100], v[103:104], v[97:98], v[99:100]
	s_delay_alu instid0(VALU_DEP_1) | instskip(NEXT) | instid1(VALU_DEP_1)
	v_add_f64_e32 v[111:112], v[109:110], v[99:100]
	v_add_f64_e64 v[113:114], v[107:108], -v[111:112]
	v_add_f64_e64 v[105:106], v[111:112], -v[109:110]
	s_delay_alu instid0(VALU_DEP_2) | instskip(NEXT) | instid1(VALU_DEP_2)
	v_add_f64_e64 v[107:108], v[107:108], -v[113:114]
	v_add_f64_e64 v[99:100], v[105:106], -v[99:100]
	s_delay_alu instid0(VALU_DEP_2) | instskip(NEXT) | instid1(VALU_DEP_1)
	v_add_f64_e64 v[107:108], v[107:108], -v[111:112]
	v_add_f64_e32 v[73:74], v[73:74], v[107:108]
	s_delay_alu instid0(VALU_DEP_1) | instskip(NEXT) | instid1(VALU_DEP_1)
	v_add_f64_e32 v[73:74], v[99:100], v[73:74]
	v_add_f64_e32 v[99:100], v[113:114], v[73:74]
	s_delay_alu instid0(VALU_DEP_1) | instskip(SKIP_1) | instid1(VALU_DEP_2)
	v_mul_f64_e32 v[105:106], v[75:76], v[99:100]
	v_add_f64_e64 v[111:112], v[113:114], -v[99:100]
	v_mul_f64_e32 v[107:108], v[101:102], v[105:106]
	s_delay_alu instid0(VALU_DEP_2) | instskip(NEXT) | instid1(VALU_DEP_2)
	v_add_f64_e32 v[73:74], v[73:74], v[111:112]
	v_fma_f64 v[101:102], v[105:106], v[101:102], -v[107:108]
	s_delay_alu instid0(VALU_DEP_1) | instskip(NEXT) | instid1(VALU_DEP_1)
	v_fma_f64 v[97:98], v[105:106], v[97:98], v[101:102]
	v_add_f64_e32 v[101:102], v[107:108], v[97:98]
	s_delay_alu instid0(VALU_DEP_1) | instskip(SKIP_1) | instid1(VALU_DEP_2)
	v_add_f64_e64 v[109:110], v[99:100], -v[101:102]
	v_add_f64_e64 v[107:108], v[101:102], -v[107:108]
	;; [unrolled: 1-line block ×3, first 2 shown]
	s_delay_alu instid0(VALU_DEP_2) | instskip(NEXT) | instid1(VALU_DEP_2)
	v_add_f64_e64 v[97:98], v[107:108], -v[97:98]
	v_add_f64_e64 v[99:100], v[99:100], -v[101:102]
	s_delay_alu instid0(VALU_DEP_1) | instskip(SKIP_1) | instid1(VALU_DEP_2)
	v_add_f64_e32 v[73:74], v[73:74], v[99:100]
	v_add_f64_e32 v[99:100], v[103:104], v[105:106]
	;; [unrolled: 1-line block ×3, first 2 shown]
	s_delay_alu instid0(VALU_DEP_2) | instskip(NEXT) | instid1(VALU_DEP_2)
	v_add_f64_e64 v[97:98], v[99:100], -v[103:104]
	v_add_f64_e32 v[73:74], v[109:110], v[73:74]
	s_delay_alu instid0(VALU_DEP_2) | instskip(NEXT) | instid1(VALU_DEP_2)
	v_add_f64_e64 v[97:98], v[105:106], -v[97:98]
	v_mul_f64_e32 v[73:74], v[75:76], v[73:74]
	s_delay_alu instid0(VALU_DEP_1) | instskip(NEXT) | instid1(VALU_DEP_1)
	v_add_f64_e32 v[73:74], v[97:98], v[73:74]
	v_add_f64_e32 v[75:76], v[99:100], v[73:74]
	s_delay_alu instid0(VALU_DEP_1) | instskip(NEXT) | instid1(VALU_DEP_1)
	v_mul_f64_e32 v[97:98], v[75:76], v[75:76]
	v_fma_f64 v[101:102], v[97:98], s[44:45], s[42:43]
	s_mov_b32 s42, 0xd7f4df2e
	s_mov_b32 s43, 0x3fc7474d
	v_mul_f64_e32 v[103:104], v[75:76], v[97:98]
	s_wait_alu 0xfffe
	s_delay_alu instid0(VALU_DEP_2) | instskip(SKIP_3) | instid1(VALU_DEP_1)
	v_fma_f64 v[101:102], v[97:98], v[101:102], s[42:43]
	s_mov_b32 s42, 0x16291751
	s_mov_b32 s43, 0x3fcc71c0
	s_wait_alu 0xfffe
	v_fma_f64 v[101:102], v[97:98], v[101:102], s[42:43]
	s_mov_b32 s42, 0x9b27acf1
	s_mov_b32 s43, 0x3fd24924
	s_wait_alu 0xfffe
	s_delay_alu instid0(VALU_DEP_1) | instskip(SKIP_3) | instid1(VALU_DEP_1)
	v_fma_f64 v[101:102], v[97:98], v[101:102], s[42:43]
	s_mov_b32 s42, 0x998ef7b6
	s_mov_b32 s43, 0x3fd99999
	s_wait_alu 0xfffe
	v_fma_f64 v[101:102], v[97:98], v[101:102], s[42:43]
	s_delay_alu instid0(VALU_DEP_1)
	v_fma_f64 v[97:98], v[97:98], v[101:102], s[0:1]
	v_ldexp_f64 v[101:102], v[75:76], 1
	v_add_f64_e64 v[75:76], v[75:76], -v[99:100]
	v_cmp_nge_f64_e64 s0, -1.0, v[71:72]
	v_cmp_neq_f64_e64 s1, 0x7ff00000, v[71:72]
	v_mul_f64_e32 v[97:98], v[103:104], v[97:98]
	v_cvt_f64_i32_e32 v[103:104], v115
	v_add_f64_e64 v[73:74], v[73:74], -v[75:76]
	s_and_b32 s0, s0, s1
	s_delay_alu instid0(VALU_DEP_3) | instskip(NEXT) | instid1(VALU_DEP_3)
	v_add_f64_e32 v[99:100], v[101:102], v[97:98]
	v_mul_f64_e32 v[105:106], s[34:35], v[103:104]
	s_delay_alu instid0(VALU_DEP_3) | instskip(NEXT) | instid1(VALU_DEP_3)
	v_ldexp_f64 v[73:74], v[73:74], 1
	v_add_f64_e64 v[75:76], v[99:100], -v[101:102]
	s_delay_alu instid0(VALU_DEP_3) | instskip(SKIP_1) | instid1(VALU_DEP_3)
	v_fma_f64 v[101:102], v[103:104], s[34:35], -v[105:106]
	v_cmp_ngt_f64_e64 s34, -1.0, v[71:72]
	v_add_f64_e64 v[75:76], v[97:98], -v[75:76]
	s_delay_alu instid0(VALU_DEP_3) | instskip(NEXT) | instid1(VALU_DEP_2)
	v_fma_f64 v[97:98], v[103:104], s[38:39], v[101:102]
	v_add_f64_e32 v[73:74], v[73:74], v[75:76]
	s_delay_alu instid0(VALU_DEP_2) | instskip(NEXT) | instid1(VALU_DEP_2)
	v_add_f64_e32 v[75:76], v[105:106], v[97:98]
	v_add_f64_e32 v[101:102], v[99:100], v[73:74]
	s_delay_alu instid0(VALU_DEP_2) | instskip(NEXT) | instid1(VALU_DEP_2)
	v_add_f64_e64 v[105:106], v[75:76], -v[105:106]
	v_add_f64_e32 v[103:104], v[75:76], v[101:102]
	v_add_f64_e64 v[99:100], v[101:102], -v[99:100]
	s_delay_alu instid0(VALU_DEP_3) | instskip(NEXT) | instid1(VALU_DEP_3)
	v_add_f64_e64 v[97:98], v[97:98], -v[105:106]
	v_add_f64_e64 v[107:108], v[103:104], -v[75:76]
	s_delay_alu instid0(VALU_DEP_3) | instskip(NEXT) | instid1(VALU_DEP_2)
	v_add_f64_e64 v[73:74], v[73:74], -v[99:100]
	v_add_f64_e64 v[109:110], v[103:104], -v[107:108]
	;; [unrolled: 1-line block ×3, first 2 shown]
	s_delay_alu instid0(VALU_DEP_3) | instskip(NEXT) | instid1(VALU_DEP_3)
	v_add_f64_e32 v[101:102], v[97:98], v[73:74]
	v_add_f64_e64 v[75:76], v[75:76], -v[109:110]
	s_delay_alu instid0(VALU_DEP_1) | instskip(NEXT) | instid1(VALU_DEP_3)
	v_add_f64_e32 v[75:76], v[99:100], v[75:76]
	v_add_f64_e64 v[99:100], v[101:102], -v[97:98]
	s_delay_alu instid0(VALU_DEP_2) | instskip(NEXT) | instid1(VALU_DEP_2)
	v_add_f64_e32 v[75:76], v[101:102], v[75:76]
	v_add_f64_e64 v[101:102], v[101:102], -v[99:100]
	v_add_f64_e64 v[73:74], v[73:74], -v[99:100]
	s_delay_alu instid0(VALU_DEP_3) | instskip(NEXT) | instid1(VALU_DEP_3)
	v_add_f64_e32 v[105:106], v[103:104], v[75:76]
	v_add_f64_e64 v[97:98], v[97:98], -v[101:102]
	s_delay_alu instid0(VALU_DEP_2) | instskip(NEXT) | instid1(VALU_DEP_2)
	v_add_f64_e64 v[99:100], v[105:106], -v[103:104]
	v_add_f64_e32 v[73:74], v[73:74], v[97:98]
	s_delay_alu instid0(VALU_DEP_2) | instskip(NEXT) | instid1(VALU_DEP_1)
	v_add_f64_e64 v[75:76], v[75:76], -v[99:100]
	v_add_f64_e32 v[73:74], v[73:74], v[75:76]
	s_delay_alu instid0(VALU_DEP_1) | instskip(SKIP_1) | instid1(VALU_DEP_1)
	v_add_f64_e32 v[73:74], v[105:106], v[73:74]
	s_wait_alu 0xfffe
	v_cndmask_b32_e64 v73, 0, v73, s0
	v_cmp_neq_f64_e64 s0, -1.0, v[71:72]
	s_delay_alu instid0(VALU_DEP_3) | instskip(SKIP_1) | instid1(VALU_DEP_1)
	v_cndmask_b32_e64 v74, 0x7ff00000, v74, s1
	s_wait_alu 0xf1ff
	v_cndmask_b32_e64 v74, 0x7ff80000, v74, s34
	s_delay_alu instid0(VALU_DEP_1) | instskip(NEXT) | instid1(VALU_DEP_1)
	v_cndmask_b32_e64 v74, 0xfff00000, v74, s0
	v_add_f64_e32 v[71:72], v[69:70], v[73:74]
.LBB61_77:
	s_wait_alu 0xfffe
	s_or_b32 exec_lo, exec_lo, s41
	s_delay_alu instid0(VALU_DEP_1)
	v_dual_mov_b32 v73, v71 :: v_dual_mov_b32 v74, v72
	v_dual_mov_b32 v69, v71 :: v_dual_mov_b32 v70, v72
.LBB61_78:
	s_wait_alu 0xfffe
	s_or_b32 exec_lo, exec_lo, s40
	ds_swizzle_b32 v71, v73 offset:swizzle(BROADCAST,32,15)
	ds_swizzle_b32 v72, v74 offset:swizzle(BROADCAST,32,15)
	v_and_b32_e32 v73, 16, v96
	s_mov_b32 s40, exec_lo
	s_delay_alu instid0(VALU_DEP_1)
	v_cmpx_ne_u32_e32 0, v73
	s_cbranch_execz .LBB61_82
; %bb.79:
	s_wait_dscnt 0x0
	v_max_num_f64_e32 v[73:74], v[71:72], v[71:72]
	v_max_num_f64_e32 v[75:76], v[69:70], v[69:70]
	v_cmp_u_f64_e64 s0, v[71:72], v[71:72]
	v_cmp_u_f64_e64 s1, v[69:70], v[69:70]
	s_delay_alu instid0(VALU_DEP_3) | instskip(SKIP_2) | instid1(VALU_DEP_2)
	v_min_num_f64_e32 v[97:98], v[73:74], v[75:76]
	v_max_num_f64_e32 v[73:74], v[73:74], v[75:76]
	s_wait_alu 0xf1ff
	v_cndmask_b32_e64 v75, v98, v72, s0
	s_delay_alu instid0(VALU_DEP_3) | instskip(NEXT) | instid1(VALU_DEP_3)
	v_cndmask_b32_e64 v76, v97, v71, s0
	v_cndmask_b32_e64 v97, v74, v72, s0
	s_delay_alu instid0(VALU_DEP_4) | instskip(NEXT) | instid1(VALU_DEP_4)
	v_cndmask_b32_e64 v98, v73, v71, s0
	v_cndmask_b32_e64 v74, v75, v70, s1
	s_delay_alu instid0(VALU_DEP_4) | instskip(NEXT) | instid1(VALU_DEP_4)
	v_cndmask_b32_e64 v73, v76, v69, s1
	v_cndmask_b32_e64 v70, v97, v70, s1
	s_delay_alu instid0(VALU_DEP_4) | instskip(NEXT) | instid1(VALU_DEP_3)
	v_cndmask_b32_e64 v69, v98, v69, s1
	v_cmp_class_f64_e64 s1, v[73:74], 0x1f8
	s_delay_alu instid0(VALU_DEP_2)
	v_cmp_neq_f64_e64 s0, v[73:74], v[69:70]
	s_or_b32 s0, s0, s1
	s_wait_alu 0xfffe
	s_and_saveexec_b32 s41, s0
	s_cbranch_execz .LBB61_81
; %bb.80:
	v_add_f64_e64 v[71:72], v[73:74], -v[69:70]
	s_mov_b32 s0, 0x652b82fe
	s_mov_b32 s1, 0x3ff71547
	s_mov_b32 s35, 0xbfe62e42
	s_mov_b32 s34, 0xfefa39ef
	s_mov_b32 s39, 0xbc7abc9e
	s_mov_b32 s38, 0x3b39803f
	s_mov_b32 s42, 0x6a5dcb37
	s_mov_b32 s43, 0x3e5ade15
	s_mov_b32 s44, 0xbf559e2b
	s_mov_b32 s45, 0x3fc3ab76
	s_wait_alu 0xfffe
	s_delay_alu instid0(VALU_DEP_1) | instskip(SKIP_2) | instid1(VALU_DEP_1)
	v_mul_f64_e32 v[73:74], s[0:1], v[71:72]
	s_mov_b32 s0, 0xfca7ab0c
	s_mov_b32 s1, 0x3e928af3
	v_rndne_f64_e32 v[73:74], v[73:74]
	s_delay_alu instid0(VALU_DEP_1) | instskip(SKIP_2) | instid1(VALU_DEP_2)
	v_fma_f64 v[75:76], v[73:74], s[34:35], v[71:72]
	v_cvt_i32_f64_e32 v99, v[73:74]
	s_mov_b32 s35, 0x3fe62e42
	v_fma_f64 v[75:76], v[73:74], s[38:39], v[75:76]
	s_mov_b32 s39, 0x3c7abc9e
	s_wait_alu 0xfffe
	s_delay_alu instid0(VALU_DEP_1)
	v_fma_f64 v[97:98], v[75:76], s[42:43], s[0:1]
	s_mov_b32 s0, 0x623fde64
	s_mov_b32 s1, 0x3ec71dee
	;; [unrolled: 1-line block ×4, first 2 shown]
	s_wait_alu 0xfffe
	s_delay_alu instid0(VALU_DEP_1) | instskip(SKIP_3) | instid1(VALU_DEP_1)
	v_fma_f64 v[97:98], v[75:76], v[97:98], s[0:1]
	s_mov_b32 s0, 0x7c89e6b0
	s_mov_b32 s1, 0x3efa0199
	s_wait_alu 0xfffe
	v_fma_f64 v[97:98], v[75:76], v[97:98], s[0:1]
	s_mov_b32 s0, 0x14761f6e
	s_mov_b32 s1, 0x3f2a01a0
	s_wait_alu 0xfffe
	s_delay_alu instid0(VALU_DEP_1) | instskip(SKIP_3) | instid1(VALU_DEP_1)
	v_fma_f64 v[97:98], v[75:76], v[97:98], s[0:1]
	s_mov_b32 s0, 0x1852b7b0
	s_mov_b32 s1, 0x3f56c16c
	s_wait_alu 0xfffe
	v_fma_f64 v[97:98], v[75:76], v[97:98], s[0:1]
	s_mov_b32 s0, 0x11122322
	s_mov_b32 s1, 0x3f811111
	;; [unrolled: 9-line block ×3, first 2 shown]
	s_wait_alu 0xfffe
	s_delay_alu instid0(VALU_DEP_1) | instskip(SKIP_3) | instid1(VALU_DEP_1)
	v_fma_f64 v[97:98], v[75:76], v[97:98], s[0:1]
	s_mov_b32 s0, 11
	s_mov_b32 s1, 0x3fe00000
	s_wait_alu 0xfffe
	v_fma_f64 v[97:98], v[75:76], v[97:98], s[0:1]
	v_cmp_nlt_f64_e64 s0, 0x40900000, v[71:72]
	v_cmp_ngt_f64_e64 s1, 0xc090cc00, v[71:72]
	s_delay_alu instid0(VALU_DEP_3) | instskip(NEXT) | instid1(VALU_DEP_1)
	v_fma_f64 v[97:98], v[75:76], v[97:98], 1.0
	v_fma_f64 v[73:74], v[75:76], v[97:98], 1.0
	s_delay_alu instid0(VALU_DEP_1) | instskip(SKIP_1) | instid1(VALU_DEP_1)
	v_ldexp_f64 v[73:74], v[73:74], v99
	s_wait_alu 0xf1ff
	v_cndmask_b32_e64 v74, 0x7ff00000, v74, s0
	s_and_b32 s0, s1, s0
	s_wait_alu 0xfffe
	s_delay_alu instid0(VALU_DEP_2) | instskip(SKIP_3) | instid1(VALU_DEP_1)
	v_cndmask_b32_e64 v71, 0, v73, s0
	s_mov_b32 s0, 0x55555555
	v_cndmask_b32_e64 v72, 0, v74, s1
	s_mov_b32 s1, 0x3fe55555
	v_add_f64_e32 v[73:74], 1.0, v[71:72]
	s_delay_alu instid0(VALU_DEP_1) | instskip(SKIP_3) | instid1(VALU_DEP_3)
	v_frexp_mant_f64_e32 v[75:76], v[73:74]
	v_frexp_exp_i32_f64_e32 v99, v[73:74]
	v_add_f64_e32 v[97:98], -1.0, v[73:74]
	s_wait_alu 0xfffe
	v_cmp_gt_f64_e64 s0, s[0:1], v[75:76]
	s_delay_alu instid0(VALU_DEP_2) | instskip(SKIP_2) | instid1(VALU_DEP_3)
	v_add_f64_e64 v[75:76], v[97:98], -v[73:74]
	v_add_f64_e64 v[97:98], v[71:72], -v[97:98]
	s_wait_alu 0xf1ff
	v_subrev_co_ci_u32_e64 v115, null, 0, v99, s0
	s_delay_alu instid0(VALU_DEP_3) | instskip(SKIP_1) | instid1(VALU_DEP_2)
	v_add_f64_e32 v[75:76], 1.0, v[75:76]
	s_mov_b32 s0, 0x55555780
	v_sub_nc_u32_e32 v101, 0, v115
	s_delay_alu instid0(VALU_DEP_1) | instskip(NEXT) | instid1(VALU_DEP_3)
	v_ldexp_f64 v[73:74], v[73:74], v101
	v_add_f64_e32 v[75:76], v[97:98], v[75:76]
	s_delay_alu instid0(VALU_DEP_2) | instskip(SKIP_1) | instid1(VALU_DEP_3)
	v_add_f64_e32 v[99:100], 1.0, v[73:74]
	v_add_f64_e32 v[105:106], -1.0, v[73:74]
	v_ldexp_f64 v[75:76], v[75:76], v101
	s_delay_alu instid0(VALU_DEP_3) | instskip(NEXT) | instid1(VALU_DEP_3)
	v_add_f64_e32 v[97:98], -1.0, v[99:100]
	v_add_f64_e32 v[107:108], 1.0, v[105:106]
	s_delay_alu instid0(VALU_DEP_2) | instskip(NEXT) | instid1(VALU_DEP_2)
	v_add_f64_e64 v[97:98], v[73:74], -v[97:98]
	v_add_f64_e64 v[73:74], v[73:74], -v[107:108]
	s_delay_alu instid0(VALU_DEP_2) | instskip(NEXT) | instid1(VALU_DEP_2)
	v_add_f64_e32 v[97:98], v[75:76], v[97:98]
	v_add_f64_e32 v[73:74], v[75:76], v[73:74]
	s_delay_alu instid0(VALU_DEP_2) | instskip(NEXT) | instid1(VALU_DEP_2)
	v_add_f64_e32 v[101:102], v[99:100], v[97:98]
	v_add_f64_e32 v[107:108], v[105:106], v[73:74]
	s_delay_alu instid0(VALU_DEP_2) | instskip(SKIP_1) | instid1(VALU_DEP_2)
	v_rcp_f64_e32 v[103:104], v[101:102]
	v_add_f64_e64 v[99:100], v[101:102], -v[99:100]
	v_add_f64_e64 v[105:106], v[107:108], -v[105:106]
	s_delay_alu instid0(VALU_DEP_2) | instskip(NEXT) | instid1(TRANS32_DEP_1)
	v_add_f64_e64 v[97:98], v[97:98], -v[99:100]
	v_fma_f64 v[109:110], -v[101:102], v[103:104], 1.0
	s_delay_alu instid0(VALU_DEP_3) | instskip(NEXT) | instid1(VALU_DEP_2)
	v_add_f64_e64 v[73:74], v[73:74], -v[105:106]
	v_fma_f64 v[103:104], v[109:110], v[103:104], v[103:104]
	s_delay_alu instid0(VALU_DEP_1) | instskip(NEXT) | instid1(VALU_DEP_1)
	v_fma_f64 v[75:76], -v[101:102], v[103:104], 1.0
	v_fma_f64 v[75:76], v[75:76], v[103:104], v[103:104]
	s_delay_alu instid0(VALU_DEP_1) | instskip(NEXT) | instid1(VALU_DEP_1)
	v_mul_f64_e32 v[103:104], v[107:108], v[75:76]
	v_mul_f64_e32 v[109:110], v[101:102], v[103:104]
	s_delay_alu instid0(VALU_DEP_1) | instskip(NEXT) | instid1(VALU_DEP_1)
	v_fma_f64 v[99:100], v[103:104], v[101:102], -v[109:110]
	v_fma_f64 v[99:100], v[103:104], v[97:98], v[99:100]
	s_delay_alu instid0(VALU_DEP_1) | instskip(NEXT) | instid1(VALU_DEP_1)
	v_add_f64_e32 v[111:112], v[109:110], v[99:100]
	v_add_f64_e64 v[113:114], v[107:108], -v[111:112]
	v_add_f64_e64 v[105:106], v[111:112], -v[109:110]
	s_delay_alu instid0(VALU_DEP_2) | instskip(NEXT) | instid1(VALU_DEP_2)
	v_add_f64_e64 v[107:108], v[107:108], -v[113:114]
	v_add_f64_e64 v[99:100], v[105:106], -v[99:100]
	s_delay_alu instid0(VALU_DEP_2) | instskip(NEXT) | instid1(VALU_DEP_1)
	v_add_f64_e64 v[107:108], v[107:108], -v[111:112]
	v_add_f64_e32 v[73:74], v[73:74], v[107:108]
	s_delay_alu instid0(VALU_DEP_1) | instskip(NEXT) | instid1(VALU_DEP_1)
	v_add_f64_e32 v[73:74], v[99:100], v[73:74]
	v_add_f64_e32 v[99:100], v[113:114], v[73:74]
	s_delay_alu instid0(VALU_DEP_1) | instskip(SKIP_1) | instid1(VALU_DEP_2)
	v_mul_f64_e32 v[105:106], v[75:76], v[99:100]
	v_add_f64_e64 v[111:112], v[113:114], -v[99:100]
	v_mul_f64_e32 v[107:108], v[101:102], v[105:106]
	s_delay_alu instid0(VALU_DEP_2) | instskip(NEXT) | instid1(VALU_DEP_2)
	v_add_f64_e32 v[73:74], v[73:74], v[111:112]
	v_fma_f64 v[101:102], v[105:106], v[101:102], -v[107:108]
	s_delay_alu instid0(VALU_DEP_1) | instskip(NEXT) | instid1(VALU_DEP_1)
	v_fma_f64 v[97:98], v[105:106], v[97:98], v[101:102]
	v_add_f64_e32 v[101:102], v[107:108], v[97:98]
	s_delay_alu instid0(VALU_DEP_1) | instskip(SKIP_1) | instid1(VALU_DEP_2)
	v_add_f64_e64 v[109:110], v[99:100], -v[101:102]
	v_add_f64_e64 v[107:108], v[101:102], -v[107:108]
	;; [unrolled: 1-line block ×3, first 2 shown]
	s_delay_alu instid0(VALU_DEP_2) | instskip(NEXT) | instid1(VALU_DEP_2)
	v_add_f64_e64 v[97:98], v[107:108], -v[97:98]
	v_add_f64_e64 v[99:100], v[99:100], -v[101:102]
	s_delay_alu instid0(VALU_DEP_1) | instskip(SKIP_1) | instid1(VALU_DEP_2)
	v_add_f64_e32 v[73:74], v[73:74], v[99:100]
	v_add_f64_e32 v[99:100], v[103:104], v[105:106]
	;; [unrolled: 1-line block ×3, first 2 shown]
	s_delay_alu instid0(VALU_DEP_2) | instskip(NEXT) | instid1(VALU_DEP_2)
	v_add_f64_e64 v[97:98], v[99:100], -v[103:104]
	v_add_f64_e32 v[73:74], v[109:110], v[73:74]
	s_delay_alu instid0(VALU_DEP_2) | instskip(NEXT) | instid1(VALU_DEP_2)
	v_add_f64_e64 v[97:98], v[105:106], -v[97:98]
	v_mul_f64_e32 v[73:74], v[75:76], v[73:74]
	s_delay_alu instid0(VALU_DEP_1) | instskip(NEXT) | instid1(VALU_DEP_1)
	v_add_f64_e32 v[73:74], v[97:98], v[73:74]
	v_add_f64_e32 v[75:76], v[99:100], v[73:74]
	s_delay_alu instid0(VALU_DEP_1) | instskip(NEXT) | instid1(VALU_DEP_1)
	v_mul_f64_e32 v[97:98], v[75:76], v[75:76]
	v_fma_f64 v[101:102], v[97:98], s[44:45], s[42:43]
	s_mov_b32 s42, 0xd7f4df2e
	s_mov_b32 s43, 0x3fc7474d
	v_mul_f64_e32 v[103:104], v[75:76], v[97:98]
	s_wait_alu 0xfffe
	s_delay_alu instid0(VALU_DEP_2) | instskip(SKIP_3) | instid1(VALU_DEP_1)
	v_fma_f64 v[101:102], v[97:98], v[101:102], s[42:43]
	s_mov_b32 s42, 0x16291751
	s_mov_b32 s43, 0x3fcc71c0
	s_wait_alu 0xfffe
	v_fma_f64 v[101:102], v[97:98], v[101:102], s[42:43]
	s_mov_b32 s42, 0x9b27acf1
	s_mov_b32 s43, 0x3fd24924
	s_wait_alu 0xfffe
	s_delay_alu instid0(VALU_DEP_1) | instskip(SKIP_3) | instid1(VALU_DEP_1)
	v_fma_f64 v[101:102], v[97:98], v[101:102], s[42:43]
	s_mov_b32 s42, 0x998ef7b6
	s_mov_b32 s43, 0x3fd99999
	s_wait_alu 0xfffe
	v_fma_f64 v[101:102], v[97:98], v[101:102], s[42:43]
	s_delay_alu instid0(VALU_DEP_1)
	v_fma_f64 v[97:98], v[97:98], v[101:102], s[0:1]
	v_ldexp_f64 v[101:102], v[75:76], 1
	v_add_f64_e64 v[75:76], v[75:76], -v[99:100]
	v_cmp_nge_f64_e64 s0, -1.0, v[71:72]
	v_cmp_neq_f64_e64 s1, 0x7ff00000, v[71:72]
	v_mul_f64_e32 v[97:98], v[103:104], v[97:98]
	v_cvt_f64_i32_e32 v[103:104], v115
	v_add_f64_e64 v[73:74], v[73:74], -v[75:76]
	s_and_b32 s0, s0, s1
	s_delay_alu instid0(VALU_DEP_3) | instskip(NEXT) | instid1(VALU_DEP_3)
	v_add_f64_e32 v[99:100], v[101:102], v[97:98]
	v_mul_f64_e32 v[105:106], s[34:35], v[103:104]
	s_delay_alu instid0(VALU_DEP_3) | instskip(NEXT) | instid1(VALU_DEP_3)
	v_ldexp_f64 v[73:74], v[73:74], 1
	v_add_f64_e64 v[75:76], v[99:100], -v[101:102]
	s_delay_alu instid0(VALU_DEP_3) | instskip(SKIP_1) | instid1(VALU_DEP_3)
	v_fma_f64 v[101:102], v[103:104], s[34:35], -v[105:106]
	v_cmp_ngt_f64_e64 s34, -1.0, v[71:72]
	v_add_f64_e64 v[75:76], v[97:98], -v[75:76]
	s_delay_alu instid0(VALU_DEP_3) | instskip(NEXT) | instid1(VALU_DEP_2)
	v_fma_f64 v[97:98], v[103:104], s[38:39], v[101:102]
	v_add_f64_e32 v[73:74], v[73:74], v[75:76]
	s_delay_alu instid0(VALU_DEP_2) | instskip(NEXT) | instid1(VALU_DEP_2)
	v_add_f64_e32 v[75:76], v[105:106], v[97:98]
	v_add_f64_e32 v[101:102], v[99:100], v[73:74]
	s_delay_alu instid0(VALU_DEP_2) | instskip(NEXT) | instid1(VALU_DEP_2)
	v_add_f64_e64 v[105:106], v[75:76], -v[105:106]
	v_add_f64_e32 v[103:104], v[75:76], v[101:102]
	v_add_f64_e64 v[99:100], v[101:102], -v[99:100]
	s_delay_alu instid0(VALU_DEP_3) | instskip(NEXT) | instid1(VALU_DEP_3)
	v_add_f64_e64 v[97:98], v[97:98], -v[105:106]
	v_add_f64_e64 v[107:108], v[103:104], -v[75:76]
	s_delay_alu instid0(VALU_DEP_3) | instskip(NEXT) | instid1(VALU_DEP_2)
	v_add_f64_e64 v[73:74], v[73:74], -v[99:100]
	v_add_f64_e64 v[109:110], v[103:104], -v[107:108]
	v_add_f64_e64 v[99:100], v[101:102], -v[107:108]
	s_delay_alu instid0(VALU_DEP_3) | instskip(NEXT) | instid1(VALU_DEP_3)
	v_add_f64_e32 v[101:102], v[97:98], v[73:74]
	v_add_f64_e64 v[75:76], v[75:76], -v[109:110]
	s_delay_alu instid0(VALU_DEP_1) | instskip(NEXT) | instid1(VALU_DEP_3)
	v_add_f64_e32 v[75:76], v[99:100], v[75:76]
	v_add_f64_e64 v[99:100], v[101:102], -v[97:98]
	s_delay_alu instid0(VALU_DEP_2) | instskip(NEXT) | instid1(VALU_DEP_2)
	v_add_f64_e32 v[75:76], v[101:102], v[75:76]
	v_add_f64_e64 v[101:102], v[101:102], -v[99:100]
	v_add_f64_e64 v[73:74], v[73:74], -v[99:100]
	s_delay_alu instid0(VALU_DEP_3) | instskip(NEXT) | instid1(VALU_DEP_3)
	v_add_f64_e32 v[105:106], v[103:104], v[75:76]
	v_add_f64_e64 v[97:98], v[97:98], -v[101:102]
	s_delay_alu instid0(VALU_DEP_2) | instskip(NEXT) | instid1(VALU_DEP_2)
	v_add_f64_e64 v[99:100], v[105:106], -v[103:104]
	v_add_f64_e32 v[73:74], v[73:74], v[97:98]
	s_delay_alu instid0(VALU_DEP_2) | instskip(NEXT) | instid1(VALU_DEP_1)
	v_add_f64_e64 v[75:76], v[75:76], -v[99:100]
	v_add_f64_e32 v[73:74], v[73:74], v[75:76]
	s_delay_alu instid0(VALU_DEP_1) | instskip(SKIP_1) | instid1(VALU_DEP_1)
	v_add_f64_e32 v[73:74], v[105:106], v[73:74]
	s_wait_alu 0xfffe
	v_cndmask_b32_e64 v73, 0, v73, s0
	v_cmp_neq_f64_e64 s0, -1.0, v[71:72]
	s_delay_alu instid0(VALU_DEP_3) | instskip(SKIP_1) | instid1(VALU_DEP_1)
	v_cndmask_b32_e64 v74, 0x7ff00000, v74, s1
	s_wait_alu 0xf1ff
	v_cndmask_b32_e64 v74, 0x7ff80000, v74, s34
	s_delay_alu instid0(VALU_DEP_1) | instskip(NEXT) | instid1(VALU_DEP_1)
	v_cndmask_b32_e64 v74, 0xfff00000, v74, s0
	v_add_f64_e32 v[71:72], v[69:70], v[73:74]
.LBB61_81:
	s_wait_alu 0xfffe
	s_or_b32 exec_lo, exec_lo, s41
	s_delay_alu instid0(VALU_DEP_1)
	v_dual_mov_b32 v69, v71 :: v_dual_mov_b32 v70, v72
.LBB61_82:
	s_wait_alu 0xfffe
	s_or_b32 exec_lo, exec_lo, s40
	s_wait_dscnt 0x1
	v_or_b32_e32 v71, 31, v0
	s_mov_b32 s1, exec_lo
	s_delay_alu instid0(VALU_DEP_1)
	v_cmpx_eq_u32_e64 v0, v71
; %bb.83:
	ds_store_b64 v95, v[69:70]
; %bb.84:
	s_wait_alu 0xfffe
	s_or_b32 exec_lo, exec_lo, s1
	s_delay_alu instid0(SALU_CYCLE_1)
	s_mov_b32 s40, exec_lo
	s_wait_loadcnt_dscnt 0x0
	s_barrier_signal -1
	s_barrier_wait -1
	global_inv scope:SCOPE_SE
	v_cmpx_gt_u32_e32 8, v0
	s_cbranch_execz .LBB61_98
; %bb.85:
	ds_load_b64 v[71:72], v77
	v_and_b32_e32 v97, 7, v96
	s_mov_b32 s41, exec_lo
	s_wait_dscnt 0x0
	v_mov_b32_dpp v73, v71 row_shr:1 row_mask:0xf bank_mask:0xf
	v_mov_b32_dpp v74, v72 row_shr:1 row_mask:0xf bank_mask:0xf
	v_dual_mov_b32 v75, v71 :: v_dual_mov_b32 v76, v72
	v_cmpx_ne_u32_e32 0, v97
	s_cbranch_execz .LBB61_89
; %bb.86:
	s_delay_alu instid0(VALU_DEP_3) | instskip(SKIP_3) | instid1(VALU_DEP_3)
	v_max_num_f64_e32 v[75:76], v[73:74], v[73:74]
	v_max_num_f64_e32 v[98:99], v[71:72], v[71:72]
	v_cmp_u_f64_e64 s0, v[73:74], v[73:74]
	v_cmp_u_f64_e64 s1, v[71:72], v[71:72]
	v_min_num_f64_e32 v[100:101], v[75:76], v[98:99]
	v_max_num_f64_e32 v[75:76], v[75:76], v[98:99]
	s_wait_alu 0xf1ff
	s_delay_alu instid0(VALU_DEP_2) | instskip(NEXT) | instid1(VALU_DEP_3)
	v_cndmask_b32_e64 v98, v101, v74, s0
	v_cndmask_b32_e64 v99, v100, v73, s0
	s_delay_alu instid0(VALU_DEP_3) | instskip(NEXT) | instid1(VALU_DEP_4)
	v_cndmask_b32_e64 v100, v76, v74, s0
	v_cndmask_b32_e64 v101, v75, v73, s0
	s_delay_alu instid0(VALU_DEP_4) | instskip(NEXT) | instid1(VALU_DEP_4)
	v_cndmask_b32_e64 v76, v98, v72, s1
	v_cndmask_b32_e64 v75, v99, v71, s1
	s_delay_alu instid0(VALU_DEP_4) | instskip(NEXT) | instid1(VALU_DEP_4)
	v_cndmask_b32_e64 v72, v100, v72, s1
	v_cndmask_b32_e64 v71, v101, v71, s1
	s_delay_alu instid0(VALU_DEP_3) | instskip(NEXT) | instid1(VALU_DEP_2)
	v_cmp_class_f64_e64 s1, v[75:76], 0x1f8
	v_cmp_neq_f64_e64 s0, v[75:76], v[71:72]
	s_or_b32 s0, s0, s1
	s_wait_alu 0xfffe
	s_and_saveexec_b32 s42, s0
	s_cbranch_execz .LBB61_88
; %bb.87:
	v_add_f64_e64 v[73:74], v[75:76], -v[71:72]
	s_mov_b32 s0, 0x652b82fe
	s_mov_b32 s1, 0x3ff71547
	;; [unrolled: 1-line block ×10, first 2 shown]
	s_wait_alu 0xfffe
	s_delay_alu instid0(VALU_DEP_1) | instskip(SKIP_2) | instid1(VALU_DEP_1)
	v_mul_f64_e32 v[75:76], s[0:1], v[73:74]
	s_mov_b32 s0, 0xfca7ab0c
	s_mov_b32 s1, 0x3e928af3
	v_rndne_f64_e32 v[75:76], v[75:76]
	s_delay_alu instid0(VALU_DEP_1) | instskip(SKIP_2) | instid1(VALU_DEP_2)
	v_fma_f64 v[98:99], v[75:76], s[34:35], v[73:74]
	v_cvt_i32_f64_e32 v102, v[75:76]
	s_mov_b32 s35, 0x3fe62e42
	v_fma_f64 v[98:99], v[75:76], s[38:39], v[98:99]
	s_mov_b32 s39, 0x3c7abc9e
	s_wait_alu 0xfffe
	s_delay_alu instid0(VALU_DEP_1)
	v_fma_f64 v[100:101], v[98:99], s[44:45], s[0:1]
	s_mov_b32 s0, 0x623fde64
	s_mov_b32 s1, 0x3ec71dee
	;; [unrolled: 1-line block ×4, first 2 shown]
	s_wait_alu 0xfffe
	s_delay_alu instid0(VALU_DEP_1) | instskip(SKIP_3) | instid1(VALU_DEP_1)
	v_fma_f64 v[100:101], v[98:99], v[100:101], s[0:1]
	s_mov_b32 s0, 0x7c89e6b0
	s_mov_b32 s1, 0x3efa0199
	s_wait_alu 0xfffe
	v_fma_f64 v[100:101], v[98:99], v[100:101], s[0:1]
	s_mov_b32 s0, 0x14761f6e
	s_mov_b32 s1, 0x3f2a01a0
	s_wait_alu 0xfffe
	s_delay_alu instid0(VALU_DEP_1) | instskip(SKIP_3) | instid1(VALU_DEP_1)
	v_fma_f64 v[100:101], v[98:99], v[100:101], s[0:1]
	s_mov_b32 s0, 0x1852b7b0
	s_mov_b32 s1, 0x3f56c16c
	s_wait_alu 0xfffe
	v_fma_f64 v[100:101], v[98:99], v[100:101], s[0:1]
	s_mov_b32 s0, 0x11122322
	s_mov_b32 s1, 0x3f811111
	;; [unrolled: 9-line block ×3, first 2 shown]
	s_wait_alu 0xfffe
	s_delay_alu instid0(VALU_DEP_1) | instskip(SKIP_3) | instid1(VALU_DEP_1)
	v_fma_f64 v[100:101], v[98:99], v[100:101], s[0:1]
	s_mov_b32 s0, 11
	s_mov_b32 s1, 0x3fe00000
	s_wait_alu 0xfffe
	v_fma_f64 v[100:101], v[98:99], v[100:101], s[0:1]
	v_cmp_nlt_f64_e64 s0, 0x40900000, v[73:74]
	v_cmp_ngt_f64_e64 s1, 0xc090cc00, v[73:74]
	s_delay_alu instid0(VALU_DEP_3) | instskip(NEXT) | instid1(VALU_DEP_1)
	v_fma_f64 v[100:101], v[98:99], v[100:101], 1.0
	v_fma_f64 v[75:76], v[98:99], v[100:101], 1.0
	s_delay_alu instid0(VALU_DEP_1) | instskip(SKIP_1) | instid1(VALU_DEP_1)
	v_ldexp_f64 v[75:76], v[75:76], v102
	s_wait_alu 0xf1ff
	v_cndmask_b32_e64 v76, 0x7ff00000, v76, s0
	s_and_b32 s0, s1, s0
	s_wait_alu 0xfffe
	s_delay_alu instid0(VALU_DEP_2) | instskip(SKIP_3) | instid1(VALU_DEP_1)
	v_cndmask_b32_e64 v73, 0, v75, s0
	s_mov_b32 s0, 0x55555555
	v_cndmask_b32_e64 v74, 0, v76, s1
	s_mov_b32 s1, 0x3fe55555
	v_add_f64_e32 v[75:76], 1.0, v[73:74]
	s_delay_alu instid0(VALU_DEP_1) | instskip(SKIP_3) | instid1(VALU_DEP_3)
	v_frexp_mant_f64_e32 v[98:99], v[75:76]
	v_frexp_exp_i32_f64_e32 v102, v[75:76]
	v_add_f64_e32 v[100:101], -1.0, v[75:76]
	s_wait_alu 0xfffe
	v_cmp_gt_f64_e64 s0, s[0:1], v[98:99]
	s_delay_alu instid0(VALU_DEP_2) | instskip(SKIP_2) | instid1(VALU_DEP_3)
	v_add_f64_e64 v[98:99], v[100:101], -v[75:76]
	v_add_f64_e64 v[100:101], v[73:74], -v[100:101]
	s_wait_alu 0xf1ff
	v_subrev_co_ci_u32_e64 v118, null, 0, v102, s0
	s_delay_alu instid0(VALU_DEP_3) | instskip(SKIP_1) | instid1(VALU_DEP_2)
	v_add_f64_e32 v[98:99], 1.0, v[98:99]
	s_mov_b32 s0, 0x55555780
	v_sub_nc_u32_e32 v104, 0, v118
	s_delay_alu instid0(VALU_DEP_1) | instskip(NEXT) | instid1(VALU_DEP_3)
	v_ldexp_f64 v[75:76], v[75:76], v104
	v_add_f64_e32 v[98:99], v[100:101], v[98:99]
	s_delay_alu instid0(VALU_DEP_2) | instskip(SKIP_1) | instid1(VALU_DEP_3)
	v_add_f64_e32 v[102:103], 1.0, v[75:76]
	v_add_f64_e32 v[108:109], -1.0, v[75:76]
	v_ldexp_f64 v[98:99], v[98:99], v104
	s_delay_alu instid0(VALU_DEP_3) | instskip(NEXT) | instid1(VALU_DEP_3)
	v_add_f64_e32 v[100:101], -1.0, v[102:103]
	v_add_f64_e32 v[110:111], 1.0, v[108:109]
	s_delay_alu instid0(VALU_DEP_2) | instskip(NEXT) | instid1(VALU_DEP_2)
	v_add_f64_e64 v[100:101], v[75:76], -v[100:101]
	v_add_f64_e64 v[75:76], v[75:76], -v[110:111]
	s_delay_alu instid0(VALU_DEP_2) | instskip(NEXT) | instid1(VALU_DEP_2)
	v_add_f64_e32 v[100:101], v[98:99], v[100:101]
	v_add_f64_e32 v[75:76], v[98:99], v[75:76]
	s_delay_alu instid0(VALU_DEP_2) | instskip(NEXT) | instid1(VALU_DEP_2)
	v_add_f64_e32 v[104:105], v[102:103], v[100:101]
	v_add_f64_e32 v[110:111], v[108:109], v[75:76]
	s_delay_alu instid0(VALU_DEP_2) | instskip(SKIP_1) | instid1(VALU_DEP_2)
	v_rcp_f64_e32 v[106:107], v[104:105]
	v_add_f64_e64 v[102:103], v[104:105], -v[102:103]
	v_add_f64_e64 v[108:109], v[110:111], -v[108:109]
	s_delay_alu instid0(VALU_DEP_2) | instskip(NEXT) | instid1(TRANS32_DEP_1)
	v_add_f64_e64 v[100:101], v[100:101], -v[102:103]
	v_fma_f64 v[112:113], -v[104:105], v[106:107], 1.0
	s_delay_alu instid0(VALU_DEP_3) | instskip(NEXT) | instid1(VALU_DEP_2)
	v_add_f64_e64 v[75:76], v[75:76], -v[108:109]
	v_fma_f64 v[106:107], v[112:113], v[106:107], v[106:107]
	s_delay_alu instid0(VALU_DEP_1) | instskip(NEXT) | instid1(VALU_DEP_1)
	v_fma_f64 v[98:99], -v[104:105], v[106:107], 1.0
	v_fma_f64 v[98:99], v[98:99], v[106:107], v[106:107]
	s_delay_alu instid0(VALU_DEP_1) | instskip(NEXT) | instid1(VALU_DEP_1)
	v_mul_f64_e32 v[106:107], v[110:111], v[98:99]
	v_mul_f64_e32 v[112:113], v[104:105], v[106:107]
	s_delay_alu instid0(VALU_DEP_1) | instskip(NEXT) | instid1(VALU_DEP_1)
	v_fma_f64 v[102:103], v[106:107], v[104:105], -v[112:113]
	v_fma_f64 v[102:103], v[106:107], v[100:101], v[102:103]
	s_delay_alu instid0(VALU_DEP_1) | instskip(NEXT) | instid1(VALU_DEP_1)
	v_add_f64_e32 v[114:115], v[112:113], v[102:103]
	v_add_f64_e64 v[116:117], v[110:111], -v[114:115]
	v_add_f64_e64 v[108:109], v[114:115], -v[112:113]
	s_delay_alu instid0(VALU_DEP_2) | instskip(NEXT) | instid1(VALU_DEP_2)
	v_add_f64_e64 v[110:111], v[110:111], -v[116:117]
	v_add_f64_e64 v[102:103], v[108:109], -v[102:103]
	s_delay_alu instid0(VALU_DEP_2) | instskip(NEXT) | instid1(VALU_DEP_1)
	v_add_f64_e64 v[110:111], v[110:111], -v[114:115]
	v_add_f64_e32 v[75:76], v[75:76], v[110:111]
	s_delay_alu instid0(VALU_DEP_1) | instskip(NEXT) | instid1(VALU_DEP_1)
	v_add_f64_e32 v[75:76], v[102:103], v[75:76]
	v_add_f64_e32 v[102:103], v[116:117], v[75:76]
	s_delay_alu instid0(VALU_DEP_1) | instskip(SKIP_1) | instid1(VALU_DEP_2)
	v_mul_f64_e32 v[108:109], v[98:99], v[102:103]
	v_add_f64_e64 v[114:115], v[116:117], -v[102:103]
	v_mul_f64_e32 v[110:111], v[104:105], v[108:109]
	s_delay_alu instid0(VALU_DEP_2) | instskip(NEXT) | instid1(VALU_DEP_2)
	v_add_f64_e32 v[75:76], v[75:76], v[114:115]
	v_fma_f64 v[104:105], v[108:109], v[104:105], -v[110:111]
	s_delay_alu instid0(VALU_DEP_1) | instskip(NEXT) | instid1(VALU_DEP_1)
	v_fma_f64 v[100:101], v[108:109], v[100:101], v[104:105]
	v_add_f64_e32 v[104:105], v[110:111], v[100:101]
	s_delay_alu instid0(VALU_DEP_1) | instskip(SKIP_1) | instid1(VALU_DEP_2)
	v_add_f64_e64 v[112:113], v[102:103], -v[104:105]
	v_add_f64_e64 v[110:111], v[104:105], -v[110:111]
	;; [unrolled: 1-line block ×3, first 2 shown]
	s_delay_alu instid0(VALU_DEP_2) | instskip(NEXT) | instid1(VALU_DEP_2)
	v_add_f64_e64 v[100:101], v[110:111], -v[100:101]
	v_add_f64_e64 v[102:103], v[102:103], -v[104:105]
	s_delay_alu instid0(VALU_DEP_1) | instskip(SKIP_1) | instid1(VALU_DEP_2)
	v_add_f64_e32 v[75:76], v[75:76], v[102:103]
	v_add_f64_e32 v[102:103], v[106:107], v[108:109]
	;; [unrolled: 1-line block ×3, first 2 shown]
	s_delay_alu instid0(VALU_DEP_2) | instskip(NEXT) | instid1(VALU_DEP_2)
	v_add_f64_e64 v[100:101], v[102:103], -v[106:107]
	v_add_f64_e32 v[75:76], v[112:113], v[75:76]
	s_delay_alu instid0(VALU_DEP_2) | instskip(NEXT) | instid1(VALU_DEP_2)
	v_add_f64_e64 v[100:101], v[108:109], -v[100:101]
	v_mul_f64_e32 v[75:76], v[98:99], v[75:76]
	s_delay_alu instid0(VALU_DEP_1) | instskip(NEXT) | instid1(VALU_DEP_1)
	v_add_f64_e32 v[75:76], v[100:101], v[75:76]
	v_add_f64_e32 v[98:99], v[102:103], v[75:76]
	s_delay_alu instid0(VALU_DEP_1) | instskip(NEXT) | instid1(VALU_DEP_1)
	v_mul_f64_e32 v[100:101], v[98:99], v[98:99]
	v_fma_f64 v[104:105], v[100:101], s[46:47], s[44:45]
	s_mov_b32 s44, 0xd7f4df2e
	s_mov_b32 s45, 0x3fc7474d
	v_mul_f64_e32 v[106:107], v[98:99], v[100:101]
	s_wait_alu 0xfffe
	s_delay_alu instid0(VALU_DEP_2) | instskip(SKIP_3) | instid1(VALU_DEP_1)
	v_fma_f64 v[104:105], v[100:101], v[104:105], s[44:45]
	s_mov_b32 s44, 0x16291751
	s_mov_b32 s45, 0x3fcc71c0
	s_wait_alu 0xfffe
	v_fma_f64 v[104:105], v[100:101], v[104:105], s[44:45]
	s_mov_b32 s44, 0x9b27acf1
	s_mov_b32 s45, 0x3fd24924
	s_wait_alu 0xfffe
	s_delay_alu instid0(VALU_DEP_1) | instskip(SKIP_3) | instid1(VALU_DEP_1)
	v_fma_f64 v[104:105], v[100:101], v[104:105], s[44:45]
	s_mov_b32 s44, 0x998ef7b6
	s_mov_b32 s45, 0x3fd99999
	s_wait_alu 0xfffe
	v_fma_f64 v[104:105], v[100:101], v[104:105], s[44:45]
	s_delay_alu instid0(VALU_DEP_1)
	v_fma_f64 v[100:101], v[100:101], v[104:105], s[0:1]
	v_ldexp_f64 v[104:105], v[98:99], 1
	v_add_f64_e64 v[98:99], v[98:99], -v[102:103]
	v_cmp_nge_f64_e64 s0, -1.0, v[73:74]
	v_cmp_neq_f64_e64 s1, 0x7ff00000, v[73:74]
	v_mul_f64_e32 v[100:101], v[106:107], v[100:101]
	v_cvt_f64_i32_e32 v[106:107], v118
	v_add_f64_e64 v[75:76], v[75:76], -v[98:99]
	s_and_b32 s0, s0, s1
	s_delay_alu instid0(VALU_DEP_3) | instskip(NEXT) | instid1(VALU_DEP_3)
	v_add_f64_e32 v[102:103], v[104:105], v[100:101]
	v_mul_f64_e32 v[108:109], s[34:35], v[106:107]
	s_delay_alu instid0(VALU_DEP_3) | instskip(NEXT) | instid1(VALU_DEP_3)
	v_ldexp_f64 v[75:76], v[75:76], 1
	v_add_f64_e64 v[98:99], v[102:103], -v[104:105]
	s_delay_alu instid0(VALU_DEP_3) | instskip(SKIP_1) | instid1(VALU_DEP_3)
	v_fma_f64 v[104:105], v[106:107], s[34:35], -v[108:109]
	v_cmp_ngt_f64_e64 s34, -1.0, v[73:74]
	v_add_f64_e64 v[98:99], v[100:101], -v[98:99]
	s_delay_alu instid0(VALU_DEP_3) | instskip(NEXT) | instid1(VALU_DEP_2)
	v_fma_f64 v[100:101], v[106:107], s[38:39], v[104:105]
	v_add_f64_e32 v[75:76], v[75:76], v[98:99]
	s_delay_alu instid0(VALU_DEP_2) | instskip(NEXT) | instid1(VALU_DEP_2)
	v_add_f64_e32 v[98:99], v[108:109], v[100:101]
	v_add_f64_e32 v[104:105], v[102:103], v[75:76]
	s_delay_alu instid0(VALU_DEP_2) | instskip(NEXT) | instid1(VALU_DEP_2)
	v_add_f64_e64 v[108:109], v[98:99], -v[108:109]
	v_add_f64_e32 v[106:107], v[98:99], v[104:105]
	v_add_f64_e64 v[102:103], v[104:105], -v[102:103]
	s_delay_alu instid0(VALU_DEP_3) | instskip(NEXT) | instid1(VALU_DEP_3)
	v_add_f64_e64 v[100:101], v[100:101], -v[108:109]
	v_add_f64_e64 v[110:111], v[106:107], -v[98:99]
	s_delay_alu instid0(VALU_DEP_3) | instskip(NEXT) | instid1(VALU_DEP_2)
	v_add_f64_e64 v[75:76], v[75:76], -v[102:103]
	v_add_f64_e64 v[112:113], v[106:107], -v[110:111]
	;; [unrolled: 1-line block ×3, first 2 shown]
	s_delay_alu instid0(VALU_DEP_3) | instskip(NEXT) | instid1(VALU_DEP_3)
	v_add_f64_e32 v[104:105], v[100:101], v[75:76]
	v_add_f64_e64 v[98:99], v[98:99], -v[112:113]
	s_delay_alu instid0(VALU_DEP_1) | instskip(NEXT) | instid1(VALU_DEP_3)
	v_add_f64_e32 v[98:99], v[102:103], v[98:99]
	v_add_f64_e64 v[102:103], v[104:105], -v[100:101]
	s_delay_alu instid0(VALU_DEP_2) | instskip(NEXT) | instid1(VALU_DEP_2)
	v_add_f64_e32 v[98:99], v[104:105], v[98:99]
	v_add_f64_e64 v[104:105], v[104:105], -v[102:103]
	v_add_f64_e64 v[75:76], v[75:76], -v[102:103]
	s_delay_alu instid0(VALU_DEP_3) | instskip(NEXT) | instid1(VALU_DEP_3)
	v_add_f64_e32 v[108:109], v[106:107], v[98:99]
	v_add_f64_e64 v[100:101], v[100:101], -v[104:105]
	s_delay_alu instid0(VALU_DEP_2) | instskip(NEXT) | instid1(VALU_DEP_2)
	v_add_f64_e64 v[102:103], v[108:109], -v[106:107]
	v_add_f64_e32 v[75:76], v[75:76], v[100:101]
	s_delay_alu instid0(VALU_DEP_2) | instskip(NEXT) | instid1(VALU_DEP_1)
	v_add_f64_e64 v[98:99], v[98:99], -v[102:103]
	v_add_f64_e32 v[75:76], v[75:76], v[98:99]
	s_delay_alu instid0(VALU_DEP_1) | instskip(SKIP_1) | instid1(VALU_DEP_1)
	v_add_f64_e32 v[75:76], v[108:109], v[75:76]
	s_wait_alu 0xfffe
	v_cndmask_b32_e64 v75, 0, v75, s0
	v_cmp_neq_f64_e64 s0, -1.0, v[73:74]
	s_delay_alu instid0(VALU_DEP_3) | instskip(SKIP_1) | instid1(VALU_DEP_1)
	v_cndmask_b32_e64 v76, 0x7ff00000, v76, s1
	s_wait_alu 0xf1ff
	v_cndmask_b32_e64 v76, 0x7ff80000, v76, s34
	s_delay_alu instid0(VALU_DEP_1) | instskip(NEXT) | instid1(VALU_DEP_1)
	v_cndmask_b32_e64 v76, 0xfff00000, v76, s0
	v_add_f64_e32 v[73:74], v[71:72], v[75:76]
.LBB61_88:
	s_wait_alu 0xfffe
	s_or_b32 exec_lo, exec_lo, s42
	s_delay_alu instid0(VALU_DEP_1)
	v_dual_mov_b32 v75, v73 :: v_dual_mov_b32 v76, v74
	v_dual_mov_b32 v71, v73 :: v_dual_mov_b32 v72, v74
.LBB61_89:
	s_wait_alu 0xfffe
	s_or_b32 exec_lo, exec_lo, s41
	s_delay_alu instid0(VALU_DEP_2)
	v_mov_b32_dpp v73, v75 row_shr:2 row_mask:0xf bank_mask:0xf
	v_mov_b32_dpp v74, v76 row_shr:2 row_mask:0xf bank_mask:0xf
	s_mov_b32 s41, exec_lo
	v_cmpx_lt_u32_e32 1, v97
	s_cbranch_execz .LBB61_93
; %bb.90:
	s_delay_alu instid0(VALU_DEP_2) | instskip(SKIP_3) | instid1(VALU_DEP_3)
	v_max_num_f64_e32 v[75:76], v[73:74], v[73:74]
	v_max_num_f64_e32 v[98:99], v[71:72], v[71:72]
	v_cmp_u_f64_e64 s0, v[73:74], v[73:74]
	v_cmp_u_f64_e64 s1, v[71:72], v[71:72]
	v_min_num_f64_e32 v[100:101], v[75:76], v[98:99]
	v_max_num_f64_e32 v[75:76], v[75:76], v[98:99]
	s_wait_alu 0xf1ff
	s_delay_alu instid0(VALU_DEP_2) | instskip(NEXT) | instid1(VALU_DEP_3)
	v_cndmask_b32_e64 v98, v101, v74, s0
	v_cndmask_b32_e64 v99, v100, v73, s0
	s_delay_alu instid0(VALU_DEP_3) | instskip(NEXT) | instid1(VALU_DEP_4)
	v_cndmask_b32_e64 v100, v76, v74, s0
	v_cndmask_b32_e64 v101, v75, v73, s0
	s_delay_alu instid0(VALU_DEP_4) | instskip(NEXT) | instid1(VALU_DEP_4)
	v_cndmask_b32_e64 v76, v98, v72, s1
	v_cndmask_b32_e64 v75, v99, v71, s1
	s_delay_alu instid0(VALU_DEP_4) | instskip(NEXT) | instid1(VALU_DEP_4)
	v_cndmask_b32_e64 v72, v100, v72, s1
	v_cndmask_b32_e64 v71, v101, v71, s1
	s_delay_alu instid0(VALU_DEP_3) | instskip(NEXT) | instid1(VALU_DEP_2)
	v_cmp_class_f64_e64 s1, v[75:76], 0x1f8
	v_cmp_neq_f64_e64 s0, v[75:76], v[71:72]
	s_or_b32 s0, s0, s1
	s_wait_alu 0xfffe
	s_and_saveexec_b32 s42, s0
	s_cbranch_execz .LBB61_92
; %bb.91:
	v_add_f64_e64 v[73:74], v[75:76], -v[71:72]
	s_mov_b32 s0, 0x652b82fe
	s_mov_b32 s1, 0x3ff71547
	;; [unrolled: 1-line block ×10, first 2 shown]
	s_wait_alu 0xfffe
	s_delay_alu instid0(VALU_DEP_1) | instskip(SKIP_2) | instid1(VALU_DEP_1)
	v_mul_f64_e32 v[75:76], s[0:1], v[73:74]
	s_mov_b32 s0, 0xfca7ab0c
	s_mov_b32 s1, 0x3e928af3
	v_rndne_f64_e32 v[75:76], v[75:76]
	s_delay_alu instid0(VALU_DEP_1) | instskip(SKIP_2) | instid1(VALU_DEP_2)
	v_fma_f64 v[98:99], v[75:76], s[34:35], v[73:74]
	v_cvt_i32_f64_e32 v102, v[75:76]
	s_mov_b32 s35, 0x3fe62e42
	v_fma_f64 v[98:99], v[75:76], s[38:39], v[98:99]
	s_mov_b32 s39, 0x3c7abc9e
	s_wait_alu 0xfffe
	s_delay_alu instid0(VALU_DEP_1)
	v_fma_f64 v[100:101], v[98:99], s[44:45], s[0:1]
	s_mov_b32 s0, 0x623fde64
	s_mov_b32 s1, 0x3ec71dee
	s_mov_b32 s44, 0x6b47b09a
	s_mov_b32 s45, 0x3fc38538
	s_wait_alu 0xfffe
	s_delay_alu instid0(VALU_DEP_1) | instskip(SKIP_3) | instid1(VALU_DEP_1)
	v_fma_f64 v[100:101], v[98:99], v[100:101], s[0:1]
	s_mov_b32 s0, 0x7c89e6b0
	s_mov_b32 s1, 0x3efa0199
	s_wait_alu 0xfffe
	v_fma_f64 v[100:101], v[98:99], v[100:101], s[0:1]
	s_mov_b32 s0, 0x14761f6e
	s_mov_b32 s1, 0x3f2a01a0
	s_wait_alu 0xfffe
	s_delay_alu instid0(VALU_DEP_1) | instskip(SKIP_3) | instid1(VALU_DEP_1)
	v_fma_f64 v[100:101], v[98:99], v[100:101], s[0:1]
	s_mov_b32 s0, 0x1852b7b0
	s_mov_b32 s1, 0x3f56c16c
	s_wait_alu 0xfffe
	v_fma_f64 v[100:101], v[98:99], v[100:101], s[0:1]
	s_mov_b32 s0, 0x11122322
	s_mov_b32 s1, 0x3f811111
	;; [unrolled: 9-line block ×3, first 2 shown]
	s_wait_alu 0xfffe
	s_delay_alu instid0(VALU_DEP_1) | instskip(SKIP_3) | instid1(VALU_DEP_1)
	v_fma_f64 v[100:101], v[98:99], v[100:101], s[0:1]
	s_mov_b32 s0, 11
	s_mov_b32 s1, 0x3fe00000
	s_wait_alu 0xfffe
	v_fma_f64 v[100:101], v[98:99], v[100:101], s[0:1]
	v_cmp_nlt_f64_e64 s0, 0x40900000, v[73:74]
	v_cmp_ngt_f64_e64 s1, 0xc090cc00, v[73:74]
	s_delay_alu instid0(VALU_DEP_3) | instskip(NEXT) | instid1(VALU_DEP_1)
	v_fma_f64 v[100:101], v[98:99], v[100:101], 1.0
	v_fma_f64 v[75:76], v[98:99], v[100:101], 1.0
	s_delay_alu instid0(VALU_DEP_1) | instskip(SKIP_1) | instid1(VALU_DEP_1)
	v_ldexp_f64 v[75:76], v[75:76], v102
	s_wait_alu 0xf1ff
	v_cndmask_b32_e64 v76, 0x7ff00000, v76, s0
	s_and_b32 s0, s1, s0
	s_wait_alu 0xfffe
	s_delay_alu instid0(VALU_DEP_2) | instskip(SKIP_3) | instid1(VALU_DEP_1)
	v_cndmask_b32_e64 v73, 0, v75, s0
	s_mov_b32 s0, 0x55555555
	v_cndmask_b32_e64 v74, 0, v76, s1
	s_mov_b32 s1, 0x3fe55555
	v_add_f64_e32 v[75:76], 1.0, v[73:74]
	s_delay_alu instid0(VALU_DEP_1) | instskip(SKIP_3) | instid1(VALU_DEP_3)
	v_frexp_mant_f64_e32 v[98:99], v[75:76]
	v_frexp_exp_i32_f64_e32 v102, v[75:76]
	v_add_f64_e32 v[100:101], -1.0, v[75:76]
	s_wait_alu 0xfffe
	v_cmp_gt_f64_e64 s0, s[0:1], v[98:99]
	s_delay_alu instid0(VALU_DEP_2) | instskip(SKIP_2) | instid1(VALU_DEP_3)
	v_add_f64_e64 v[98:99], v[100:101], -v[75:76]
	v_add_f64_e64 v[100:101], v[73:74], -v[100:101]
	s_wait_alu 0xf1ff
	v_subrev_co_ci_u32_e64 v118, null, 0, v102, s0
	s_delay_alu instid0(VALU_DEP_3) | instskip(SKIP_1) | instid1(VALU_DEP_2)
	v_add_f64_e32 v[98:99], 1.0, v[98:99]
	s_mov_b32 s0, 0x55555780
	v_sub_nc_u32_e32 v104, 0, v118
	s_delay_alu instid0(VALU_DEP_1) | instskip(NEXT) | instid1(VALU_DEP_3)
	v_ldexp_f64 v[75:76], v[75:76], v104
	v_add_f64_e32 v[98:99], v[100:101], v[98:99]
	s_delay_alu instid0(VALU_DEP_2) | instskip(SKIP_1) | instid1(VALU_DEP_3)
	v_add_f64_e32 v[102:103], 1.0, v[75:76]
	v_add_f64_e32 v[108:109], -1.0, v[75:76]
	v_ldexp_f64 v[98:99], v[98:99], v104
	s_delay_alu instid0(VALU_DEP_3) | instskip(NEXT) | instid1(VALU_DEP_3)
	v_add_f64_e32 v[100:101], -1.0, v[102:103]
	v_add_f64_e32 v[110:111], 1.0, v[108:109]
	s_delay_alu instid0(VALU_DEP_2) | instskip(NEXT) | instid1(VALU_DEP_2)
	v_add_f64_e64 v[100:101], v[75:76], -v[100:101]
	v_add_f64_e64 v[75:76], v[75:76], -v[110:111]
	s_delay_alu instid0(VALU_DEP_2) | instskip(NEXT) | instid1(VALU_DEP_2)
	v_add_f64_e32 v[100:101], v[98:99], v[100:101]
	v_add_f64_e32 v[75:76], v[98:99], v[75:76]
	s_delay_alu instid0(VALU_DEP_2) | instskip(NEXT) | instid1(VALU_DEP_2)
	v_add_f64_e32 v[104:105], v[102:103], v[100:101]
	v_add_f64_e32 v[110:111], v[108:109], v[75:76]
	s_delay_alu instid0(VALU_DEP_2) | instskip(SKIP_1) | instid1(VALU_DEP_2)
	v_rcp_f64_e32 v[106:107], v[104:105]
	v_add_f64_e64 v[102:103], v[104:105], -v[102:103]
	v_add_f64_e64 v[108:109], v[110:111], -v[108:109]
	s_delay_alu instid0(VALU_DEP_2) | instskip(NEXT) | instid1(TRANS32_DEP_1)
	v_add_f64_e64 v[100:101], v[100:101], -v[102:103]
	v_fma_f64 v[112:113], -v[104:105], v[106:107], 1.0
	s_delay_alu instid0(VALU_DEP_3) | instskip(NEXT) | instid1(VALU_DEP_2)
	v_add_f64_e64 v[75:76], v[75:76], -v[108:109]
	v_fma_f64 v[106:107], v[112:113], v[106:107], v[106:107]
	s_delay_alu instid0(VALU_DEP_1) | instskip(NEXT) | instid1(VALU_DEP_1)
	v_fma_f64 v[98:99], -v[104:105], v[106:107], 1.0
	v_fma_f64 v[98:99], v[98:99], v[106:107], v[106:107]
	s_delay_alu instid0(VALU_DEP_1) | instskip(NEXT) | instid1(VALU_DEP_1)
	v_mul_f64_e32 v[106:107], v[110:111], v[98:99]
	v_mul_f64_e32 v[112:113], v[104:105], v[106:107]
	s_delay_alu instid0(VALU_DEP_1) | instskip(NEXT) | instid1(VALU_DEP_1)
	v_fma_f64 v[102:103], v[106:107], v[104:105], -v[112:113]
	v_fma_f64 v[102:103], v[106:107], v[100:101], v[102:103]
	s_delay_alu instid0(VALU_DEP_1) | instskip(NEXT) | instid1(VALU_DEP_1)
	v_add_f64_e32 v[114:115], v[112:113], v[102:103]
	v_add_f64_e64 v[116:117], v[110:111], -v[114:115]
	v_add_f64_e64 v[108:109], v[114:115], -v[112:113]
	s_delay_alu instid0(VALU_DEP_2) | instskip(NEXT) | instid1(VALU_DEP_2)
	v_add_f64_e64 v[110:111], v[110:111], -v[116:117]
	v_add_f64_e64 v[102:103], v[108:109], -v[102:103]
	s_delay_alu instid0(VALU_DEP_2) | instskip(NEXT) | instid1(VALU_DEP_1)
	v_add_f64_e64 v[110:111], v[110:111], -v[114:115]
	v_add_f64_e32 v[75:76], v[75:76], v[110:111]
	s_delay_alu instid0(VALU_DEP_1) | instskip(NEXT) | instid1(VALU_DEP_1)
	v_add_f64_e32 v[75:76], v[102:103], v[75:76]
	v_add_f64_e32 v[102:103], v[116:117], v[75:76]
	s_delay_alu instid0(VALU_DEP_1) | instskip(SKIP_1) | instid1(VALU_DEP_2)
	v_mul_f64_e32 v[108:109], v[98:99], v[102:103]
	v_add_f64_e64 v[114:115], v[116:117], -v[102:103]
	v_mul_f64_e32 v[110:111], v[104:105], v[108:109]
	s_delay_alu instid0(VALU_DEP_2) | instskip(NEXT) | instid1(VALU_DEP_2)
	v_add_f64_e32 v[75:76], v[75:76], v[114:115]
	v_fma_f64 v[104:105], v[108:109], v[104:105], -v[110:111]
	s_delay_alu instid0(VALU_DEP_1) | instskip(NEXT) | instid1(VALU_DEP_1)
	v_fma_f64 v[100:101], v[108:109], v[100:101], v[104:105]
	v_add_f64_e32 v[104:105], v[110:111], v[100:101]
	s_delay_alu instid0(VALU_DEP_1) | instskip(SKIP_1) | instid1(VALU_DEP_2)
	v_add_f64_e64 v[112:113], v[102:103], -v[104:105]
	v_add_f64_e64 v[110:111], v[104:105], -v[110:111]
	;; [unrolled: 1-line block ×3, first 2 shown]
	s_delay_alu instid0(VALU_DEP_2) | instskip(NEXT) | instid1(VALU_DEP_2)
	v_add_f64_e64 v[100:101], v[110:111], -v[100:101]
	v_add_f64_e64 v[102:103], v[102:103], -v[104:105]
	s_delay_alu instid0(VALU_DEP_1) | instskip(SKIP_1) | instid1(VALU_DEP_2)
	v_add_f64_e32 v[75:76], v[75:76], v[102:103]
	v_add_f64_e32 v[102:103], v[106:107], v[108:109]
	;; [unrolled: 1-line block ×3, first 2 shown]
	s_delay_alu instid0(VALU_DEP_2) | instskip(NEXT) | instid1(VALU_DEP_2)
	v_add_f64_e64 v[100:101], v[102:103], -v[106:107]
	v_add_f64_e32 v[75:76], v[112:113], v[75:76]
	s_delay_alu instid0(VALU_DEP_2) | instskip(NEXT) | instid1(VALU_DEP_2)
	v_add_f64_e64 v[100:101], v[108:109], -v[100:101]
	v_mul_f64_e32 v[75:76], v[98:99], v[75:76]
	s_delay_alu instid0(VALU_DEP_1) | instskip(NEXT) | instid1(VALU_DEP_1)
	v_add_f64_e32 v[75:76], v[100:101], v[75:76]
	v_add_f64_e32 v[98:99], v[102:103], v[75:76]
	s_delay_alu instid0(VALU_DEP_1) | instskip(NEXT) | instid1(VALU_DEP_1)
	v_mul_f64_e32 v[100:101], v[98:99], v[98:99]
	v_fma_f64 v[104:105], v[100:101], s[46:47], s[44:45]
	s_mov_b32 s44, 0xd7f4df2e
	s_mov_b32 s45, 0x3fc7474d
	v_mul_f64_e32 v[106:107], v[98:99], v[100:101]
	s_wait_alu 0xfffe
	s_delay_alu instid0(VALU_DEP_2) | instskip(SKIP_3) | instid1(VALU_DEP_1)
	v_fma_f64 v[104:105], v[100:101], v[104:105], s[44:45]
	s_mov_b32 s44, 0x16291751
	s_mov_b32 s45, 0x3fcc71c0
	s_wait_alu 0xfffe
	v_fma_f64 v[104:105], v[100:101], v[104:105], s[44:45]
	s_mov_b32 s44, 0x9b27acf1
	s_mov_b32 s45, 0x3fd24924
	s_wait_alu 0xfffe
	s_delay_alu instid0(VALU_DEP_1) | instskip(SKIP_3) | instid1(VALU_DEP_1)
	v_fma_f64 v[104:105], v[100:101], v[104:105], s[44:45]
	s_mov_b32 s44, 0x998ef7b6
	s_mov_b32 s45, 0x3fd99999
	s_wait_alu 0xfffe
	v_fma_f64 v[104:105], v[100:101], v[104:105], s[44:45]
	s_delay_alu instid0(VALU_DEP_1)
	v_fma_f64 v[100:101], v[100:101], v[104:105], s[0:1]
	v_ldexp_f64 v[104:105], v[98:99], 1
	v_add_f64_e64 v[98:99], v[98:99], -v[102:103]
	v_cmp_nge_f64_e64 s0, -1.0, v[73:74]
	v_cmp_neq_f64_e64 s1, 0x7ff00000, v[73:74]
	v_mul_f64_e32 v[100:101], v[106:107], v[100:101]
	v_cvt_f64_i32_e32 v[106:107], v118
	v_add_f64_e64 v[75:76], v[75:76], -v[98:99]
	s_and_b32 s0, s0, s1
	s_delay_alu instid0(VALU_DEP_3) | instskip(NEXT) | instid1(VALU_DEP_3)
	v_add_f64_e32 v[102:103], v[104:105], v[100:101]
	v_mul_f64_e32 v[108:109], s[34:35], v[106:107]
	s_delay_alu instid0(VALU_DEP_3) | instskip(NEXT) | instid1(VALU_DEP_3)
	v_ldexp_f64 v[75:76], v[75:76], 1
	v_add_f64_e64 v[98:99], v[102:103], -v[104:105]
	s_delay_alu instid0(VALU_DEP_3) | instskip(SKIP_1) | instid1(VALU_DEP_3)
	v_fma_f64 v[104:105], v[106:107], s[34:35], -v[108:109]
	v_cmp_ngt_f64_e64 s34, -1.0, v[73:74]
	v_add_f64_e64 v[98:99], v[100:101], -v[98:99]
	s_delay_alu instid0(VALU_DEP_3) | instskip(NEXT) | instid1(VALU_DEP_2)
	v_fma_f64 v[100:101], v[106:107], s[38:39], v[104:105]
	v_add_f64_e32 v[75:76], v[75:76], v[98:99]
	s_delay_alu instid0(VALU_DEP_2) | instskip(NEXT) | instid1(VALU_DEP_2)
	v_add_f64_e32 v[98:99], v[108:109], v[100:101]
	v_add_f64_e32 v[104:105], v[102:103], v[75:76]
	s_delay_alu instid0(VALU_DEP_2) | instskip(NEXT) | instid1(VALU_DEP_2)
	v_add_f64_e64 v[108:109], v[98:99], -v[108:109]
	v_add_f64_e32 v[106:107], v[98:99], v[104:105]
	v_add_f64_e64 v[102:103], v[104:105], -v[102:103]
	s_delay_alu instid0(VALU_DEP_3) | instskip(NEXT) | instid1(VALU_DEP_3)
	v_add_f64_e64 v[100:101], v[100:101], -v[108:109]
	v_add_f64_e64 v[110:111], v[106:107], -v[98:99]
	s_delay_alu instid0(VALU_DEP_3) | instskip(NEXT) | instid1(VALU_DEP_2)
	v_add_f64_e64 v[75:76], v[75:76], -v[102:103]
	v_add_f64_e64 v[112:113], v[106:107], -v[110:111]
	;; [unrolled: 1-line block ×3, first 2 shown]
	s_delay_alu instid0(VALU_DEP_3) | instskip(NEXT) | instid1(VALU_DEP_3)
	v_add_f64_e32 v[104:105], v[100:101], v[75:76]
	v_add_f64_e64 v[98:99], v[98:99], -v[112:113]
	s_delay_alu instid0(VALU_DEP_1) | instskip(NEXT) | instid1(VALU_DEP_3)
	v_add_f64_e32 v[98:99], v[102:103], v[98:99]
	v_add_f64_e64 v[102:103], v[104:105], -v[100:101]
	s_delay_alu instid0(VALU_DEP_2) | instskip(NEXT) | instid1(VALU_DEP_2)
	v_add_f64_e32 v[98:99], v[104:105], v[98:99]
	v_add_f64_e64 v[104:105], v[104:105], -v[102:103]
	v_add_f64_e64 v[75:76], v[75:76], -v[102:103]
	s_delay_alu instid0(VALU_DEP_3) | instskip(NEXT) | instid1(VALU_DEP_3)
	v_add_f64_e32 v[108:109], v[106:107], v[98:99]
	v_add_f64_e64 v[100:101], v[100:101], -v[104:105]
	s_delay_alu instid0(VALU_DEP_2) | instskip(NEXT) | instid1(VALU_DEP_2)
	v_add_f64_e64 v[102:103], v[108:109], -v[106:107]
	v_add_f64_e32 v[75:76], v[75:76], v[100:101]
	s_delay_alu instid0(VALU_DEP_2) | instskip(NEXT) | instid1(VALU_DEP_1)
	v_add_f64_e64 v[98:99], v[98:99], -v[102:103]
	v_add_f64_e32 v[75:76], v[75:76], v[98:99]
	s_delay_alu instid0(VALU_DEP_1) | instskip(SKIP_1) | instid1(VALU_DEP_1)
	v_add_f64_e32 v[75:76], v[108:109], v[75:76]
	s_wait_alu 0xfffe
	v_cndmask_b32_e64 v75, 0, v75, s0
	v_cmp_neq_f64_e64 s0, -1.0, v[73:74]
	s_delay_alu instid0(VALU_DEP_3) | instskip(SKIP_1) | instid1(VALU_DEP_1)
	v_cndmask_b32_e64 v76, 0x7ff00000, v76, s1
	s_wait_alu 0xf1ff
	v_cndmask_b32_e64 v76, 0x7ff80000, v76, s34
	s_delay_alu instid0(VALU_DEP_1) | instskip(NEXT) | instid1(VALU_DEP_1)
	v_cndmask_b32_e64 v76, 0xfff00000, v76, s0
	v_add_f64_e32 v[73:74], v[71:72], v[75:76]
.LBB61_92:
	s_wait_alu 0xfffe
	s_or_b32 exec_lo, exec_lo, s42
	s_delay_alu instid0(VALU_DEP_1)
	v_dual_mov_b32 v75, v73 :: v_dual_mov_b32 v76, v74
	v_dual_mov_b32 v71, v73 :: v_dual_mov_b32 v72, v74
.LBB61_93:
	s_wait_alu 0xfffe
	s_or_b32 exec_lo, exec_lo, s41
	s_delay_alu instid0(VALU_DEP_2)
	v_mov_b32_dpp v73, v75 row_shr:4 row_mask:0xf bank_mask:0xf
	v_mov_b32_dpp v74, v76 row_shr:4 row_mask:0xf bank_mask:0xf
	s_mov_b32 s41, exec_lo
	v_cmpx_lt_u32_e32 3, v97
	s_cbranch_execz .LBB61_97
; %bb.94:
	s_delay_alu instid0(VALU_DEP_2) | instskip(SKIP_3) | instid1(VALU_DEP_3)
	v_max_num_f64_e32 v[75:76], v[73:74], v[73:74]
	v_max_num_f64_e32 v[97:98], v[71:72], v[71:72]
	v_cmp_u_f64_e64 s0, v[73:74], v[73:74]
	v_cmp_u_f64_e64 s1, v[71:72], v[71:72]
	v_min_num_f64_e32 v[99:100], v[75:76], v[97:98]
	v_max_num_f64_e32 v[75:76], v[75:76], v[97:98]
	s_wait_alu 0xf1ff
	s_delay_alu instid0(VALU_DEP_2) | instskip(NEXT) | instid1(VALU_DEP_3)
	v_cndmask_b32_e64 v97, v100, v74, s0
	v_cndmask_b32_e64 v98, v99, v73, s0
	s_delay_alu instid0(VALU_DEP_3) | instskip(NEXT) | instid1(VALU_DEP_4)
	v_cndmask_b32_e64 v99, v76, v74, s0
	v_cndmask_b32_e64 v100, v75, v73, s0
	s_delay_alu instid0(VALU_DEP_4) | instskip(NEXT) | instid1(VALU_DEP_4)
	v_cndmask_b32_e64 v76, v97, v72, s1
	v_cndmask_b32_e64 v75, v98, v71, s1
	s_delay_alu instid0(VALU_DEP_4) | instskip(NEXT) | instid1(VALU_DEP_4)
	v_cndmask_b32_e64 v72, v99, v72, s1
	v_cndmask_b32_e64 v71, v100, v71, s1
	s_delay_alu instid0(VALU_DEP_3) | instskip(NEXT) | instid1(VALU_DEP_2)
	v_cmp_class_f64_e64 s1, v[75:76], 0x1f8
	v_cmp_neq_f64_e64 s0, v[75:76], v[71:72]
	s_or_b32 s0, s0, s1
	s_wait_alu 0xfffe
	s_and_saveexec_b32 s42, s0
	s_cbranch_execz .LBB61_96
; %bb.95:
	v_add_f64_e64 v[73:74], v[75:76], -v[71:72]
	s_mov_b32 s0, 0x652b82fe
	s_mov_b32 s1, 0x3ff71547
	;; [unrolled: 1-line block ×10, first 2 shown]
	s_wait_alu 0xfffe
	s_delay_alu instid0(VALU_DEP_1) | instskip(SKIP_2) | instid1(VALU_DEP_1)
	v_mul_f64_e32 v[75:76], s[0:1], v[73:74]
	s_mov_b32 s0, 0xfca7ab0c
	s_mov_b32 s1, 0x3e928af3
	v_rndne_f64_e32 v[75:76], v[75:76]
	s_delay_alu instid0(VALU_DEP_1) | instskip(SKIP_2) | instid1(VALU_DEP_2)
	v_fma_f64 v[97:98], v[75:76], s[34:35], v[73:74]
	v_cvt_i32_f64_e32 v101, v[75:76]
	s_mov_b32 s35, 0x3fe62e42
	v_fma_f64 v[97:98], v[75:76], s[38:39], v[97:98]
	s_mov_b32 s39, 0x3c7abc9e
	s_wait_alu 0xfffe
	s_delay_alu instid0(VALU_DEP_1)
	v_fma_f64 v[99:100], v[97:98], s[44:45], s[0:1]
	s_mov_b32 s0, 0x623fde64
	s_mov_b32 s1, 0x3ec71dee
	;; [unrolled: 1-line block ×4, first 2 shown]
	s_wait_alu 0xfffe
	s_delay_alu instid0(VALU_DEP_1) | instskip(SKIP_3) | instid1(VALU_DEP_1)
	v_fma_f64 v[99:100], v[97:98], v[99:100], s[0:1]
	s_mov_b32 s0, 0x7c89e6b0
	s_mov_b32 s1, 0x3efa0199
	s_wait_alu 0xfffe
	v_fma_f64 v[99:100], v[97:98], v[99:100], s[0:1]
	s_mov_b32 s0, 0x14761f6e
	s_mov_b32 s1, 0x3f2a01a0
	s_wait_alu 0xfffe
	s_delay_alu instid0(VALU_DEP_1) | instskip(SKIP_3) | instid1(VALU_DEP_1)
	v_fma_f64 v[99:100], v[97:98], v[99:100], s[0:1]
	s_mov_b32 s0, 0x1852b7b0
	s_mov_b32 s1, 0x3f56c16c
	s_wait_alu 0xfffe
	v_fma_f64 v[99:100], v[97:98], v[99:100], s[0:1]
	s_mov_b32 s0, 0x11122322
	s_mov_b32 s1, 0x3f811111
	;; [unrolled: 9-line block ×3, first 2 shown]
	s_wait_alu 0xfffe
	s_delay_alu instid0(VALU_DEP_1) | instskip(SKIP_3) | instid1(VALU_DEP_1)
	v_fma_f64 v[99:100], v[97:98], v[99:100], s[0:1]
	s_mov_b32 s0, 11
	s_mov_b32 s1, 0x3fe00000
	s_wait_alu 0xfffe
	v_fma_f64 v[99:100], v[97:98], v[99:100], s[0:1]
	v_cmp_nlt_f64_e64 s0, 0x40900000, v[73:74]
	v_cmp_ngt_f64_e64 s1, 0xc090cc00, v[73:74]
	s_delay_alu instid0(VALU_DEP_3) | instskip(NEXT) | instid1(VALU_DEP_1)
	v_fma_f64 v[99:100], v[97:98], v[99:100], 1.0
	v_fma_f64 v[75:76], v[97:98], v[99:100], 1.0
	s_delay_alu instid0(VALU_DEP_1) | instskip(SKIP_1) | instid1(VALU_DEP_1)
	v_ldexp_f64 v[75:76], v[75:76], v101
	s_wait_alu 0xf1ff
	v_cndmask_b32_e64 v76, 0x7ff00000, v76, s0
	s_and_b32 s0, s1, s0
	s_wait_alu 0xfffe
	s_delay_alu instid0(VALU_DEP_2) | instskip(SKIP_3) | instid1(VALU_DEP_1)
	v_cndmask_b32_e64 v73, 0, v75, s0
	s_mov_b32 s0, 0x55555555
	v_cndmask_b32_e64 v74, 0, v76, s1
	s_mov_b32 s1, 0x3fe55555
	v_add_f64_e32 v[75:76], 1.0, v[73:74]
	s_delay_alu instid0(VALU_DEP_1) | instskip(SKIP_3) | instid1(VALU_DEP_3)
	v_frexp_mant_f64_e32 v[97:98], v[75:76]
	v_frexp_exp_i32_f64_e32 v101, v[75:76]
	v_add_f64_e32 v[99:100], -1.0, v[75:76]
	s_wait_alu 0xfffe
	v_cmp_gt_f64_e64 s0, s[0:1], v[97:98]
	s_delay_alu instid0(VALU_DEP_2) | instskip(SKIP_2) | instid1(VALU_DEP_3)
	v_add_f64_e64 v[97:98], v[99:100], -v[75:76]
	v_add_f64_e64 v[99:100], v[73:74], -v[99:100]
	s_wait_alu 0xf1ff
	v_subrev_co_ci_u32_e64 v117, null, 0, v101, s0
	s_delay_alu instid0(VALU_DEP_3) | instskip(SKIP_1) | instid1(VALU_DEP_2)
	v_add_f64_e32 v[97:98], 1.0, v[97:98]
	s_mov_b32 s0, 0x55555780
	v_sub_nc_u32_e32 v103, 0, v117
	s_delay_alu instid0(VALU_DEP_1) | instskip(NEXT) | instid1(VALU_DEP_3)
	v_ldexp_f64 v[75:76], v[75:76], v103
	v_add_f64_e32 v[97:98], v[99:100], v[97:98]
	s_delay_alu instid0(VALU_DEP_2) | instskip(SKIP_1) | instid1(VALU_DEP_3)
	v_add_f64_e32 v[101:102], 1.0, v[75:76]
	v_add_f64_e32 v[107:108], -1.0, v[75:76]
	v_ldexp_f64 v[97:98], v[97:98], v103
	s_delay_alu instid0(VALU_DEP_3) | instskip(NEXT) | instid1(VALU_DEP_3)
	v_add_f64_e32 v[99:100], -1.0, v[101:102]
	v_add_f64_e32 v[109:110], 1.0, v[107:108]
	s_delay_alu instid0(VALU_DEP_2) | instskip(NEXT) | instid1(VALU_DEP_2)
	v_add_f64_e64 v[99:100], v[75:76], -v[99:100]
	v_add_f64_e64 v[75:76], v[75:76], -v[109:110]
	s_delay_alu instid0(VALU_DEP_2) | instskip(NEXT) | instid1(VALU_DEP_2)
	v_add_f64_e32 v[99:100], v[97:98], v[99:100]
	v_add_f64_e32 v[75:76], v[97:98], v[75:76]
	s_delay_alu instid0(VALU_DEP_2) | instskip(NEXT) | instid1(VALU_DEP_2)
	v_add_f64_e32 v[103:104], v[101:102], v[99:100]
	v_add_f64_e32 v[109:110], v[107:108], v[75:76]
	s_delay_alu instid0(VALU_DEP_2) | instskip(SKIP_1) | instid1(VALU_DEP_2)
	v_rcp_f64_e32 v[105:106], v[103:104]
	v_add_f64_e64 v[101:102], v[103:104], -v[101:102]
	v_add_f64_e64 v[107:108], v[109:110], -v[107:108]
	s_delay_alu instid0(VALU_DEP_2) | instskip(NEXT) | instid1(TRANS32_DEP_1)
	v_add_f64_e64 v[99:100], v[99:100], -v[101:102]
	v_fma_f64 v[111:112], -v[103:104], v[105:106], 1.0
	s_delay_alu instid0(VALU_DEP_3) | instskip(NEXT) | instid1(VALU_DEP_2)
	v_add_f64_e64 v[75:76], v[75:76], -v[107:108]
	v_fma_f64 v[105:106], v[111:112], v[105:106], v[105:106]
	s_delay_alu instid0(VALU_DEP_1) | instskip(NEXT) | instid1(VALU_DEP_1)
	v_fma_f64 v[97:98], -v[103:104], v[105:106], 1.0
	v_fma_f64 v[97:98], v[97:98], v[105:106], v[105:106]
	s_delay_alu instid0(VALU_DEP_1) | instskip(NEXT) | instid1(VALU_DEP_1)
	v_mul_f64_e32 v[105:106], v[109:110], v[97:98]
	v_mul_f64_e32 v[111:112], v[103:104], v[105:106]
	s_delay_alu instid0(VALU_DEP_1) | instskip(NEXT) | instid1(VALU_DEP_1)
	v_fma_f64 v[101:102], v[105:106], v[103:104], -v[111:112]
	v_fma_f64 v[101:102], v[105:106], v[99:100], v[101:102]
	s_delay_alu instid0(VALU_DEP_1) | instskip(NEXT) | instid1(VALU_DEP_1)
	v_add_f64_e32 v[113:114], v[111:112], v[101:102]
	v_add_f64_e64 v[115:116], v[109:110], -v[113:114]
	v_add_f64_e64 v[107:108], v[113:114], -v[111:112]
	s_delay_alu instid0(VALU_DEP_2) | instskip(NEXT) | instid1(VALU_DEP_2)
	v_add_f64_e64 v[109:110], v[109:110], -v[115:116]
	v_add_f64_e64 v[101:102], v[107:108], -v[101:102]
	s_delay_alu instid0(VALU_DEP_2) | instskip(NEXT) | instid1(VALU_DEP_1)
	v_add_f64_e64 v[109:110], v[109:110], -v[113:114]
	v_add_f64_e32 v[75:76], v[75:76], v[109:110]
	s_delay_alu instid0(VALU_DEP_1) | instskip(NEXT) | instid1(VALU_DEP_1)
	v_add_f64_e32 v[75:76], v[101:102], v[75:76]
	v_add_f64_e32 v[101:102], v[115:116], v[75:76]
	s_delay_alu instid0(VALU_DEP_1) | instskip(SKIP_1) | instid1(VALU_DEP_2)
	v_mul_f64_e32 v[107:108], v[97:98], v[101:102]
	v_add_f64_e64 v[113:114], v[115:116], -v[101:102]
	v_mul_f64_e32 v[109:110], v[103:104], v[107:108]
	s_delay_alu instid0(VALU_DEP_2) | instskip(NEXT) | instid1(VALU_DEP_2)
	v_add_f64_e32 v[75:76], v[75:76], v[113:114]
	v_fma_f64 v[103:104], v[107:108], v[103:104], -v[109:110]
	s_delay_alu instid0(VALU_DEP_1) | instskip(NEXT) | instid1(VALU_DEP_1)
	v_fma_f64 v[99:100], v[107:108], v[99:100], v[103:104]
	v_add_f64_e32 v[103:104], v[109:110], v[99:100]
	s_delay_alu instid0(VALU_DEP_1) | instskip(SKIP_1) | instid1(VALU_DEP_2)
	v_add_f64_e64 v[111:112], v[101:102], -v[103:104]
	v_add_f64_e64 v[109:110], v[103:104], -v[109:110]
	;; [unrolled: 1-line block ×3, first 2 shown]
	s_delay_alu instid0(VALU_DEP_2) | instskip(NEXT) | instid1(VALU_DEP_2)
	v_add_f64_e64 v[99:100], v[109:110], -v[99:100]
	v_add_f64_e64 v[101:102], v[101:102], -v[103:104]
	s_delay_alu instid0(VALU_DEP_1) | instskip(SKIP_1) | instid1(VALU_DEP_2)
	v_add_f64_e32 v[75:76], v[75:76], v[101:102]
	v_add_f64_e32 v[101:102], v[105:106], v[107:108]
	;; [unrolled: 1-line block ×3, first 2 shown]
	s_delay_alu instid0(VALU_DEP_2) | instskip(NEXT) | instid1(VALU_DEP_2)
	v_add_f64_e64 v[99:100], v[101:102], -v[105:106]
	v_add_f64_e32 v[75:76], v[111:112], v[75:76]
	s_delay_alu instid0(VALU_DEP_2) | instskip(NEXT) | instid1(VALU_DEP_2)
	v_add_f64_e64 v[99:100], v[107:108], -v[99:100]
	v_mul_f64_e32 v[75:76], v[97:98], v[75:76]
	s_delay_alu instid0(VALU_DEP_1) | instskip(NEXT) | instid1(VALU_DEP_1)
	v_add_f64_e32 v[75:76], v[99:100], v[75:76]
	v_add_f64_e32 v[97:98], v[101:102], v[75:76]
	s_delay_alu instid0(VALU_DEP_1) | instskip(NEXT) | instid1(VALU_DEP_1)
	v_mul_f64_e32 v[99:100], v[97:98], v[97:98]
	v_fma_f64 v[103:104], v[99:100], s[46:47], s[44:45]
	s_mov_b32 s44, 0xd7f4df2e
	s_mov_b32 s45, 0x3fc7474d
	v_mul_f64_e32 v[105:106], v[97:98], v[99:100]
	s_wait_alu 0xfffe
	s_delay_alu instid0(VALU_DEP_2) | instskip(SKIP_3) | instid1(VALU_DEP_1)
	v_fma_f64 v[103:104], v[99:100], v[103:104], s[44:45]
	s_mov_b32 s44, 0x16291751
	s_mov_b32 s45, 0x3fcc71c0
	s_wait_alu 0xfffe
	v_fma_f64 v[103:104], v[99:100], v[103:104], s[44:45]
	s_mov_b32 s44, 0x9b27acf1
	s_mov_b32 s45, 0x3fd24924
	s_wait_alu 0xfffe
	s_delay_alu instid0(VALU_DEP_1) | instskip(SKIP_3) | instid1(VALU_DEP_1)
	v_fma_f64 v[103:104], v[99:100], v[103:104], s[44:45]
	s_mov_b32 s44, 0x998ef7b6
	s_mov_b32 s45, 0x3fd99999
	s_wait_alu 0xfffe
	v_fma_f64 v[103:104], v[99:100], v[103:104], s[44:45]
	s_delay_alu instid0(VALU_DEP_1)
	v_fma_f64 v[99:100], v[99:100], v[103:104], s[0:1]
	v_ldexp_f64 v[103:104], v[97:98], 1
	v_add_f64_e64 v[97:98], v[97:98], -v[101:102]
	v_cmp_nge_f64_e64 s0, -1.0, v[73:74]
	v_cmp_neq_f64_e64 s1, 0x7ff00000, v[73:74]
	v_mul_f64_e32 v[99:100], v[105:106], v[99:100]
	v_cvt_f64_i32_e32 v[105:106], v117
	v_add_f64_e64 v[75:76], v[75:76], -v[97:98]
	s_and_b32 s0, s0, s1
	s_delay_alu instid0(VALU_DEP_3) | instskip(NEXT) | instid1(VALU_DEP_3)
	v_add_f64_e32 v[101:102], v[103:104], v[99:100]
	v_mul_f64_e32 v[107:108], s[34:35], v[105:106]
	s_delay_alu instid0(VALU_DEP_3) | instskip(NEXT) | instid1(VALU_DEP_3)
	v_ldexp_f64 v[75:76], v[75:76], 1
	v_add_f64_e64 v[97:98], v[101:102], -v[103:104]
	s_delay_alu instid0(VALU_DEP_3) | instskip(SKIP_1) | instid1(VALU_DEP_3)
	v_fma_f64 v[103:104], v[105:106], s[34:35], -v[107:108]
	v_cmp_ngt_f64_e64 s34, -1.0, v[73:74]
	v_add_f64_e64 v[97:98], v[99:100], -v[97:98]
	s_delay_alu instid0(VALU_DEP_3) | instskip(NEXT) | instid1(VALU_DEP_2)
	v_fma_f64 v[99:100], v[105:106], s[38:39], v[103:104]
	v_add_f64_e32 v[75:76], v[75:76], v[97:98]
	s_delay_alu instid0(VALU_DEP_2) | instskip(NEXT) | instid1(VALU_DEP_2)
	v_add_f64_e32 v[97:98], v[107:108], v[99:100]
	v_add_f64_e32 v[103:104], v[101:102], v[75:76]
	s_delay_alu instid0(VALU_DEP_2) | instskip(NEXT) | instid1(VALU_DEP_2)
	v_add_f64_e64 v[107:108], v[97:98], -v[107:108]
	v_add_f64_e32 v[105:106], v[97:98], v[103:104]
	v_add_f64_e64 v[101:102], v[103:104], -v[101:102]
	s_delay_alu instid0(VALU_DEP_3) | instskip(NEXT) | instid1(VALU_DEP_3)
	v_add_f64_e64 v[99:100], v[99:100], -v[107:108]
	v_add_f64_e64 v[109:110], v[105:106], -v[97:98]
	s_delay_alu instid0(VALU_DEP_3) | instskip(NEXT) | instid1(VALU_DEP_2)
	v_add_f64_e64 v[75:76], v[75:76], -v[101:102]
	v_add_f64_e64 v[111:112], v[105:106], -v[109:110]
	;; [unrolled: 1-line block ×3, first 2 shown]
	s_delay_alu instid0(VALU_DEP_3) | instskip(NEXT) | instid1(VALU_DEP_3)
	v_add_f64_e32 v[103:104], v[99:100], v[75:76]
	v_add_f64_e64 v[97:98], v[97:98], -v[111:112]
	s_delay_alu instid0(VALU_DEP_1) | instskip(NEXT) | instid1(VALU_DEP_3)
	v_add_f64_e32 v[97:98], v[101:102], v[97:98]
	v_add_f64_e64 v[101:102], v[103:104], -v[99:100]
	s_delay_alu instid0(VALU_DEP_2) | instskip(NEXT) | instid1(VALU_DEP_2)
	v_add_f64_e32 v[97:98], v[103:104], v[97:98]
	v_add_f64_e64 v[103:104], v[103:104], -v[101:102]
	v_add_f64_e64 v[75:76], v[75:76], -v[101:102]
	s_delay_alu instid0(VALU_DEP_3) | instskip(NEXT) | instid1(VALU_DEP_3)
	v_add_f64_e32 v[107:108], v[105:106], v[97:98]
	v_add_f64_e64 v[99:100], v[99:100], -v[103:104]
	s_delay_alu instid0(VALU_DEP_2) | instskip(NEXT) | instid1(VALU_DEP_2)
	v_add_f64_e64 v[101:102], v[107:108], -v[105:106]
	v_add_f64_e32 v[75:76], v[75:76], v[99:100]
	s_delay_alu instid0(VALU_DEP_2) | instskip(NEXT) | instid1(VALU_DEP_1)
	v_add_f64_e64 v[97:98], v[97:98], -v[101:102]
	v_add_f64_e32 v[75:76], v[75:76], v[97:98]
	s_delay_alu instid0(VALU_DEP_1) | instskip(SKIP_1) | instid1(VALU_DEP_1)
	v_add_f64_e32 v[75:76], v[107:108], v[75:76]
	s_wait_alu 0xfffe
	v_cndmask_b32_e64 v75, 0, v75, s0
	v_cmp_neq_f64_e64 s0, -1.0, v[73:74]
	s_delay_alu instid0(VALU_DEP_3) | instskip(SKIP_1) | instid1(VALU_DEP_1)
	v_cndmask_b32_e64 v76, 0x7ff00000, v76, s1
	s_wait_alu 0xf1ff
	v_cndmask_b32_e64 v76, 0x7ff80000, v76, s34
	s_delay_alu instid0(VALU_DEP_1) | instskip(NEXT) | instid1(VALU_DEP_1)
	v_cndmask_b32_e64 v76, 0xfff00000, v76, s0
	v_add_f64_e32 v[73:74], v[71:72], v[75:76]
.LBB61_96:
	s_wait_alu 0xfffe
	s_or_b32 exec_lo, exec_lo, s42
	s_delay_alu instid0(VALU_DEP_1)
	v_dual_mov_b32 v71, v73 :: v_dual_mov_b32 v72, v74
.LBB61_97:
	s_wait_alu 0xfffe
	s_or_b32 exec_lo, exec_lo, s41
	ds_store_b64 v77, v[71:72]
.LBB61_98:
	s_wait_alu 0xfffe
	s_or_b32 exec_lo, exec_lo, s40
	s_delay_alu instid0(SALU_CYCLE_1)
	s_mov_b32 s40, exec_lo
	s_wait_loadcnt_dscnt 0x0
	s_barrier_signal -1
	s_barrier_wait -1
	global_inv scope:SCOPE_SE
                                        ; implicit-def: $vgpr71_vgpr72
	v_cmpx_lt_u32_e32 31, v0
	s_cbranch_execz .LBB61_102
; %bb.99:
	v_add_nc_u32_e32 v71, -8, v95
	v_max_num_f64_e32 v[73:74], v[69:70], v[69:70]
	v_cmp_u_f64_e64 s1, v[69:70], v[69:70]
	ds_load_b64 v[71:72], v71
	s_wait_dscnt 0x0
	v_max_num_f64_e32 v[75:76], v[71:72], v[71:72]
	v_cmp_u_f64_e64 s0, v[71:72], v[71:72]
	s_delay_alu instid0(VALU_DEP_2) | instskip(SKIP_2) | instid1(VALU_DEP_2)
	v_min_num_f64_e32 v[97:98], v[75:76], v[73:74]
	v_max_num_f64_e32 v[73:74], v[75:76], v[73:74]
	s_wait_alu 0xf1ff
	v_cndmask_b32_e64 v75, v97, v71, s0
	s_delay_alu instid0(VALU_DEP_3) | instskip(NEXT) | instid1(VALU_DEP_3)
	v_cndmask_b32_e64 v76, v98, v72, s0
	v_cndmask_b32_e64 v74, v74, v72, s0
	s_delay_alu instid0(VALU_DEP_4) | instskip(NEXT) | instid1(VALU_DEP_4)
	v_cndmask_b32_e64 v73, v73, v71, s0
	v_cndmask_b32_e64 v75, v75, v69, s1
	s_delay_alu instid0(VALU_DEP_4) | instskip(NEXT) | instid1(VALU_DEP_4)
	v_cndmask_b32_e64 v76, v76, v70, s1
	v_cndmask_b32_e64 v74, v74, v70, s1
	s_delay_alu instid0(VALU_DEP_4) | instskip(SKIP_1) | instid1(VALU_DEP_4)
	v_cndmask_b32_e64 v73, v73, v69, s1
	v_dual_mov_b32 v69, v71 :: v_dual_mov_b32 v70, v72
	v_cmp_class_f64_e64 s1, v[75:76], 0x1f8
	s_delay_alu instid0(VALU_DEP_3)
	v_cmp_neq_f64_e64 s0, v[75:76], v[73:74]
	s_or_b32 s0, s0, s1
	s_wait_alu 0xfffe
	s_and_saveexec_b32 s41, s0
	s_cbranch_execz .LBB61_101
; %bb.100:
	v_add_f64_e64 v[69:70], v[75:76], -v[73:74]
	s_mov_b32 s0, 0x652b82fe
	s_mov_b32 s1, 0x3ff71547
	;; [unrolled: 1-line block ×10, first 2 shown]
	s_wait_alu 0xfffe
	s_delay_alu instid0(VALU_DEP_1) | instskip(SKIP_2) | instid1(VALU_DEP_1)
	v_mul_f64_e32 v[75:76], s[0:1], v[69:70]
	s_mov_b32 s0, 0xfca7ab0c
	s_mov_b32 s1, 0x3e928af3
	v_rndne_f64_e32 v[75:76], v[75:76]
	s_delay_alu instid0(VALU_DEP_1) | instskip(SKIP_2) | instid1(VALU_DEP_2)
	v_fma_f64 v[97:98], v[75:76], s[34:35], v[69:70]
	v_cvt_i32_f64_e32 v95, v[75:76]
	s_mov_b32 s35, 0x3fe62e42
	v_fma_f64 v[97:98], v[75:76], s[38:39], v[97:98]
	s_mov_b32 s39, 0x3c7abc9e
	s_wait_alu 0xfffe
	s_delay_alu instid0(VALU_DEP_1)
	v_fma_f64 v[99:100], v[97:98], s[42:43], s[0:1]
	s_mov_b32 s0, 0x623fde64
	s_mov_b32 s1, 0x3ec71dee
	;; [unrolled: 1-line block ×4, first 2 shown]
	s_wait_alu 0xfffe
	s_delay_alu instid0(VALU_DEP_1) | instskip(SKIP_3) | instid1(VALU_DEP_1)
	v_fma_f64 v[99:100], v[97:98], v[99:100], s[0:1]
	s_mov_b32 s0, 0x7c89e6b0
	s_mov_b32 s1, 0x3efa0199
	s_wait_alu 0xfffe
	v_fma_f64 v[99:100], v[97:98], v[99:100], s[0:1]
	s_mov_b32 s0, 0x14761f6e
	s_mov_b32 s1, 0x3f2a01a0
	s_wait_alu 0xfffe
	s_delay_alu instid0(VALU_DEP_1) | instskip(SKIP_3) | instid1(VALU_DEP_1)
	v_fma_f64 v[99:100], v[97:98], v[99:100], s[0:1]
	s_mov_b32 s0, 0x1852b7b0
	s_mov_b32 s1, 0x3f56c16c
	s_wait_alu 0xfffe
	v_fma_f64 v[99:100], v[97:98], v[99:100], s[0:1]
	s_mov_b32 s0, 0x11122322
	s_mov_b32 s1, 0x3f811111
	s_wait_alu 0xfffe
	s_delay_alu instid0(VALU_DEP_1) | instskip(SKIP_3) | instid1(VALU_DEP_1)
	v_fma_f64 v[99:100], v[97:98], v[99:100], s[0:1]
	s_mov_b32 s0, 0x555502a1
	s_mov_b32 s1, 0x3fa55555
	s_wait_alu 0xfffe
	v_fma_f64 v[99:100], v[97:98], v[99:100], s[0:1]
	s_mov_b32 s0, 0x55555511
	s_mov_b32 s1, 0x3fc55555
	s_wait_alu 0xfffe
	s_delay_alu instid0(VALU_DEP_1) | instskip(SKIP_3) | instid1(VALU_DEP_1)
	v_fma_f64 v[99:100], v[97:98], v[99:100], s[0:1]
	s_mov_b32 s0, 11
	s_mov_b32 s1, 0x3fe00000
	s_wait_alu 0xfffe
	v_fma_f64 v[99:100], v[97:98], v[99:100], s[0:1]
	v_cmp_nlt_f64_e64 s0, 0x40900000, v[69:70]
	v_cmp_ngt_f64_e64 s1, 0xc090cc00, v[69:70]
	s_delay_alu instid0(VALU_DEP_3) | instskip(NEXT) | instid1(VALU_DEP_1)
	v_fma_f64 v[99:100], v[97:98], v[99:100], 1.0
	v_fma_f64 v[75:76], v[97:98], v[99:100], 1.0
	s_delay_alu instid0(VALU_DEP_1) | instskip(SKIP_1) | instid1(VALU_DEP_1)
	v_ldexp_f64 v[75:76], v[75:76], v95
	s_wait_alu 0xf1ff
	v_cndmask_b32_e64 v76, 0x7ff00000, v76, s0
	s_and_b32 s0, s1, s0
	s_wait_alu 0xfffe
	s_delay_alu instid0(VALU_DEP_2) | instskip(SKIP_3) | instid1(VALU_DEP_1)
	v_cndmask_b32_e64 v69, 0, v75, s0
	s_mov_b32 s0, 0x55555555
	v_cndmask_b32_e64 v70, 0, v76, s1
	s_mov_b32 s1, 0x3fe55555
	v_add_f64_e32 v[75:76], 1.0, v[69:70]
	s_delay_alu instid0(VALU_DEP_1) | instskip(SKIP_3) | instid1(VALU_DEP_3)
	v_frexp_mant_f64_e32 v[97:98], v[75:76]
	v_frexp_exp_i32_f64_e32 v95, v[75:76]
	v_add_f64_e32 v[99:100], -1.0, v[75:76]
	s_wait_alu 0xfffe
	v_cmp_gt_f64_e64 s0, s[0:1], v[97:98]
	s_delay_alu instid0(VALU_DEP_2) | instskip(SKIP_2) | instid1(VALU_DEP_3)
	v_add_f64_e64 v[97:98], v[99:100], -v[75:76]
	v_add_f64_e64 v[99:100], v[69:70], -v[99:100]
	s_wait_alu 0xf1ff
	v_subrev_co_ci_u32_e64 v95, null, 0, v95, s0
	s_delay_alu instid0(VALU_DEP_3) | instskip(SKIP_1) | instid1(VALU_DEP_2)
	v_add_f64_e32 v[97:98], 1.0, v[97:98]
	s_mov_b32 s0, 0x55555780
	v_sub_nc_u32_e32 v103, 0, v95
	s_delay_alu instid0(VALU_DEP_1) | instskip(NEXT) | instid1(VALU_DEP_3)
	v_ldexp_f64 v[75:76], v[75:76], v103
	v_add_f64_e32 v[97:98], v[99:100], v[97:98]
	s_delay_alu instid0(VALU_DEP_2) | instskip(SKIP_1) | instid1(VALU_DEP_3)
	v_add_f64_e32 v[101:102], 1.0, v[75:76]
	v_add_f64_e32 v[107:108], -1.0, v[75:76]
	v_ldexp_f64 v[97:98], v[97:98], v103
	s_delay_alu instid0(VALU_DEP_3) | instskip(NEXT) | instid1(VALU_DEP_3)
	v_add_f64_e32 v[99:100], -1.0, v[101:102]
	v_add_f64_e32 v[109:110], 1.0, v[107:108]
	s_delay_alu instid0(VALU_DEP_2) | instskip(NEXT) | instid1(VALU_DEP_2)
	v_add_f64_e64 v[99:100], v[75:76], -v[99:100]
	v_add_f64_e64 v[75:76], v[75:76], -v[109:110]
	s_delay_alu instid0(VALU_DEP_2) | instskip(NEXT) | instid1(VALU_DEP_2)
	v_add_f64_e32 v[99:100], v[97:98], v[99:100]
	v_add_f64_e32 v[75:76], v[97:98], v[75:76]
	s_delay_alu instid0(VALU_DEP_2) | instskip(NEXT) | instid1(VALU_DEP_2)
	v_add_f64_e32 v[103:104], v[101:102], v[99:100]
	v_add_f64_e32 v[109:110], v[107:108], v[75:76]
	s_delay_alu instid0(VALU_DEP_2) | instskip(SKIP_1) | instid1(VALU_DEP_2)
	v_rcp_f64_e32 v[105:106], v[103:104]
	v_add_f64_e64 v[101:102], v[103:104], -v[101:102]
	v_add_f64_e64 v[107:108], v[109:110], -v[107:108]
	s_delay_alu instid0(VALU_DEP_2) | instskip(NEXT) | instid1(TRANS32_DEP_1)
	v_add_f64_e64 v[99:100], v[99:100], -v[101:102]
	v_fma_f64 v[111:112], -v[103:104], v[105:106], 1.0
	s_delay_alu instid0(VALU_DEP_3) | instskip(NEXT) | instid1(VALU_DEP_2)
	v_add_f64_e64 v[75:76], v[75:76], -v[107:108]
	v_fma_f64 v[105:106], v[111:112], v[105:106], v[105:106]
	s_delay_alu instid0(VALU_DEP_1) | instskip(NEXT) | instid1(VALU_DEP_1)
	v_fma_f64 v[97:98], -v[103:104], v[105:106], 1.0
	v_fma_f64 v[97:98], v[97:98], v[105:106], v[105:106]
	s_delay_alu instid0(VALU_DEP_1) | instskip(NEXT) | instid1(VALU_DEP_1)
	v_mul_f64_e32 v[105:106], v[109:110], v[97:98]
	v_mul_f64_e32 v[111:112], v[103:104], v[105:106]
	s_delay_alu instid0(VALU_DEP_1) | instskip(NEXT) | instid1(VALU_DEP_1)
	v_fma_f64 v[101:102], v[105:106], v[103:104], -v[111:112]
	v_fma_f64 v[101:102], v[105:106], v[99:100], v[101:102]
	s_delay_alu instid0(VALU_DEP_1) | instskip(NEXT) | instid1(VALU_DEP_1)
	v_add_f64_e32 v[113:114], v[111:112], v[101:102]
	v_add_f64_e64 v[115:116], v[109:110], -v[113:114]
	v_add_f64_e64 v[107:108], v[113:114], -v[111:112]
	s_delay_alu instid0(VALU_DEP_2) | instskip(NEXT) | instid1(VALU_DEP_2)
	v_add_f64_e64 v[109:110], v[109:110], -v[115:116]
	v_add_f64_e64 v[101:102], v[107:108], -v[101:102]
	s_delay_alu instid0(VALU_DEP_2) | instskip(NEXT) | instid1(VALU_DEP_1)
	v_add_f64_e64 v[109:110], v[109:110], -v[113:114]
	v_add_f64_e32 v[75:76], v[75:76], v[109:110]
	s_delay_alu instid0(VALU_DEP_1) | instskip(NEXT) | instid1(VALU_DEP_1)
	v_add_f64_e32 v[75:76], v[101:102], v[75:76]
	v_add_f64_e32 v[101:102], v[115:116], v[75:76]
	s_delay_alu instid0(VALU_DEP_1) | instskip(SKIP_1) | instid1(VALU_DEP_2)
	v_mul_f64_e32 v[107:108], v[97:98], v[101:102]
	v_add_f64_e64 v[113:114], v[115:116], -v[101:102]
	v_mul_f64_e32 v[109:110], v[103:104], v[107:108]
	s_delay_alu instid0(VALU_DEP_2) | instskip(NEXT) | instid1(VALU_DEP_2)
	v_add_f64_e32 v[75:76], v[75:76], v[113:114]
	v_fma_f64 v[103:104], v[107:108], v[103:104], -v[109:110]
	s_delay_alu instid0(VALU_DEP_1) | instskip(NEXT) | instid1(VALU_DEP_1)
	v_fma_f64 v[99:100], v[107:108], v[99:100], v[103:104]
	v_add_f64_e32 v[103:104], v[109:110], v[99:100]
	s_delay_alu instid0(VALU_DEP_1) | instskip(SKIP_1) | instid1(VALU_DEP_2)
	v_add_f64_e64 v[111:112], v[101:102], -v[103:104]
	v_add_f64_e64 v[109:110], v[103:104], -v[109:110]
	;; [unrolled: 1-line block ×3, first 2 shown]
	s_delay_alu instid0(VALU_DEP_2) | instskip(NEXT) | instid1(VALU_DEP_2)
	v_add_f64_e64 v[99:100], v[109:110], -v[99:100]
	v_add_f64_e64 v[101:102], v[101:102], -v[103:104]
	s_delay_alu instid0(VALU_DEP_1) | instskip(SKIP_1) | instid1(VALU_DEP_2)
	v_add_f64_e32 v[75:76], v[75:76], v[101:102]
	v_add_f64_e32 v[101:102], v[105:106], v[107:108]
	;; [unrolled: 1-line block ×3, first 2 shown]
	s_delay_alu instid0(VALU_DEP_2) | instskip(NEXT) | instid1(VALU_DEP_2)
	v_add_f64_e64 v[99:100], v[101:102], -v[105:106]
	v_add_f64_e32 v[75:76], v[111:112], v[75:76]
	s_delay_alu instid0(VALU_DEP_2) | instskip(NEXT) | instid1(VALU_DEP_2)
	v_add_f64_e64 v[99:100], v[107:108], -v[99:100]
	v_mul_f64_e32 v[75:76], v[97:98], v[75:76]
	s_delay_alu instid0(VALU_DEP_1) | instskip(NEXT) | instid1(VALU_DEP_1)
	v_add_f64_e32 v[75:76], v[99:100], v[75:76]
	v_add_f64_e32 v[97:98], v[101:102], v[75:76]
	s_delay_alu instid0(VALU_DEP_1) | instskip(NEXT) | instid1(VALU_DEP_1)
	v_mul_f64_e32 v[99:100], v[97:98], v[97:98]
	v_fma_f64 v[103:104], v[99:100], s[44:45], s[42:43]
	s_mov_b32 s42, 0xd7f4df2e
	s_mov_b32 s43, 0x3fc7474d
	v_mul_f64_e32 v[105:106], v[97:98], v[99:100]
	s_wait_alu 0xfffe
	s_delay_alu instid0(VALU_DEP_2) | instskip(SKIP_3) | instid1(VALU_DEP_1)
	v_fma_f64 v[103:104], v[99:100], v[103:104], s[42:43]
	s_mov_b32 s42, 0x16291751
	s_mov_b32 s43, 0x3fcc71c0
	s_wait_alu 0xfffe
	v_fma_f64 v[103:104], v[99:100], v[103:104], s[42:43]
	s_mov_b32 s42, 0x9b27acf1
	s_mov_b32 s43, 0x3fd24924
	s_wait_alu 0xfffe
	s_delay_alu instid0(VALU_DEP_1) | instskip(SKIP_3) | instid1(VALU_DEP_1)
	v_fma_f64 v[103:104], v[99:100], v[103:104], s[42:43]
	s_mov_b32 s42, 0x998ef7b6
	s_mov_b32 s43, 0x3fd99999
	s_wait_alu 0xfffe
	v_fma_f64 v[103:104], v[99:100], v[103:104], s[42:43]
	s_delay_alu instid0(VALU_DEP_1)
	v_fma_f64 v[99:100], v[99:100], v[103:104], s[0:1]
	v_ldexp_f64 v[103:104], v[97:98], 1
	v_add_f64_e64 v[97:98], v[97:98], -v[101:102]
	v_cmp_nge_f64_e64 s0, -1.0, v[69:70]
	v_cmp_neq_f64_e64 s1, 0x7ff00000, v[69:70]
	v_mul_f64_e32 v[99:100], v[105:106], v[99:100]
	v_cvt_f64_i32_e32 v[105:106], v95
	v_add_f64_e64 v[75:76], v[75:76], -v[97:98]
	s_and_b32 s0, s0, s1
	s_delay_alu instid0(VALU_DEP_3) | instskip(NEXT) | instid1(VALU_DEP_3)
	v_add_f64_e32 v[101:102], v[103:104], v[99:100]
	v_mul_f64_e32 v[107:108], s[34:35], v[105:106]
	s_delay_alu instid0(VALU_DEP_3) | instskip(NEXT) | instid1(VALU_DEP_3)
	v_ldexp_f64 v[75:76], v[75:76], 1
	v_add_f64_e64 v[97:98], v[101:102], -v[103:104]
	s_delay_alu instid0(VALU_DEP_3) | instskip(SKIP_1) | instid1(VALU_DEP_3)
	v_fma_f64 v[103:104], v[105:106], s[34:35], -v[107:108]
	v_cmp_ngt_f64_e64 s34, -1.0, v[69:70]
	v_add_f64_e64 v[97:98], v[99:100], -v[97:98]
	s_delay_alu instid0(VALU_DEP_3) | instskip(NEXT) | instid1(VALU_DEP_2)
	v_fma_f64 v[99:100], v[105:106], s[38:39], v[103:104]
	v_add_f64_e32 v[75:76], v[75:76], v[97:98]
	s_delay_alu instid0(VALU_DEP_2) | instskip(NEXT) | instid1(VALU_DEP_2)
	v_add_f64_e32 v[97:98], v[107:108], v[99:100]
	v_add_f64_e32 v[103:104], v[101:102], v[75:76]
	s_delay_alu instid0(VALU_DEP_2) | instskip(NEXT) | instid1(VALU_DEP_2)
	v_add_f64_e64 v[107:108], v[97:98], -v[107:108]
	v_add_f64_e32 v[105:106], v[97:98], v[103:104]
	v_add_f64_e64 v[101:102], v[103:104], -v[101:102]
	s_delay_alu instid0(VALU_DEP_3) | instskip(NEXT) | instid1(VALU_DEP_3)
	v_add_f64_e64 v[99:100], v[99:100], -v[107:108]
	v_add_f64_e64 v[109:110], v[105:106], -v[97:98]
	s_delay_alu instid0(VALU_DEP_3) | instskip(NEXT) | instid1(VALU_DEP_2)
	v_add_f64_e64 v[75:76], v[75:76], -v[101:102]
	v_add_f64_e64 v[111:112], v[105:106], -v[109:110]
	;; [unrolled: 1-line block ×3, first 2 shown]
	s_delay_alu instid0(VALU_DEP_3) | instskip(NEXT) | instid1(VALU_DEP_3)
	v_add_f64_e32 v[103:104], v[99:100], v[75:76]
	v_add_f64_e64 v[97:98], v[97:98], -v[111:112]
	s_delay_alu instid0(VALU_DEP_1) | instskip(NEXT) | instid1(VALU_DEP_3)
	v_add_f64_e32 v[97:98], v[101:102], v[97:98]
	v_add_f64_e64 v[101:102], v[103:104], -v[99:100]
	s_delay_alu instid0(VALU_DEP_2) | instskip(NEXT) | instid1(VALU_DEP_2)
	v_add_f64_e32 v[97:98], v[103:104], v[97:98]
	v_add_f64_e64 v[103:104], v[103:104], -v[101:102]
	v_add_f64_e64 v[75:76], v[75:76], -v[101:102]
	s_delay_alu instid0(VALU_DEP_3) | instskip(NEXT) | instid1(VALU_DEP_3)
	v_add_f64_e32 v[107:108], v[105:106], v[97:98]
	v_add_f64_e64 v[99:100], v[99:100], -v[103:104]
	s_delay_alu instid0(VALU_DEP_2) | instskip(NEXT) | instid1(VALU_DEP_2)
	v_add_f64_e64 v[101:102], v[107:108], -v[105:106]
	v_add_f64_e32 v[75:76], v[75:76], v[99:100]
	s_delay_alu instid0(VALU_DEP_2) | instskip(NEXT) | instid1(VALU_DEP_1)
	v_add_f64_e64 v[97:98], v[97:98], -v[101:102]
	v_add_f64_e32 v[75:76], v[75:76], v[97:98]
	s_delay_alu instid0(VALU_DEP_1) | instskip(SKIP_1) | instid1(VALU_DEP_1)
	v_add_f64_e32 v[75:76], v[107:108], v[75:76]
	s_wait_alu 0xfffe
	v_cndmask_b32_e64 v75, 0, v75, s0
	v_cmp_neq_f64_e64 s0, -1.0, v[69:70]
	s_delay_alu instid0(VALU_DEP_3) | instskip(SKIP_1) | instid1(VALU_DEP_1)
	v_cndmask_b32_e64 v76, 0x7ff00000, v76, s1
	s_wait_alu 0xf1ff
	v_cndmask_b32_e64 v76, 0x7ff80000, v76, s34
	s_delay_alu instid0(VALU_DEP_1) | instskip(NEXT) | instid1(VALU_DEP_1)
	v_cndmask_b32_e64 v76, 0xfff00000, v76, s0
	v_add_f64_e32 v[69:70], v[73:74], v[75:76]
.LBB61_101:
	s_wait_alu 0xfffe
	s_or_b32 exec_lo, exec_lo, s41
.LBB61_102:
	s_wait_alu 0xfffe
	s_or_b32 exec_lo, exec_lo, s40
	v_add_nc_u32_e32 v73, -1, v96
	s_mov_b32 s40, exec_lo
	s_delay_alu instid0(VALU_DEP_1) | instskip(SKIP_1) | instid1(VALU_DEP_1)
	v_cmp_gt_i32_e64 s0, 0, v73
	s_wait_alu 0xf1ff
	v_cndmask_b32_e64 v73, v73, v96, s0
	s_delay_alu instid0(VALU_DEP_1)
	v_lshlrev_b32_e32 v73, 2, v73
	ds_bpermute_b32 v69, v73, v69
	ds_bpermute_b32 v70, v73, v70
	v_cmpx_ne_u32_e32 0, v0
	s_cbranch_execz .LBB61_106
; %bb.103:
	v_cmp_eq_u32_e64 s0, 0, v96
	s_wait_dscnt 0x0
	s_wait_alu 0xf1ff
	s_delay_alu instid0(VALU_DEP_1) | instskip(SKIP_1) | instid1(VALU_DEP_1)
	v_cndmask_b32_e64 v70, v70, v72, s0
	v_cndmask_b32_e64 v69, v69, v71, s0
	v_max_num_f64_e32 v[65:66], v[69:70], v[69:70]
	v_cmp_u_f64_e64 s0, v[69:70], v[69:70]
	s_delay_alu instid0(VALU_DEP_2) | instskip(SKIP_2) | instid1(VALU_DEP_2)
	v_min_num_f64_e32 v[67:68], v[65:66], v[63:64]
	v_max_num_f64_e32 v[63:64], v[65:66], v[63:64]
	s_wait_alu 0xf1ff
	v_cndmask_b32_e64 v0, v68, v70, s0
	s_delay_alu instid0(VALU_DEP_3) | instskip(NEXT) | instid1(VALU_DEP_3)
	v_cndmask_b32_e64 v65, v67, v69, s0
	v_cndmask_b32_e64 v66, v64, v70, s0
	s_delay_alu instid0(VALU_DEP_4) | instskip(NEXT) | instid1(VALU_DEP_4)
	v_cndmask_b32_e64 v67, v63, v69, s0
	v_cndmask_b32_e64 v64, v0, v2, s33
	s_delay_alu instid0(VALU_DEP_4) | instskip(NEXT) | instid1(VALU_DEP_4)
	v_cndmask_b32_e64 v63, v65, v1, s33
	v_cndmask_b32_e64 v2, v66, v2, s33
	s_delay_alu instid0(VALU_DEP_4) | instskip(NEXT) | instid1(VALU_DEP_3)
	v_cndmask_b32_e64 v1, v67, v1, s33
	v_cmp_class_f64_e64 s1, v[63:64], 0x1f8
	s_delay_alu instid0(VALU_DEP_2)
	v_cmp_neq_f64_e64 s0, v[63:64], v[1:2]
	s_or_b32 s0, s0, s1
	s_wait_alu 0xfffe
	s_and_saveexec_b32 s41, s0
	s_cbranch_execz .LBB61_105
; %bb.104:
	v_add_f64_e64 v[63:64], v[63:64], -v[1:2]
	s_mov_b32 s0, 0x652b82fe
	s_mov_b32 s1, 0x3ff71547
	;; [unrolled: 1-line block ×10, first 2 shown]
	s_wait_alu 0xfffe
	s_delay_alu instid0(VALU_DEP_1) | instskip(SKIP_2) | instid1(VALU_DEP_1)
	v_mul_f64_e32 v[65:66], s[0:1], v[63:64]
	s_mov_b32 s0, 0xfca7ab0c
	s_mov_b32 s1, 0x3e928af3
	v_rndne_f64_e32 v[65:66], v[65:66]
	s_delay_alu instid0(VALU_DEP_1) | instskip(SKIP_2) | instid1(VALU_DEP_2)
	v_fma_f64 v[67:68], v[65:66], s[34:35], v[63:64]
	v_cvt_i32_f64_e32 v0, v[65:66]
	s_mov_b32 s35, 0x3fe62e42
	v_fma_f64 v[67:68], v[65:66], s[38:39], v[67:68]
	s_mov_b32 s39, 0x3c7abc9e
	s_wait_alu 0xfffe
	s_delay_alu instid0(VALU_DEP_1)
	v_fma_f64 v[69:70], v[67:68], s[42:43], s[0:1]
	s_mov_b32 s0, 0x623fde64
	s_mov_b32 s1, 0x3ec71dee
	;; [unrolled: 1-line block ×4, first 2 shown]
	s_wait_alu 0xfffe
	s_delay_alu instid0(VALU_DEP_1) | instskip(SKIP_3) | instid1(VALU_DEP_1)
	v_fma_f64 v[69:70], v[67:68], v[69:70], s[0:1]
	s_mov_b32 s0, 0x7c89e6b0
	s_mov_b32 s1, 0x3efa0199
	s_wait_alu 0xfffe
	v_fma_f64 v[69:70], v[67:68], v[69:70], s[0:1]
	s_mov_b32 s0, 0x14761f6e
	s_mov_b32 s1, 0x3f2a01a0
	s_wait_alu 0xfffe
	s_delay_alu instid0(VALU_DEP_1) | instskip(SKIP_3) | instid1(VALU_DEP_1)
	v_fma_f64 v[69:70], v[67:68], v[69:70], s[0:1]
	s_mov_b32 s0, 0x1852b7b0
	s_mov_b32 s1, 0x3f56c16c
	s_wait_alu 0xfffe
	v_fma_f64 v[69:70], v[67:68], v[69:70], s[0:1]
	s_mov_b32 s0, 0x11122322
	s_mov_b32 s1, 0x3f811111
	;; [unrolled: 9-line block ×3, first 2 shown]
	s_wait_alu 0xfffe
	s_delay_alu instid0(VALU_DEP_1) | instskip(SKIP_3) | instid1(VALU_DEP_1)
	v_fma_f64 v[69:70], v[67:68], v[69:70], s[0:1]
	s_mov_b32 s0, 11
	s_mov_b32 s1, 0x3fe00000
	s_wait_alu 0xfffe
	v_fma_f64 v[69:70], v[67:68], v[69:70], s[0:1]
	v_cmp_nlt_f64_e64 s0, 0x40900000, v[63:64]
	v_cmp_ngt_f64_e64 s1, 0xc090cc00, v[63:64]
	s_delay_alu instid0(VALU_DEP_3) | instskip(NEXT) | instid1(VALU_DEP_1)
	v_fma_f64 v[69:70], v[67:68], v[69:70], 1.0
	v_fma_f64 v[65:66], v[67:68], v[69:70], 1.0
	s_delay_alu instid0(VALU_DEP_1) | instskip(SKIP_1) | instid1(VALU_DEP_1)
	v_ldexp_f64 v[65:66], v[65:66], v0
	s_wait_alu 0xf1ff
	v_cndmask_b32_e64 v0, 0x7ff00000, v66, s0
	s_and_b32 s0, s1, s0
	s_wait_alu 0xfffe
	s_delay_alu instid0(VALU_DEP_2) | instskip(SKIP_3) | instid1(VALU_DEP_1)
	v_cndmask_b32_e64 v63, 0, v65, s0
	s_mov_b32 s0, 0x55555555
	v_cndmask_b32_e64 v64, 0, v0, s1
	s_mov_b32 s1, 0x3fe55555
	v_add_f64_e32 v[65:66], 1.0, v[63:64]
	v_cmp_ngt_f64_e64 s33, -1.0, v[63:64]
	s_delay_alu instid0(VALU_DEP_2) | instskip(SKIP_3) | instid1(VALU_DEP_3)
	v_frexp_mant_f64_e32 v[67:68], v[65:66]
	v_frexp_exp_i32_f64_e32 v0, v[65:66]
	v_add_f64_e32 v[69:70], -1.0, v[65:66]
	s_wait_alu 0xfffe
	v_cmp_gt_f64_e64 s0, s[0:1], v[67:68]
	s_delay_alu instid0(VALU_DEP_2) | instskip(SKIP_2) | instid1(VALU_DEP_3)
	v_add_f64_e64 v[67:68], v[69:70], -v[65:66]
	v_add_f64_e64 v[69:70], v[63:64], -v[69:70]
	s_wait_alu 0xf1ff
	v_subrev_co_ci_u32_e64 v0, null, 0, v0, s0
	s_delay_alu instid0(VALU_DEP_3) | instskip(SKIP_1) | instid1(VALU_DEP_2)
	v_add_f64_e32 v[67:68], 1.0, v[67:68]
	s_mov_b32 s0, 0x55555780
	v_sub_nc_u32_e32 v73, 0, v0
	s_delay_alu instid0(VALU_DEP_1) | instskip(NEXT) | instid1(VALU_DEP_3)
	v_ldexp_f64 v[65:66], v[65:66], v73
	v_add_f64_e32 v[67:68], v[69:70], v[67:68]
	s_delay_alu instid0(VALU_DEP_2) | instskip(SKIP_1) | instid1(VALU_DEP_3)
	v_add_f64_e32 v[71:72], 1.0, v[65:66]
	v_add_f64_e32 v[95:96], -1.0, v[65:66]
	v_ldexp_f64 v[67:68], v[67:68], v73
	s_delay_alu instid0(VALU_DEP_3) | instskip(NEXT) | instid1(VALU_DEP_3)
	v_add_f64_e32 v[69:70], -1.0, v[71:72]
	v_add_f64_e32 v[97:98], 1.0, v[95:96]
	s_delay_alu instid0(VALU_DEP_2) | instskip(NEXT) | instid1(VALU_DEP_2)
	v_add_f64_e64 v[69:70], v[65:66], -v[69:70]
	v_add_f64_e64 v[65:66], v[65:66], -v[97:98]
	s_delay_alu instid0(VALU_DEP_2) | instskip(NEXT) | instid1(VALU_DEP_2)
	v_add_f64_e32 v[69:70], v[67:68], v[69:70]
	v_add_f64_e32 v[65:66], v[67:68], v[65:66]
	s_delay_alu instid0(VALU_DEP_2) | instskip(NEXT) | instid1(VALU_DEP_2)
	v_add_f64_e32 v[73:74], v[71:72], v[69:70]
	v_add_f64_e32 v[97:98], v[95:96], v[65:66]
	s_delay_alu instid0(VALU_DEP_2) | instskip(SKIP_1) | instid1(VALU_DEP_2)
	v_rcp_f64_e32 v[75:76], v[73:74]
	v_add_f64_e64 v[71:72], v[73:74], -v[71:72]
	v_add_f64_e64 v[95:96], v[97:98], -v[95:96]
	s_delay_alu instid0(VALU_DEP_2) | instskip(NEXT) | instid1(TRANS32_DEP_1)
	v_add_f64_e64 v[69:70], v[69:70], -v[71:72]
	v_fma_f64 v[99:100], -v[73:74], v[75:76], 1.0
	s_delay_alu instid0(VALU_DEP_3) | instskip(NEXT) | instid1(VALU_DEP_2)
	v_add_f64_e64 v[65:66], v[65:66], -v[95:96]
	v_fma_f64 v[75:76], v[99:100], v[75:76], v[75:76]
	s_delay_alu instid0(VALU_DEP_1) | instskip(NEXT) | instid1(VALU_DEP_1)
	v_fma_f64 v[67:68], -v[73:74], v[75:76], 1.0
	v_fma_f64 v[67:68], v[67:68], v[75:76], v[75:76]
	s_delay_alu instid0(VALU_DEP_1) | instskip(NEXT) | instid1(VALU_DEP_1)
	v_mul_f64_e32 v[75:76], v[97:98], v[67:68]
	v_mul_f64_e32 v[99:100], v[73:74], v[75:76]
	s_delay_alu instid0(VALU_DEP_1) | instskip(NEXT) | instid1(VALU_DEP_1)
	v_fma_f64 v[71:72], v[75:76], v[73:74], -v[99:100]
	v_fma_f64 v[71:72], v[75:76], v[69:70], v[71:72]
	s_delay_alu instid0(VALU_DEP_1) | instskip(NEXT) | instid1(VALU_DEP_1)
	v_add_f64_e32 v[101:102], v[99:100], v[71:72]
	v_add_f64_e64 v[103:104], v[97:98], -v[101:102]
	v_add_f64_e64 v[95:96], v[101:102], -v[99:100]
	s_delay_alu instid0(VALU_DEP_2) | instskip(NEXT) | instid1(VALU_DEP_2)
	v_add_f64_e64 v[97:98], v[97:98], -v[103:104]
	v_add_f64_e64 v[71:72], v[95:96], -v[71:72]
	s_delay_alu instid0(VALU_DEP_2) | instskip(NEXT) | instid1(VALU_DEP_1)
	v_add_f64_e64 v[97:98], v[97:98], -v[101:102]
	v_add_f64_e32 v[65:66], v[65:66], v[97:98]
	s_delay_alu instid0(VALU_DEP_1) | instskip(NEXT) | instid1(VALU_DEP_1)
	v_add_f64_e32 v[65:66], v[71:72], v[65:66]
	v_add_f64_e32 v[71:72], v[103:104], v[65:66]
	s_delay_alu instid0(VALU_DEP_1) | instskip(SKIP_1) | instid1(VALU_DEP_2)
	v_mul_f64_e32 v[95:96], v[67:68], v[71:72]
	v_add_f64_e64 v[101:102], v[103:104], -v[71:72]
	v_mul_f64_e32 v[97:98], v[73:74], v[95:96]
	s_delay_alu instid0(VALU_DEP_2) | instskip(NEXT) | instid1(VALU_DEP_2)
	v_add_f64_e32 v[65:66], v[65:66], v[101:102]
	v_fma_f64 v[73:74], v[95:96], v[73:74], -v[97:98]
	s_delay_alu instid0(VALU_DEP_1) | instskip(NEXT) | instid1(VALU_DEP_1)
	v_fma_f64 v[69:70], v[95:96], v[69:70], v[73:74]
	v_add_f64_e32 v[73:74], v[97:98], v[69:70]
	s_delay_alu instid0(VALU_DEP_1) | instskip(SKIP_1) | instid1(VALU_DEP_2)
	v_add_f64_e64 v[99:100], v[71:72], -v[73:74]
	v_add_f64_e64 v[97:98], v[73:74], -v[97:98]
	;; [unrolled: 1-line block ×3, first 2 shown]
	s_delay_alu instid0(VALU_DEP_2) | instskip(NEXT) | instid1(VALU_DEP_2)
	v_add_f64_e64 v[69:70], v[97:98], -v[69:70]
	v_add_f64_e64 v[71:72], v[71:72], -v[73:74]
	s_delay_alu instid0(VALU_DEP_1) | instskip(SKIP_1) | instid1(VALU_DEP_2)
	v_add_f64_e32 v[65:66], v[65:66], v[71:72]
	v_add_f64_e32 v[71:72], v[75:76], v[95:96]
	;; [unrolled: 1-line block ×3, first 2 shown]
	s_delay_alu instid0(VALU_DEP_2) | instskip(NEXT) | instid1(VALU_DEP_2)
	v_add_f64_e64 v[69:70], v[71:72], -v[75:76]
	v_add_f64_e32 v[65:66], v[99:100], v[65:66]
	s_delay_alu instid0(VALU_DEP_2) | instskip(NEXT) | instid1(VALU_DEP_2)
	v_add_f64_e64 v[69:70], v[95:96], -v[69:70]
	v_mul_f64_e32 v[65:66], v[67:68], v[65:66]
	s_delay_alu instid0(VALU_DEP_1) | instskip(NEXT) | instid1(VALU_DEP_1)
	v_add_f64_e32 v[65:66], v[69:70], v[65:66]
	v_add_f64_e32 v[67:68], v[71:72], v[65:66]
	s_delay_alu instid0(VALU_DEP_1) | instskip(NEXT) | instid1(VALU_DEP_1)
	v_mul_f64_e32 v[69:70], v[67:68], v[67:68]
	v_fma_f64 v[73:74], v[69:70], s[44:45], s[42:43]
	s_mov_b32 s42, 0xd7f4df2e
	s_mov_b32 s43, 0x3fc7474d
	v_mul_f64_e32 v[75:76], v[67:68], v[69:70]
	s_wait_alu 0xfffe
	s_delay_alu instid0(VALU_DEP_2) | instskip(SKIP_3) | instid1(VALU_DEP_1)
	v_fma_f64 v[73:74], v[69:70], v[73:74], s[42:43]
	s_mov_b32 s42, 0x16291751
	s_mov_b32 s43, 0x3fcc71c0
	s_wait_alu 0xfffe
	v_fma_f64 v[73:74], v[69:70], v[73:74], s[42:43]
	s_mov_b32 s42, 0x9b27acf1
	s_mov_b32 s43, 0x3fd24924
	s_wait_alu 0xfffe
	s_delay_alu instid0(VALU_DEP_1) | instskip(SKIP_3) | instid1(VALU_DEP_1)
	v_fma_f64 v[73:74], v[69:70], v[73:74], s[42:43]
	s_mov_b32 s42, 0x998ef7b6
	s_mov_b32 s43, 0x3fd99999
	s_wait_alu 0xfffe
	v_fma_f64 v[73:74], v[69:70], v[73:74], s[42:43]
	s_delay_alu instid0(VALU_DEP_1)
	v_fma_f64 v[69:70], v[69:70], v[73:74], s[0:1]
	v_ldexp_f64 v[73:74], v[67:68], 1
	v_add_f64_e64 v[67:68], v[67:68], -v[71:72]
	v_cmp_nge_f64_e64 s0, -1.0, v[63:64]
	v_cmp_neq_f64_e64 s1, 0x7ff00000, v[63:64]
	v_mul_f64_e32 v[69:70], v[75:76], v[69:70]
	v_cvt_f64_i32_e32 v[75:76], v0
	v_add_f64_e64 v[65:66], v[65:66], -v[67:68]
	s_and_b32 s0, s0, s1
	s_delay_alu instid0(VALU_DEP_3) | instskip(NEXT) | instid1(VALU_DEP_3)
	v_add_f64_e32 v[71:72], v[73:74], v[69:70]
	v_mul_f64_e32 v[95:96], s[34:35], v[75:76]
	s_delay_alu instid0(VALU_DEP_3) | instskip(NEXT) | instid1(VALU_DEP_3)
	v_ldexp_f64 v[65:66], v[65:66], 1
	v_add_f64_e64 v[67:68], v[71:72], -v[73:74]
	s_delay_alu instid0(VALU_DEP_3) | instskip(NEXT) | instid1(VALU_DEP_2)
	v_fma_f64 v[73:74], v[75:76], s[34:35], -v[95:96]
	v_add_f64_e64 v[67:68], v[69:70], -v[67:68]
	s_delay_alu instid0(VALU_DEP_2) | instskip(NEXT) | instid1(VALU_DEP_2)
	v_fma_f64 v[69:70], v[75:76], s[38:39], v[73:74]
	v_add_f64_e32 v[65:66], v[65:66], v[67:68]
	s_delay_alu instid0(VALU_DEP_2) | instskip(NEXT) | instid1(VALU_DEP_2)
	v_add_f64_e32 v[67:68], v[95:96], v[69:70]
	v_add_f64_e32 v[73:74], v[71:72], v[65:66]
	s_delay_alu instid0(VALU_DEP_2) | instskip(NEXT) | instid1(VALU_DEP_2)
	v_add_f64_e64 v[95:96], v[67:68], -v[95:96]
	v_add_f64_e32 v[75:76], v[67:68], v[73:74]
	v_add_f64_e64 v[71:72], v[73:74], -v[71:72]
	s_delay_alu instid0(VALU_DEP_3) | instskip(NEXT) | instid1(VALU_DEP_3)
	v_add_f64_e64 v[69:70], v[69:70], -v[95:96]
	v_add_f64_e64 v[97:98], v[75:76], -v[67:68]
	s_delay_alu instid0(VALU_DEP_3) | instskip(NEXT) | instid1(VALU_DEP_2)
	v_add_f64_e64 v[65:66], v[65:66], -v[71:72]
	v_add_f64_e64 v[99:100], v[75:76], -v[97:98]
	;; [unrolled: 1-line block ×3, first 2 shown]
	s_delay_alu instid0(VALU_DEP_3) | instskip(NEXT) | instid1(VALU_DEP_3)
	v_add_f64_e32 v[73:74], v[69:70], v[65:66]
	v_add_f64_e64 v[67:68], v[67:68], -v[99:100]
	s_delay_alu instid0(VALU_DEP_1) | instskip(NEXT) | instid1(VALU_DEP_3)
	v_add_f64_e32 v[67:68], v[71:72], v[67:68]
	v_add_f64_e64 v[71:72], v[73:74], -v[69:70]
	s_delay_alu instid0(VALU_DEP_2) | instskip(NEXT) | instid1(VALU_DEP_2)
	v_add_f64_e32 v[67:68], v[73:74], v[67:68]
	v_add_f64_e64 v[73:74], v[73:74], -v[71:72]
	v_add_f64_e64 v[65:66], v[65:66], -v[71:72]
	s_delay_alu instid0(VALU_DEP_3) | instskip(NEXT) | instid1(VALU_DEP_3)
	v_add_f64_e32 v[95:96], v[75:76], v[67:68]
	v_add_f64_e64 v[69:70], v[69:70], -v[73:74]
	s_delay_alu instid0(VALU_DEP_2) | instskip(NEXT) | instid1(VALU_DEP_2)
	v_add_f64_e64 v[71:72], v[95:96], -v[75:76]
	v_add_f64_e32 v[65:66], v[65:66], v[69:70]
	s_delay_alu instid0(VALU_DEP_2) | instskip(NEXT) | instid1(VALU_DEP_1)
	v_add_f64_e64 v[67:68], v[67:68], -v[71:72]
	v_add_f64_e32 v[65:66], v[65:66], v[67:68]
	s_delay_alu instid0(VALU_DEP_1) | instskip(SKIP_1) | instid1(VALU_DEP_1)
	v_add_f64_e32 v[65:66], v[95:96], v[65:66]
	s_wait_alu 0xfffe
	v_cndmask_b32_e64 v65, 0, v65, s0
	v_cmp_neq_f64_e64 s0, -1.0, v[63:64]
	s_delay_alu instid0(VALU_DEP_3) | instskip(NEXT) | instid1(VALU_DEP_1)
	v_cndmask_b32_e64 v0, 0x7ff00000, v66, s1
	v_cndmask_b32_e64 v0, 0x7ff80000, v0, s33
	s_wait_alu 0xf1ff
	s_delay_alu instid0(VALU_DEP_1) | instskip(NEXT) | instid1(VALU_DEP_1)
	v_cndmask_b32_e64 v66, 0xfff00000, v0, s0
	v_add_f64_e32 v[69:70], v[1:2], v[65:66]
.LBB61_105:
	s_wait_alu 0xfffe
	s_or_b32 exec_lo, exec_lo, s41
	s_delay_alu instid0(VALU_DEP_1) | instskip(SKIP_1) | instid1(VALU_DEP_1)
	v_max_num_f64_e32 v[0:1], v[69:70], v[69:70]
	;;#ASMSTART
	;;#ASMEND
	v_min_num_f64_e32 v[65:66], v[0:1], v[35:36]
	v_max_num_f64_e32 v[67:68], v[0:1], v[35:36]
	v_dual_mov_b32 v1, v69 :: v_dual_mov_b32 v2, v70
.LBB61_106:
	s_wait_alu 0xfffe
	s_or_b32 exec_lo, exec_lo, s40
	s_delay_alu instid0(VALU_DEP_1) | instskip(SKIP_1) | instid1(VALU_DEP_1)
	v_cmp_u_f64_e64 s0, v[1:2], v[1:2]
	s_wait_alu 0xf1ff
	v_cndmask_b32_e64 v0, v65, v1, s0
	v_cndmask_b32_e64 v35, v66, v2, s0
	;; [unrolled: 1-line block ×4, first 2 shown]
	s_delay_alu instid0(VALU_DEP_4) | instskip(NEXT) | instid1(VALU_DEP_4)
	v_cndmask_b32_e64 v63, v0, v3, s17
	v_cndmask_b32_e64 v64, v35, v4, s17
	s_delay_alu instid0(VALU_DEP_4) | instskip(NEXT) | instid1(VALU_DEP_4)
	v_cndmask_b32_e64 v36, v36, v4, s17
	v_cndmask_b32_e64 v35, v65, v3, s17
	v_dual_mov_b32 v4, v2 :: v_dual_mov_b32 v3, v1
	s_delay_alu instid0(VALU_DEP_4) | instskip(NEXT) | instid1(VALU_DEP_3)
	v_cmp_class_f64_e64 s1, v[63:64], 0x1f8
	v_cmp_neq_f64_e64 s0, v[63:64], v[35:36]
	s_or_b32 s0, s0, s1
	s_wait_alu 0xfffe
	s_and_saveexec_b32 s33, s0
	s_cbranch_execz .LBB61_108
; %bb.107:
	v_add_f64_e64 v[3:4], v[63:64], -v[35:36]
	s_mov_b32 s0, 0x652b82fe
	s_mov_b32 s1, 0x3ff71547
	;; [unrolled: 1-line block ×10, first 2 shown]
	s_wait_alu 0xfffe
	s_delay_alu instid0(VALU_DEP_1) | instskip(SKIP_2) | instid1(VALU_DEP_1)
	v_mul_f64_e32 v[63:64], s[0:1], v[3:4]
	s_mov_b32 s0, 0xfca7ab0c
	s_mov_b32 s1, 0x3e928af3
	v_rndne_f64_e32 v[63:64], v[63:64]
	s_delay_alu instid0(VALU_DEP_1) | instskip(SKIP_2) | instid1(VALU_DEP_2)
	v_fma_f64 v[65:66], v[63:64], s[34:35], v[3:4]
	v_cvt_i32_f64_e32 v0, v[63:64]
	s_mov_b32 s35, 0x3fe62e42
	v_fma_f64 v[65:66], v[63:64], s[38:39], v[65:66]
	s_mov_b32 s39, 0x3c7abc9e
	s_wait_alu 0xfffe
	s_delay_alu instid0(VALU_DEP_1)
	v_fma_f64 v[67:68], v[65:66], s[40:41], s[0:1]
	s_mov_b32 s0, 0x623fde64
	s_mov_b32 s1, 0x3ec71dee
	;; [unrolled: 1-line block ×4, first 2 shown]
	s_wait_alu 0xfffe
	s_delay_alu instid0(VALU_DEP_1) | instskip(SKIP_3) | instid1(VALU_DEP_1)
	v_fma_f64 v[67:68], v[65:66], v[67:68], s[0:1]
	s_mov_b32 s0, 0x7c89e6b0
	s_mov_b32 s1, 0x3efa0199
	s_wait_alu 0xfffe
	v_fma_f64 v[67:68], v[65:66], v[67:68], s[0:1]
	s_mov_b32 s0, 0x14761f6e
	s_mov_b32 s1, 0x3f2a01a0
	s_wait_alu 0xfffe
	s_delay_alu instid0(VALU_DEP_1) | instskip(SKIP_3) | instid1(VALU_DEP_1)
	v_fma_f64 v[67:68], v[65:66], v[67:68], s[0:1]
	s_mov_b32 s0, 0x1852b7b0
	s_mov_b32 s1, 0x3f56c16c
	s_wait_alu 0xfffe
	v_fma_f64 v[67:68], v[65:66], v[67:68], s[0:1]
	s_mov_b32 s0, 0x11122322
	s_mov_b32 s1, 0x3f811111
	;; [unrolled: 9-line block ×3, first 2 shown]
	s_wait_alu 0xfffe
	s_delay_alu instid0(VALU_DEP_1) | instskip(SKIP_3) | instid1(VALU_DEP_1)
	v_fma_f64 v[67:68], v[65:66], v[67:68], s[0:1]
	s_mov_b32 s0, 11
	s_mov_b32 s1, 0x3fe00000
	s_wait_alu 0xfffe
	v_fma_f64 v[67:68], v[65:66], v[67:68], s[0:1]
	v_cmp_nlt_f64_e64 s0, 0x40900000, v[3:4]
	v_cmp_ngt_f64_e64 s1, 0xc090cc00, v[3:4]
	s_delay_alu instid0(VALU_DEP_3) | instskip(NEXT) | instid1(VALU_DEP_1)
	v_fma_f64 v[67:68], v[65:66], v[67:68], 1.0
	v_fma_f64 v[63:64], v[65:66], v[67:68], 1.0
	s_delay_alu instid0(VALU_DEP_1) | instskip(SKIP_1) | instid1(VALU_DEP_1)
	v_ldexp_f64 v[63:64], v[63:64], v0
	s_wait_alu 0xf1ff
	v_cndmask_b32_e64 v0, 0x7ff00000, v64, s0
	s_and_b32 s0, s1, s0
	s_wait_alu 0xfffe
	s_delay_alu instid0(VALU_DEP_2) | instskip(SKIP_3) | instid1(VALU_DEP_1)
	v_cndmask_b32_e64 v3, 0, v63, s0
	s_mov_b32 s0, 0x55555555
	v_cndmask_b32_e64 v4, 0, v0, s1
	s_mov_b32 s1, 0x3fe55555
	v_add_f64_e32 v[63:64], 1.0, v[3:4]
	v_cmp_ngt_f64_e64 s17, -1.0, v[3:4]
	s_delay_alu instid0(VALU_DEP_2) | instskip(SKIP_3) | instid1(VALU_DEP_3)
	v_frexp_mant_f64_e32 v[65:66], v[63:64]
	v_frexp_exp_i32_f64_e32 v0, v[63:64]
	v_add_f64_e32 v[67:68], -1.0, v[63:64]
	s_wait_alu 0xfffe
	v_cmp_gt_f64_e64 s0, s[0:1], v[65:66]
	s_delay_alu instid0(VALU_DEP_2) | instskip(SKIP_2) | instid1(VALU_DEP_3)
	v_add_f64_e64 v[65:66], v[67:68], -v[63:64]
	v_add_f64_e64 v[67:68], v[3:4], -v[67:68]
	s_wait_alu 0xf1ff
	v_subrev_co_ci_u32_e64 v0, null, 0, v0, s0
	s_delay_alu instid0(VALU_DEP_3) | instskip(SKIP_1) | instid1(VALU_DEP_2)
	v_add_f64_e32 v[65:66], 1.0, v[65:66]
	s_mov_b32 s0, 0x55555780
	v_sub_nc_u32_e32 v71, 0, v0
	s_delay_alu instid0(VALU_DEP_1) | instskip(NEXT) | instid1(VALU_DEP_3)
	v_ldexp_f64 v[63:64], v[63:64], v71
	v_add_f64_e32 v[65:66], v[67:68], v[65:66]
	s_wait_dscnt 0x0
	s_delay_alu instid0(VALU_DEP_2) | instskip(SKIP_1) | instid1(VALU_DEP_3)
	v_add_f64_e32 v[69:70], 1.0, v[63:64]
	v_add_f64_e32 v[75:76], -1.0, v[63:64]
	v_ldexp_f64 v[65:66], v[65:66], v71
	s_delay_alu instid0(VALU_DEP_3) | instskip(NEXT) | instid1(VALU_DEP_3)
	v_add_f64_e32 v[67:68], -1.0, v[69:70]
	v_add_f64_e32 v[95:96], 1.0, v[75:76]
	s_delay_alu instid0(VALU_DEP_2) | instskip(NEXT) | instid1(VALU_DEP_2)
	v_add_f64_e64 v[67:68], v[63:64], -v[67:68]
	v_add_f64_e64 v[63:64], v[63:64], -v[95:96]
	s_delay_alu instid0(VALU_DEP_2) | instskip(NEXT) | instid1(VALU_DEP_2)
	v_add_f64_e32 v[67:68], v[65:66], v[67:68]
	v_add_f64_e32 v[63:64], v[65:66], v[63:64]
	s_delay_alu instid0(VALU_DEP_2) | instskip(NEXT) | instid1(VALU_DEP_2)
	v_add_f64_e32 v[71:72], v[69:70], v[67:68]
	v_add_f64_e32 v[95:96], v[75:76], v[63:64]
	s_delay_alu instid0(VALU_DEP_2) | instskip(SKIP_1) | instid1(VALU_DEP_2)
	v_rcp_f64_e32 v[73:74], v[71:72]
	v_add_f64_e64 v[69:70], v[71:72], -v[69:70]
	v_add_f64_e64 v[75:76], v[95:96], -v[75:76]
	s_delay_alu instid0(VALU_DEP_2) | instskip(NEXT) | instid1(TRANS32_DEP_1)
	v_add_f64_e64 v[67:68], v[67:68], -v[69:70]
	v_fma_f64 v[97:98], -v[71:72], v[73:74], 1.0
	s_delay_alu instid0(VALU_DEP_3) | instskip(NEXT) | instid1(VALU_DEP_2)
	v_add_f64_e64 v[63:64], v[63:64], -v[75:76]
	v_fma_f64 v[73:74], v[97:98], v[73:74], v[73:74]
	s_delay_alu instid0(VALU_DEP_1) | instskip(NEXT) | instid1(VALU_DEP_1)
	v_fma_f64 v[65:66], -v[71:72], v[73:74], 1.0
	v_fma_f64 v[65:66], v[65:66], v[73:74], v[73:74]
	s_delay_alu instid0(VALU_DEP_1) | instskip(NEXT) | instid1(VALU_DEP_1)
	v_mul_f64_e32 v[73:74], v[95:96], v[65:66]
	v_mul_f64_e32 v[97:98], v[71:72], v[73:74]
	s_delay_alu instid0(VALU_DEP_1) | instskip(NEXT) | instid1(VALU_DEP_1)
	v_fma_f64 v[69:70], v[73:74], v[71:72], -v[97:98]
	v_fma_f64 v[69:70], v[73:74], v[67:68], v[69:70]
	s_delay_alu instid0(VALU_DEP_1) | instskip(NEXT) | instid1(VALU_DEP_1)
	v_add_f64_e32 v[99:100], v[97:98], v[69:70]
	v_add_f64_e64 v[101:102], v[95:96], -v[99:100]
	v_add_f64_e64 v[75:76], v[99:100], -v[97:98]
	s_delay_alu instid0(VALU_DEP_2) | instskip(NEXT) | instid1(VALU_DEP_2)
	v_add_f64_e64 v[95:96], v[95:96], -v[101:102]
	v_add_f64_e64 v[69:70], v[75:76], -v[69:70]
	s_delay_alu instid0(VALU_DEP_2) | instskip(NEXT) | instid1(VALU_DEP_1)
	v_add_f64_e64 v[95:96], v[95:96], -v[99:100]
	v_add_f64_e32 v[63:64], v[63:64], v[95:96]
	s_delay_alu instid0(VALU_DEP_1) | instskip(NEXT) | instid1(VALU_DEP_1)
	v_add_f64_e32 v[63:64], v[69:70], v[63:64]
	v_add_f64_e32 v[69:70], v[101:102], v[63:64]
	s_delay_alu instid0(VALU_DEP_1) | instskip(SKIP_1) | instid1(VALU_DEP_2)
	v_mul_f64_e32 v[75:76], v[65:66], v[69:70]
	v_add_f64_e64 v[99:100], v[101:102], -v[69:70]
	v_mul_f64_e32 v[95:96], v[71:72], v[75:76]
	s_delay_alu instid0(VALU_DEP_2) | instskip(NEXT) | instid1(VALU_DEP_2)
	v_add_f64_e32 v[63:64], v[63:64], v[99:100]
	v_fma_f64 v[71:72], v[75:76], v[71:72], -v[95:96]
	s_delay_alu instid0(VALU_DEP_1) | instskip(NEXT) | instid1(VALU_DEP_1)
	v_fma_f64 v[67:68], v[75:76], v[67:68], v[71:72]
	v_add_f64_e32 v[71:72], v[95:96], v[67:68]
	s_delay_alu instid0(VALU_DEP_1) | instskip(SKIP_1) | instid1(VALU_DEP_2)
	v_add_f64_e64 v[97:98], v[69:70], -v[71:72]
	v_add_f64_e64 v[95:96], v[71:72], -v[95:96]
	;; [unrolled: 1-line block ×3, first 2 shown]
	s_delay_alu instid0(VALU_DEP_2) | instskip(NEXT) | instid1(VALU_DEP_2)
	v_add_f64_e64 v[67:68], v[95:96], -v[67:68]
	v_add_f64_e64 v[69:70], v[69:70], -v[71:72]
	s_delay_alu instid0(VALU_DEP_1) | instskip(SKIP_1) | instid1(VALU_DEP_2)
	v_add_f64_e32 v[63:64], v[63:64], v[69:70]
	v_add_f64_e32 v[69:70], v[73:74], v[75:76]
	;; [unrolled: 1-line block ×3, first 2 shown]
	s_delay_alu instid0(VALU_DEP_2) | instskip(NEXT) | instid1(VALU_DEP_2)
	v_add_f64_e64 v[67:68], v[69:70], -v[73:74]
	v_add_f64_e32 v[63:64], v[97:98], v[63:64]
	s_delay_alu instid0(VALU_DEP_2) | instskip(NEXT) | instid1(VALU_DEP_2)
	v_add_f64_e64 v[67:68], v[75:76], -v[67:68]
	v_mul_f64_e32 v[63:64], v[65:66], v[63:64]
	s_delay_alu instid0(VALU_DEP_1) | instskip(NEXT) | instid1(VALU_DEP_1)
	v_add_f64_e32 v[63:64], v[67:68], v[63:64]
	v_add_f64_e32 v[65:66], v[69:70], v[63:64]
	s_delay_alu instid0(VALU_DEP_1) | instskip(NEXT) | instid1(VALU_DEP_1)
	v_mul_f64_e32 v[67:68], v[65:66], v[65:66]
	v_fma_f64 v[71:72], v[67:68], s[42:43], s[40:41]
	s_mov_b32 s40, 0xd7f4df2e
	s_mov_b32 s41, 0x3fc7474d
	v_mul_f64_e32 v[73:74], v[65:66], v[67:68]
	s_wait_alu 0xfffe
	s_delay_alu instid0(VALU_DEP_2) | instskip(SKIP_3) | instid1(VALU_DEP_1)
	v_fma_f64 v[71:72], v[67:68], v[71:72], s[40:41]
	s_mov_b32 s40, 0x16291751
	s_mov_b32 s41, 0x3fcc71c0
	s_wait_alu 0xfffe
	v_fma_f64 v[71:72], v[67:68], v[71:72], s[40:41]
	s_mov_b32 s40, 0x9b27acf1
	s_mov_b32 s41, 0x3fd24924
	s_wait_alu 0xfffe
	s_delay_alu instid0(VALU_DEP_1) | instskip(SKIP_3) | instid1(VALU_DEP_1)
	v_fma_f64 v[71:72], v[67:68], v[71:72], s[40:41]
	s_mov_b32 s40, 0x998ef7b6
	s_mov_b32 s41, 0x3fd99999
	s_wait_alu 0xfffe
	v_fma_f64 v[71:72], v[67:68], v[71:72], s[40:41]
	s_delay_alu instid0(VALU_DEP_1)
	v_fma_f64 v[67:68], v[67:68], v[71:72], s[0:1]
	v_ldexp_f64 v[71:72], v[65:66], 1
	v_add_f64_e64 v[65:66], v[65:66], -v[69:70]
	v_cmp_nge_f64_e64 s0, -1.0, v[3:4]
	v_cmp_neq_f64_e64 s1, 0x7ff00000, v[3:4]
	v_mul_f64_e32 v[67:68], v[73:74], v[67:68]
	v_cvt_f64_i32_e32 v[73:74], v0
	v_add_f64_e64 v[63:64], v[63:64], -v[65:66]
	s_and_b32 s0, s0, s1
	s_delay_alu instid0(VALU_DEP_3) | instskip(NEXT) | instid1(VALU_DEP_3)
	v_add_f64_e32 v[69:70], v[71:72], v[67:68]
	v_mul_f64_e32 v[75:76], s[34:35], v[73:74]
	s_delay_alu instid0(VALU_DEP_3) | instskip(NEXT) | instid1(VALU_DEP_3)
	v_ldexp_f64 v[63:64], v[63:64], 1
	v_add_f64_e64 v[65:66], v[69:70], -v[71:72]
	s_delay_alu instid0(VALU_DEP_3) | instskip(NEXT) | instid1(VALU_DEP_2)
	v_fma_f64 v[71:72], v[73:74], s[34:35], -v[75:76]
	v_add_f64_e64 v[65:66], v[67:68], -v[65:66]
	s_delay_alu instid0(VALU_DEP_2) | instskip(NEXT) | instid1(VALU_DEP_2)
	v_fma_f64 v[67:68], v[73:74], s[38:39], v[71:72]
	v_add_f64_e32 v[63:64], v[63:64], v[65:66]
	s_delay_alu instid0(VALU_DEP_2) | instskip(NEXT) | instid1(VALU_DEP_2)
	v_add_f64_e32 v[65:66], v[75:76], v[67:68]
	v_add_f64_e32 v[71:72], v[69:70], v[63:64]
	s_delay_alu instid0(VALU_DEP_2) | instskip(NEXT) | instid1(VALU_DEP_2)
	v_add_f64_e64 v[75:76], v[65:66], -v[75:76]
	v_add_f64_e32 v[73:74], v[65:66], v[71:72]
	v_add_f64_e64 v[69:70], v[71:72], -v[69:70]
	s_delay_alu instid0(VALU_DEP_3) | instskip(NEXT) | instid1(VALU_DEP_3)
	v_add_f64_e64 v[67:68], v[67:68], -v[75:76]
	v_add_f64_e64 v[95:96], v[73:74], -v[65:66]
	s_delay_alu instid0(VALU_DEP_3) | instskip(NEXT) | instid1(VALU_DEP_2)
	v_add_f64_e64 v[63:64], v[63:64], -v[69:70]
	v_add_f64_e64 v[97:98], v[73:74], -v[95:96]
	;; [unrolled: 1-line block ×3, first 2 shown]
	s_delay_alu instid0(VALU_DEP_3) | instskip(NEXT) | instid1(VALU_DEP_3)
	v_add_f64_e32 v[71:72], v[67:68], v[63:64]
	v_add_f64_e64 v[65:66], v[65:66], -v[97:98]
	s_delay_alu instid0(VALU_DEP_1) | instskip(NEXT) | instid1(VALU_DEP_3)
	v_add_f64_e32 v[65:66], v[69:70], v[65:66]
	v_add_f64_e64 v[69:70], v[71:72], -v[67:68]
	s_delay_alu instid0(VALU_DEP_2) | instskip(NEXT) | instid1(VALU_DEP_2)
	v_add_f64_e32 v[65:66], v[71:72], v[65:66]
	v_add_f64_e64 v[71:72], v[71:72], -v[69:70]
	v_add_f64_e64 v[63:64], v[63:64], -v[69:70]
	s_delay_alu instid0(VALU_DEP_3) | instskip(NEXT) | instid1(VALU_DEP_3)
	v_add_f64_e32 v[75:76], v[73:74], v[65:66]
	v_add_f64_e64 v[67:68], v[67:68], -v[71:72]
	s_delay_alu instid0(VALU_DEP_2) | instskip(NEXT) | instid1(VALU_DEP_2)
	v_add_f64_e64 v[69:70], v[75:76], -v[73:74]
	v_add_f64_e32 v[63:64], v[63:64], v[67:68]
	s_delay_alu instid0(VALU_DEP_2) | instskip(NEXT) | instid1(VALU_DEP_1)
	v_add_f64_e64 v[65:66], v[65:66], -v[69:70]
	v_add_f64_e32 v[63:64], v[63:64], v[65:66]
	s_delay_alu instid0(VALU_DEP_1) | instskip(SKIP_1) | instid1(VALU_DEP_1)
	v_add_f64_e32 v[63:64], v[75:76], v[63:64]
	s_wait_alu 0xfffe
	v_cndmask_b32_e64 v63, 0, v63, s0
	v_cmp_neq_f64_e64 s0, -1.0, v[3:4]
	s_delay_alu instid0(VALU_DEP_3) | instskip(NEXT) | instid1(VALU_DEP_1)
	v_cndmask_b32_e64 v0, 0x7ff00000, v64, s1
	v_cndmask_b32_e64 v0, 0x7ff80000, v0, s17
	s_wait_alu 0xf1ff
	s_delay_alu instid0(VALU_DEP_1) | instskip(NEXT) | instid1(VALU_DEP_1)
	v_cndmask_b32_e64 v64, 0xfff00000, v0, s0
	v_add_f64_e32 v[3:4], v[35:36], v[63:64]
.LBB61_108:
	s_wait_alu 0xfffe
	s_or_b32 exec_lo, exec_lo, s33
	s_delay_alu instid0(VALU_DEP_1) | instskip(SKIP_1) | instid1(VALU_DEP_2)
	v_max_num_f64_e32 v[35:36], v[3:4], v[3:4]
	v_cmp_u_f64_e64 s0, v[3:4], v[3:4]
	v_min_num_f64_e32 v[63:64], v[35:36], v[33:34]
	v_max_num_f64_e32 v[33:34], v[35:36], v[33:34]
	s_wait_alu 0xf1ff
	s_delay_alu instid0(VALU_DEP_2) | instskip(NEXT) | instid1(VALU_DEP_3)
	v_cndmask_b32_e64 v0, v63, v3, s0
	v_cndmask_b32_e64 v35, v64, v4, s0
	s_delay_alu instid0(VALU_DEP_3) | instskip(NEXT) | instid1(VALU_DEP_4)
	v_cndmask_b32_e64 v34, v34, v4, s0
	v_cndmask_b32_e64 v33, v33, v3, s0
	s_delay_alu instid0(VALU_DEP_3) | instskip(SKIP_1) | instid1(VALU_DEP_4)
	v_cndmask_b32_e64 v36, v35, v30, s18
	v_cndmask_b32_e64 v35, v0, v29, s18
	;; [unrolled: 1-line block ×3, first 2 shown]
	s_delay_alu instid0(VALU_DEP_4) | instskip(SKIP_1) | instid1(VALU_DEP_4)
	v_cndmask_b32_e64 v33, v33, v29, s18
	v_dual_mov_b32 v30, v4 :: v_dual_mov_b32 v29, v3
	v_cmp_class_f64_e64 s1, v[35:36], 0x1f8
	s_delay_alu instid0(VALU_DEP_3)
	v_cmp_neq_f64_e64 s0, v[35:36], v[33:34]
	s_or_b32 s0, s0, s1
	s_wait_alu 0xfffe
	s_and_saveexec_b32 s18, s0
	s_cbranch_execz .LBB61_110
; %bb.109:
	v_add_f64_e64 v[29:30], v[35:36], -v[33:34]
	s_mov_b32 s0, 0x652b82fe
	s_mov_b32 s1, 0x3ff71547
	;; [unrolled: 1-line block ×10, first 2 shown]
	s_wait_alu 0xfffe
	s_delay_alu instid0(VALU_DEP_1) | instskip(SKIP_2) | instid1(VALU_DEP_1)
	v_mul_f64_e32 v[35:36], s[0:1], v[29:30]
	s_mov_b32 s0, 0xfca7ab0c
	s_mov_b32 s1, 0x3e928af3
	v_rndne_f64_e32 v[35:36], v[35:36]
	s_delay_alu instid0(VALU_DEP_1) | instskip(SKIP_2) | instid1(VALU_DEP_2)
	v_fma_f64 v[63:64], v[35:36], s[34:35], v[29:30]
	v_cvt_i32_f64_e32 v0, v[35:36]
	s_mov_b32 s35, 0x3fe62e42
	v_fma_f64 v[63:64], v[35:36], s[38:39], v[63:64]
	s_mov_b32 s39, 0x3c7abc9e
	s_wait_alu 0xfffe
	s_delay_alu instid0(VALU_DEP_1)
	v_fma_f64 v[65:66], v[63:64], s[40:41], s[0:1]
	s_mov_b32 s0, 0x623fde64
	s_mov_b32 s1, 0x3ec71dee
	;; [unrolled: 1-line block ×4, first 2 shown]
	s_wait_alu 0xfffe
	s_delay_alu instid0(VALU_DEP_1) | instskip(SKIP_3) | instid1(VALU_DEP_1)
	v_fma_f64 v[65:66], v[63:64], v[65:66], s[0:1]
	s_mov_b32 s0, 0x7c89e6b0
	s_mov_b32 s1, 0x3efa0199
	s_wait_alu 0xfffe
	v_fma_f64 v[65:66], v[63:64], v[65:66], s[0:1]
	s_mov_b32 s0, 0x14761f6e
	s_mov_b32 s1, 0x3f2a01a0
	s_wait_alu 0xfffe
	s_delay_alu instid0(VALU_DEP_1) | instskip(SKIP_3) | instid1(VALU_DEP_1)
	v_fma_f64 v[65:66], v[63:64], v[65:66], s[0:1]
	s_mov_b32 s0, 0x1852b7b0
	s_mov_b32 s1, 0x3f56c16c
	s_wait_alu 0xfffe
	v_fma_f64 v[65:66], v[63:64], v[65:66], s[0:1]
	s_mov_b32 s0, 0x11122322
	s_mov_b32 s1, 0x3f811111
	;; [unrolled: 9-line block ×3, first 2 shown]
	s_wait_alu 0xfffe
	s_delay_alu instid0(VALU_DEP_1) | instskip(SKIP_3) | instid1(VALU_DEP_1)
	v_fma_f64 v[65:66], v[63:64], v[65:66], s[0:1]
	s_mov_b32 s0, 11
	s_mov_b32 s1, 0x3fe00000
	s_wait_alu 0xfffe
	v_fma_f64 v[65:66], v[63:64], v[65:66], s[0:1]
	v_cmp_nlt_f64_e64 s0, 0x40900000, v[29:30]
	v_cmp_ngt_f64_e64 s1, 0xc090cc00, v[29:30]
	s_delay_alu instid0(VALU_DEP_3) | instskip(NEXT) | instid1(VALU_DEP_1)
	v_fma_f64 v[65:66], v[63:64], v[65:66], 1.0
	v_fma_f64 v[35:36], v[63:64], v[65:66], 1.0
	s_delay_alu instid0(VALU_DEP_1) | instskip(SKIP_1) | instid1(VALU_DEP_1)
	v_ldexp_f64 v[35:36], v[35:36], v0
	s_wait_alu 0xf1ff
	v_cndmask_b32_e64 v0, 0x7ff00000, v36, s0
	s_and_b32 s0, s1, s0
	s_wait_alu 0xfffe
	s_delay_alu instid0(VALU_DEP_2) | instskip(SKIP_3) | instid1(VALU_DEP_1)
	v_cndmask_b32_e64 v29, 0, v35, s0
	s_mov_b32 s0, 0x55555555
	v_cndmask_b32_e64 v30, 0, v0, s1
	s_mov_b32 s1, 0x3fe55555
	v_add_f64_e32 v[35:36], 1.0, v[29:30]
	v_cmp_ngt_f64_e64 s17, -1.0, v[29:30]
	s_delay_alu instid0(VALU_DEP_2) | instskip(SKIP_3) | instid1(VALU_DEP_3)
	v_frexp_mant_f64_e32 v[63:64], v[35:36]
	v_frexp_exp_i32_f64_e32 v0, v[35:36]
	v_add_f64_e32 v[65:66], -1.0, v[35:36]
	s_wait_alu 0xfffe
	v_cmp_gt_f64_e64 s0, s[0:1], v[63:64]
	s_delay_alu instid0(VALU_DEP_2) | instskip(SKIP_2) | instid1(VALU_DEP_3)
	v_add_f64_e64 v[63:64], v[65:66], -v[35:36]
	v_add_f64_e64 v[65:66], v[29:30], -v[65:66]
	s_wait_alu 0xf1ff
	v_subrev_co_ci_u32_e64 v0, null, 0, v0, s0
	s_delay_alu instid0(VALU_DEP_3) | instskip(SKIP_2) | instid1(VALU_DEP_2)
	v_add_f64_e32 v[63:64], 1.0, v[63:64]
	s_mov_b32 s0, 0x55555780
	s_wait_dscnt 0x1
	v_sub_nc_u32_e32 v69, 0, v0
	s_delay_alu instid0(VALU_DEP_1) | instskip(NEXT) | instid1(VALU_DEP_3)
	v_ldexp_f64 v[35:36], v[35:36], v69
	v_add_f64_e32 v[63:64], v[65:66], v[63:64]
	s_delay_alu instid0(VALU_DEP_2) | instskip(SKIP_1) | instid1(VALU_DEP_3)
	v_add_f64_e32 v[67:68], 1.0, v[35:36]
	v_add_f64_e32 v[73:74], -1.0, v[35:36]
	v_ldexp_f64 v[63:64], v[63:64], v69
	s_delay_alu instid0(VALU_DEP_3) | instskip(NEXT) | instid1(VALU_DEP_3)
	v_add_f64_e32 v[65:66], -1.0, v[67:68]
	v_add_f64_e32 v[75:76], 1.0, v[73:74]
	s_delay_alu instid0(VALU_DEP_2) | instskip(NEXT) | instid1(VALU_DEP_2)
	v_add_f64_e64 v[65:66], v[35:36], -v[65:66]
	v_add_f64_e64 v[35:36], v[35:36], -v[75:76]
	s_delay_alu instid0(VALU_DEP_2) | instskip(NEXT) | instid1(VALU_DEP_2)
	v_add_f64_e32 v[65:66], v[63:64], v[65:66]
	v_add_f64_e32 v[35:36], v[63:64], v[35:36]
	s_wait_dscnt 0x0
	s_delay_alu instid0(VALU_DEP_2) | instskip(NEXT) | instid1(VALU_DEP_2)
	v_add_f64_e32 v[69:70], v[67:68], v[65:66]
	v_add_f64_e32 v[75:76], v[73:74], v[35:36]
	s_delay_alu instid0(VALU_DEP_2) | instskip(SKIP_1) | instid1(VALU_DEP_2)
	v_rcp_f64_e32 v[71:72], v[69:70]
	v_add_f64_e64 v[67:68], v[69:70], -v[67:68]
	v_add_f64_e64 v[73:74], v[75:76], -v[73:74]
	s_delay_alu instid0(VALU_DEP_2) | instskip(NEXT) | instid1(TRANS32_DEP_1)
	v_add_f64_e64 v[65:66], v[65:66], -v[67:68]
	v_fma_f64 v[95:96], -v[69:70], v[71:72], 1.0
	s_delay_alu instid0(VALU_DEP_3) | instskip(NEXT) | instid1(VALU_DEP_2)
	v_add_f64_e64 v[35:36], v[35:36], -v[73:74]
	v_fma_f64 v[71:72], v[95:96], v[71:72], v[71:72]
	s_delay_alu instid0(VALU_DEP_1) | instskip(NEXT) | instid1(VALU_DEP_1)
	v_fma_f64 v[63:64], -v[69:70], v[71:72], 1.0
	v_fma_f64 v[63:64], v[63:64], v[71:72], v[71:72]
	s_delay_alu instid0(VALU_DEP_1) | instskip(NEXT) | instid1(VALU_DEP_1)
	v_mul_f64_e32 v[71:72], v[75:76], v[63:64]
	v_mul_f64_e32 v[95:96], v[69:70], v[71:72]
	s_delay_alu instid0(VALU_DEP_1) | instskip(NEXT) | instid1(VALU_DEP_1)
	v_fma_f64 v[67:68], v[71:72], v[69:70], -v[95:96]
	v_fma_f64 v[67:68], v[71:72], v[65:66], v[67:68]
	s_delay_alu instid0(VALU_DEP_1) | instskip(NEXT) | instid1(VALU_DEP_1)
	v_add_f64_e32 v[97:98], v[95:96], v[67:68]
	v_add_f64_e64 v[99:100], v[75:76], -v[97:98]
	v_add_f64_e64 v[73:74], v[97:98], -v[95:96]
	s_delay_alu instid0(VALU_DEP_2) | instskip(NEXT) | instid1(VALU_DEP_2)
	v_add_f64_e64 v[75:76], v[75:76], -v[99:100]
	v_add_f64_e64 v[67:68], v[73:74], -v[67:68]
	s_delay_alu instid0(VALU_DEP_2) | instskip(NEXT) | instid1(VALU_DEP_1)
	v_add_f64_e64 v[75:76], v[75:76], -v[97:98]
	v_add_f64_e32 v[35:36], v[35:36], v[75:76]
	s_delay_alu instid0(VALU_DEP_1) | instskip(NEXT) | instid1(VALU_DEP_1)
	v_add_f64_e32 v[35:36], v[67:68], v[35:36]
	v_add_f64_e32 v[67:68], v[99:100], v[35:36]
	s_delay_alu instid0(VALU_DEP_1) | instskip(SKIP_1) | instid1(VALU_DEP_2)
	v_mul_f64_e32 v[73:74], v[63:64], v[67:68]
	v_add_f64_e64 v[97:98], v[99:100], -v[67:68]
	v_mul_f64_e32 v[75:76], v[69:70], v[73:74]
	s_delay_alu instid0(VALU_DEP_2) | instskip(NEXT) | instid1(VALU_DEP_2)
	v_add_f64_e32 v[35:36], v[35:36], v[97:98]
	v_fma_f64 v[69:70], v[73:74], v[69:70], -v[75:76]
	s_delay_alu instid0(VALU_DEP_1) | instskip(NEXT) | instid1(VALU_DEP_1)
	v_fma_f64 v[65:66], v[73:74], v[65:66], v[69:70]
	v_add_f64_e32 v[69:70], v[75:76], v[65:66]
	s_delay_alu instid0(VALU_DEP_1) | instskip(SKIP_1) | instid1(VALU_DEP_2)
	v_add_f64_e64 v[95:96], v[67:68], -v[69:70]
	v_add_f64_e64 v[75:76], v[69:70], -v[75:76]
	;; [unrolled: 1-line block ×3, first 2 shown]
	s_delay_alu instid0(VALU_DEP_2) | instskip(NEXT) | instid1(VALU_DEP_2)
	v_add_f64_e64 v[65:66], v[75:76], -v[65:66]
	v_add_f64_e64 v[67:68], v[67:68], -v[69:70]
	s_delay_alu instid0(VALU_DEP_1) | instskip(SKIP_1) | instid1(VALU_DEP_2)
	v_add_f64_e32 v[35:36], v[35:36], v[67:68]
	v_add_f64_e32 v[67:68], v[71:72], v[73:74]
	v_add_f64_e32 v[35:36], v[65:66], v[35:36]
	s_delay_alu instid0(VALU_DEP_2) | instskip(NEXT) | instid1(VALU_DEP_2)
	v_add_f64_e64 v[65:66], v[67:68], -v[71:72]
	v_add_f64_e32 v[35:36], v[95:96], v[35:36]
	s_delay_alu instid0(VALU_DEP_2) | instskip(NEXT) | instid1(VALU_DEP_2)
	v_add_f64_e64 v[65:66], v[73:74], -v[65:66]
	v_mul_f64_e32 v[35:36], v[63:64], v[35:36]
	s_delay_alu instid0(VALU_DEP_1) | instskip(NEXT) | instid1(VALU_DEP_1)
	v_add_f64_e32 v[35:36], v[65:66], v[35:36]
	v_add_f64_e32 v[63:64], v[67:68], v[35:36]
	s_delay_alu instid0(VALU_DEP_1) | instskip(NEXT) | instid1(VALU_DEP_1)
	v_mul_f64_e32 v[65:66], v[63:64], v[63:64]
	v_fma_f64 v[69:70], v[65:66], s[42:43], s[40:41]
	s_mov_b32 s40, 0xd7f4df2e
	s_mov_b32 s41, 0x3fc7474d
	v_mul_f64_e32 v[71:72], v[63:64], v[65:66]
	s_wait_alu 0xfffe
	s_delay_alu instid0(VALU_DEP_2) | instskip(SKIP_3) | instid1(VALU_DEP_1)
	v_fma_f64 v[69:70], v[65:66], v[69:70], s[40:41]
	s_mov_b32 s40, 0x16291751
	s_mov_b32 s41, 0x3fcc71c0
	s_wait_alu 0xfffe
	v_fma_f64 v[69:70], v[65:66], v[69:70], s[40:41]
	s_mov_b32 s40, 0x9b27acf1
	s_mov_b32 s41, 0x3fd24924
	s_wait_alu 0xfffe
	s_delay_alu instid0(VALU_DEP_1) | instskip(SKIP_3) | instid1(VALU_DEP_1)
	v_fma_f64 v[69:70], v[65:66], v[69:70], s[40:41]
	s_mov_b32 s40, 0x998ef7b6
	s_mov_b32 s41, 0x3fd99999
	s_wait_alu 0xfffe
	v_fma_f64 v[69:70], v[65:66], v[69:70], s[40:41]
	s_delay_alu instid0(VALU_DEP_1)
	v_fma_f64 v[65:66], v[65:66], v[69:70], s[0:1]
	v_ldexp_f64 v[69:70], v[63:64], 1
	v_add_f64_e64 v[63:64], v[63:64], -v[67:68]
	v_cmp_nge_f64_e64 s0, -1.0, v[29:30]
	v_cmp_neq_f64_e64 s1, 0x7ff00000, v[29:30]
	v_mul_f64_e32 v[65:66], v[71:72], v[65:66]
	v_cvt_f64_i32_e32 v[71:72], v0
	v_add_f64_e64 v[35:36], v[35:36], -v[63:64]
	s_and_b32 s0, s0, s1
	s_delay_alu instid0(VALU_DEP_3) | instskip(NEXT) | instid1(VALU_DEP_3)
	v_add_f64_e32 v[67:68], v[69:70], v[65:66]
	v_mul_f64_e32 v[73:74], s[34:35], v[71:72]
	s_delay_alu instid0(VALU_DEP_3) | instskip(NEXT) | instid1(VALU_DEP_3)
	v_ldexp_f64 v[35:36], v[35:36], 1
	v_add_f64_e64 v[63:64], v[67:68], -v[69:70]
	s_delay_alu instid0(VALU_DEP_3) | instskip(NEXT) | instid1(VALU_DEP_2)
	v_fma_f64 v[69:70], v[71:72], s[34:35], -v[73:74]
	v_add_f64_e64 v[63:64], v[65:66], -v[63:64]
	s_delay_alu instid0(VALU_DEP_2) | instskip(NEXT) | instid1(VALU_DEP_2)
	v_fma_f64 v[65:66], v[71:72], s[38:39], v[69:70]
	v_add_f64_e32 v[35:36], v[35:36], v[63:64]
	s_delay_alu instid0(VALU_DEP_2) | instskip(NEXT) | instid1(VALU_DEP_2)
	v_add_f64_e32 v[63:64], v[73:74], v[65:66]
	v_add_f64_e32 v[69:70], v[67:68], v[35:36]
	s_delay_alu instid0(VALU_DEP_2) | instskip(NEXT) | instid1(VALU_DEP_2)
	v_add_f64_e64 v[73:74], v[63:64], -v[73:74]
	v_add_f64_e32 v[71:72], v[63:64], v[69:70]
	v_add_f64_e64 v[67:68], v[69:70], -v[67:68]
	s_delay_alu instid0(VALU_DEP_3) | instskip(NEXT) | instid1(VALU_DEP_3)
	v_add_f64_e64 v[65:66], v[65:66], -v[73:74]
	v_add_f64_e64 v[75:76], v[71:72], -v[63:64]
	s_delay_alu instid0(VALU_DEP_3) | instskip(NEXT) | instid1(VALU_DEP_2)
	v_add_f64_e64 v[35:36], v[35:36], -v[67:68]
	v_add_f64_e64 v[95:96], v[71:72], -v[75:76]
	v_add_f64_e64 v[67:68], v[69:70], -v[75:76]
	s_delay_alu instid0(VALU_DEP_3) | instskip(NEXT) | instid1(VALU_DEP_3)
	v_add_f64_e32 v[69:70], v[65:66], v[35:36]
	v_add_f64_e64 v[63:64], v[63:64], -v[95:96]
	s_delay_alu instid0(VALU_DEP_1) | instskip(NEXT) | instid1(VALU_DEP_3)
	v_add_f64_e32 v[63:64], v[67:68], v[63:64]
	v_add_f64_e64 v[67:68], v[69:70], -v[65:66]
	s_delay_alu instid0(VALU_DEP_2) | instskip(NEXT) | instid1(VALU_DEP_2)
	v_add_f64_e32 v[63:64], v[69:70], v[63:64]
	v_add_f64_e64 v[69:70], v[69:70], -v[67:68]
	v_add_f64_e64 v[35:36], v[35:36], -v[67:68]
	s_delay_alu instid0(VALU_DEP_3) | instskip(NEXT) | instid1(VALU_DEP_3)
	v_add_f64_e32 v[73:74], v[71:72], v[63:64]
	v_add_f64_e64 v[65:66], v[65:66], -v[69:70]
	s_delay_alu instid0(VALU_DEP_2) | instskip(NEXT) | instid1(VALU_DEP_2)
	v_add_f64_e64 v[67:68], v[73:74], -v[71:72]
	v_add_f64_e32 v[35:36], v[35:36], v[65:66]
	s_delay_alu instid0(VALU_DEP_2) | instskip(NEXT) | instid1(VALU_DEP_1)
	v_add_f64_e64 v[63:64], v[63:64], -v[67:68]
	v_add_f64_e32 v[35:36], v[35:36], v[63:64]
	s_delay_alu instid0(VALU_DEP_1) | instskip(SKIP_1) | instid1(VALU_DEP_1)
	v_add_f64_e32 v[35:36], v[73:74], v[35:36]
	s_wait_alu 0xfffe
	v_cndmask_b32_e64 v35, 0, v35, s0
	v_cmp_neq_f64_e64 s0, -1.0, v[29:30]
	s_delay_alu instid0(VALU_DEP_3) | instskip(NEXT) | instid1(VALU_DEP_1)
	v_cndmask_b32_e64 v0, 0x7ff00000, v36, s1
	v_cndmask_b32_e64 v0, 0x7ff80000, v0, s17
	s_wait_alu 0xf1ff
	s_delay_alu instid0(VALU_DEP_1) | instskip(NEXT) | instid1(VALU_DEP_1)
	v_cndmask_b32_e64 v36, 0xfff00000, v0, s0
	v_add_f64_e32 v[29:30], v[33:34], v[35:36]
.LBB61_110:
	s_wait_alu 0xfffe
	s_or_b32 exec_lo, exec_lo, s18
	s_delay_alu instid0(VALU_DEP_1) | instskip(SKIP_1) | instid1(VALU_DEP_2)
	v_max_num_f64_e32 v[33:34], v[29:30], v[29:30]
	v_cmp_u_f64_e64 s0, v[29:30], v[29:30]
	v_min_num_f64_e32 v[35:36], v[33:34], v[37:38]
	v_max_num_f64_e32 v[33:34], v[33:34], v[37:38]
	s_wait_alu 0xf1ff
	s_delay_alu instid0(VALU_DEP_2) | instskip(NEXT) | instid1(VALU_DEP_3)
	v_cndmask_b32_e64 v0, v35, v29, s0
	v_cndmask_b32_e64 v35, v36, v30, s0
	s_delay_alu instid0(VALU_DEP_3) | instskip(NEXT) | instid1(VALU_DEP_4)
	v_cndmask_b32_e64 v34, v34, v30, s0
	v_cndmask_b32_e64 v33, v33, v29, s0
	s_delay_alu instid0(VALU_DEP_3) | instskip(SKIP_1) | instid1(VALU_DEP_4)
	v_cndmask_b32_e64 v36, v35, v32, s19
	v_cndmask_b32_e64 v35, v0, v31, s19
	;; [unrolled: 1-line block ×3, first 2 shown]
	s_delay_alu instid0(VALU_DEP_4) | instskip(SKIP_1) | instid1(VALU_DEP_4)
	v_cndmask_b32_e64 v33, v33, v31, s19
	v_dual_mov_b32 v32, v30 :: v_dual_mov_b32 v31, v29
	v_cmp_class_f64_e64 s1, v[35:36], 0x1f8
	s_delay_alu instid0(VALU_DEP_3)
	v_cmp_neq_f64_e64 s0, v[35:36], v[33:34]
	s_or_b32 s0, s0, s1
	s_wait_alu 0xfffe
	s_and_saveexec_b32 s33, s0
	s_cbranch_execz .LBB61_112
; %bb.111:
	v_add_f64_e64 v[31:32], v[35:36], -v[33:34]
	s_mov_b32 s0, 0x652b82fe
	s_mov_b32 s1, 0x3ff71547
	;; [unrolled: 1-line block ×10, first 2 shown]
	s_wait_alu 0xfffe
	s_delay_alu instid0(VALU_DEP_1) | instskip(SKIP_2) | instid1(VALU_DEP_1)
	v_mul_f64_e32 v[35:36], s[0:1], v[31:32]
	s_mov_b32 s0, 0xfca7ab0c
	s_mov_b32 s1, 0x3e928af3
	v_rndne_f64_e32 v[35:36], v[35:36]
	s_delay_alu instid0(VALU_DEP_1) | instskip(SKIP_2) | instid1(VALU_DEP_2)
	v_fma_f64 v[37:38], v[35:36], s[18:19], v[31:32]
	v_cvt_i32_f64_e32 v0, v[35:36]
	s_mov_b32 s19, 0x3fe62e42
	v_fma_f64 v[37:38], v[35:36], s[34:35], v[37:38]
	s_mov_b32 s35, 0x3c7abc9e
	s_wait_alu 0xfffe
	s_delay_alu instid0(VALU_DEP_1)
	v_fma_f64 v[63:64], v[37:38], s[38:39], s[0:1]
	s_mov_b32 s0, 0x623fde64
	s_mov_b32 s1, 0x3ec71dee
	;; [unrolled: 1-line block ×4, first 2 shown]
	s_wait_alu 0xfffe
	s_delay_alu instid0(VALU_DEP_1) | instskip(SKIP_3) | instid1(VALU_DEP_1)
	v_fma_f64 v[63:64], v[37:38], v[63:64], s[0:1]
	s_mov_b32 s0, 0x7c89e6b0
	s_mov_b32 s1, 0x3efa0199
	s_wait_alu 0xfffe
	v_fma_f64 v[63:64], v[37:38], v[63:64], s[0:1]
	s_mov_b32 s0, 0x14761f6e
	s_mov_b32 s1, 0x3f2a01a0
	s_wait_alu 0xfffe
	s_delay_alu instid0(VALU_DEP_1) | instskip(SKIP_3) | instid1(VALU_DEP_1)
	v_fma_f64 v[63:64], v[37:38], v[63:64], s[0:1]
	s_mov_b32 s0, 0x1852b7b0
	s_mov_b32 s1, 0x3f56c16c
	s_wait_alu 0xfffe
	v_fma_f64 v[63:64], v[37:38], v[63:64], s[0:1]
	s_mov_b32 s0, 0x11122322
	s_mov_b32 s1, 0x3f811111
	;; [unrolled: 9-line block ×3, first 2 shown]
	s_wait_alu 0xfffe
	s_delay_alu instid0(VALU_DEP_1) | instskip(SKIP_3) | instid1(VALU_DEP_1)
	v_fma_f64 v[63:64], v[37:38], v[63:64], s[0:1]
	s_mov_b32 s0, 11
	s_mov_b32 s1, 0x3fe00000
	s_wait_alu 0xfffe
	v_fma_f64 v[63:64], v[37:38], v[63:64], s[0:1]
	v_cmp_nlt_f64_e64 s0, 0x40900000, v[31:32]
	v_cmp_ngt_f64_e64 s1, 0xc090cc00, v[31:32]
	s_delay_alu instid0(VALU_DEP_3) | instskip(NEXT) | instid1(VALU_DEP_1)
	v_fma_f64 v[63:64], v[37:38], v[63:64], 1.0
	v_fma_f64 v[35:36], v[37:38], v[63:64], 1.0
	s_delay_alu instid0(VALU_DEP_1) | instskip(SKIP_1) | instid1(VALU_DEP_1)
	v_ldexp_f64 v[35:36], v[35:36], v0
	s_wait_alu 0xf1ff
	v_cndmask_b32_e64 v0, 0x7ff00000, v36, s0
	s_and_b32 s0, s1, s0
	s_wait_alu 0xfffe
	s_delay_alu instid0(VALU_DEP_2) | instskip(SKIP_3) | instid1(VALU_DEP_1)
	v_cndmask_b32_e64 v31, 0, v35, s0
	s_mov_b32 s0, 0x55555555
	v_cndmask_b32_e64 v32, 0, v0, s1
	s_mov_b32 s1, 0x3fe55555
	v_add_f64_e32 v[35:36], 1.0, v[31:32]
	v_cmp_ngt_f64_e64 s17, -1.0, v[31:32]
	s_delay_alu instid0(VALU_DEP_2) | instskip(SKIP_3) | instid1(VALU_DEP_3)
	v_frexp_mant_f64_e32 v[37:38], v[35:36]
	v_frexp_exp_i32_f64_e32 v0, v[35:36]
	v_add_f64_e32 v[63:64], -1.0, v[35:36]
	s_wait_alu 0xfffe
	v_cmp_gt_f64_e64 s0, s[0:1], v[37:38]
	s_delay_alu instid0(VALU_DEP_2) | instskip(SKIP_2) | instid1(VALU_DEP_3)
	v_add_f64_e64 v[37:38], v[63:64], -v[35:36]
	v_add_f64_e64 v[63:64], v[31:32], -v[63:64]
	s_wait_alu 0xf1ff
	v_subrev_co_ci_u32_e64 v0, null, 0, v0, s0
	s_delay_alu instid0(VALU_DEP_3) | instskip(SKIP_1) | instid1(VALU_DEP_2)
	v_add_f64_e32 v[37:38], 1.0, v[37:38]
	s_mov_b32 s0, 0x55555780
	v_sub_nc_u32_e32 v67, 0, v0
	s_delay_alu instid0(VALU_DEP_1) | instskip(NEXT) | instid1(VALU_DEP_3)
	v_ldexp_f64 v[35:36], v[35:36], v67
	v_add_f64_e32 v[37:38], v[63:64], v[37:38]
	s_delay_alu instid0(VALU_DEP_2) | instskip(SKIP_1) | instid1(VALU_DEP_3)
	v_add_f64_e32 v[65:66], 1.0, v[35:36]
	v_add_f64_e32 v[71:72], -1.0, v[35:36]
	v_ldexp_f64 v[37:38], v[37:38], v67
	s_delay_alu instid0(VALU_DEP_3) | instskip(NEXT) | instid1(VALU_DEP_3)
	v_add_f64_e32 v[63:64], -1.0, v[65:66]
	v_add_f64_e32 v[73:74], 1.0, v[71:72]
	s_delay_alu instid0(VALU_DEP_2) | instskip(NEXT) | instid1(VALU_DEP_2)
	v_add_f64_e64 v[63:64], v[35:36], -v[63:64]
	v_add_f64_e64 v[35:36], v[35:36], -v[73:74]
	s_delay_alu instid0(VALU_DEP_2) | instskip(NEXT) | instid1(VALU_DEP_2)
	v_add_f64_e32 v[63:64], v[37:38], v[63:64]
	v_add_f64_e32 v[35:36], v[37:38], v[35:36]
	s_delay_alu instid0(VALU_DEP_2) | instskip(NEXT) | instid1(VALU_DEP_2)
	v_add_f64_e32 v[67:68], v[65:66], v[63:64]
	v_add_f64_e32 v[73:74], v[71:72], v[35:36]
	s_wait_dscnt 0x0
	s_delay_alu instid0(VALU_DEP_2) | instskip(SKIP_1) | instid1(VALU_DEP_2)
	v_rcp_f64_e32 v[69:70], v[67:68]
	v_add_f64_e64 v[65:66], v[67:68], -v[65:66]
	v_add_f64_e64 v[71:72], v[73:74], -v[71:72]
	s_delay_alu instid0(VALU_DEP_2) | instskip(NEXT) | instid1(TRANS32_DEP_1)
	v_add_f64_e64 v[63:64], v[63:64], -v[65:66]
	v_fma_f64 v[75:76], -v[67:68], v[69:70], 1.0
	s_delay_alu instid0(VALU_DEP_3) | instskip(NEXT) | instid1(VALU_DEP_2)
	v_add_f64_e64 v[35:36], v[35:36], -v[71:72]
	v_fma_f64 v[69:70], v[75:76], v[69:70], v[69:70]
	s_delay_alu instid0(VALU_DEP_1) | instskip(NEXT) | instid1(VALU_DEP_1)
	v_fma_f64 v[37:38], -v[67:68], v[69:70], 1.0
	v_fma_f64 v[37:38], v[37:38], v[69:70], v[69:70]
	s_delay_alu instid0(VALU_DEP_1) | instskip(NEXT) | instid1(VALU_DEP_1)
	v_mul_f64_e32 v[69:70], v[73:74], v[37:38]
	v_mul_f64_e32 v[75:76], v[67:68], v[69:70]
	s_delay_alu instid0(VALU_DEP_1) | instskip(NEXT) | instid1(VALU_DEP_1)
	v_fma_f64 v[65:66], v[69:70], v[67:68], -v[75:76]
	v_fma_f64 v[65:66], v[69:70], v[63:64], v[65:66]
	s_delay_alu instid0(VALU_DEP_1) | instskip(NEXT) | instid1(VALU_DEP_1)
	v_add_f64_e32 v[95:96], v[75:76], v[65:66]
	v_add_f64_e64 v[97:98], v[73:74], -v[95:96]
	v_add_f64_e64 v[71:72], v[95:96], -v[75:76]
	s_delay_alu instid0(VALU_DEP_2) | instskip(NEXT) | instid1(VALU_DEP_2)
	v_add_f64_e64 v[73:74], v[73:74], -v[97:98]
	v_add_f64_e64 v[65:66], v[71:72], -v[65:66]
	s_delay_alu instid0(VALU_DEP_2) | instskip(NEXT) | instid1(VALU_DEP_1)
	v_add_f64_e64 v[73:74], v[73:74], -v[95:96]
	v_add_f64_e32 v[35:36], v[35:36], v[73:74]
	s_delay_alu instid0(VALU_DEP_1) | instskip(NEXT) | instid1(VALU_DEP_1)
	v_add_f64_e32 v[35:36], v[65:66], v[35:36]
	v_add_f64_e32 v[65:66], v[97:98], v[35:36]
	s_delay_alu instid0(VALU_DEP_1) | instskip(SKIP_1) | instid1(VALU_DEP_2)
	v_mul_f64_e32 v[71:72], v[37:38], v[65:66]
	v_add_f64_e64 v[95:96], v[97:98], -v[65:66]
	v_mul_f64_e32 v[73:74], v[67:68], v[71:72]
	s_delay_alu instid0(VALU_DEP_2) | instskip(NEXT) | instid1(VALU_DEP_2)
	v_add_f64_e32 v[35:36], v[35:36], v[95:96]
	v_fma_f64 v[67:68], v[71:72], v[67:68], -v[73:74]
	s_delay_alu instid0(VALU_DEP_1) | instskip(NEXT) | instid1(VALU_DEP_1)
	v_fma_f64 v[63:64], v[71:72], v[63:64], v[67:68]
	v_add_f64_e32 v[67:68], v[73:74], v[63:64]
	s_delay_alu instid0(VALU_DEP_1) | instskip(SKIP_1) | instid1(VALU_DEP_2)
	v_add_f64_e64 v[75:76], v[65:66], -v[67:68]
	v_add_f64_e64 v[73:74], v[67:68], -v[73:74]
	;; [unrolled: 1-line block ×3, first 2 shown]
	s_delay_alu instid0(VALU_DEP_2) | instskip(NEXT) | instid1(VALU_DEP_2)
	v_add_f64_e64 v[63:64], v[73:74], -v[63:64]
	v_add_f64_e64 v[65:66], v[65:66], -v[67:68]
	s_delay_alu instid0(VALU_DEP_1) | instskip(SKIP_1) | instid1(VALU_DEP_2)
	v_add_f64_e32 v[35:36], v[35:36], v[65:66]
	v_add_f64_e32 v[65:66], v[69:70], v[71:72]
	;; [unrolled: 1-line block ×3, first 2 shown]
	s_delay_alu instid0(VALU_DEP_2) | instskip(NEXT) | instid1(VALU_DEP_2)
	v_add_f64_e64 v[63:64], v[65:66], -v[69:70]
	v_add_f64_e32 v[35:36], v[75:76], v[35:36]
	s_delay_alu instid0(VALU_DEP_2) | instskip(NEXT) | instid1(VALU_DEP_2)
	v_add_f64_e64 v[63:64], v[71:72], -v[63:64]
	v_mul_f64_e32 v[35:36], v[37:38], v[35:36]
	s_delay_alu instid0(VALU_DEP_1) | instskip(NEXT) | instid1(VALU_DEP_1)
	v_add_f64_e32 v[35:36], v[63:64], v[35:36]
	v_add_f64_e32 v[37:38], v[65:66], v[35:36]
	s_delay_alu instid0(VALU_DEP_1) | instskip(NEXT) | instid1(VALU_DEP_1)
	v_mul_f64_e32 v[63:64], v[37:38], v[37:38]
	v_fma_f64 v[67:68], v[63:64], s[40:41], s[38:39]
	s_mov_b32 s38, 0xd7f4df2e
	s_mov_b32 s39, 0x3fc7474d
	v_mul_f64_e32 v[69:70], v[37:38], v[63:64]
	s_wait_alu 0xfffe
	s_delay_alu instid0(VALU_DEP_2) | instskip(SKIP_3) | instid1(VALU_DEP_1)
	v_fma_f64 v[67:68], v[63:64], v[67:68], s[38:39]
	s_mov_b32 s38, 0x16291751
	s_mov_b32 s39, 0x3fcc71c0
	s_wait_alu 0xfffe
	v_fma_f64 v[67:68], v[63:64], v[67:68], s[38:39]
	s_mov_b32 s38, 0x9b27acf1
	s_mov_b32 s39, 0x3fd24924
	s_wait_alu 0xfffe
	s_delay_alu instid0(VALU_DEP_1) | instskip(SKIP_3) | instid1(VALU_DEP_1)
	v_fma_f64 v[67:68], v[63:64], v[67:68], s[38:39]
	s_mov_b32 s38, 0x998ef7b6
	s_mov_b32 s39, 0x3fd99999
	s_wait_alu 0xfffe
	v_fma_f64 v[67:68], v[63:64], v[67:68], s[38:39]
	s_delay_alu instid0(VALU_DEP_1)
	v_fma_f64 v[63:64], v[63:64], v[67:68], s[0:1]
	v_ldexp_f64 v[67:68], v[37:38], 1
	v_add_f64_e64 v[37:38], v[37:38], -v[65:66]
	v_cmp_nge_f64_e64 s0, -1.0, v[31:32]
	v_cmp_neq_f64_e64 s1, 0x7ff00000, v[31:32]
	v_mul_f64_e32 v[63:64], v[69:70], v[63:64]
	v_cvt_f64_i32_e32 v[69:70], v0
	v_add_f64_e64 v[35:36], v[35:36], -v[37:38]
	s_and_b32 s0, s0, s1
	s_delay_alu instid0(VALU_DEP_3) | instskip(NEXT) | instid1(VALU_DEP_3)
	v_add_f64_e32 v[65:66], v[67:68], v[63:64]
	v_mul_f64_e32 v[71:72], s[18:19], v[69:70]
	s_delay_alu instid0(VALU_DEP_3) | instskip(NEXT) | instid1(VALU_DEP_3)
	v_ldexp_f64 v[35:36], v[35:36], 1
	v_add_f64_e64 v[37:38], v[65:66], -v[67:68]
	s_delay_alu instid0(VALU_DEP_3) | instskip(NEXT) | instid1(VALU_DEP_2)
	v_fma_f64 v[67:68], v[69:70], s[18:19], -v[71:72]
	v_add_f64_e64 v[37:38], v[63:64], -v[37:38]
	s_delay_alu instid0(VALU_DEP_2) | instskip(NEXT) | instid1(VALU_DEP_2)
	v_fma_f64 v[63:64], v[69:70], s[34:35], v[67:68]
	v_add_f64_e32 v[35:36], v[35:36], v[37:38]
	s_delay_alu instid0(VALU_DEP_2) | instskip(NEXT) | instid1(VALU_DEP_2)
	v_add_f64_e32 v[37:38], v[71:72], v[63:64]
	v_add_f64_e32 v[67:68], v[65:66], v[35:36]
	s_delay_alu instid0(VALU_DEP_2) | instskip(NEXT) | instid1(VALU_DEP_2)
	v_add_f64_e64 v[71:72], v[37:38], -v[71:72]
	v_add_f64_e32 v[69:70], v[37:38], v[67:68]
	v_add_f64_e64 v[65:66], v[67:68], -v[65:66]
	s_delay_alu instid0(VALU_DEP_3) | instskip(NEXT) | instid1(VALU_DEP_3)
	v_add_f64_e64 v[63:64], v[63:64], -v[71:72]
	v_add_f64_e64 v[73:74], v[69:70], -v[37:38]
	s_delay_alu instid0(VALU_DEP_3) | instskip(NEXT) | instid1(VALU_DEP_2)
	v_add_f64_e64 v[35:36], v[35:36], -v[65:66]
	v_add_f64_e64 v[75:76], v[69:70], -v[73:74]
	;; [unrolled: 1-line block ×3, first 2 shown]
	s_delay_alu instid0(VALU_DEP_3) | instskip(NEXT) | instid1(VALU_DEP_3)
	v_add_f64_e32 v[67:68], v[63:64], v[35:36]
	v_add_f64_e64 v[37:38], v[37:38], -v[75:76]
	s_delay_alu instid0(VALU_DEP_1) | instskip(NEXT) | instid1(VALU_DEP_3)
	v_add_f64_e32 v[37:38], v[65:66], v[37:38]
	v_add_f64_e64 v[65:66], v[67:68], -v[63:64]
	s_delay_alu instid0(VALU_DEP_2) | instskip(NEXT) | instid1(VALU_DEP_2)
	v_add_f64_e32 v[37:38], v[67:68], v[37:38]
	v_add_f64_e64 v[67:68], v[67:68], -v[65:66]
	v_add_f64_e64 v[35:36], v[35:36], -v[65:66]
	s_delay_alu instid0(VALU_DEP_3) | instskip(NEXT) | instid1(VALU_DEP_3)
	v_add_f64_e32 v[71:72], v[69:70], v[37:38]
	v_add_f64_e64 v[63:64], v[63:64], -v[67:68]
	s_delay_alu instid0(VALU_DEP_2) | instskip(NEXT) | instid1(VALU_DEP_2)
	v_add_f64_e64 v[65:66], v[71:72], -v[69:70]
	v_add_f64_e32 v[35:36], v[35:36], v[63:64]
	s_delay_alu instid0(VALU_DEP_2) | instskip(NEXT) | instid1(VALU_DEP_1)
	v_add_f64_e64 v[37:38], v[37:38], -v[65:66]
	v_add_f64_e32 v[35:36], v[35:36], v[37:38]
	s_delay_alu instid0(VALU_DEP_1) | instskip(SKIP_1) | instid1(VALU_DEP_1)
	v_add_f64_e32 v[35:36], v[71:72], v[35:36]
	s_wait_alu 0xfffe
	v_cndmask_b32_e64 v35, 0, v35, s0
	v_cmp_neq_f64_e64 s0, -1.0, v[31:32]
	s_delay_alu instid0(VALU_DEP_3) | instskip(NEXT) | instid1(VALU_DEP_1)
	v_cndmask_b32_e64 v0, 0x7ff00000, v36, s1
	v_cndmask_b32_e64 v0, 0x7ff80000, v0, s17
	s_wait_alu 0xf1ff
	s_delay_alu instid0(VALU_DEP_1) | instskip(NEXT) | instid1(VALU_DEP_1)
	v_cndmask_b32_e64 v36, 0xfff00000, v0, s0
	v_add_f64_e32 v[31:32], v[33:34], v[35:36]
.LBB61_112:
	s_wait_alu 0xfffe
	s_or_b32 exec_lo, exec_lo, s33
	s_delay_alu instid0(VALU_DEP_1) | instskip(SKIP_1) | instid1(VALU_DEP_2)
	v_max_num_f64_e32 v[33:34], v[31:32], v[31:32]
	v_cmp_u_f64_e64 s0, v[31:32], v[31:32]
	v_min_num_f64_e32 v[35:36], v[33:34], v[39:40]
	v_max_num_f64_e32 v[33:34], v[33:34], v[39:40]
	s_wait_alu 0xf1ff
	s_delay_alu instid0(VALU_DEP_2) | instskip(NEXT) | instid1(VALU_DEP_3)
	v_cndmask_b32_e64 v0, v35, v31, s0
	v_cndmask_b32_e64 v35, v36, v32, s0
	s_delay_alu instid0(VALU_DEP_3) | instskip(NEXT) | instid1(VALU_DEP_4)
	v_cndmask_b32_e64 v34, v34, v32, s0
	v_cndmask_b32_e64 v33, v33, v31, s0
	s_delay_alu instid0(VALU_DEP_3) | instskip(SKIP_1) | instid1(VALU_DEP_4)
	v_cndmask_b32_e64 v36, v35, v26, s20
	v_cndmask_b32_e64 v35, v0, v25, s20
	;; [unrolled: 1-line block ×3, first 2 shown]
	s_delay_alu instid0(VALU_DEP_4) | instskip(SKIP_1) | instid1(VALU_DEP_4)
	v_cndmask_b32_e64 v33, v33, v25, s20
	v_dual_mov_b32 v25, v31 :: v_dual_mov_b32 v26, v32
	v_cmp_class_f64_e64 s1, v[35:36], 0x1f8
	s_delay_alu instid0(VALU_DEP_3)
	v_cmp_neq_f64_e64 s0, v[35:36], v[33:34]
	s_or_b32 s0, s0, s1
	s_wait_alu 0xfffe
	s_and_saveexec_b32 s20, s0
	s_cbranch_execz .LBB61_114
; %bb.113:
	v_add_f64_e64 v[25:26], v[35:36], -v[33:34]
	s_mov_b32 s0, 0x652b82fe
	s_mov_b32 s1, 0x3ff71547
	;; [unrolled: 1-line block ×10, first 2 shown]
	s_wait_alu 0xfffe
	s_delay_alu instid0(VALU_DEP_1) | instskip(SKIP_2) | instid1(VALU_DEP_1)
	v_mul_f64_e32 v[35:36], s[0:1], v[25:26]
	s_mov_b32 s0, 0xfca7ab0c
	s_mov_b32 s1, 0x3e928af3
	v_rndne_f64_e32 v[35:36], v[35:36]
	s_delay_alu instid0(VALU_DEP_1) | instskip(SKIP_2) | instid1(VALU_DEP_2)
	v_fma_f64 v[37:38], v[35:36], s[18:19], v[25:26]
	v_cvt_i32_f64_e32 v0, v[35:36]
	s_mov_b32 s19, 0x3fe62e42
	v_fma_f64 v[37:38], v[35:36], s[34:35], v[37:38]
	s_mov_b32 s35, 0x3c7abc9e
	s_wait_alu 0xfffe
	s_delay_alu instid0(VALU_DEP_1)
	v_fma_f64 v[39:40], v[37:38], s[38:39], s[0:1]
	s_mov_b32 s0, 0x623fde64
	s_mov_b32 s1, 0x3ec71dee
	;; [unrolled: 1-line block ×4, first 2 shown]
	s_wait_alu 0xfffe
	s_delay_alu instid0(VALU_DEP_1) | instskip(SKIP_3) | instid1(VALU_DEP_1)
	v_fma_f64 v[39:40], v[37:38], v[39:40], s[0:1]
	s_mov_b32 s0, 0x7c89e6b0
	s_mov_b32 s1, 0x3efa0199
	s_wait_alu 0xfffe
	v_fma_f64 v[39:40], v[37:38], v[39:40], s[0:1]
	s_mov_b32 s0, 0x14761f6e
	s_mov_b32 s1, 0x3f2a01a0
	s_wait_alu 0xfffe
	s_delay_alu instid0(VALU_DEP_1) | instskip(SKIP_3) | instid1(VALU_DEP_1)
	v_fma_f64 v[39:40], v[37:38], v[39:40], s[0:1]
	s_mov_b32 s0, 0x1852b7b0
	s_mov_b32 s1, 0x3f56c16c
	s_wait_alu 0xfffe
	v_fma_f64 v[39:40], v[37:38], v[39:40], s[0:1]
	s_mov_b32 s0, 0x11122322
	s_mov_b32 s1, 0x3f811111
	;; [unrolled: 9-line block ×3, first 2 shown]
	s_wait_alu 0xfffe
	s_delay_alu instid0(VALU_DEP_1) | instskip(SKIP_3) | instid1(VALU_DEP_1)
	v_fma_f64 v[39:40], v[37:38], v[39:40], s[0:1]
	s_mov_b32 s0, 11
	s_mov_b32 s1, 0x3fe00000
	s_wait_alu 0xfffe
	v_fma_f64 v[39:40], v[37:38], v[39:40], s[0:1]
	v_cmp_nlt_f64_e64 s0, 0x40900000, v[25:26]
	v_cmp_ngt_f64_e64 s1, 0xc090cc00, v[25:26]
	s_delay_alu instid0(VALU_DEP_3) | instskip(NEXT) | instid1(VALU_DEP_1)
	v_fma_f64 v[39:40], v[37:38], v[39:40], 1.0
	v_fma_f64 v[35:36], v[37:38], v[39:40], 1.0
	s_delay_alu instid0(VALU_DEP_1) | instskip(SKIP_1) | instid1(VALU_DEP_1)
	v_ldexp_f64 v[35:36], v[35:36], v0
	s_wait_alu 0xf1ff
	v_cndmask_b32_e64 v0, 0x7ff00000, v36, s0
	s_and_b32 s0, s1, s0
	s_wait_alu 0xfffe
	s_delay_alu instid0(VALU_DEP_2) | instskip(SKIP_3) | instid1(VALU_DEP_1)
	v_cndmask_b32_e64 v25, 0, v35, s0
	s_mov_b32 s0, 0x55555555
	v_cndmask_b32_e64 v26, 0, v0, s1
	s_mov_b32 s1, 0x3fe55555
	v_add_f64_e32 v[35:36], 1.0, v[25:26]
	v_cmp_ngt_f64_e64 s17, -1.0, v[25:26]
	s_delay_alu instid0(VALU_DEP_2) | instskip(SKIP_3) | instid1(VALU_DEP_3)
	v_frexp_mant_f64_e32 v[37:38], v[35:36]
	v_frexp_exp_i32_f64_e32 v0, v[35:36]
	v_add_f64_e32 v[39:40], -1.0, v[35:36]
	s_wait_alu 0xfffe
	v_cmp_gt_f64_e64 s0, s[0:1], v[37:38]
	s_delay_alu instid0(VALU_DEP_2) | instskip(SKIP_2) | instid1(VALU_DEP_3)
	v_add_f64_e64 v[37:38], v[39:40], -v[35:36]
	v_add_f64_e64 v[39:40], v[25:26], -v[39:40]
	s_wait_alu 0xf1ff
	v_subrev_co_ci_u32_e64 v0, null, 0, v0, s0
	s_delay_alu instid0(VALU_DEP_3) | instskip(SKIP_1) | instid1(VALU_DEP_2)
	v_add_f64_e32 v[37:38], 1.0, v[37:38]
	s_mov_b32 s0, 0x55555780
	v_sub_nc_u32_e32 v65, 0, v0
	s_delay_alu instid0(VALU_DEP_1) | instskip(NEXT) | instid1(VALU_DEP_3)
	v_ldexp_f64 v[35:36], v[35:36], v65
	v_add_f64_e32 v[37:38], v[39:40], v[37:38]
	s_delay_alu instid0(VALU_DEP_2) | instskip(SKIP_2) | instid1(VALU_DEP_3)
	v_add_f64_e32 v[63:64], 1.0, v[35:36]
	s_wait_dscnt 0x0
	v_add_f64_e32 v[69:70], -1.0, v[35:36]
	v_ldexp_f64 v[37:38], v[37:38], v65
	s_delay_alu instid0(VALU_DEP_3) | instskip(NEXT) | instid1(VALU_DEP_3)
	v_add_f64_e32 v[39:40], -1.0, v[63:64]
	v_add_f64_e32 v[71:72], 1.0, v[69:70]
	s_delay_alu instid0(VALU_DEP_2) | instskip(NEXT) | instid1(VALU_DEP_2)
	v_add_f64_e64 v[39:40], v[35:36], -v[39:40]
	v_add_f64_e64 v[35:36], v[35:36], -v[71:72]
	s_delay_alu instid0(VALU_DEP_2) | instskip(NEXT) | instid1(VALU_DEP_2)
	v_add_f64_e32 v[39:40], v[37:38], v[39:40]
	v_add_f64_e32 v[35:36], v[37:38], v[35:36]
	s_delay_alu instid0(VALU_DEP_2) | instskip(NEXT) | instid1(VALU_DEP_2)
	v_add_f64_e32 v[65:66], v[63:64], v[39:40]
	v_add_f64_e32 v[71:72], v[69:70], v[35:36]
	s_delay_alu instid0(VALU_DEP_2) | instskip(SKIP_1) | instid1(VALU_DEP_2)
	v_rcp_f64_e32 v[67:68], v[65:66]
	v_add_f64_e64 v[63:64], v[65:66], -v[63:64]
	v_add_f64_e64 v[69:70], v[71:72], -v[69:70]
	s_delay_alu instid0(VALU_DEP_2) | instskip(NEXT) | instid1(TRANS32_DEP_1)
	v_add_f64_e64 v[39:40], v[39:40], -v[63:64]
	v_fma_f64 v[73:74], -v[65:66], v[67:68], 1.0
	s_delay_alu instid0(VALU_DEP_3) | instskip(NEXT) | instid1(VALU_DEP_2)
	v_add_f64_e64 v[35:36], v[35:36], -v[69:70]
	v_fma_f64 v[67:68], v[73:74], v[67:68], v[67:68]
	s_delay_alu instid0(VALU_DEP_1) | instskip(NEXT) | instid1(VALU_DEP_1)
	v_fma_f64 v[37:38], -v[65:66], v[67:68], 1.0
	v_fma_f64 v[37:38], v[37:38], v[67:68], v[67:68]
	s_delay_alu instid0(VALU_DEP_1) | instskip(NEXT) | instid1(VALU_DEP_1)
	v_mul_f64_e32 v[67:68], v[71:72], v[37:38]
	v_mul_f64_e32 v[73:74], v[65:66], v[67:68]
	s_delay_alu instid0(VALU_DEP_1) | instskip(NEXT) | instid1(VALU_DEP_1)
	v_fma_f64 v[63:64], v[67:68], v[65:66], -v[73:74]
	v_fma_f64 v[63:64], v[67:68], v[39:40], v[63:64]
	s_delay_alu instid0(VALU_DEP_1) | instskip(NEXT) | instid1(VALU_DEP_1)
	v_add_f64_e32 v[75:76], v[73:74], v[63:64]
	v_add_f64_e64 v[95:96], v[71:72], -v[75:76]
	v_add_f64_e64 v[69:70], v[75:76], -v[73:74]
	s_delay_alu instid0(VALU_DEP_2) | instskip(NEXT) | instid1(VALU_DEP_2)
	v_add_f64_e64 v[71:72], v[71:72], -v[95:96]
	v_add_f64_e64 v[63:64], v[69:70], -v[63:64]
	s_delay_alu instid0(VALU_DEP_2) | instskip(NEXT) | instid1(VALU_DEP_1)
	v_add_f64_e64 v[71:72], v[71:72], -v[75:76]
	v_add_f64_e32 v[35:36], v[35:36], v[71:72]
	s_delay_alu instid0(VALU_DEP_1) | instskip(NEXT) | instid1(VALU_DEP_1)
	v_add_f64_e32 v[35:36], v[63:64], v[35:36]
	v_add_f64_e32 v[63:64], v[95:96], v[35:36]
	s_delay_alu instid0(VALU_DEP_1) | instskip(SKIP_1) | instid1(VALU_DEP_2)
	v_mul_f64_e32 v[69:70], v[37:38], v[63:64]
	v_add_f64_e64 v[75:76], v[95:96], -v[63:64]
	v_mul_f64_e32 v[71:72], v[65:66], v[69:70]
	s_delay_alu instid0(VALU_DEP_2) | instskip(NEXT) | instid1(VALU_DEP_2)
	v_add_f64_e32 v[35:36], v[35:36], v[75:76]
	v_fma_f64 v[65:66], v[69:70], v[65:66], -v[71:72]
	s_delay_alu instid0(VALU_DEP_1) | instskip(NEXT) | instid1(VALU_DEP_1)
	v_fma_f64 v[39:40], v[69:70], v[39:40], v[65:66]
	v_add_f64_e32 v[65:66], v[71:72], v[39:40]
	s_delay_alu instid0(VALU_DEP_1) | instskip(SKIP_1) | instid1(VALU_DEP_2)
	v_add_f64_e64 v[73:74], v[63:64], -v[65:66]
	v_add_f64_e64 v[71:72], v[65:66], -v[71:72]
	;; [unrolled: 1-line block ×3, first 2 shown]
	s_delay_alu instid0(VALU_DEP_2) | instskip(NEXT) | instid1(VALU_DEP_2)
	v_add_f64_e64 v[39:40], v[71:72], -v[39:40]
	v_add_f64_e64 v[63:64], v[63:64], -v[65:66]
	s_delay_alu instid0(VALU_DEP_1) | instskip(SKIP_1) | instid1(VALU_DEP_2)
	v_add_f64_e32 v[35:36], v[35:36], v[63:64]
	v_add_f64_e32 v[63:64], v[67:68], v[69:70]
	;; [unrolled: 1-line block ×3, first 2 shown]
	s_delay_alu instid0(VALU_DEP_2) | instskip(NEXT) | instid1(VALU_DEP_2)
	v_add_f64_e64 v[39:40], v[63:64], -v[67:68]
	v_add_f64_e32 v[35:36], v[73:74], v[35:36]
	s_delay_alu instid0(VALU_DEP_2) | instskip(NEXT) | instid1(VALU_DEP_2)
	v_add_f64_e64 v[39:40], v[69:70], -v[39:40]
	v_mul_f64_e32 v[35:36], v[37:38], v[35:36]
	s_delay_alu instid0(VALU_DEP_1) | instskip(NEXT) | instid1(VALU_DEP_1)
	v_add_f64_e32 v[35:36], v[39:40], v[35:36]
	v_add_f64_e32 v[37:38], v[63:64], v[35:36]
	s_delay_alu instid0(VALU_DEP_1) | instskip(NEXT) | instid1(VALU_DEP_1)
	v_mul_f64_e32 v[39:40], v[37:38], v[37:38]
	v_fma_f64 v[65:66], v[39:40], s[40:41], s[38:39]
	s_mov_b32 s38, 0xd7f4df2e
	s_mov_b32 s39, 0x3fc7474d
	v_mul_f64_e32 v[67:68], v[37:38], v[39:40]
	s_wait_alu 0xfffe
	s_delay_alu instid0(VALU_DEP_2) | instskip(SKIP_3) | instid1(VALU_DEP_1)
	v_fma_f64 v[65:66], v[39:40], v[65:66], s[38:39]
	s_mov_b32 s38, 0x16291751
	s_mov_b32 s39, 0x3fcc71c0
	s_wait_alu 0xfffe
	v_fma_f64 v[65:66], v[39:40], v[65:66], s[38:39]
	s_mov_b32 s38, 0x9b27acf1
	s_mov_b32 s39, 0x3fd24924
	s_wait_alu 0xfffe
	s_delay_alu instid0(VALU_DEP_1) | instskip(SKIP_3) | instid1(VALU_DEP_1)
	v_fma_f64 v[65:66], v[39:40], v[65:66], s[38:39]
	s_mov_b32 s38, 0x998ef7b6
	s_mov_b32 s39, 0x3fd99999
	s_wait_alu 0xfffe
	v_fma_f64 v[65:66], v[39:40], v[65:66], s[38:39]
	s_delay_alu instid0(VALU_DEP_1)
	v_fma_f64 v[39:40], v[39:40], v[65:66], s[0:1]
	v_ldexp_f64 v[65:66], v[37:38], 1
	v_add_f64_e64 v[37:38], v[37:38], -v[63:64]
	v_cmp_nge_f64_e64 s0, -1.0, v[25:26]
	v_cmp_neq_f64_e64 s1, 0x7ff00000, v[25:26]
	v_mul_f64_e32 v[39:40], v[67:68], v[39:40]
	v_cvt_f64_i32_e32 v[67:68], v0
	v_add_f64_e64 v[35:36], v[35:36], -v[37:38]
	s_and_b32 s0, s0, s1
	s_delay_alu instid0(VALU_DEP_3) | instskip(NEXT) | instid1(VALU_DEP_3)
	v_add_f64_e32 v[63:64], v[65:66], v[39:40]
	v_mul_f64_e32 v[69:70], s[18:19], v[67:68]
	s_delay_alu instid0(VALU_DEP_3) | instskip(NEXT) | instid1(VALU_DEP_3)
	v_ldexp_f64 v[35:36], v[35:36], 1
	v_add_f64_e64 v[37:38], v[63:64], -v[65:66]
	s_delay_alu instid0(VALU_DEP_3) | instskip(NEXT) | instid1(VALU_DEP_2)
	v_fma_f64 v[65:66], v[67:68], s[18:19], -v[69:70]
	v_add_f64_e64 v[37:38], v[39:40], -v[37:38]
	s_delay_alu instid0(VALU_DEP_2) | instskip(NEXT) | instid1(VALU_DEP_2)
	v_fma_f64 v[39:40], v[67:68], s[34:35], v[65:66]
	v_add_f64_e32 v[35:36], v[35:36], v[37:38]
	s_delay_alu instid0(VALU_DEP_2) | instskip(NEXT) | instid1(VALU_DEP_2)
	v_add_f64_e32 v[37:38], v[69:70], v[39:40]
	v_add_f64_e32 v[65:66], v[63:64], v[35:36]
	s_delay_alu instid0(VALU_DEP_2) | instskip(NEXT) | instid1(VALU_DEP_2)
	v_add_f64_e64 v[69:70], v[37:38], -v[69:70]
	v_add_f64_e32 v[67:68], v[37:38], v[65:66]
	v_add_f64_e64 v[63:64], v[65:66], -v[63:64]
	s_delay_alu instid0(VALU_DEP_3) | instskip(NEXT) | instid1(VALU_DEP_3)
	v_add_f64_e64 v[39:40], v[39:40], -v[69:70]
	v_add_f64_e64 v[71:72], v[67:68], -v[37:38]
	s_delay_alu instid0(VALU_DEP_3) | instskip(NEXT) | instid1(VALU_DEP_2)
	v_add_f64_e64 v[35:36], v[35:36], -v[63:64]
	v_add_f64_e64 v[73:74], v[67:68], -v[71:72]
	v_add_f64_e64 v[63:64], v[65:66], -v[71:72]
	s_delay_alu instid0(VALU_DEP_3) | instskip(NEXT) | instid1(VALU_DEP_3)
	v_add_f64_e32 v[65:66], v[39:40], v[35:36]
	v_add_f64_e64 v[37:38], v[37:38], -v[73:74]
	s_delay_alu instid0(VALU_DEP_1) | instskip(NEXT) | instid1(VALU_DEP_3)
	v_add_f64_e32 v[37:38], v[63:64], v[37:38]
	v_add_f64_e64 v[63:64], v[65:66], -v[39:40]
	s_delay_alu instid0(VALU_DEP_2) | instskip(NEXT) | instid1(VALU_DEP_2)
	v_add_f64_e32 v[37:38], v[65:66], v[37:38]
	v_add_f64_e64 v[65:66], v[65:66], -v[63:64]
	v_add_f64_e64 v[35:36], v[35:36], -v[63:64]
	s_delay_alu instid0(VALU_DEP_3) | instskip(NEXT) | instid1(VALU_DEP_3)
	v_add_f64_e32 v[69:70], v[67:68], v[37:38]
	v_add_f64_e64 v[39:40], v[39:40], -v[65:66]
	s_delay_alu instid0(VALU_DEP_2) | instskip(NEXT) | instid1(VALU_DEP_2)
	v_add_f64_e64 v[63:64], v[69:70], -v[67:68]
	v_add_f64_e32 v[35:36], v[35:36], v[39:40]
	s_delay_alu instid0(VALU_DEP_2) | instskip(NEXT) | instid1(VALU_DEP_1)
	v_add_f64_e64 v[37:38], v[37:38], -v[63:64]
	v_add_f64_e32 v[35:36], v[35:36], v[37:38]
	s_delay_alu instid0(VALU_DEP_1) | instskip(SKIP_1) | instid1(VALU_DEP_1)
	v_add_f64_e32 v[35:36], v[69:70], v[35:36]
	s_wait_alu 0xfffe
	v_cndmask_b32_e64 v35, 0, v35, s0
	v_cmp_neq_f64_e64 s0, -1.0, v[25:26]
	s_delay_alu instid0(VALU_DEP_3) | instskip(NEXT) | instid1(VALU_DEP_1)
	v_cndmask_b32_e64 v0, 0x7ff00000, v36, s1
	v_cndmask_b32_e64 v0, 0x7ff80000, v0, s17
	s_wait_alu 0xf1ff
	s_delay_alu instid0(VALU_DEP_1) | instskip(NEXT) | instid1(VALU_DEP_1)
	v_cndmask_b32_e64 v36, 0xfff00000, v0, s0
	v_add_f64_e32 v[25:26], v[33:34], v[35:36]
.LBB61_114:
	s_wait_alu 0xfffe
	s_or_b32 exec_lo, exec_lo, s20
	s_delay_alu instid0(VALU_DEP_1) | instskip(SKIP_1) | instid1(VALU_DEP_2)
	v_max_num_f64_e32 v[33:34], v[25:26], v[25:26]
	v_cmp_u_f64_e64 s0, v[25:26], v[25:26]
	v_min_num_f64_e32 v[35:36], v[33:34], v[41:42]
	v_max_num_f64_e32 v[33:34], v[33:34], v[41:42]
	s_wait_alu 0xf1ff
	s_delay_alu instid0(VALU_DEP_2) | instskip(NEXT) | instid1(VALU_DEP_3)
	v_cndmask_b32_e64 v0, v35, v25, s0
	v_cndmask_b32_e64 v35, v36, v26, s0
	s_delay_alu instid0(VALU_DEP_3) | instskip(NEXT) | instid1(VALU_DEP_4)
	v_cndmask_b32_e64 v34, v34, v26, s0
	v_cndmask_b32_e64 v33, v33, v25, s0
	s_delay_alu instid0(VALU_DEP_3) | instskip(SKIP_1) | instid1(VALU_DEP_4)
	v_cndmask_b32_e64 v36, v35, v28, s21
	v_cndmask_b32_e64 v35, v0, v27, s21
	;; [unrolled: 1-line block ×3, first 2 shown]
	s_delay_alu instid0(VALU_DEP_4) | instskip(SKIP_1) | instid1(VALU_DEP_4)
	v_cndmask_b32_e64 v33, v33, v27, s21
	v_dual_mov_b32 v28, v26 :: v_dual_mov_b32 v27, v25
	v_cmp_class_f64_e64 s1, v[35:36], 0x1f8
	s_delay_alu instid0(VALU_DEP_3)
	v_cmp_neq_f64_e64 s0, v[35:36], v[33:34]
	s_or_b32 s0, s0, s1
	s_wait_alu 0xfffe
	s_and_saveexec_b32 s33, s0
	s_cbranch_execz .LBB61_116
; %bb.115:
	v_add_f64_e64 v[27:28], v[35:36], -v[33:34]
	s_mov_b32 s0, 0x652b82fe
	s_mov_b32 s1, 0x3ff71547
	;; [unrolled: 1-line block ×10, first 2 shown]
	s_wait_alu 0xfffe
	s_delay_alu instid0(VALU_DEP_1) | instskip(SKIP_2) | instid1(VALU_DEP_1)
	v_mul_f64_e32 v[35:36], s[0:1], v[27:28]
	s_mov_b32 s0, 0xfca7ab0c
	s_mov_b32 s1, 0x3e928af3
	v_rndne_f64_e32 v[35:36], v[35:36]
	s_delay_alu instid0(VALU_DEP_1) | instskip(SKIP_2) | instid1(VALU_DEP_2)
	v_fma_f64 v[37:38], v[35:36], s[18:19], v[27:28]
	v_cvt_i32_f64_e32 v0, v[35:36]
	s_mov_b32 s19, 0x3fe62e42
	v_fma_f64 v[37:38], v[35:36], s[20:21], v[37:38]
	s_mov_b32 s21, 0x3c7abc9e
	s_wait_alu 0xfffe
	s_delay_alu instid0(VALU_DEP_1)
	v_fma_f64 v[39:40], v[37:38], s[34:35], s[0:1]
	s_mov_b32 s0, 0x623fde64
	s_mov_b32 s1, 0x3ec71dee
	;; [unrolled: 1-line block ×4, first 2 shown]
	s_wait_alu 0xfffe
	s_delay_alu instid0(VALU_DEP_1) | instskip(SKIP_3) | instid1(VALU_DEP_1)
	v_fma_f64 v[39:40], v[37:38], v[39:40], s[0:1]
	s_mov_b32 s0, 0x7c89e6b0
	s_mov_b32 s1, 0x3efa0199
	s_wait_alu 0xfffe
	v_fma_f64 v[39:40], v[37:38], v[39:40], s[0:1]
	s_mov_b32 s0, 0x14761f6e
	s_mov_b32 s1, 0x3f2a01a0
	s_wait_alu 0xfffe
	s_delay_alu instid0(VALU_DEP_1) | instskip(SKIP_3) | instid1(VALU_DEP_1)
	v_fma_f64 v[39:40], v[37:38], v[39:40], s[0:1]
	s_mov_b32 s0, 0x1852b7b0
	s_mov_b32 s1, 0x3f56c16c
	s_wait_alu 0xfffe
	v_fma_f64 v[39:40], v[37:38], v[39:40], s[0:1]
	s_mov_b32 s0, 0x11122322
	s_mov_b32 s1, 0x3f811111
	;; [unrolled: 9-line block ×3, first 2 shown]
	s_wait_alu 0xfffe
	s_delay_alu instid0(VALU_DEP_1) | instskip(SKIP_3) | instid1(VALU_DEP_1)
	v_fma_f64 v[39:40], v[37:38], v[39:40], s[0:1]
	s_mov_b32 s0, 11
	s_mov_b32 s1, 0x3fe00000
	s_wait_alu 0xfffe
	v_fma_f64 v[39:40], v[37:38], v[39:40], s[0:1]
	v_cmp_nlt_f64_e64 s0, 0x40900000, v[27:28]
	v_cmp_ngt_f64_e64 s1, 0xc090cc00, v[27:28]
	s_delay_alu instid0(VALU_DEP_3) | instskip(NEXT) | instid1(VALU_DEP_1)
	v_fma_f64 v[39:40], v[37:38], v[39:40], 1.0
	v_fma_f64 v[35:36], v[37:38], v[39:40], 1.0
	s_delay_alu instid0(VALU_DEP_1) | instskip(SKIP_1) | instid1(VALU_DEP_1)
	v_ldexp_f64 v[35:36], v[35:36], v0
	s_wait_alu 0xf1ff
	v_cndmask_b32_e64 v0, 0x7ff00000, v36, s0
	s_and_b32 s0, s1, s0
	s_wait_alu 0xfffe
	s_delay_alu instid0(VALU_DEP_2) | instskip(SKIP_3) | instid1(VALU_DEP_1)
	v_cndmask_b32_e64 v27, 0, v35, s0
	s_mov_b32 s0, 0x55555555
	v_cndmask_b32_e64 v28, 0, v0, s1
	s_mov_b32 s1, 0x3fe55555
	v_add_f64_e32 v[35:36], 1.0, v[27:28]
	v_cmp_ngt_f64_e64 s17, -1.0, v[27:28]
	s_delay_alu instid0(VALU_DEP_2) | instskip(SKIP_3) | instid1(VALU_DEP_3)
	v_frexp_mant_f64_e32 v[37:38], v[35:36]
	v_frexp_exp_i32_f64_e32 v0, v[35:36]
	v_add_f64_e32 v[39:40], -1.0, v[35:36]
	s_wait_alu 0xfffe
	v_cmp_gt_f64_e64 s0, s[0:1], v[37:38]
	s_delay_alu instid0(VALU_DEP_2) | instskip(SKIP_2) | instid1(VALU_DEP_3)
	v_add_f64_e64 v[37:38], v[39:40], -v[35:36]
	v_add_f64_e64 v[39:40], v[27:28], -v[39:40]
	s_wait_alu 0xf1ff
	v_subrev_co_ci_u32_e64 v0, null, 0, v0, s0
	s_delay_alu instid0(VALU_DEP_3) | instskip(SKIP_1) | instid1(VALU_DEP_2)
	v_add_f64_e32 v[37:38], 1.0, v[37:38]
	s_mov_b32 s0, 0x55555780
	v_sub_nc_u32_e32 v63, 0, v0
	s_delay_alu instid0(VALU_DEP_1) | instskip(NEXT) | instid1(VALU_DEP_3)
	v_ldexp_f64 v[35:36], v[35:36], v63
	v_add_f64_e32 v[37:38], v[39:40], v[37:38]
	s_delay_alu instid0(VALU_DEP_2) | instskip(SKIP_1) | instid1(VALU_DEP_3)
	v_add_f64_e32 v[41:42], 1.0, v[35:36]
	v_add_f64_e32 v[67:68], -1.0, v[35:36]
	v_ldexp_f64 v[37:38], v[37:38], v63
	s_delay_alu instid0(VALU_DEP_3) | instskip(SKIP_1) | instid1(VALU_DEP_3)
	v_add_f64_e32 v[39:40], -1.0, v[41:42]
	s_wait_dscnt 0x0
	v_add_f64_e32 v[69:70], 1.0, v[67:68]
	s_delay_alu instid0(VALU_DEP_2) | instskip(NEXT) | instid1(VALU_DEP_2)
	v_add_f64_e64 v[39:40], v[35:36], -v[39:40]
	v_add_f64_e64 v[35:36], v[35:36], -v[69:70]
	s_delay_alu instid0(VALU_DEP_2) | instskip(NEXT) | instid1(VALU_DEP_2)
	v_add_f64_e32 v[39:40], v[37:38], v[39:40]
	v_add_f64_e32 v[35:36], v[37:38], v[35:36]
	s_delay_alu instid0(VALU_DEP_2) | instskip(NEXT) | instid1(VALU_DEP_2)
	v_add_f64_e32 v[63:64], v[41:42], v[39:40]
	v_add_f64_e32 v[69:70], v[67:68], v[35:36]
	s_delay_alu instid0(VALU_DEP_2) | instskip(SKIP_1) | instid1(VALU_DEP_2)
	v_rcp_f64_e32 v[65:66], v[63:64]
	v_add_f64_e64 v[41:42], v[63:64], -v[41:42]
	v_add_f64_e64 v[67:68], v[69:70], -v[67:68]
	s_delay_alu instid0(VALU_DEP_2) | instskip(NEXT) | instid1(TRANS32_DEP_1)
	v_add_f64_e64 v[39:40], v[39:40], -v[41:42]
	v_fma_f64 v[71:72], -v[63:64], v[65:66], 1.0
	s_delay_alu instid0(VALU_DEP_3) | instskip(NEXT) | instid1(VALU_DEP_2)
	v_add_f64_e64 v[35:36], v[35:36], -v[67:68]
	v_fma_f64 v[65:66], v[71:72], v[65:66], v[65:66]
	s_delay_alu instid0(VALU_DEP_1) | instskip(NEXT) | instid1(VALU_DEP_1)
	v_fma_f64 v[37:38], -v[63:64], v[65:66], 1.0
	v_fma_f64 v[37:38], v[37:38], v[65:66], v[65:66]
	s_delay_alu instid0(VALU_DEP_1) | instskip(NEXT) | instid1(VALU_DEP_1)
	v_mul_f64_e32 v[65:66], v[69:70], v[37:38]
	v_mul_f64_e32 v[71:72], v[63:64], v[65:66]
	s_delay_alu instid0(VALU_DEP_1) | instskip(NEXT) | instid1(VALU_DEP_1)
	v_fma_f64 v[41:42], v[65:66], v[63:64], -v[71:72]
	v_fma_f64 v[41:42], v[65:66], v[39:40], v[41:42]
	s_delay_alu instid0(VALU_DEP_1) | instskip(NEXT) | instid1(VALU_DEP_1)
	v_add_f64_e32 v[73:74], v[71:72], v[41:42]
	v_add_f64_e64 v[75:76], v[69:70], -v[73:74]
	v_add_f64_e64 v[67:68], v[73:74], -v[71:72]
	s_delay_alu instid0(VALU_DEP_2) | instskip(NEXT) | instid1(VALU_DEP_2)
	v_add_f64_e64 v[69:70], v[69:70], -v[75:76]
	v_add_f64_e64 v[41:42], v[67:68], -v[41:42]
	s_delay_alu instid0(VALU_DEP_2) | instskip(NEXT) | instid1(VALU_DEP_1)
	v_add_f64_e64 v[69:70], v[69:70], -v[73:74]
	v_add_f64_e32 v[35:36], v[35:36], v[69:70]
	s_delay_alu instid0(VALU_DEP_1) | instskip(NEXT) | instid1(VALU_DEP_1)
	v_add_f64_e32 v[35:36], v[41:42], v[35:36]
	v_add_f64_e32 v[41:42], v[75:76], v[35:36]
	s_delay_alu instid0(VALU_DEP_1) | instskip(SKIP_1) | instid1(VALU_DEP_2)
	v_mul_f64_e32 v[67:68], v[37:38], v[41:42]
	v_add_f64_e64 v[73:74], v[75:76], -v[41:42]
	v_mul_f64_e32 v[69:70], v[63:64], v[67:68]
	s_delay_alu instid0(VALU_DEP_2) | instskip(NEXT) | instid1(VALU_DEP_2)
	v_add_f64_e32 v[35:36], v[35:36], v[73:74]
	v_fma_f64 v[63:64], v[67:68], v[63:64], -v[69:70]
	s_delay_alu instid0(VALU_DEP_1) | instskip(NEXT) | instid1(VALU_DEP_1)
	v_fma_f64 v[39:40], v[67:68], v[39:40], v[63:64]
	v_add_f64_e32 v[63:64], v[69:70], v[39:40]
	s_delay_alu instid0(VALU_DEP_1) | instskip(SKIP_1) | instid1(VALU_DEP_2)
	v_add_f64_e64 v[71:72], v[41:42], -v[63:64]
	v_add_f64_e64 v[69:70], v[63:64], -v[69:70]
	;; [unrolled: 1-line block ×3, first 2 shown]
	s_delay_alu instid0(VALU_DEP_2) | instskip(NEXT) | instid1(VALU_DEP_2)
	v_add_f64_e64 v[39:40], v[69:70], -v[39:40]
	v_add_f64_e64 v[41:42], v[41:42], -v[63:64]
	s_delay_alu instid0(VALU_DEP_1) | instskip(SKIP_1) | instid1(VALU_DEP_2)
	v_add_f64_e32 v[35:36], v[35:36], v[41:42]
	v_add_f64_e32 v[41:42], v[65:66], v[67:68]
	;; [unrolled: 1-line block ×3, first 2 shown]
	s_delay_alu instid0(VALU_DEP_2) | instskip(NEXT) | instid1(VALU_DEP_2)
	v_add_f64_e64 v[39:40], v[41:42], -v[65:66]
	v_add_f64_e32 v[35:36], v[71:72], v[35:36]
	s_delay_alu instid0(VALU_DEP_2) | instskip(NEXT) | instid1(VALU_DEP_2)
	v_add_f64_e64 v[39:40], v[67:68], -v[39:40]
	v_mul_f64_e32 v[35:36], v[37:38], v[35:36]
	s_delay_alu instid0(VALU_DEP_1) | instskip(NEXT) | instid1(VALU_DEP_1)
	v_add_f64_e32 v[35:36], v[39:40], v[35:36]
	v_add_f64_e32 v[37:38], v[41:42], v[35:36]
	s_delay_alu instid0(VALU_DEP_1) | instskip(NEXT) | instid1(VALU_DEP_1)
	v_mul_f64_e32 v[39:40], v[37:38], v[37:38]
	v_fma_f64 v[63:64], v[39:40], s[38:39], s[34:35]
	s_mov_b32 s34, 0xd7f4df2e
	s_mov_b32 s35, 0x3fc7474d
	v_mul_f64_e32 v[65:66], v[37:38], v[39:40]
	s_wait_alu 0xfffe
	s_delay_alu instid0(VALU_DEP_2) | instskip(SKIP_3) | instid1(VALU_DEP_1)
	v_fma_f64 v[63:64], v[39:40], v[63:64], s[34:35]
	s_mov_b32 s34, 0x16291751
	s_mov_b32 s35, 0x3fcc71c0
	s_wait_alu 0xfffe
	v_fma_f64 v[63:64], v[39:40], v[63:64], s[34:35]
	s_mov_b32 s34, 0x9b27acf1
	s_mov_b32 s35, 0x3fd24924
	s_wait_alu 0xfffe
	s_delay_alu instid0(VALU_DEP_1) | instskip(SKIP_3) | instid1(VALU_DEP_1)
	v_fma_f64 v[63:64], v[39:40], v[63:64], s[34:35]
	s_mov_b32 s34, 0x998ef7b6
	s_mov_b32 s35, 0x3fd99999
	s_wait_alu 0xfffe
	v_fma_f64 v[63:64], v[39:40], v[63:64], s[34:35]
	s_delay_alu instid0(VALU_DEP_1)
	v_fma_f64 v[39:40], v[39:40], v[63:64], s[0:1]
	v_ldexp_f64 v[63:64], v[37:38], 1
	v_add_f64_e64 v[37:38], v[37:38], -v[41:42]
	v_cmp_nge_f64_e64 s0, -1.0, v[27:28]
	v_cmp_neq_f64_e64 s1, 0x7ff00000, v[27:28]
	v_mul_f64_e32 v[39:40], v[65:66], v[39:40]
	v_cvt_f64_i32_e32 v[65:66], v0
	v_add_f64_e64 v[35:36], v[35:36], -v[37:38]
	s_and_b32 s0, s0, s1
	s_delay_alu instid0(VALU_DEP_3) | instskip(NEXT) | instid1(VALU_DEP_3)
	v_add_f64_e32 v[41:42], v[63:64], v[39:40]
	v_mul_f64_e32 v[67:68], s[18:19], v[65:66]
	s_delay_alu instid0(VALU_DEP_3) | instskip(NEXT) | instid1(VALU_DEP_3)
	v_ldexp_f64 v[35:36], v[35:36], 1
	v_add_f64_e64 v[37:38], v[41:42], -v[63:64]
	s_delay_alu instid0(VALU_DEP_3) | instskip(NEXT) | instid1(VALU_DEP_2)
	v_fma_f64 v[63:64], v[65:66], s[18:19], -v[67:68]
	v_add_f64_e64 v[37:38], v[39:40], -v[37:38]
	s_delay_alu instid0(VALU_DEP_2) | instskip(NEXT) | instid1(VALU_DEP_2)
	v_fma_f64 v[39:40], v[65:66], s[20:21], v[63:64]
	v_add_f64_e32 v[35:36], v[35:36], v[37:38]
	s_delay_alu instid0(VALU_DEP_2) | instskip(NEXT) | instid1(VALU_DEP_2)
	v_add_f64_e32 v[37:38], v[67:68], v[39:40]
	v_add_f64_e32 v[63:64], v[41:42], v[35:36]
	s_delay_alu instid0(VALU_DEP_2) | instskip(NEXT) | instid1(VALU_DEP_2)
	v_add_f64_e64 v[67:68], v[37:38], -v[67:68]
	v_add_f64_e32 v[65:66], v[37:38], v[63:64]
	v_add_f64_e64 v[41:42], v[63:64], -v[41:42]
	s_delay_alu instid0(VALU_DEP_3) | instskip(NEXT) | instid1(VALU_DEP_3)
	v_add_f64_e64 v[39:40], v[39:40], -v[67:68]
	v_add_f64_e64 v[69:70], v[65:66], -v[37:38]
	s_delay_alu instid0(VALU_DEP_3) | instskip(NEXT) | instid1(VALU_DEP_2)
	v_add_f64_e64 v[35:36], v[35:36], -v[41:42]
	v_add_f64_e64 v[71:72], v[65:66], -v[69:70]
	;; [unrolled: 1-line block ×3, first 2 shown]
	s_delay_alu instid0(VALU_DEP_3) | instskip(NEXT) | instid1(VALU_DEP_3)
	v_add_f64_e32 v[63:64], v[39:40], v[35:36]
	v_add_f64_e64 v[37:38], v[37:38], -v[71:72]
	s_delay_alu instid0(VALU_DEP_1) | instskip(NEXT) | instid1(VALU_DEP_3)
	v_add_f64_e32 v[37:38], v[41:42], v[37:38]
	v_add_f64_e64 v[41:42], v[63:64], -v[39:40]
	s_delay_alu instid0(VALU_DEP_2) | instskip(NEXT) | instid1(VALU_DEP_2)
	v_add_f64_e32 v[37:38], v[63:64], v[37:38]
	v_add_f64_e64 v[63:64], v[63:64], -v[41:42]
	v_add_f64_e64 v[35:36], v[35:36], -v[41:42]
	s_delay_alu instid0(VALU_DEP_3) | instskip(NEXT) | instid1(VALU_DEP_3)
	v_add_f64_e32 v[67:68], v[65:66], v[37:38]
	v_add_f64_e64 v[39:40], v[39:40], -v[63:64]
	s_delay_alu instid0(VALU_DEP_2) | instskip(NEXT) | instid1(VALU_DEP_2)
	v_add_f64_e64 v[41:42], v[67:68], -v[65:66]
	v_add_f64_e32 v[35:36], v[35:36], v[39:40]
	s_delay_alu instid0(VALU_DEP_2) | instskip(NEXT) | instid1(VALU_DEP_1)
	v_add_f64_e64 v[37:38], v[37:38], -v[41:42]
	v_add_f64_e32 v[35:36], v[35:36], v[37:38]
	s_delay_alu instid0(VALU_DEP_1) | instskip(SKIP_1) | instid1(VALU_DEP_1)
	v_add_f64_e32 v[35:36], v[67:68], v[35:36]
	s_wait_alu 0xfffe
	v_cndmask_b32_e64 v35, 0, v35, s0
	v_cmp_neq_f64_e64 s0, -1.0, v[27:28]
	s_delay_alu instid0(VALU_DEP_3) | instskip(NEXT) | instid1(VALU_DEP_1)
	v_cndmask_b32_e64 v0, 0x7ff00000, v36, s1
	v_cndmask_b32_e64 v0, 0x7ff80000, v0, s17
	s_wait_alu 0xf1ff
	s_delay_alu instid0(VALU_DEP_1) | instskip(NEXT) | instid1(VALU_DEP_1)
	v_cndmask_b32_e64 v36, 0xfff00000, v0, s0
	v_add_f64_e32 v[27:28], v[33:34], v[35:36]
.LBB61_116:
	s_wait_alu 0xfffe
	s_or_b32 exec_lo, exec_lo, s33
	s_delay_alu instid0(VALU_DEP_1) | instskip(SKIP_1) | instid1(VALU_DEP_2)
	v_max_num_f64_e32 v[33:34], v[27:28], v[27:28]
	v_cmp_u_f64_e64 s0, v[27:28], v[27:28]
	v_min_num_f64_e32 v[35:36], v[33:34], v[43:44]
	v_max_num_f64_e32 v[33:34], v[33:34], v[43:44]
	s_wait_alu 0xf1ff
	s_delay_alu instid0(VALU_DEP_2) | instskip(NEXT) | instid1(VALU_DEP_3)
	v_cndmask_b32_e64 v0, v35, v27, s0
	v_cndmask_b32_e64 v35, v36, v28, s0
	s_delay_alu instid0(VALU_DEP_3) | instskip(NEXT) | instid1(VALU_DEP_4)
	v_cndmask_b32_e64 v34, v34, v28, s0
	v_cndmask_b32_e64 v33, v33, v27, s0
	s_delay_alu instid0(VALU_DEP_3) | instskip(SKIP_1) | instid1(VALU_DEP_4)
	v_cndmask_b32_e64 v36, v35, v22, s22
	v_cndmask_b32_e64 v35, v0, v21, s22
	;; [unrolled: 1-line block ×3, first 2 shown]
	s_delay_alu instid0(VALU_DEP_4) | instskip(SKIP_1) | instid1(VALU_DEP_4)
	v_cndmask_b32_e64 v33, v33, v21, s22
	v_dual_mov_b32 v21, v27 :: v_dual_mov_b32 v22, v28
	v_cmp_class_f64_e64 s1, v[35:36], 0x1f8
	s_delay_alu instid0(VALU_DEP_3)
	v_cmp_neq_f64_e64 s0, v[35:36], v[33:34]
	s_or_b32 s0, s0, s1
	s_wait_alu 0xfffe
	s_and_saveexec_b32 s22, s0
	s_cbranch_execz .LBB61_118
; %bb.117:
	v_add_f64_e64 v[21:22], v[35:36], -v[33:34]
	s_mov_b32 s0, 0x652b82fe
	s_mov_b32 s1, 0x3ff71547
	;; [unrolled: 1-line block ×10, first 2 shown]
	s_wait_alu 0xfffe
	s_delay_alu instid0(VALU_DEP_1) | instskip(SKIP_2) | instid1(VALU_DEP_1)
	v_mul_f64_e32 v[35:36], s[0:1], v[21:22]
	s_mov_b32 s0, 0xfca7ab0c
	s_mov_b32 s1, 0x3e928af3
	v_rndne_f64_e32 v[35:36], v[35:36]
	s_delay_alu instid0(VALU_DEP_1) | instskip(SKIP_2) | instid1(VALU_DEP_2)
	v_fma_f64 v[37:38], v[35:36], s[18:19], v[21:22]
	v_cvt_i32_f64_e32 v0, v[35:36]
	s_mov_b32 s19, 0x3fe62e42
	v_fma_f64 v[37:38], v[35:36], s[20:21], v[37:38]
	s_mov_b32 s21, 0x3c7abc9e
	s_wait_alu 0xfffe
	s_delay_alu instid0(VALU_DEP_1)
	v_fma_f64 v[39:40], v[37:38], s[34:35], s[0:1]
	s_mov_b32 s0, 0x623fde64
	s_mov_b32 s1, 0x3ec71dee
	;; [unrolled: 1-line block ×4, first 2 shown]
	s_wait_alu 0xfffe
	s_delay_alu instid0(VALU_DEP_1) | instskip(SKIP_3) | instid1(VALU_DEP_1)
	v_fma_f64 v[39:40], v[37:38], v[39:40], s[0:1]
	s_mov_b32 s0, 0x7c89e6b0
	s_mov_b32 s1, 0x3efa0199
	s_wait_alu 0xfffe
	v_fma_f64 v[39:40], v[37:38], v[39:40], s[0:1]
	s_mov_b32 s0, 0x14761f6e
	s_mov_b32 s1, 0x3f2a01a0
	s_wait_alu 0xfffe
	s_delay_alu instid0(VALU_DEP_1) | instskip(SKIP_3) | instid1(VALU_DEP_1)
	v_fma_f64 v[39:40], v[37:38], v[39:40], s[0:1]
	s_mov_b32 s0, 0x1852b7b0
	s_mov_b32 s1, 0x3f56c16c
	s_wait_alu 0xfffe
	v_fma_f64 v[39:40], v[37:38], v[39:40], s[0:1]
	s_mov_b32 s0, 0x11122322
	s_mov_b32 s1, 0x3f811111
	;; [unrolled: 9-line block ×3, first 2 shown]
	s_wait_alu 0xfffe
	s_delay_alu instid0(VALU_DEP_1) | instskip(SKIP_3) | instid1(VALU_DEP_1)
	v_fma_f64 v[39:40], v[37:38], v[39:40], s[0:1]
	s_mov_b32 s0, 11
	s_mov_b32 s1, 0x3fe00000
	s_wait_alu 0xfffe
	v_fma_f64 v[39:40], v[37:38], v[39:40], s[0:1]
	v_cmp_nlt_f64_e64 s0, 0x40900000, v[21:22]
	v_cmp_ngt_f64_e64 s1, 0xc090cc00, v[21:22]
	s_delay_alu instid0(VALU_DEP_3) | instskip(NEXT) | instid1(VALU_DEP_1)
	v_fma_f64 v[39:40], v[37:38], v[39:40], 1.0
	v_fma_f64 v[35:36], v[37:38], v[39:40], 1.0
	s_delay_alu instid0(VALU_DEP_1) | instskip(SKIP_1) | instid1(VALU_DEP_1)
	v_ldexp_f64 v[35:36], v[35:36], v0
	s_wait_alu 0xf1ff
	v_cndmask_b32_e64 v0, 0x7ff00000, v36, s0
	s_and_b32 s0, s1, s0
	s_wait_alu 0xfffe
	s_delay_alu instid0(VALU_DEP_2) | instskip(SKIP_3) | instid1(VALU_DEP_1)
	v_cndmask_b32_e64 v21, 0, v35, s0
	s_mov_b32 s0, 0x55555555
	v_cndmask_b32_e64 v22, 0, v0, s1
	s_mov_b32 s1, 0x3fe55555
	v_add_f64_e32 v[35:36], 1.0, v[21:22]
	v_cmp_ngt_f64_e64 s17, -1.0, v[21:22]
	s_delay_alu instid0(VALU_DEP_2) | instskip(SKIP_3) | instid1(VALU_DEP_3)
	v_frexp_mant_f64_e32 v[37:38], v[35:36]
	v_frexp_exp_i32_f64_e32 v0, v[35:36]
	v_add_f64_e32 v[39:40], -1.0, v[35:36]
	s_wait_alu 0xfffe
	v_cmp_gt_f64_e64 s0, s[0:1], v[37:38]
	s_delay_alu instid0(VALU_DEP_2) | instskip(SKIP_2) | instid1(VALU_DEP_3)
	v_add_f64_e64 v[37:38], v[39:40], -v[35:36]
	v_add_f64_e64 v[39:40], v[21:22], -v[39:40]
	s_wait_alu 0xf1ff
	v_subrev_co_ci_u32_e64 v0, null, 0, v0, s0
	s_delay_alu instid0(VALU_DEP_3) | instskip(SKIP_1) | instid1(VALU_DEP_2)
	v_add_f64_e32 v[37:38], 1.0, v[37:38]
	s_mov_b32 s0, 0x55555780
	v_sub_nc_u32_e32 v43, 0, v0
	s_delay_alu instid0(VALU_DEP_1) | instskip(NEXT) | instid1(VALU_DEP_3)
	v_ldexp_f64 v[35:36], v[35:36], v43
	v_add_f64_e32 v[37:38], v[39:40], v[37:38]
	s_delay_alu instid0(VALU_DEP_2) | instskip(SKIP_1) | instid1(VALU_DEP_3)
	v_add_f64_e32 v[41:42], 1.0, v[35:36]
	v_add_f64_e32 v[65:66], -1.0, v[35:36]
	v_ldexp_f64 v[37:38], v[37:38], v43
	s_delay_alu instid0(VALU_DEP_3) | instskip(NEXT) | instid1(VALU_DEP_3)
	v_add_f64_e32 v[39:40], -1.0, v[41:42]
	v_add_f64_e32 v[67:68], 1.0, v[65:66]
	s_delay_alu instid0(VALU_DEP_2) | instskip(NEXT) | instid1(VALU_DEP_2)
	v_add_f64_e64 v[39:40], v[35:36], -v[39:40]
	v_add_f64_e64 v[35:36], v[35:36], -v[67:68]
	s_delay_alu instid0(VALU_DEP_2) | instskip(NEXT) | instid1(VALU_DEP_2)
	v_add_f64_e32 v[39:40], v[37:38], v[39:40]
	v_add_f64_e32 v[35:36], v[37:38], v[35:36]
	s_delay_alu instid0(VALU_DEP_2) | instskip(NEXT) | instid1(VALU_DEP_2)
	v_add_f64_e32 v[43:44], v[41:42], v[39:40]
	v_add_f64_e32 v[67:68], v[65:66], v[35:36]
	s_delay_alu instid0(VALU_DEP_2) | instskip(SKIP_1) | instid1(VALU_DEP_2)
	v_rcp_f64_e32 v[63:64], v[43:44]
	v_add_f64_e64 v[41:42], v[43:44], -v[41:42]
	v_add_f64_e64 v[65:66], v[67:68], -v[65:66]
	s_delay_alu instid0(VALU_DEP_2) | instskip(SKIP_1) | instid1(TRANS32_DEP_1)
	v_add_f64_e64 v[39:40], v[39:40], -v[41:42]
	s_wait_dscnt 0x0
	v_fma_f64 v[69:70], -v[43:44], v[63:64], 1.0
	s_delay_alu instid0(VALU_DEP_3) | instskip(NEXT) | instid1(VALU_DEP_2)
	v_add_f64_e64 v[35:36], v[35:36], -v[65:66]
	v_fma_f64 v[63:64], v[69:70], v[63:64], v[63:64]
	s_delay_alu instid0(VALU_DEP_1) | instskip(NEXT) | instid1(VALU_DEP_1)
	v_fma_f64 v[37:38], -v[43:44], v[63:64], 1.0
	v_fma_f64 v[37:38], v[37:38], v[63:64], v[63:64]
	s_delay_alu instid0(VALU_DEP_1) | instskip(NEXT) | instid1(VALU_DEP_1)
	v_mul_f64_e32 v[63:64], v[67:68], v[37:38]
	v_mul_f64_e32 v[69:70], v[43:44], v[63:64]
	s_delay_alu instid0(VALU_DEP_1) | instskip(NEXT) | instid1(VALU_DEP_1)
	v_fma_f64 v[41:42], v[63:64], v[43:44], -v[69:70]
	v_fma_f64 v[41:42], v[63:64], v[39:40], v[41:42]
	s_delay_alu instid0(VALU_DEP_1) | instskip(NEXT) | instid1(VALU_DEP_1)
	v_add_f64_e32 v[71:72], v[69:70], v[41:42]
	v_add_f64_e64 v[73:74], v[67:68], -v[71:72]
	v_add_f64_e64 v[65:66], v[71:72], -v[69:70]
	s_delay_alu instid0(VALU_DEP_2) | instskip(NEXT) | instid1(VALU_DEP_2)
	v_add_f64_e64 v[67:68], v[67:68], -v[73:74]
	v_add_f64_e64 v[41:42], v[65:66], -v[41:42]
	s_delay_alu instid0(VALU_DEP_2) | instskip(NEXT) | instid1(VALU_DEP_1)
	v_add_f64_e64 v[67:68], v[67:68], -v[71:72]
	v_add_f64_e32 v[35:36], v[35:36], v[67:68]
	s_delay_alu instid0(VALU_DEP_1) | instskip(NEXT) | instid1(VALU_DEP_1)
	v_add_f64_e32 v[35:36], v[41:42], v[35:36]
	v_add_f64_e32 v[41:42], v[73:74], v[35:36]
	s_delay_alu instid0(VALU_DEP_1) | instskip(SKIP_1) | instid1(VALU_DEP_2)
	v_mul_f64_e32 v[65:66], v[37:38], v[41:42]
	v_add_f64_e64 v[71:72], v[73:74], -v[41:42]
	v_mul_f64_e32 v[67:68], v[43:44], v[65:66]
	s_delay_alu instid0(VALU_DEP_2) | instskip(NEXT) | instid1(VALU_DEP_2)
	v_add_f64_e32 v[35:36], v[35:36], v[71:72]
	v_fma_f64 v[43:44], v[65:66], v[43:44], -v[67:68]
	s_delay_alu instid0(VALU_DEP_1) | instskip(NEXT) | instid1(VALU_DEP_1)
	v_fma_f64 v[39:40], v[65:66], v[39:40], v[43:44]
	v_add_f64_e32 v[43:44], v[67:68], v[39:40]
	s_delay_alu instid0(VALU_DEP_1) | instskip(SKIP_1) | instid1(VALU_DEP_2)
	v_add_f64_e64 v[69:70], v[41:42], -v[43:44]
	v_add_f64_e64 v[67:68], v[43:44], -v[67:68]
	;; [unrolled: 1-line block ×3, first 2 shown]
	s_delay_alu instid0(VALU_DEP_2) | instskip(NEXT) | instid1(VALU_DEP_2)
	v_add_f64_e64 v[39:40], v[67:68], -v[39:40]
	v_add_f64_e64 v[41:42], v[41:42], -v[43:44]
	s_delay_alu instid0(VALU_DEP_1) | instskip(SKIP_1) | instid1(VALU_DEP_2)
	v_add_f64_e32 v[35:36], v[35:36], v[41:42]
	v_add_f64_e32 v[41:42], v[63:64], v[65:66]
	;; [unrolled: 1-line block ×3, first 2 shown]
	s_delay_alu instid0(VALU_DEP_2) | instskip(NEXT) | instid1(VALU_DEP_2)
	v_add_f64_e64 v[39:40], v[41:42], -v[63:64]
	v_add_f64_e32 v[35:36], v[69:70], v[35:36]
	s_delay_alu instid0(VALU_DEP_2) | instskip(NEXT) | instid1(VALU_DEP_2)
	v_add_f64_e64 v[39:40], v[65:66], -v[39:40]
	v_mul_f64_e32 v[35:36], v[37:38], v[35:36]
	s_delay_alu instid0(VALU_DEP_1) | instskip(NEXT) | instid1(VALU_DEP_1)
	v_add_f64_e32 v[35:36], v[39:40], v[35:36]
	v_add_f64_e32 v[37:38], v[41:42], v[35:36]
	s_delay_alu instid0(VALU_DEP_1) | instskip(NEXT) | instid1(VALU_DEP_1)
	v_mul_f64_e32 v[39:40], v[37:38], v[37:38]
	v_fma_f64 v[43:44], v[39:40], s[38:39], s[34:35]
	s_mov_b32 s34, 0xd7f4df2e
	s_mov_b32 s35, 0x3fc7474d
	v_mul_f64_e32 v[63:64], v[37:38], v[39:40]
	s_wait_alu 0xfffe
	s_delay_alu instid0(VALU_DEP_2) | instskip(SKIP_3) | instid1(VALU_DEP_1)
	v_fma_f64 v[43:44], v[39:40], v[43:44], s[34:35]
	s_mov_b32 s34, 0x16291751
	s_mov_b32 s35, 0x3fcc71c0
	s_wait_alu 0xfffe
	v_fma_f64 v[43:44], v[39:40], v[43:44], s[34:35]
	s_mov_b32 s34, 0x9b27acf1
	s_mov_b32 s35, 0x3fd24924
	s_wait_alu 0xfffe
	s_delay_alu instid0(VALU_DEP_1) | instskip(SKIP_3) | instid1(VALU_DEP_1)
	v_fma_f64 v[43:44], v[39:40], v[43:44], s[34:35]
	s_mov_b32 s34, 0x998ef7b6
	s_mov_b32 s35, 0x3fd99999
	s_wait_alu 0xfffe
	v_fma_f64 v[43:44], v[39:40], v[43:44], s[34:35]
	s_delay_alu instid0(VALU_DEP_1)
	v_fma_f64 v[39:40], v[39:40], v[43:44], s[0:1]
	v_ldexp_f64 v[43:44], v[37:38], 1
	v_add_f64_e64 v[37:38], v[37:38], -v[41:42]
	v_cmp_nge_f64_e64 s0, -1.0, v[21:22]
	v_cmp_neq_f64_e64 s1, 0x7ff00000, v[21:22]
	v_mul_f64_e32 v[39:40], v[63:64], v[39:40]
	v_cvt_f64_i32_e32 v[63:64], v0
	v_add_f64_e64 v[35:36], v[35:36], -v[37:38]
	s_and_b32 s0, s0, s1
	s_delay_alu instid0(VALU_DEP_3) | instskip(NEXT) | instid1(VALU_DEP_3)
	v_add_f64_e32 v[41:42], v[43:44], v[39:40]
	v_mul_f64_e32 v[65:66], s[18:19], v[63:64]
	s_delay_alu instid0(VALU_DEP_3) | instskip(NEXT) | instid1(VALU_DEP_3)
	v_ldexp_f64 v[35:36], v[35:36], 1
	v_add_f64_e64 v[37:38], v[41:42], -v[43:44]
	s_delay_alu instid0(VALU_DEP_3) | instskip(NEXT) | instid1(VALU_DEP_2)
	v_fma_f64 v[43:44], v[63:64], s[18:19], -v[65:66]
	v_add_f64_e64 v[37:38], v[39:40], -v[37:38]
	s_delay_alu instid0(VALU_DEP_2) | instskip(NEXT) | instid1(VALU_DEP_2)
	v_fma_f64 v[39:40], v[63:64], s[20:21], v[43:44]
	v_add_f64_e32 v[35:36], v[35:36], v[37:38]
	s_delay_alu instid0(VALU_DEP_2) | instskip(NEXT) | instid1(VALU_DEP_2)
	v_add_f64_e32 v[37:38], v[65:66], v[39:40]
	v_add_f64_e32 v[43:44], v[41:42], v[35:36]
	s_delay_alu instid0(VALU_DEP_2) | instskip(NEXT) | instid1(VALU_DEP_2)
	v_add_f64_e64 v[65:66], v[37:38], -v[65:66]
	v_add_f64_e32 v[63:64], v[37:38], v[43:44]
	v_add_f64_e64 v[41:42], v[43:44], -v[41:42]
	s_delay_alu instid0(VALU_DEP_3) | instskip(NEXT) | instid1(VALU_DEP_3)
	v_add_f64_e64 v[39:40], v[39:40], -v[65:66]
	v_add_f64_e64 v[67:68], v[63:64], -v[37:38]
	s_delay_alu instid0(VALU_DEP_3) | instskip(NEXT) | instid1(VALU_DEP_2)
	v_add_f64_e64 v[35:36], v[35:36], -v[41:42]
	v_add_f64_e64 v[69:70], v[63:64], -v[67:68]
	;; [unrolled: 1-line block ×3, first 2 shown]
	s_delay_alu instid0(VALU_DEP_3) | instskip(NEXT) | instid1(VALU_DEP_3)
	v_add_f64_e32 v[43:44], v[39:40], v[35:36]
	v_add_f64_e64 v[37:38], v[37:38], -v[69:70]
	s_delay_alu instid0(VALU_DEP_1) | instskip(NEXT) | instid1(VALU_DEP_3)
	v_add_f64_e32 v[37:38], v[41:42], v[37:38]
	v_add_f64_e64 v[41:42], v[43:44], -v[39:40]
	s_delay_alu instid0(VALU_DEP_2) | instskip(NEXT) | instid1(VALU_DEP_2)
	v_add_f64_e32 v[37:38], v[43:44], v[37:38]
	v_add_f64_e64 v[43:44], v[43:44], -v[41:42]
	v_add_f64_e64 v[35:36], v[35:36], -v[41:42]
	s_delay_alu instid0(VALU_DEP_3) | instskip(NEXT) | instid1(VALU_DEP_3)
	v_add_f64_e32 v[65:66], v[63:64], v[37:38]
	v_add_f64_e64 v[39:40], v[39:40], -v[43:44]
	s_delay_alu instid0(VALU_DEP_2) | instskip(NEXT) | instid1(VALU_DEP_2)
	v_add_f64_e64 v[41:42], v[65:66], -v[63:64]
	v_add_f64_e32 v[35:36], v[35:36], v[39:40]
	s_delay_alu instid0(VALU_DEP_2) | instskip(NEXT) | instid1(VALU_DEP_1)
	v_add_f64_e64 v[37:38], v[37:38], -v[41:42]
	v_add_f64_e32 v[35:36], v[35:36], v[37:38]
	s_delay_alu instid0(VALU_DEP_1) | instskip(SKIP_1) | instid1(VALU_DEP_1)
	v_add_f64_e32 v[35:36], v[65:66], v[35:36]
	s_wait_alu 0xfffe
	v_cndmask_b32_e64 v35, 0, v35, s0
	v_cmp_neq_f64_e64 s0, -1.0, v[21:22]
	s_delay_alu instid0(VALU_DEP_3) | instskip(NEXT) | instid1(VALU_DEP_1)
	v_cndmask_b32_e64 v0, 0x7ff00000, v36, s1
	v_cndmask_b32_e64 v0, 0x7ff80000, v0, s17
	s_wait_alu 0xf1ff
	s_delay_alu instid0(VALU_DEP_1) | instskip(NEXT) | instid1(VALU_DEP_1)
	v_cndmask_b32_e64 v36, 0xfff00000, v0, s0
	v_add_f64_e32 v[21:22], v[33:34], v[35:36]
.LBB61_118:
	s_wait_alu 0xfffe
	s_or_b32 exec_lo, exec_lo, s22
	s_delay_alu instid0(VALU_DEP_1) | instskip(SKIP_1) | instid1(VALU_DEP_2)
	v_max_num_f64_e32 v[33:34], v[21:22], v[21:22]
	v_cmp_u_f64_e64 s0, v[21:22], v[21:22]
	v_min_num_f64_e32 v[35:36], v[33:34], v[45:46]
	v_max_num_f64_e32 v[33:34], v[33:34], v[45:46]
	s_wait_alu 0xf1ff
	s_delay_alu instid0(VALU_DEP_2) | instskip(NEXT) | instid1(VALU_DEP_3)
	v_cndmask_b32_e64 v0, v35, v21, s0
	v_cndmask_b32_e64 v35, v36, v22, s0
	s_delay_alu instid0(VALU_DEP_3) | instskip(NEXT) | instid1(VALU_DEP_4)
	v_cndmask_b32_e64 v34, v34, v22, s0
	v_cndmask_b32_e64 v33, v33, v21, s0
	s_delay_alu instid0(VALU_DEP_3) | instskip(SKIP_1) | instid1(VALU_DEP_4)
	v_cndmask_b32_e64 v36, v35, v24, s23
	v_cndmask_b32_e64 v35, v0, v23, s23
	;; [unrolled: 1-line block ×3, first 2 shown]
	s_delay_alu instid0(VALU_DEP_4) | instskip(SKIP_1) | instid1(VALU_DEP_4)
	v_cndmask_b32_e64 v33, v33, v23, s23
	v_dual_mov_b32 v24, v22 :: v_dual_mov_b32 v23, v21
	v_cmp_class_f64_e64 s1, v[35:36], 0x1f8
	s_delay_alu instid0(VALU_DEP_3)
	v_cmp_neq_f64_e64 s0, v[35:36], v[33:34]
	s_or_b32 s0, s0, s1
	s_wait_alu 0xfffe
	s_and_saveexec_b32 s22, s0
	s_cbranch_execz .LBB61_120
; %bb.119:
	v_add_f64_e64 v[23:24], v[35:36], -v[33:34]
	s_mov_b32 s0, 0x652b82fe
	s_mov_b32 s1, 0x3ff71547
	s_mov_b32 s19, 0xbfe62e42
	s_mov_b32 s18, 0xfefa39ef
	s_mov_b32 s21, 0xbc7abc9e
	s_mov_b32 s20, 0x3b39803f
	s_mov_b32 s34, 0x6a5dcb37
	s_mov_b32 s35, 0x3e5ade15
	s_mov_b32 s38, 0xbf559e2b
	s_mov_b32 s39, 0x3fc3ab76
	s_wait_alu 0xfffe
	s_delay_alu instid0(VALU_DEP_1) | instskip(SKIP_2) | instid1(VALU_DEP_1)
	v_mul_f64_e32 v[35:36], s[0:1], v[23:24]
	s_mov_b32 s0, 0xfca7ab0c
	s_mov_b32 s1, 0x3e928af3
	v_rndne_f64_e32 v[35:36], v[35:36]
	s_delay_alu instid0(VALU_DEP_1) | instskip(SKIP_2) | instid1(VALU_DEP_2)
	v_fma_f64 v[37:38], v[35:36], s[18:19], v[23:24]
	v_cvt_i32_f64_e32 v0, v[35:36]
	s_mov_b32 s19, 0x3fe62e42
	v_fma_f64 v[37:38], v[35:36], s[20:21], v[37:38]
	s_mov_b32 s21, 0x3c7abc9e
	s_wait_alu 0xfffe
	s_delay_alu instid0(VALU_DEP_1)
	v_fma_f64 v[39:40], v[37:38], s[34:35], s[0:1]
	s_mov_b32 s0, 0x623fde64
	s_mov_b32 s1, 0x3ec71dee
	;; [unrolled: 1-line block ×4, first 2 shown]
	s_wait_alu 0xfffe
	s_delay_alu instid0(VALU_DEP_1) | instskip(SKIP_3) | instid1(VALU_DEP_1)
	v_fma_f64 v[39:40], v[37:38], v[39:40], s[0:1]
	s_mov_b32 s0, 0x7c89e6b0
	s_mov_b32 s1, 0x3efa0199
	s_wait_alu 0xfffe
	v_fma_f64 v[39:40], v[37:38], v[39:40], s[0:1]
	s_mov_b32 s0, 0x14761f6e
	s_mov_b32 s1, 0x3f2a01a0
	s_wait_alu 0xfffe
	s_delay_alu instid0(VALU_DEP_1) | instskip(SKIP_3) | instid1(VALU_DEP_1)
	v_fma_f64 v[39:40], v[37:38], v[39:40], s[0:1]
	s_mov_b32 s0, 0x1852b7b0
	s_mov_b32 s1, 0x3f56c16c
	s_wait_alu 0xfffe
	v_fma_f64 v[39:40], v[37:38], v[39:40], s[0:1]
	s_mov_b32 s0, 0x11122322
	s_mov_b32 s1, 0x3f811111
	;; [unrolled: 9-line block ×3, first 2 shown]
	s_wait_alu 0xfffe
	s_delay_alu instid0(VALU_DEP_1) | instskip(SKIP_3) | instid1(VALU_DEP_1)
	v_fma_f64 v[39:40], v[37:38], v[39:40], s[0:1]
	s_mov_b32 s0, 11
	s_mov_b32 s1, 0x3fe00000
	s_wait_alu 0xfffe
	v_fma_f64 v[39:40], v[37:38], v[39:40], s[0:1]
	v_cmp_nlt_f64_e64 s0, 0x40900000, v[23:24]
	v_cmp_ngt_f64_e64 s1, 0xc090cc00, v[23:24]
	s_delay_alu instid0(VALU_DEP_3) | instskip(NEXT) | instid1(VALU_DEP_1)
	v_fma_f64 v[39:40], v[37:38], v[39:40], 1.0
	v_fma_f64 v[35:36], v[37:38], v[39:40], 1.0
	s_delay_alu instid0(VALU_DEP_1) | instskip(SKIP_1) | instid1(VALU_DEP_1)
	v_ldexp_f64 v[35:36], v[35:36], v0
	s_wait_alu 0xf1ff
	v_cndmask_b32_e64 v0, 0x7ff00000, v36, s0
	s_and_b32 s0, s1, s0
	s_wait_alu 0xfffe
	s_delay_alu instid0(VALU_DEP_2) | instskip(SKIP_3) | instid1(VALU_DEP_1)
	v_cndmask_b32_e64 v23, 0, v35, s0
	s_mov_b32 s0, 0x55555555
	v_cndmask_b32_e64 v24, 0, v0, s1
	s_mov_b32 s1, 0x3fe55555
	v_add_f64_e32 v[35:36], 1.0, v[23:24]
	v_cmp_ngt_f64_e64 s17, -1.0, v[23:24]
	s_delay_alu instid0(VALU_DEP_2) | instskip(SKIP_3) | instid1(VALU_DEP_3)
	v_frexp_mant_f64_e32 v[37:38], v[35:36]
	v_frexp_exp_i32_f64_e32 v0, v[35:36]
	v_add_f64_e32 v[39:40], -1.0, v[35:36]
	s_wait_alu 0xfffe
	v_cmp_gt_f64_e64 s0, s[0:1], v[37:38]
	s_delay_alu instid0(VALU_DEP_2) | instskip(SKIP_2) | instid1(VALU_DEP_3)
	v_add_f64_e64 v[37:38], v[39:40], -v[35:36]
	v_add_f64_e64 v[39:40], v[23:24], -v[39:40]
	s_wait_alu 0xf1ff
	v_subrev_co_ci_u32_e64 v0, null, 0, v0, s0
	s_delay_alu instid0(VALU_DEP_3) | instskip(SKIP_1) | instid1(VALU_DEP_2)
	v_add_f64_e32 v[37:38], 1.0, v[37:38]
	s_mov_b32 s0, 0x55555780
	v_sub_nc_u32_e32 v43, 0, v0
	s_delay_alu instid0(VALU_DEP_1) | instskip(NEXT) | instid1(VALU_DEP_3)
	v_ldexp_f64 v[35:36], v[35:36], v43
	v_add_f64_e32 v[37:38], v[39:40], v[37:38]
	s_delay_alu instid0(VALU_DEP_2) | instskip(SKIP_1) | instid1(VALU_DEP_3)
	v_add_f64_e32 v[41:42], 1.0, v[35:36]
	v_add_f64_e32 v[63:64], -1.0, v[35:36]
	v_ldexp_f64 v[37:38], v[37:38], v43
	s_delay_alu instid0(VALU_DEP_3) | instskip(NEXT) | instid1(VALU_DEP_3)
	v_add_f64_e32 v[39:40], -1.0, v[41:42]
	v_add_f64_e32 v[65:66], 1.0, v[63:64]
	s_delay_alu instid0(VALU_DEP_2) | instskip(NEXT) | instid1(VALU_DEP_2)
	v_add_f64_e64 v[39:40], v[35:36], -v[39:40]
	v_add_f64_e64 v[35:36], v[35:36], -v[65:66]
	s_delay_alu instid0(VALU_DEP_2) | instskip(NEXT) | instid1(VALU_DEP_2)
	v_add_f64_e32 v[39:40], v[37:38], v[39:40]
	v_add_f64_e32 v[35:36], v[37:38], v[35:36]
	s_delay_alu instid0(VALU_DEP_2) | instskip(NEXT) | instid1(VALU_DEP_2)
	v_add_f64_e32 v[43:44], v[41:42], v[39:40]
	v_add_f64_e32 v[65:66], v[63:64], v[35:36]
	s_delay_alu instid0(VALU_DEP_2) | instskip(SKIP_1) | instid1(VALU_DEP_2)
	v_rcp_f64_e32 v[45:46], v[43:44]
	v_add_f64_e64 v[41:42], v[43:44], -v[41:42]
	v_add_f64_e64 v[63:64], v[65:66], -v[63:64]
	s_delay_alu instid0(VALU_DEP_2) | instskip(NEXT) | instid1(TRANS32_DEP_1)
	v_add_f64_e64 v[39:40], v[39:40], -v[41:42]
	v_fma_f64 v[67:68], -v[43:44], v[45:46], 1.0
	s_delay_alu instid0(VALU_DEP_3) | instskip(NEXT) | instid1(VALU_DEP_2)
	v_add_f64_e64 v[35:36], v[35:36], -v[63:64]
	v_fma_f64 v[45:46], v[67:68], v[45:46], v[45:46]
	s_delay_alu instid0(VALU_DEP_1) | instskip(NEXT) | instid1(VALU_DEP_1)
	v_fma_f64 v[37:38], -v[43:44], v[45:46], 1.0
	v_fma_f64 v[37:38], v[37:38], v[45:46], v[45:46]
	s_delay_alu instid0(VALU_DEP_1) | instskip(NEXT) | instid1(VALU_DEP_1)
	v_mul_f64_e32 v[45:46], v[65:66], v[37:38]
	v_mul_f64_e32 v[67:68], v[43:44], v[45:46]
	s_delay_alu instid0(VALU_DEP_1) | instskip(NEXT) | instid1(VALU_DEP_1)
	v_fma_f64 v[41:42], v[45:46], v[43:44], -v[67:68]
	v_fma_f64 v[41:42], v[45:46], v[39:40], v[41:42]
	s_wait_dscnt 0x0
	s_delay_alu instid0(VALU_DEP_1) | instskip(NEXT) | instid1(VALU_DEP_1)
	v_add_f64_e32 v[69:70], v[67:68], v[41:42]
	v_add_f64_e64 v[71:72], v[65:66], -v[69:70]
	v_add_f64_e64 v[63:64], v[69:70], -v[67:68]
	s_delay_alu instid0(VALU_DEP_2) | instskip(NEXT) | instid1(VALU_DEP_2)
	v_add_f64_e64 v[65:66], v[65:66], -v[71:72]
	v_add_f64_e64 v[41:42], v[63:64], -v[41:42]
	s_delay_alu instid0(VALU_DEP_2) | instskip(NEXT) | instid1(VALU_DEP_1)
	v_add_f64_e64 v[65:66], v[65:66], -v[69:70]
	v_add_f64_e32 v[35:36], v[35:36], v[65:66]
	s_delay_alu instid0(VALU_DEP_1) | instskip(NEXT) | instid1(VALU_DEP_1)
	v_add_f64_e32 v[35:36], v[41:42], v[35:36]
	v_add_f64_e32 v[41:42], v[71:72], v[35:36]
	s_delay_alu instid0(VALU_DEP_1) | instskip(SKIP_1) | instid1(VALU_DEP_2)
	v_mul_f64_e32 v[63:64], v[37:38], v[41:42]
	v_add_f64_e64 v[69:70], v[71:72], -v[41:42]
	v_mul_f64_e32 v[65:66], v[43:44], v[63:64]
	s_delay_alu instid0(VALU_DEP_2) | instskip(NEXT) | instid1(VALU_DEP_2)
	v_add_f64_e32 v[35:36], v[35:36], v[69:70]
	v_fma_f64 v[43:44], v[63:64], v[43:44], -v[65:66]
	s_delay_alu instid0(VALU_DEP_1) | instskip(NEXT) | instid1(VALU_DEP_1)
	v_fma_f64 v[39:40], v[63:64], v[39:40], v[43:44]
	v_add_f64_e32 v[43:44], v[65:66], v[39:40]
	s_delay_alu instid0(VALU_DEP_1) | instskip(SKIP_1) | instid1(VALU_DEP_2)
	v_add_f64_e64 v[67:68], v[41:42], -v[43:44]
	v_add_f64_e64 v[65:66], v[43:44], -v[65:66]
	;; [unrolled: 1-line block ×3, first 2 shown]
	s_delay_alu instid0(VALU_DEP_2) | instskip(NEXT) | instid1(VALU_DEP_2)
	v_add_f64_e64 v[39:40], v[65:66], -v[39:40]
	v_add_f64_e64 v[41:42], v[41:42], -v[43:44]
	s_delay_alu instid0(VALU_DEP_1) | instskip(SKIP_1) | instid1(VALU_DEP_2)
	v_add_f64_e32 v[35:36], v[35:36], v[41:42]
	v_add_f64_e32 v[41:42], v[45:46], v[63:64]
	;; [unrolled: 1-line block ×3, first 2 shown]
	s_delay_alu instid0(VALU_DEP_2) | instskip(NEXT) | instid1(VALU_DEP_2)
	v_add_f64_e64 v[39:40], v[41:42], -v[45:46]
	v_add_f64_e32 v[35:36], v[67:68], v[35:36]
	s_delay_alu instid0(VALU_DEP_2) | instskip(NEXT) | instid1(VALU_DEP_2)
	v_add_f64_e64 v[39:40], v[63:64], -v[39:40]
	v_mul_f64_e32 v[35:36], v[37:38], v[35:36]
	s_delay_alu instid0(VALU_DEP_1) | instskip(NEXT) | instid1(VALU_DEP_1)
	v_add_f64_e32 v[35:36], v[39:40], v[35:36]
	v_add_f64_e32 v[37:38], v[41:42], v[35:36]
	s_delay_alu instid0(VALU_DEP_1) | instskip(NEXT) | instid1(VALU_DEP_1)
	v_mul_f64_e32 v[39:40], v[37:38], v[37:38]
	v_fma_f64 v[43:44], v[39:40], s[38:39], s[34:35]
	s_mov_b32 s34, 0xd7f4df2e
	s_mov_b32 s35, 0x3fc7474d
	v_mul_f64_e32 v[45:46], v[37:38], v[39:40]
	s_wait_alu 0xfffe
	s_delay_alu instid0(VALU_DEP_2) | instskip(SKIP_3) | instid1(VALU_DEP_1)
	v_fma_f64 v[43:44], v[39:40], v[43:44], s[34:35]
	s_mov_b32 s34, 0x16291751
	s_mov_b32 s35, 0x3fcc71c0
	s_wait_alu 0xfffe
	v_fma_f64 v[43:44], v[39:40], v[43:44], s[34:35]
	s_mov_b32 s34, 0x9b27acf1
	s_mov_b32 s35, 0x3fd24924
	s_wait_alu 0xfffe
	s_delay_alu instid0(VALU_DEP_1) | instskip(SKIP_3) | instid1(VALU_DEP_1)
	v_fma_f64 v[43:44], v[39:40], v[43:44], s[34:35]
	s_mov_b32 s34, 0x998ef7b6
	s_mov_b32 s35, 0x3fd99999
	s_wait_alu 0xfffe
	v_fma_f64 v[43:44], v[39:40], v[43:44], s[34:35]
	s_delay_alu instid0(VALU_DEP_1)
	v_fma_f64 v[39:40], v[39:40], v[43:44], s[0:1]
	v_ldexp_f64 v[43:44], v[37:38], 1
	v_add_f64_e64 v[37:38], v[37:38], -v[41:42]
	v_cmp_nge_f64_e64 s0, -1.0, v[23:24]
	v_cmp_neq_f64_e64 s1, 0x7ff00000, v[23:24]
	v_mul_f64_e32 v[39:40], v[45:46], v[39:40]
	v_cvt_f64_i32_e32 v[45:46], v0
	v_add_f64_e64 v[35:36], v[35:36], -v[37:38]
	s_and_b32 s0, s0, s1
	s_delay_alu instid0(VALU_DEP_3) | instskip(NEXT) | instid1(VALU_DEP_3)
	v_add_f64_e32 v[41:42], v[43:44], v[39:40]
	v_mul_f64_e32 v[63:64], s[18:19], v[45:46]
	s_delay_alu instid0(VALU_DEP_3) | instskip(NEXT) | instid1(VALU_DEP_3)
	v_ldexp_f64 v[35:36], v[35:36], 1
	v_add_f64_e64 v[37:38], v[41:42], -v[43:44]
	s_delay_alu instid0(VALU_DEP_3) | instskip(NEXT) | instid1(VALU_DEP_2)
	v_fma_f64 v[43:44], v[45:46], s[18:19], -v[63:64]
	v_add_f64_e64 v[37:38], v[39:40], -v[37:38]
	s_delay_alu instid0(VALU_DEP_2) | instskip(NEXT) | instid1(VALU_DEP_2)
	v_fma_f64 v[39:40], v[45:46], s[20:21], v[43:44]
	v_add_f64_e32 v[35:36], v[35:36], v[37:38]
	s_delay_alu instid0(VALU_DEP_2) | instskip(NEXT) | instid1(VALU_DEP_2)
	v_add_f64_e32 v[37:38], v[63:64], v[39:40]
	v_add_f64_e32 v[43:44], v[41:42], v[35:36]
	s_delay_alu instid0(VALU_DEP_2) | instskip(NEXT) | instid1(VALU_DEP_2)
	v_add_f64_e64 v[63:64], v[37:38], -v[63:64]
	v_add_f64_e32 v[45:46], v[37:38], v[43:44]
	v_add_f64_e64 v[41:42], v[43:44], -v[41:42]
	s_delay_alu instid0(VALU_DEP_3) | instskip(NEXT) | instid1(VALU_DEP_3)
	v_add_f64_e64 v[39:40], v[39:40], -v[63:64]
	v_add_f64_e64 v[65:66], v[45:46], -v[37:38]
	s_delay_alu instid0(VALU_DEP_3) | instskip(NEXT) | instid1(VALU_DEP_2)
	v_add_f64_e64 v[35:36], v[35:36], -v[41:42]
	v_add_f64_e64 v[67:68], v[45:46], -v[65:66]
	;; [unrolled: 1-line block ×3, first 2 shown]
	s_delay_alu instid0(VALU_DEP_3) | instskip(NEXT) | instid1(VALU_DEP_3)
	v_add_f64_e32 v[43:44], v[39:40], v[35:36]
	v_add_f64_e64 v[37:38], v[37:38], -v[67:68]
	s_delay_alu instid0(VALU_DEP_1) | instskip(NEXT) | instid1(VALU_DEP_3)
	v_add_f64_e32 v[37:38], v[41:42], v[37:38]
	v_add_f64_e64 v[41:42], v[43:44], -v[39:40]
	s_delay_alu instid0(VALU_DEP_2) | instskip(NEXT) | instid1(VALU_DEP_2)
	v_add_f64_e32 v[37:38], v[43:44], v[37:38]
	v_add_f64_e64 v[43:44], v[43:44], -v[41:42]
	v_add_f64_e64 v[35:36], v[35:36], -v[41:42]
	s_delay_alu instid0(VALU_DEP_3) | instskip(NEXT) | instid1(VALU_DEP_3)
	v_add_f64_e32 v[63:64], v[45:46], v[37:38]
	v_add_f64_e64 v[39:40], v[39:40], -v[43:44]
	s_delay_alu instid0(VALU_DEP_2) | instskip(NEXT) | instid1(VALU_DEP_2)
	v_add_f64_e64 v[41:42], v[63:64], -v[45:46]
	v_add_f64_e32 v[35:36], v[35:36], v[39:40]
	s_delay_alu instid0(VALU_DEP_2) | instskip(NEXT) | instid1(VALU_DEP_1)
	v_add_f64_e64 v[37:38], v[37:38], -v[41:42]
	v_add_f64_e32 v[35:36], v[35:36], v[37:38]
	s_delay_alu instid0(VALU_DEP_1) | instskip(SKIP_1) | instid1(VALU_DEP_1)
	v_add_f64_e32 v[35:36], v[63:64], v[35:36]
	s_wait_alu 0xfffe
	v_cndmask_b32_e64 v35, 0, v35, s0
	v_cmp_neq_f64_e64 s0, -1.0, v[23:24]
	s_delay_alu instid0(VALU_DEP_3) | instskip(NEXT) | instid1(VALU_DEP_1)
	v_cndmask_b32_e64 v0, 0x7ff00000, v36, s1
	v_cndmask_b32_e64 v0, 0x7ff80000, v0, s17
	s_wait_alu 0xf1ff
	s_delay_alu instid0(VALU_DEP_1) | instskip(NEXT) | instid1(VALU_DEP_1)
	v_cndmask_b32_e64 v36, 0xfff00000, v0, s0
	v_add_f64_e32 v[23:24], v[33:34], v[35:36]
.LBB61_120:
	s_wait_alu 0xfffe
	s_or_b32 exec_lo, exec_lo, s22
	s_delay_alu instid0(VALU_DEP_1) | instskip(SKIP_1) | instid1(VALU_DEP_2)
	v_max_num_f64_e32 v[33:34], v[23:24], v[23:24]
	v_cmp_u_f64_e64 s0, v[23:24], v[23:24]
	v_min_num_f64_e32 v[35:36], v[33:34], v[47:48]
	v_max_num_f64_e32 v[33:34], v[33:34], v[47:48]
	s_wait_alu 0xf1ff
	s_delay_alu instid0(VALU_DEP_2) | instskip(NEXT) | instid1(VALU_DEP_3)
	v_cndmask_b32_e64 v0, v35, v23, s0
	v_cndmask_b32_e64 v35, v36, v24, s0
	s_delay_alu instid0(VALU_DEP_3) | instskip(NEXT) | instid1(VALU_DEP_4)
	v_cndmask_b32_e64 v34, v34, v24, s0
	v_cndmask_b32_e64 v33, v33, v23, s0
	s_delay_alu instid0(VALU_DEP_3) | instskip(SKIP_1) | instid1(VALU_DEP_4)
	v_cndmask_b32_e64 v36, v35, v18, s24
	v_cndmask_b32_e64 v35, v0, v17, s24
	;; [unrolled: 1-line block ×3, first 2 shown]
	s_delay_alu instid0(VALU_DEP_4) | instskip(SKIP_1) | instid1(VALU_DEP_4)
	v_cndmask_b32_e64 v33, v33, v17, s24
	v_dual_mov_b32 v17, v23 :: v_dual_mov_b32 v18, v24
	v_cmp_class_f64_e64 s1, v[35:36], 0x1f8
	s_delay_alu instid0(VALU_DEP_3)
	v_cmp_neq_f64_e64 s0, v[35:36], v[33:34]
	s_or_b32 s0, s0, s1
	s_wait_alu 0xfffe
	s_and_saveexec_b32 s22, s0
	s_cbranch_execz .LBB61_122
; %bb.121:
	v_add_f64_e64 v[17:18], v[35:36], -v[33:34]
	s_mov_b32 s0, 0x652b82fe
	s_mov_b32 s1, 0x3ff71547
	;; [unrolled: 1-line block ×10, first 2 shown]
	s_wait_alu 0xfffe
	s_delay_alu instid0(VALU_DEP_1) | instskip(SKIP_2) | instid1(VALU_DEP_1)
	v_mul_f64_e32 v[35:36], s[0:1], v[17:18]
	s_mov_b32 s0, 0xfca7ab0c
	s_mov_b32 s1, 0x3e928af3
	v_rndne_f64_e32 v[35:36], v[35:36]
	s_delay_alu instid0(VALU_DEP_1) | instskip(SKIP_2) | instid1(VALU_DEP_2)
	v_fma_f64 v[37:38], v[35:36], s[18:19], v[17:18]
	v_cvt_i32_f64_e32 v0, v[35:36]
	s_mov_b32 s19, 0x3fe62e42
	v_fma_f64 v[37:38], v[35:36], s[20:21], v[37:38]
	s_mov_b32 s21, 0x3c7abc9e
	s_wait_alu 0xfffe
	s_delay_alu instid0(VALU_DEP_1)
	v_fma_f64 v[39:40], v[37:38], s[34:35], s[0:1]
	s_mov_b32 s0, 0x623fde64
	s_mov_b32 s1, 0x3ec71dee
	;; [unrolled: 1-line block ×4, first 2 shown]
	s_wait_alu 0xfffe
	s_delay_alu instid0(VALU_DEP_1) | instskip(SKIP_3) | instid1(VALU_DEP_1)
	v_fma_f64 v[39:40], v[37:38], v[39:40], s[0:1]
	s_mov_b32 s0, 0x7c89e6b0
	s_mov_b32 s1, 0x3efa0199
	s_wait_alu 0xfffe
	v_fma_f64 v[39:40], v[37:38], v[39:40], s[0:1]
	s_mov_b32 s0, 0x14761f6e
	s_mov_b32 s1, 0x3f2a01a0
	s_wait_alu 0xfffe
	s_delay_alu instid0(VALU_DEP_1) | instskip(SKIP_3) | instid1(VALU_DEP_1)
	v_fma_f64 v[39:40], v[37:38], v[39:40], s[0:1]
	s_mov_b32 s0, 0x1852b7b0
	s_mov_b32 s1, 0x3f56c16c
	s_wait_alu 0xfffe
	v_fma_f64 v[39:40], v[37:38], v[39:40], s[0:1]
	s_mov_b32 s0, 0x11122322
	s_mov_b32 s1, 0x3f811111
	;; [unrolled: 9-line block ×3, first 2 shown]
	s_wait_alu 0xfffe
	s_delay_alu instid0(VALU_DEP_1) | instskip(SKIP_3) | instid1(VALU_DEP_1)
	v_fma_f64 v[39:40], v[37:38], v[39:40], s[0:1]
	s_mov_b32 s0, 11
	s_mov_b32 s1, 0x3fe00000
	s_wait_alu 0xfffe
	v_fma_f64 v[39:40], v[37:38], v[39:40], s[0:1]
	v_cmp_nlt_f64_e64 s0, 0x40900000, v[17:18]
	v_cmp_ngt_f64_e64 s1, 0xc090cc00, v[17:18]
	s_delay_alu instid0(VALU_DEP_3) | instskip(NEXT) | instid1(VALU_DEP_1)
	v_fma_f64 v[39:40], v[37:38], v[39:40], 1.0
	v_fma_f64 v[35:36], v[37:38], v[39:40], 1.0
	s_delay_alu instid0(VALU_DEP_1) | instskip(SKIP_1) | instid1(VALU_DEP_1)
	v_ldexp_f64 v[35:36], v[35:36], v0
	s_wait_alu 0xf1ff
	v_cndmask_b32_e64 v0, 0x7ff00000, v36, s0
	s_and_b32 s0, s1, s0
	s_wait_alu 0xfffe
	s_delay_alu instid0(VALU_DEP_2) | instskip(SKIP_3) | instid1(VALU_DEP_1)
	v_cndmask_b32_e64 v17, 0, v35, s0
	s_mov_b32 s0, 0x55555555
	v_cndmask_b32_e64 v18, 0, v0, s1
	s_mov_b32 s1, 0x3fe55555
	v_add_f64_e32 v[35:36], 1.0, v[17:18]
	v_cmp_ngt_f64_e64 s17, -1.0, v[17:18]
	s_delay_alu instid0(VALU_DEP_2) | instskip(SKIP_3) | instid1(VALU_DEP_3)
	v_frexp_mant_f64_e32 v[37:38], v[35:36]
	v_frexp_exp_i32_f64_e32 v0, v[35:36]
	v_add_f64_e32 v[39:40], -1.0, v[35:36]
	s_wait_alu 0xfffe
	v_cmp_gt_f64_e64 s0, s[0:1], v[37:38]
	s_delay_alu instid0(VALU_DEP_2) | instskip(SKIP_2) | instid1(VALU_DEP_3)
	v_add_f64_e64 v[37:38], v[39:40], -v[35:36]
	v_add_f64_e64 v[39:40], v[17:18], -v[39:40]
	s_wait_alu 0xf1ff
	v_subrev_co_ci_u32_e64 v0, null, 0, v0, s0
	s_delay_alu instid0(VALU_DEP_3) | instskip(SKIP_1) | instid1(VALU_DEP_2)
	v_add_f64_e32 v[37:38], 1.0, v[37:38]
	s_mov_b32 s0, 0x55555780
	v_sub_nc_u32_e32 v43, 0, v0
	s_delay_alu instid0(VALU_DEP_1) | instskip(NEXT) | instid1(VALU_DEP_3)
	v_ldexp_f64 v[35:36], v[35:36], v43
	v_add_f64_e32 v[37:38], v[39:40], v[37:38]
	s_delay_alu instid0(VALU_DEP_2) | instskip(SKIP_1) | instid1(VALU_DEP_3)
	v_add_f64_e32 v[41:42], 1.0, v[35:36]
	v_add_f64_e32 v[47:48], -1.0, v[35:36]
	v_ldexp_f64 v[37:38], v[37:38], v43
	s_delay_alu instid0(VALU_DEP_3) | instskip(NEXT) | instid1(VALU_DEP_3)
	v_add_f64_e32 v[39:40], -1.0, v[41:42]
	v_add_f64_e32 v[63:64], 1.0, v[47:48]
	s_delay_alu instid0(VALU_DEP_2) | instskip(NEXT) | instid1(VALU_DEP_2)
	v_add_f64_e64 v[39:40], v[35:36], -v[39:40]
	v_add_f64_e64 v[35:36], v[35:36], -v[63:64]
	s_delay_alu instid0(VALU_DEP_2) | instskip(NEXT) | instid1(VALU_DEP_2)
	v_add_f64_e32 v[39:40], v[37:38], v[39:40]
	v_add_f64_e32 v[35:36], v[37:38], v[35:36]
	s_delay_alu instid0(VALU_DEP_2) | instskip(NEXT) | instid1(VALU_DEP_2)
	v_add_f64_e32 v[43:44], v[41:42], v[39:40]
	v_add_f64_e32 v[63:64], v[47:48], v[35:36]
	s_delay_alu instid0(VALU_DEP_2) | instskip(SKIP_1) | instid1(VALU_DEP_2)
	v_rcp_f64_e32 v[45:46], v[43:44]
	v_add_f64_e64 v[41:42], v[43:44], -v[41:42]
	v_add_f64_e64 v[47:48], v[63:64], -v[47:48]
	s_delay_alu instid0(VALU_DEP_2) | instskip(NEXT) | instid1(TRANS32_DEP_1)
	v_add_f64_e64 v[39:40], v[39:40], -v[41:42]
	v_fma_f64 v[65:66], -v[43:44], v[45:46], 1.0
	s_delay_alu instid0(VALU_DEP_3) | instskip(NEXT) | instid1(VALU_DEP_2)
	v_add_f64_e64 v[35:36], v[35:36], -v[47:48]
	v_fma_f64 v[45:46], v[65:66], v[45:46], v[45:46]
	s_delay_alu instid0(VALU_DEP_1) | instskip(NEXT) | instid1(VALU_DEP_1)
	v_fma_f64 v[37:38], -v[43:44], v[45:46], 1.0
	v_fma_f64 v[37:38], v[37:38], v[45:46], v[45:46]
	s_delay_alu instid0(VALU_DEP_1) | instskip(NEXT) | instid1(VALU_DEP_1)
	v_mul_f64_e32 v[45:46], v[63:64], v[37:38]
	v_mul_f64_e32 v[65:66], v[43:44], v[45:46]
	s_delay_alu instid0(VALU_DEP_1) | instskip(NEXT) | instid1(VALU_DEP_1)
	v_fma_f64 v[41:42], v[45:46], v[43:44], -v[65:66]
	v_fma_f64 v[41:42], v[45:46], v[39:40], v[41:42]
	s_delay_alu instid0(VALU_DEP_1) | instskip(SKIP_1) | instid1(VALU_DEP_1)
	v_add_f64_e32 v[67:68], v[65:66], v[41:42]
	s_wait_dscnt 0x0
	v_add_f64_e64 v[69:70], v[63:64], -v[67:68]
	v_add_f64_e64 v[47:48], v[67:68], -v[65:66]
	s_delay_alu instid0(VALU_DEP_2) | instskip(NEXT) | instid1(VALU_DEP_2)
	v_add_f64_e64 v[63:64], v[63:64], -v[69:70]
	v_add_f64_e64 v[41:42], v[47:48], -v[41:42]
	s_delay_alu instid0(VALU_DEP_2) | instskip(NEXT) | instid1(VALU_DEP_1)
	v_add_f64_e64 v[63:64], v[63:64], -v[67:68]
	v_add_f64_e32 v[35:36], v[35:36], v[63:64]
	s_delay_alu instid0(VALU_DEP_1) | instskip(NEXT) | instid1(VALU_DEP_1)
	v_add_f64_e32 v[35:36], v[41:42], v[35:36]
	v_add_f64_e32 v[41:42], v[69:70], v[35:36]
	s_delay_alu instid0(VALU_DEP_1) | instskip(SKIP_1) | instid1(VALU_DEP_2)
	v_mul_f64_e32 v[47:48], v[37:38], v[41:42]
	v_add_f64_e64 v[67:68], v[69:70], -v[41:42]
	v_mul_f64_e32 v[63:64], v[43:44], v[47:48]
	s_delay_alu instid0(VALU_DEP_2) | instskip(NEXT) | instid1(VALU_DEP_2)
	v_add_f64_e32 v[35:36], v[35:36], v[67:68]
	v_fma_f64 v[43:44], v[47:48], v[43:44], -v[63:64]
	s_delay_alu instid0(VALU_DEP_1) | instskip(NEXT) | instid1(VALU_DEP_1)
	v_fma_f64 v[39:40], v[47:48], v[39:40], v[43:44]
	v_add_f64_e32 v[43:44], v[63:64], v[39:40]
	s_delay_alu instid0(VALU_DEP_1) | instskip(SKIP_1) | instid1(VALU_DEP_2)
	v_add_f64_e64 v[65:66], v[41:42], -v[43:44]
	v_add_f64_e64 v[63:64], v[43:44], -v[63:64]
	;; [unrolled: 1-line block ×3, first 2 shown]
	s_delay_alu instid0(VALU_DEP_2) | instskip(NEXT) | instid1(VALU_DEP_2)
	v_add_f64_e64 v[39:40], v[63:64], -v[39:40]
	v_add_f64_e64 v[41:42], v[41:42], -v[43:44]
	s_delay_alu instid0(VALU_DEP_1) | instskip(SKIP_1) | instid1(VALU_DEP_2)
	v_add_f64_e32 v[35:36], v[35:36], v[41:42]
	v_add_f64_e32 v[41:42], v[45:46], v[47:48]
	;; [unrolled: 1-line block ×3, first 2 shown]
	s_delay_alu instid0(VALU_DEP_2) | instskip(NEXT) | instid1(VALU_DEP_2)
	v_add_f64_e64 v[39:40], v[41:42], -v[45:46]
	v_add_f64_e32 v[35:36], v[65:66], v[35:36]
	s_delay_alu instid0(VALU_DEP_2) | instskip(NEXT) | instid1(VALU_DEP_2)
	v_add_f64_e64 v[39:40], v[47:48], -v[39:40]
	v_mul_f64_e32 v[35:36], v[37:38], v[35:36]
	s_delay_alu instid0(VALU_DEP_1) | instskip(NEXT) | instid1(VALU_DEP_1)
	v_add_f64_e32 v[35:36], v[39:40], v[35:36]
	v_add_f64_e32 v[37:38], v[41:42], v[35:36]
	s_delay_alu instid0(VALU_DEP_1) | instskip(NEXT) | instid1(VALU_DEP_1)
	v_mul_f64_e32 v[39:40], v[37:38], v[37:38]
	v_fma_f64 v[43:44], v[39:40], s[38:39], s[34:35]
	s_mov_b32 s34, 0xd7f4df2e
	s_mov_b32 s35, 0x3fc7474d
	v_mul_f64_e32 v[45:46], v[37:38], v[39:40]
	s_wait_alu 0xfffe
	s_delay_alu instid0(VALU_DEP_2) | instskip(SKIP_3) | instid1(VALU_DEP_1)
	v_fma_f64 v[43:44], v[39:40], v[43:44], s[34:35]
	s_mov_b32 s34, 0x16291751
	s_mov_b32 s35, 0x3fcc71c0
	s_wait_alu 0xfffe
	v_fma_f64 v[43:44], v[39:40], v[43:44], s[34:35]
	s_mov_b32 s34, 0x9b27acf1
	s_mov_b32 s35, 0x3fd24924
	s_wait_alu 0xfffe
	s_delay_alu instid0(VALU_DEP_1) | instskip(SKIP_3) | instid1(VALU_DEP_1)
	v_fma_f64 v[43:44], v[39:40], v[43:44], s[34:35]
	s_mov_b32 s34, 0x998ef7b6
	s_mov_b32 s35, 0x3fd99999
	s_wait_alu 0xfffe
	v_fma_f64 v[43:44], v[39:40], v[43:44], s[34:35]
	s_delay_alu instid0(VALU_DEP_1)
	v_fma_f64 v[39:40], v[39:40], v[43:44], s[0:1]
	v_ldexp_f64 v[43:44], v[37:38], 1
	v_add_f64_e64 v[37:38], v[37:38], -v[41:42]
	v_cmp_nge_f64_e64 s0, -1.0, v[17:18]
	v_cmp_neq_f64_e64 s1, 0x7ff00000, v[17:18]
	v_mul_f64_e32 v[39:40], v[45:46], v[39:40]
	v_cvt_f64_i32_e32 v[45:46], v0
	v_add_f64_e64 v[35:36], v[35:36], -v[37:38]
	s_and_b32 s0, s0, s1
	s_delay_alu instid0(VALU_DEP_3) | instskip(NEXT) | instid1(VALU_DEP_3)
	v_add_f64_e32 v[41:42], v[43:44], v[39:40]
	v_mul_f64_e32 v[47:48], s[18:19], v[45:46]
	s_delay_alu instid0(VALU_DEP_3) | instskip(NEXT) | instid1(VALU_DEP_3)
	v_ldexp_f64 v[35:36], v[35:36], 1
	v_add_f64_e64 v[37:38], v[41:42], -v[43:44]
	s_delay_alu instid0(VALU_DEP_3) | instskip(NEXT) | instid1(VALU_DEP_2)
	v_fma_f64 v[43:44], v[45:46], s[18:19], -v[47:48]
	v_add_f64_e64 v[37:38], v[39:40], -v[37:38]
	s_delay_alu instid0(VALU_DEP_2) | instskip(NEXT) | instid1(VALU_DEP_2)
	v_fma_f64 v[39:40], v[45:46], s[20:21], v[43:44]
	v_add_f64_e32 v[35:36], v[35:36], v[37:38]
	s_delay_alu instid0(VALU_DEP_2) | instskip(NEXT) | instid1(VALU_DEP_2)
	v_add_f64_e32 v[37:38], v[47:48], v[39:40]
	v_add_f64_e32 v[43:44], v[41:42], v[35:36]
	s_delay_alu instid0(VALU_DEP_2) | instskip(NEXT) | instid1(VALU_DEP_2)
	v_add_f64_e64 v[47:48], v[37:38], -v[47:48]
	v_add_f64_e32 v[45:46], v[37:38], v[43:44]
	v_add_f64_e64 v[41:42], v[43:44], -v[41:42]
	s_delay_alu instid0(VALU_DEP_3) | instskip(NEXT) | instid1(VALU_DEP_3)
	v_add_f64_e64 v[39:40], v[39:40], -v[47:48]
	v_add_f64_e64 v[63:64], v[45:46], -v[37:38]
	s_delay_alu instid0(VALU_DEP_3) | instskip(NEXT) | instid1(VALU_DEP_2)
	v_add_f64_e64 v[35:36], v[35:36], -v[41:42]
	v_add_f64_e64 v[65:66], v[45:46], -v[63:64]
	;; [unrolled: 1-line block ×3, first 2 shown]
	s_delay_alu instid0(VALU_DEP_3) | instskip(NEXT) | instid1(VALU_DEP_3)
	v_add_f64_e32 v[43:44], v[39:40], v[35:36]
	v_add_f64_e64 v[37:38], v[37:38], -v[65:66]
	s_delay_alu instid0(VALU_DEP_1) | instskip(NEXT) | instid1(VALU_DEP_3)
	v_add_f64_e32 v[37:38], v[41:42], v[37:38]
	v_add_f64_e64 v[41:42], v[43:44], -v[39:40]
	s_delay_alu instid0(VALU_DEP_2) | instskip(NEXT) | instid1(VALU_DEP_2)
	v_add_f64_e32 v[37:38], v[43:44], v[37:38]
	v_add_f64_e64 v[43:44], v[43:44], -v[41:42]
	v_add_f64_e64 v[35:36], v[35:36], -v[41:42]
	s_delay_alu instid0(VALU_DEP_3) | instskip(NEXT) | instid1(VALU_DEP_3)
	v_add_f64_e32 v[47:48], v[45:46], v[37:38]
	v_add_f64_e64 v[39:40], v[39:40], -v[43:44]
	s_delay_alu instid0(VALU_DEP_2) | instskip(NEXT) | instid1(VALU_DEP_2)
	v_add_f64_e64 v[41:42], v[47:48], -v[45:46]
	v_add_f64_e32 v[35:36], v[35:36], v[39:40]
	s_delay_alu instid0(VALU_DEP_2) | instskip(NEXT) | instid1(VALU_DEP_1)
	v_add_f64_e64 v[37:38], v[37:38], -v[41:42]
	v_add_f64_e32 v[35:36], v[35:36], v[37:38]
	s_delay_alu instid0(VALU_DEP_1) | instskip(SKIP_1) | instid1(VALU_DEP_1)
	v_add_f64_e32 v[35:36], v[47:48], v[35:36]
	s_wait_alu 0xfffe
	v_cndmask_b32_e64 v35, 0, v35, s0
	v_cmp_neq_f64_e64 s0, -1.0, v[17:18]
	s_delay_alu instid0(VALU_DEP_3) | instskip(NEXT) | instid1(VALU_DEP_1)
	v_cndmask_b32_e64 v0, 0x7ff00000, v36, s1
	v_cndmask_b32_e64 v0, 0x7ff80000, v0, s17
	s_wait_alu 0xf1ff
	s_delay_alu instid0(VALU_DEP_1) | instskip(NEXT) | instid1(VALU_DEP_1)
	v_cndmask_b32_e64 v36, 0xfff00000, v0, s0
	v_add_f64_e32 v[17:18], v[33:34], v[35:36]
.LBB61_122:
	s_wait_alu 0xfffe
	s_or_b32 exec_lo, exec_lo, s22
	s_delay_alu instid0(VALU_DEP_1) | instskip(SKIP_1) | instid1(VALU_DEP_2)
	v_max_num_f64_e32 v[33:34], v[17:18], v[17:18]
	v_cmp_u_f64_e64 s0, v[17:18], v[17:18]
	v_min_num_f64_e32 v[35:36], v[33:34], v[49:50]
	v_max_num_f64_e32 v[33:34], v[33:34], v[49:50]
	s_wait_alu 0xf1ff
	s_delay_alu instid0(VALU_DEP_2) | instskip(NEXT) | instid1(VALU_DEP_3)
	v_cndmask_b32_e64 v0, v35, v17, s0
	v_cndmask_b32_e64 v35, v36, v18, s0
	s_delay_alu instid0(VALU_DEP_3) | instskip(NEXT) | instid1(VALU_DEP_4)
	v_cndmask_b32_e64 v34, v34, v18, s0
	v_cndmask_b32_e64 v33, v33, v17, s0
	s_delay_alu instid0(VALU_DEP_3) | instskip(SKIP_1) | instid1(VALU_DEP_4)
	v_cndmask_b32_e64 v36, v35, v20, s25
	v_cndmask_b32_e64 v35, v0, v19, s25
	;; [unrolled: 1-line block ×3, first 2 shown]
	s_delay_alu instid0(VALU_DEP_4) | instskip(SKIP_1) | instid1(VALU_DEP_4)
	v_cndmask_b32_e64 v33, v33, v19, s25
	v_dual_mov_b32 v20, v18 :: v_dual_mov_b32 v19, v17
	v_cmp_class_f64_e64 s1, v[35:36], 0x1f8
	s_delay_alu instid0(VALU_DEP_3)
	v_cmp_neq_f64_e64 s0, v[35:36], v[33:34]
	s_or_b32 s0, s0, s1
	s_wait_alu 0xfffe
	s_and_saveexec_b32 s22, s0
	s_cbranch_execz .LBB61_124
; %bb.123:
	v_add_f64_e64 v[19:20], v[35:36], -v[33:34]
	s_mov_b32 s0, 0x652b82fe
	s_mov_b32 s1, 0x3ff71547
	;; [unrolled: 1-line block ×10, first 2 shown]
	s_wait_alu 0xfffe
	s_delay_alu instid0(VALU_DEP_1) | instskip(SKIP_2) | instid1(VALU_DEP_1)
	v_mul_f64_e32 v[35:36], s[0:1], v[19:20]
	s_mov_b32 s0, 0xfca7ab0c
	s_mov_b32 s1, 0x3e928af3
	v_rndne_f64_e32 v[35:36], v[35:36]
	s_delay_alu instid0(VALU_DEP_1) | instskip(SKIP_2) | instid1(VALU_DEP_2)
	v_fma_f64 v[37:38], v[35:36], s[18:19], v[19:20]
	v_cvt_i32_f64_e32 v0, v[35:36]
	s_mov_b32 s19, 0x3fe62e42
	v_fma_f64 v[37:38], v[35:36], s[20:21], v[37:38]
	s_mov_b32 s21, 0x3c7abc9e
	s_wait_alu 0xfffe
	s_delay_alu instid0(VALU_DEP_1)
	v_fma_f64 v[39:40], v[37:38], s[24:25], s[0:1]
	s_mov_b32 s0, 0x623fde64
	s_mov_b32 s1, 0x3ec71dee
	s_mov_b32 s24, 0x6b47b09a
	s_mov_b32 s25, 0x3fc38538
	s_wait_alu 0xfffe
	s_delay_alu instid0(VALU_DEP_1) | instskip(SKIP_3) | instid1(VALU_DEP_1)
	v_fma_f64 v[39:40], v[37:38], v[39:40], s[0:1]
	s_mov_b32 s0, 0x7c89e6b0
	s_mov_b32 s1, 0x3efa0199
	s_wait_alu 0xfffe
	v_fma_f64 v[39:40], v[37:38], v[39:40], s[0:1]
	s_mov_b32 s0, 0x14761f6e
	s_mov_b32 s1, 0x3f2a01a0
	s_wait_alu 0xfffe
	s_delay_alu instid0(VALU_DEP_1) | instskip(SKIP_3) | instid1(VALU_DEP_1)
	v_fma_f64 v[39:40], v[37:38], v[39:40], s[0:1]
	s_mov_b32 s0, 0x1852b7b0
	s_mov_b32 s1, 0x3f56c16c
	s_wait_alu 0xfffe
	v_fma_f64 v[39:40], v[37:38], v[39:40], s[0:1]
	s_mov_b32 s0, 0x11122322
	s_mov_b32 s1, 0x3f811111
	;; [unrolled: 9-line block ×3, first 2 shown]
	s_wait_alu 0xfffe
	s_delay_alu instid0(VALU_DEP_1) | instskip(SKIP_3) | instid1(VALU_DEP_1)
	v_fma_f64 v[39:40], v[37:38], v[39:40], s[0:1]
	s_mov_b32 s0, 11
	s_mov_b32 s1, 0x3fe00000
	s_wait_alu 0xfffe
	v_fma_f64 v[39:40], v[37:38], v[39:40], s[0:1]
	v_cmp_nlt_f64_e64 s0, 0x40900000, v[19:20]
	v_cmp_ngt_f64_e64 s1, 0xc090cc00, v[19:20]
	s_delay_alu instid0(VALU_DEP_3) | instskip(NEXT) | instid1(VALU_DEP_1)
	v_fma_f64 v[39:40], v[37:38], v[39:40], 1.0
	v_fma_f64 v[35:36], v[37:38], v[39:40], 1.0
	s_delay_alu instid0(VALU_DEP_1) | instskip(SKIP_1) | instid1(VALU_DEP_1)
	v_ldexp_f64 v[35:36], v[35:36], v0
	s_wait_alu 0xf1ff
	v_cndmask_b32_e64 v0, 0x7ff00000, v36, s0
	s_and_b32 s0, s1, s0
	s_wait_alu 0xfffe
	s_delay_alu instid0(VALU_DEP_2) | instskip(SKIP_3) | instid1(VALU_DEP_1)
	v_cndmask_b32_e64 v19, 0, v35, s0
	s_mov_b32 s0, 0x55555555
	v_cndmask_b32_e64 v20, 0, v0, s1
	s_mov_b32 s1, 0x3fe55555
	v_add_f64_e32 v[35:36], 1.0, v[19:20]
	v_cmp_ngt_f64_e64 s17, -1.0, v[19:20]
	s_delay_alu instid0(VALU_DEP_2) | instskip(SKIP_3) | instid1(VALU_DEP_3)
	v_frexp_mant_f64_e32 v[37:38], v[35:36]
	v_frexp_exp_i32_f64_e32 v0, v[35:36]
	v_add_f64_e32 v[39:40], -1.0, v[35:36]
	s_wait_alu 0xfffe
	v_cmp_gt_f64_e64 s0, s[0:1], v[37:38]
	s_delay_alu instid0(VALU_DEP_2) | instskip(SKIP_2) | instid1(VALU_DEP_3)
	v_add_f64_e64 v[37:38], v[39:40], -v[35:36]
	v_add_f64_e64 v[39:40], v[19:20], -v[39:40]
	s_wait_alu 0xf1ff
	v_subrev_co_ci_u32_e64 v0, null, 0, v0, s0
	s_delay_alu instid0(VALU_DEP_3) | instskip(SKIP_1) | instid1(VALU_DEP_2)
	v_add_f64_e32 v[37:38], 1.0, v[37:38]
	s_mov_b32 s0, 0x55555780
	v_sub_nc_u32_e32 v43, 0, v0
	s_delay_alu instid0(VALU_DEP_1) | instskip(NEXT) | instid1(VALU_DEP_3)
	v_ldexp_f64 v[35:36], v[35:36], v43
	v_add_f64_e32 v[37:38], v[39:40], v[37:38]
	s_delay_alu instid0(VALU_DEP_2) | instskip(SKIP_1) | instid1(VALU_DEP_3)
	v_add_f64_e32 v[41:42], 1.0, v[35:36]
	v_add_f64_e32 v[47:48], -1.0, v[35:36]
	v_ldexp_f64 v[37:38], v[37:38], v43
	s_delay_alu instid0(VALU_DEP_3) | instskip(NEXT) | instid1(VALU_DEP_3)
	v_add_f64_e32 v[39:40], -1.0, v[41:42]
	v_add_f64_e32 v[49:50], 1.0, v[47:48]
	s_delay_alu instid0(VALU_DEP_2) | instskip(NEXT) | instid1(VALU_DEP_2)
	v_add_f64_e64 v[39:40], v[35:36], -v[39:40]
	v_add_f64_e64 v[35:36], v[35:36], -v[49:50]
	s_delay_alu instid0(VALU_DEP_2) | instskip(NEXT) | instid1(VALU_DEP_2)
	v_add_f64_e32 v[39:40], v[37:38], v[39:40]
	v_add_f64_e32 v[35:36], v[37:38], v[35:36]
	s_delay_alu instid0(VALU_DEP_2) | instskip(NEXT) | instid1(VALU_DEP_2)
	v_add_f64_e32 v[43:44], v[41:42], v[39:40]
	v_add_f64_e32 v[49:50], v[47:48], v[35:36]
	s_delay_alu instid0(VALU_DEP_2) | instskip(SKIP_1) | instid1(VALU_DEP_2)
	v_rcp_f64_e32 v[45:46], v[43:44]
	v_add_f64_e64 v[41:42], v[43:44], -v[41:42]
	v_add_f64_e64 v[47:48], v[49:50], -v[47:48]
	s_delay_alu instid0(VALU_DEP_2) | instskip(NEXT) | instid1(TRANS32_DEP_1)
	v_add_f64_e64 v[39:40], v[39:40], -v[41:42]
	v_fma_f64 v[63:64], -v[43:44], v[45:46], 1.0
	s_delay_alu instid0(VALU_DEP_3) | instskip(NEXT) | instid1(VALU_DEP_2)
	v_add_f64_e64 v[35:36], v[35:36], -v[47:48]
	v_fma_f64 v[45:46], v[63:64], v[45:46], v[45:46]
	s_delay_alu instid0(VALU_DEP_1) | instskip(NEXT) | instid1(VALU_DEP_1)
	v_fma_f64 v[37:38], -v[43:44], v[45:46], 1.0
	v_fma_f64 v[37:38], v[37:38], v[45:46], v[45:46]
	s_delay_alu instid0(VALU_DEP_1) | instskip(NEXT) | instid1(VALU_DEP_1)
	v_mul_f64_e32 v[45:46], v[49:50], v[37:38]
	v_mul_f64_e32 v[63:64], v[43:44], v[45:46]
	s_delay_alu instid0(VALU_DEP_1) | instskip(NEXT) | instid1(VALU_DEP_1)
	v_fma_f64 v[41:42], v[45:46], v[43:44], -v[63:64]
	v_fma_f64 v[41:42], v[45:46], v[39:40], v[41:42]
	s_delay_alu instid0(VALU_DEP_1) | instskip(NEXT) | instid1(VALU_DEP_1)
	v_add_f64_e32 v[65:66], v[63:64], v[41:42]
	v_add_f64_e64 v[67:68], v[49:50], -v[65:66]
	v_add_f64_e64 v[47:48], v[65:66], -v[63:64]
	s_delay_alu instid0(VALU_DEP_2) | instskip(NEXT) | instid1(VALU_DEP_2)
	v_add_f64_e64 v[49:50], v[49:50], -v[67:68]
	v_add_f64_e64 v[41:42], v[47:48], -v[41:42]
	s_delay_alu instid0(VALU_DEP_2) | instskip(NEXT) | instid1(VALU_DEP_1)
	v_add_f64_e64 v[49:50], v[49:50], -v[65:66]
	v_add_f64_e32 v[35:36], v[35:36], v[49:50]
	s_delay_alu instid0(VALU_DEP_1) | instskip(NEXT) | instid1(VALU_DEP_1)
	v_add_f64_e32 v[35:36], v[41:42], v[35:36]
	v_add_f64_e32 v[41:42], v[67:68], v[35:36]
	s_delay_alu instid0(VALU_DEP_1) | instskip(SKIP_1) | instid1(VALU_DEP_2)
	v_mul_f64_e32 v[47:48], v[37:38], v[41:42]
	v_add_f64_e64 v[65:66], v[67:68], -v[41:42]
	v_mul_f64_e32 v[49:50], v[43:44], v[47:48]
	s_delay_alu instid0(VALU_DEP_2) | instskip(NEXT) | instid1(VALU_DEP_2)
	v_add_f64_e32 v[35:36], v[35:36], v[65:66]
	v_fma_f64 v[43:44], v[47:48], v[43:44], -v[49:50]
	s_delay_alu instid0(VALU_DEP_1) | instskip(NEXT) | instid1(VALU_DEP_1)
	v_fma_f64 v[39:40], v[47:48], v[39:40], v[43:44]
	v_add_f64_e32 v[43:44], v[49:50], v[39:40]
	s_delay_alu instid0(VALU_DEP_1) | instskip(SKIP_1) | instid1(VALU_DEP_2)
	v_add_f64_e64 v[63:64], v[41:42], -v[43:44]
	v_add_f64_e64 v[49:50], v[43:44], -v[49:50]
	;; [unrolled: 1-line block ×3, first 2 shown]
	s_delay_alu instid0(VALU_DEP_2) | instskip(NEXT) | instid1(VALU_DEP_2)
	v_add_f64_e64 v[39:40], v[49:50], -v[39:40]
	v_add_f64_e64 v[41:42], v[41:42], -v[43:44]
	s_delay_alu instid0(VALU_DEP_1) | instskip(SKIP_1) | instid1(VALU_DEP_2)
	v_add_f64_e32 v[35:36], v[35:36], v[41:42]
	v_add_f64_e32 v[41:42], v[45:46], v[47:48]
	;; [unrolled: 1-line block ×3, first 2 shown]
	s_delay_alu instid0(VALU_DEP_2) | instskip(NEXT) | instid1(VALU_DEP_2)
	v_add_f64_e64 v[39:40], v[41:42], -v[45:46]
	v_add_f64_e32 v[35:36], v[63:64], v[35:36]
	s_delay_alu instid0(VALU_DEP_2) | instskip(NEXT) | instid1(VALU_DEP_2)
	v_add_f64_e64 v[39:40], v[47:48], -v[39:40]
	v_mul_f64_e32 v[35:36], v[37:38], v[35:36]
	s_delay_alu instid0(VALU_DEP_1) | instskip(NEXT) | instid1(VALU_DEP_1)
	v_add_f64_e32 v[35:36], v[39:40], v[35:36]
	v_add_f64_e32 v[37:38], v[41:42], v[35:36]
	s_delay_alu instid0(VALU_DEP_1) | instskip(NEXT) | instid1(VALU_DEP_1)
	v_mul_f64_e32 v[39:40], v[37:38], v[37:38]
	v_fma_f64 v[43:44], v[39:40], s[34:35], s[24:25]
	s_mov_b32 s24, 0xd7f4df2e
	s_mov_b32 s25, 0x3fc7474d
	v_mul_f64_e32 v[45:46], v[37:38], v[39:40]
	s_wait_alu 0xfffe
	s_delay_alu instid0(VALU_DEP_2) | instskip(SKIP_3) | instid1(VALU_DEP_1)
	v_fma_f64 v[43:44], v[39:40], v[43:44], s[24:25]
	s_mov_b32 s24, 0x16291751
	s_mov_b32 s25, 0x3fcc71c0
	s_wait_alu 0xfffe
	v_fma_f64 v[43:44], v[39:40], v[43:44], s[24:25]
	s_mov_b32 s24, 0x9b27acf1
	s_mov_b32 s25, 0x3fd24924
	s_wait_alu 0xfffe
	s_delay_alu instid0(VALU_DEP_1) | instskip(SKIP_3) | instid1(VALU_DEP_1)
	v_fma_f64 v[43:44], v[39:40], v[43:44], s[24:25]
	s_mov_b32 s24, 0x998ef7b6
	s_mov_b32 s25, 0x3fd99999
	s_wait_alu 0xfffe
	v_fma_f64 v[43:44], v[39:40], v[43:44], s[24:25]
	s_delay_alu instid0(VALU_DEP_1)
	v_fma_f64 v[39:40], v[39:40], v[43:44], s[0:1]
	v_ldexp_f64 v[43:44], v[37:38], 1
	v_add_f64_e64 v[37:38], v[37:38], -v[41:42]
	v_cmp_nge_f64_e64 s0, -1.0, v[19:20]
	v_cmp_neq_f64_e64 s1, 0x7ff00000, v[19:20]
	v_mul_f64_e32 v[39:40], v[45:46], v[39:40]
	v_cvt_f64_i32_e32 v[45:46], v0
	v_add_f64_e64 v[35:36], v[35:36], -v[37:38]
	s_and_b32 s0, s0, s1
	s_delay_alu instid0(VALU_DEP_3) | instskip(NEXT) | instid1(VALU_DEP_3)
	v_add_f64_e32 v[41:42], v[43:44], v[39:40]
	v_mul_f64_e32 v[47:48], s[18:19], v[45:46]
	s_delay_alu instid0(VALU_DEP_3) | instskip(NEXT) | instid1(VALU_DEP_3)
	v_ldexp_f64 v[35:36], v[35:36], 1
	v_add_f64_e64 v[37:38], v[41:42], -v[43:44]
	s_delay_alu instid0(VALU_DEP_3) | instskip(NEXT) | instid1(VALU_DEP_2)
	v_fma_f64 v[43:44], v[45:46], s[18:19], -v[47:48]
	v_add_f64_e64 v[37:38], v[39:40], -v[37:38]
	s_delay_alu instid0(VALU_DEP_2) | instskip(NEXT) | instid1(VALU_DEP_2)
	v_fma_f64 v[39:40], v[45:46], s[20:21], v[43:44]
	v_add_f64_e32 v[35:36], v[35:36], v[37:38]
	s_delay_alu instid0(VALU_DEP_2) | instskip(NEXT) | instid1(VALU_DEP_2)
	v_add_f64_e32 v[37:38], v[47:48], v[39:40]
	v_add_f64_e32 v[43:44], v[41:42], v[35:36]
	s_delay_alu instid0(VALU_DEP_2) | instskip(NEXT) | instid1(VALU_DEP_2)
	v_add_f64_e64 v[47:48], v[37:38], -v[47:48]
	v_add_f64_e32 v[45:46], v[37:38], v[43:44]
	v_add_f64_e64 v[41:42], v[43:44], -v[41:42]
	s_delay_alu instid0(VALU_DEP_3) | instskip(NEXT) | instid1(VALU_DEP_3)
	v_add_f64_e64 v[39:40], v[39:40], -v[47:48]
	v_add_f64_e64 v[49:50], v[45:46], -v[37:38]
	s_delay_alu instid0(VALU_DEP_3) | instskip(NEXT) | instid1(VALU_DEP_2)
	v_add_f64_e64 v[35:36], v[35:36], -v[41:42]
	v_add_f64_e64 v[63:64], v[45:46], -v[49:50]
	v_add_f64_e64 v[41:42], v[43:44], -v[49:50]
	s_delay_alu instid0(VALU_DEP_3) | instskip(NEXT) | instid1(VALU_DEP_3)
	v_add_f64_e32 v[43:44], v[39:40], v[35:36]
	v_add_f64_e64 v[37:38], v[37:38], -v[63:64]
	s_delay_alu instid0(VALU_DEP_1) | instskip(NEXT) | instid1(VALU_DEP_3)
	v_add_f64_e32 v[37:38], v[41:42], v[37:38]
	v_add_f64_e64 v[41:42], v[43:44], -v[39:40]
	s_delay_alu instid0(VALU_DEP_2) | instskip(NEXT) | instid1(VALU_DEP_2)
	v_add_f64_e32 v[37:38], v[43:44], v[37:38]
	v_add_f64_e64 v[43:44], v[43:44], -v[41:42]
	v_add_f64_e64 v[35:36], v[35:36], -v[41:42]
	s_delay_alu instid0(VALU_DEP_3) | instskip(NEXT) | instid1(VALU_DEP_3)
	v_add_f64_e32 v[47:48], v[45:46], v[37:38]
	v_add_f64_e64 v[39:40], v[39:40], -v[43:44]
	s_delay_alu instid0(VALU_DEP_2) | instskip(NEXT) | instid1(VALU_DEP_2)
	v_add_f64_e64 v[41:42], v[47:48], -v[45:46]
	v_add_f64_e32 v[35:36], v[35:36], v[39:40]
	s_delay_alu instid0(VALU_DEP_2) | instskip(NEXT) | instid1(VALU_DEP_1)
	v_add_f64_e64 v[37:38], v[37:38], -v[41:42]
	v_add_f64_e32 v[35:36], v[35:36], v[37:38]
	s_delay_alu instid0(VALU_DEP_1) | instskip(SKIP_1) | instid1(VALU_DEP_1)
	v_add_f64_e32 v[35:36], v[47:48], v[35:36]
	s_wait_alu 0xfffe
	v_cndmask_b32_e64 v35, 0, v35, s0
	v_cmp_neq_f64_e64 s0, -1.0, v[19:20]
	s_delay_alu instid0(VALU_DEP_3) | instskip(NEXT) | instid1(VALU_DEP_1)
	v_cndmask_b32_e64 v0, 0x7ff00000, v36, s1
	v_cndmask_b32_e64 v0, 0x7ff80000, v0, s17
	s_wait_alu 0xf1ff
	s_delay_alu instid0(VALU_DEP_1) | instskip(NEXT) | instid1(VALU_DEP_1)
	v_cndmask_b32_e64 v36, 0xfff00000, v0, s0
	v_add_f64_e32 v[19:20], v[33:34], v[35:36]
.LBB61_124:
	s_wait_alu 0xfffe
	s_or_b32 exec_lo, exec_lo, s22
	s_delay_alu instid0(VALU_DEP_1) | instskip(SKIP_1) | instid1(VALU_DEP_2)
	v_max_num_f64_e32 v[33:34], v[19:20], v[19:20]
	v_cmp_u_f64_e64 s0, v[19:20], v[19:20]
	v_min_num_f64_e32 v[35:36], v[33:34], v[51:52]
	v_max_num_f64_e32 v[33:34], v[33:34], v[51:52]
	s_wait_alu 0xf1ff
	s_delay_alu instid0(VALU_DEP_2) | instskip(NEXT) | instid1(VALU_DEP_3)
	v_cndmask_b32_e64 v0, v35, v19, s0
	v_cndmask_b32_e64 v35, v36, v20, s0
	s_delay_alu instid0(VALU_DEP_3) | instskip(NEXT) | instid1(VALU_DEP_4)
	v_cndmask_b32_e64 v34, v34, v20, s0
	v_cndmask_b32_e64 v33, v33, v19, s0
	s_delay_alu instid0(VALU_DEP_3) | instskip(SKIP_1) | instid1(VALU_DEP_4)
	v_cndmask_b32_e64 v36, v35, v14, s26
	v_cndmask_b32_e64 v35, v0, v13, s26
	;; [unrolled: 1-line block ×3, first 2 shown]
	s_delay_alu instid0(VALU_DEP_4) | instskip(SKIP_1) | instid1(VALU_DEP_4)
	v_cndmask_b32_e64 v33, v33, v13, s26
	v_dual_mov_b32 v13, v19 :: v_dual_mov_b32 v14, v20
	v_cmp_class_f64_e64 s1, v[35:36], 0x1f8
	s_delay_alu instid0(VALU_DEP_3)
	v_cmp_neq_f64_e64 s0, v[35:36], v[33:34]
	s_or_b32 s0, s0, s1
	s_wait_alu 0xfffe
	s_and_saveexec_b32 s22, s0
	s_cbranch_execz .LBB61_126
; %bb.125:
	v_add_f64_e64 v[13:14], v[35:36], -v[33:34]
	s_mov_b32 s0, 0x652b82fe
	s_mov_b32 s1, 0x3ff71547
	s_mov_b32 s19, 0xbfe62e42
	s_mov_b32 s18, 0xfefa39ef
	s_mov_b32 s21, 0xbc7abc9e
	s_mov_b32 s20, 0x3b39803f
	s_mov_b32 s24, 0x6a5dcb37
	s_mov_b32 s25, 0x3e5ade15
	s_mov_b32 s34, 0xbf559e2b
	s_mov_b32 s35, 0x3fc3ab76
	s_wait_alu 0xfffe
	s_delay_alu instid0(VALU_DEP_1) | instskip(SKIP_2) | instid1(VALU_DEP_1)
	v_mul_f64_e32 v[35:36], s[0:1], v[13:14]
	s_mov_b32 s0, 0xfca7ab0c
	s_mov_b32 s1, 0x3e928af3
	v_rndne_f64_e32 v[35:36], v[35:36]
	s_delay_alu instid0(VALU_DEP_1) | instskip(SKIP_2) | instid1(VALU_DEP_2)
	v_fma_f64 v[37:38], v[35:36], s[18:19], v[13:14]
	v_cvt_i32_f64_e32 v0, v[35:36]
	s_mov_b32 s19, 0x3fe62e42
	v_fma_f64 v[37:38], v[35:36], s[20:21], v[37:38]
	s_mov_b32 s21, 0x3c7abc9e
	s_wait_alu 0xfffe
	s_delay_alu instid0(VALU_DEP_1)
	v_fma_f64 v[39:40], v[37:38], s[24:25], s[0:1]
	s_mov_b32 s0, 0x623fde64
	s_mov_b32 s1, 0x3ec71dee
	;; [unrolled: 1-line block ×4, first 2 shown]
	s_wait_alu 0xfffe
	s_delay_alu instid0(VALU_DEP_1) | instskip(SKIP_3) | instid1(VALU_DEP_1)
	v_fma_f64 v[39:40], v[37:38], v[39:40], s[0:1]
	s_mov_b32 s0, 0x7c89e6b0
	s_mov_b32 s1, 0x3efa0199
	s_wait_alu 0xfffe
	v_fma_f64 v[39:40], v[37:38], v[39:40], s[0:1]
	s_mov_b32 s0, 0x14761f6e
	s_mov_b32 s1, 0x3f2a01a0
	s_wait_alu 0xfffe
	s_delay_alu instid0(VALU_DEP_1) | instskip(SKIP_3) | instid1(VALU_DEP_1)
	v_fma_f64 v[39:40], v[37:38], v[39:40], s[0:1]
	s_mov_b32 s0, 0x1852b7b0
	s_mov_b32 s1, 0x3f56c16c
	s_wait_alu 0xfffe
	v_fma_f64 v[39:40], v[37:38], v[39:40], s[0:1]
	s_mov_b32 s0, 0x11122322
	s_mov_b32 s1, 0x3f811111
	;; [unrolled: 9-line block ×3, first 2 shown]
	s_wait_alu 0xfffe
	s_delay_alu instid0(VALU_DEP_1) | instskip(SKIP_3) | instid1(VALU_DEP_1)
	v_fma_f64 v[39:40], v[37:38], v[39:40], s[0:1]
	s_mov_b32 s0, 11
	s_mov_b32 s1, 0x3fe00000
	s_wait_alu 0xfffe
	v_fma_f64 v[39:40], v[37:38], v[39:40], s[0:1]
	v_cmp_nlt_f64_e64 s0, 0x40900000, v[13:14]
	v_cmp_ngt_f64_e64 s1, 0xc090cc00, v[13:14]
	s_delay_alu instid0(VALU_DEP_3) | instskip(NEXT) | instid1(VALU_DEP_1)
	v_fma_f64 v[39:40], v[37:38], v[39:40], 1.0
	v_fma_f64 v[35:36], v[37:38], v[39:40], 1.0
	s_delay_alu instid0(VALU_DEP_1) | instskip(SKIP_1) | instid1(VALU_DEP_1)
	v_ldexp_f64 v[35:36], v[35:36], v0
	s_wait_alu 0xf1ff
	v_cndmask_b32_e64 v0, 0x7ff00000, v36, s0
	s_and_b32 s0, s1, s0
	s_wait_alu 0xfffe
	s_delay_alu instid0(VALU_DEP_2) | instskip(SKIP_3) | instid1(VALU_DEP_1)
	v_cndmask_b32_e64 v13, 0, v35, s0
	s_mov_b32 s0, 0x55555555
	v_cndmask_b32_e64 v14, 0, v0, s1
	s_mov_b32 s1, 0x3fe55555
	v_add_f64_e32 v[35:36], 1.0, v[13:14]
	v_cmp_ngt_f64_e64 s17, -1.0, v[13:14]
	s_delay_alu instid0(VALU_DEP_2) | instskip(SKIP_3) | instid1(VALU_DEP_3)
	v_frexp_mant_f64_e32 v[37:38], v[35:36]
	v_frexp_exp_i32_f64_e32 v0, v[35:36]
	v_add_f64_e32 v[39:40], -1.0, v[35:36]
	s_wait_alu 0xfffe
	v_cmp_gt_f64_e64 s0, s[0:1], v[37:38]
	s_delay_alu instid0(VALU_DEP_2) | instskip(SKIP_2) | instid1(VALU_DEP_3)
	v_add_f64_e64 v[37:38], v[39:40], -v[35:36]
	v_add_f64_e64 v[39:40], v[13:14], -v[39:40]
	s_wait_alu 0xf1ff
	v_subrev_co_ci_u32_e64 v0, null, 0, v0, s0
	s_delay_alu instid0(VALU_DEP_3) | instskip(SKIP_1) | instid1(VALU_DEP_2)
	v_add_f64_e32 v[37:38], 1.0, v[37:38]
	s_mov_b32 s0, 0x55555780
	v_sub_nc_u32_e32 v43, 0, v0
	s_delay_alu instid0(VALU_DEP_1) | instskip(NEXT) | instid1(VALU_DEP_3)
	v_ldexp_f64 v[35:36], v[35:36], v43
	v_add_f64_e32 v[37:38], v[39:40], v[37:38]
	s_delay_alu instid0(VALU_DEP_2) | instskip(SKIP_1) | instid1(VALU_DEP_3)
	v_add_f64_e32 v[41:42], 1.0, v[35:36]
	v_add_f64_e32 v[47:48], -1.0, v[35:36]
	v_ldexp_f64 v[37:38], v[37:38], v43
	s_delay_alu instid0(VALU_DEP_3) | instskip(NEXT) | instid1(VALU_DEP_3)
	v_add_f64_e32 v[39:40], -1.0, v[41:42]
	v_add_f64_e32 v[49:50], 1.0, v[47:48]
	s_delay_alu instid0(VALU_DEP_2) | instskip(NEXT) | instid1(VALU_DEP_2)
	v_add_f64_e64 v[39:40], v[35:36], -v[39:40]
	v_add_f64_e64 v[35:36], v[35:36], -v[49:50]
	s_delay_alu instid0(VALU_DEP_2) | instskip(NEXT) | instid1(VALU_DEP_2)
	v_add_f64_e32 v[39:40], v[37:38], v[39:40]
	v_add_f64_e32 v[35:36], v[37:38], v[35:36]
	s_delay_alu instid0(VALU_DEP_2) | instskip(NEXT) | instid1(VALU_DEP_2)
	v_add_f64_e32 v[43:44], v[41:42], v[39:40]
	v_add_f64_e32 v[49:50], v[47:48], v[35:36]
	s_delay_alu instid0(VALU_DEP_2) | instskip(SKIP_1) | instid1(VALU_DEP_2)
	v_rcp_f64_e32 v[45:46], v[43:44]
	v_add_f64_e64 v[41:42], v[43:44], -v[41:42]
	v_add_f64_e64 v[47:48], v[49:50], -v[47:48]
	s_delay_alu instid0(VALU_DEP_2) | instskip(NEXT) | instid1(TRANS32_DEP_1)
	v_add_f64_e64 v[39:40], v[39:40], -v[41:42]
	v_fma_f64 v[51:52], -v[43:44], v[45:46], 1.0
	s_delay_alu instid0(VALU_DEP_3) | instskip(NEXT) | instid1(VALU_DEP_2)
	v_add_f64_e64 v[35:36], v[35:36], -v[47:48]
	v_fma_f64 v[45:46], v[51:52], v[45:46], v[45:46]
	s_delay_alu instid0(VALU_DEP_1) | instskip(NEXT) | instid1(VALU_DEP_1)
	v_fma_f64 v[37:38], -v[43:44], v[45:46], 1.0
	v_fma_f64 v[37:38], v[37:38], v[45:46], v[45:46]
	s_delay_alu instid0(VALU_DEP_1) | instskip(NEXT) | instid1(VALU_DEP_1)
	v_mul_f64_e32 v[45:46], v[49:50], v[37:38]
	v_mul_f64_e32 v[51:52], v[43:44], v[45:46]
	s_delay_alu instid0(VALU_DEP_1) | instskip(NEXT) | instid1(VALU_DEP_1)
	v_fma_f64 v[41:42], v[45:46], v[43:44], -v[51:52]
	v_fma_f64 v[41:42], v[45:46], v[39:40], v[41:42]
	s_delay_alu instid0(VALU_DEP_1) | instskip(NEXT) | instid1(VALU_DEP_1)
	v_add_f64_e32 v[63:64], v[51:52], v[41:42]
	v_add_f64_e64 v[65:66], v[49:50], -v[63:64]
	v_add_f64_e64 v[47:48], v[63:64], -v[51:52]
	s_delay_alu instid0(VALU_DEP_2) | instskip(NEXT) | instid1(VALU_DEP_2)
	v_add_f64_e64 v[49:50], v[49:50], -v[65:66]
	v_add_f64_e64 v[41:42], v[47:48], -v[41:42]
	s_delay_alu instid0(VALU_DEP_2) | instskip(NEXT) | instid1(VALU_DEP_1)
	v_add_f64_e64 v[49:50], v[49:50], -v[63:64]
	v_add_f64_e32 v[35:36], v[35:36], v[49:50]
	s_delay_alu instid0(VALU_DEP_1) | instskip(NEXT) | instid1(VALU_DEP_1)
	v_add_f64_e32 v[35:36], v[41:42], v[35:36]
	v_add_f64_e32 v[41:42], v[65:66], v[35:36]
	s_delay_alu instid0(VALU_DEP_1) | instskip(SKIP_1) | instid1(VALU_DEP_2)
	v_mul_f64_e32 v[47:48], v[37:38], v[41:42]
	v_add_f64_e64 v[63:64], v[65:66], -v[41:42]
	v_mul_f64_e32 v[49:50], v[43:44], v[47:48]
	s_delay_alu instid0(VALU_DEP_2) | instskip(NEXT) | instid1(VALU_DEP_2)
	v_add_f64_e32 v[35:36], v[35:36], v[63:64]
	v_fma_f64 v[43:44], v[47:48], v[43:44], -v[49:50]
	s_delay_alu instid0(VALU_DEP_1) | instskip(NEXT) | instid1(VALU_DEP_1)
	v_fma_f64 v[39:40], v[47:48], v[39:40], v[43:44]
	v_add_f64_e32 v[43:44], v[49:50], v[39:40]
	s_delay_alu instid0(VALU_DEP_1) | instskip(SKIP_1) | instid1(VALU_DEP_2)
	v_add_f64_e64 v[51:52], v[41:42], -v[43:44]
	v_add_f64_e64 v[49:50], v[43:44], -v[49:50]
	;; [unrolled: 1-line block ×3, first 2 shown]
	s_delay_alu instid0(VALU_DEP_2) | instskip(NEXT) | instid1(VALU_DEP_2)
	v_add_f64_e64 v[39:40], v[49:50], -v[39:40]
	v_add_f64_e64 v[41:42], v[41:42], -v[43:44]
	s_delay_alu instid0(VALU_DEP_1) | instskip(SKIP_1) | instid1(VALU_DEP_2)
	v_add_f64_e32 v[35:36], v[35:36], v[41:42]
	v_add_f64_e32 v[41:42], v[45:46], v[47:48]
	;; [unrolled: 1-line block ×3, first 2 shown]
	s_delay_alu instid0(VALU_DEP_2) | instskip(NEXT) | instid1(VALU_DEP_2)
	v_add_f64_e64 v[39:40], v[41:42], -v[45:46]
	v_add_f64_e32 v[35:36], v[51:52], v[35:36]
	s_delay_alu instid0(VALU_DEP_2) | instskip(NEXT) | instid1(VALU_DEP_2)
	v_add_f64_e64 v[39:40], v[47:48], -v[39:40]
	v_mul_f64_e32 v[35:36], v[37:38], v[35:36]
	s_delay_alu instid0(VALU_DEP_1) | instskip(NEXT) | instid1(VALU_DEP_1)
	v_add_f64_e32 v[35:36], v[39:40], v[35:36]
	v_add_f64_e32 v[37:38], v[41:42], v[35:36]
	s_delay_alu instid0(VALU_DEP_1) | instskip(NEXT) | instid1(VALU_DEP_1)
	v_mul_f64_e32 v[39:40], v[37:38], v[37:38]
	v_fma_f64 v[43:44], v[39:40], s[34:35], s[24:25]
	s_mov_b32 s24, 0xd7f4df2e
	s_mov_b32 s25, 0x3fc7474d
	v_mul_f64_e32 v[45:46], v[37:38], v[39:40]
	s_wait_alu 0xfffe
	s_delay_alu instid0(VALU_DEP_2) | instskip(SKIP_3) | instid1(VALU_DEP_1)
	v_fma_f64 v[43:44], v[39:40], v[43:44], s[24:25]
	s_mov_b32 s24, 0x16291751
	s_mov_b32 s25, 0x3fcc71c0
	s_wait_alu 0xfffe
	v_fma_f64 v[43:44], v[39:40], v[43:44], s[24:25]
	s_mov_b32 s24, 0x9b27acf1
	s_mov_b32 s25, 0x3fd24924
	s_wait_alu 0xfffe
	s_delay_alu instid0(VALU_DEP_1) | instskip(SKIP_3) | instid1(VALU_DEP_1)
	v_fma_f64 v[43:44], v[39:40], v[43:44], s[24:25]
	s_mov_b32 s24, 0x998ef7b6
	s_mov_b32 s25, 0x3fd99999
	s_wait_alu 0xfffe
	v_fma_f64 v[43:44], v[39:40], v[43:44], s[24:25]
	s_delay_alu instid0(VALU_DEP_1)
	v_fma_f64 v[39:40], v[39:40], v[43:44], s[0:1]
	v_ldexp_f64 v[43:44], v[37:38], 1
	v_add_f64_e64 v[37:38], v[37:38], -v[41:42]
	v_cmp_nge_f64_e64 s0, -1.0, v[13:14]
	v_cmp_neq_f64_e64 s1, 0x7ff00000, v[13:14]
	v_mul_f64_e32 v[39:40], v[45:46], v[39:40]
	v_cvt_f64_i32_e32 v[45:46], v0
	v_add_f64_e64 v[35:36], v[35:36], -v[37:38]
	s_and_b32 s0, s0, s1
	s_delay_alu instid0(VALU_DEP_3) | instskip(NEXT) | instid1(VALU_DEP_3)
	v_add_f64_e32 v[41:42], v[43:44], v[39:40]
	v_mul_f64_e32 v[47:48], s[18:19], v[45:46]
	s_delay_alu instid0(VALU_DEP_3) | instskip(NEXT) | instid1(VALU_DEP_3)
	v_ldexp_f64 v[35:36], v[35:36], 1
	v_add_f64_e64 v[37:38], v[41:42], -v[43:44]
	s_delay_alu instid0(VALU_DEP_3) | instskip(NEXT) | instid1(VALU_DEP_2)
	v_fma_f64 v[43:44], v[45:46], s[18:19], -v[47:48]
	v_add_f64_e64 v[37:38], v[39:40], -v[37:38]
	s_delay_alu instid0(VALU_DEP_2) | instskip(NEXT) | instid1(VALU_DEP_2)
	v_fma_f64 v[39:40], v[45:46], s[20:21], v[43:44]
	v_add_f64_e32 v[35:36], v[35:36], v[37:38]
	s_delay_alu instid0(VALU_DEP_2) | instskip(NEXT) | instid1(VALU_DEP_2)
	v_add_f64_e32 v[37:38], v[47:48], v[39:40]
	v_add_f64_e32 v[43:44], v[41:42], v[35:36]
	s_delay_alu instid0(VALU_DEP_2) | instskip(NEXT) | instid1(VALU_DEP_2)
	v_add_f64_e64 v[47:48], v[37:38], -v[47:48]
	v_add_f64_e32 v[45:46], v[37:38], v[43:44]
	v_add_f64_e64 v[41:42], v[43:44], -v[41:42]
	s_delay_alu instid0(VALU_DEP_3) | instskip(NEXT) | instid1(VALU_DEP_3)
	v_add_f64_e64 v[39:40], v[39:40], -v[47:48]
	v_add_f64_e64 v[49:50], v[45:46], -v[37:38]
	s_delay_alu instid0(VALU_DEP_3) | instskip(NEXT) | instid1(VALU_DEP_2)
	v_add_f64_e64 v[35:36], v[35:36], -v[41:42]
	v_add_f64_e64 v[51:52], v[45:46], -v[49:50]
	;; [unrolled: 1-line block ×3, first 2 shown]
	s_delay_alu instid0(VALU_DEP_3) | instskip(NEXT) | instid1(VALU_DEP_3)
	v_add_f64_e32 v[43:44], v[39:40], v[35:36]
	v_add_f64_e64 v[37:38], v[37:38], -v[51:52]
	s_delay_alu instid0(VALU_DEP_1) | instskip(NEXT) | instid1(VALU_DEP_3)
	v_add_f64_e32 v[37:38], v[41:42], v[37:38]
	v_add_f64_e64 v[41:42], v[43:44], -v[39:40]
	s_delay_alu instid0(VALU_DEP_2) | instskip(NEXT) | instid1(VALU_DEP_2)
	v_add_f64_e32 v[37:38], v[43:44], v[37:38]
	v_add_f64_e64 v[43:44], v[43:44], -v[41:42]
	v_add_f64_e64 v[35:36], v[35:36], -v[41:42]
	s_delay_alu instid0(VALU_DEP_3) | instskip(NEXT) | instid1(VALU_DEP_3)
	v_add_f64_e32 v[47:48], v[45:46], v[37:38]
	v_add_f64_e64 v[39:40], v[39:40], -v[43:44]
	s_delay_alu instid0(VALU_DEP_2) | instskip(NEXT) | instid1(VALU_DEP_2)
	v_add_f64_e64 v[41:42], v[47:48], -v[45:46]
	v_add_f64_e32 v[35:36], v[35:36], v[39:40]
	s_delay_alu instid0(VALU_DEP_2) | instskip(NEXT) | instid1(VALU_DEP_1)
	v_add_f64_e64 v[37:38], v[37:38], -v[41:42]
	v_add_f64_e32 v[35:36], v[35:36], v[37:38]
	s_delay_alu instid0(VALU_DEP_1) | instskip(SKIP_1) | instid1(VALU_DEP_1)
	v_add_f64_e32 v[35:36], v[47:48], v[35:36]
	s_wait_alu 0xfffe
	v_cndmask_b32_e64 v35, 0, v35, s0
	v_cmp_neq_f64_e64 s0, -1.0, v[13:14]
	s_delay_alu instid0(VALU_DEP_3) | instskip(NEXT) | instid1(VALU_DEP_1)
	v_cndmask_b32_e64 v0, 0x7ff00000, v36, s1
	v_cndmask_b32_e64 v0, 0x7ff80000, v0, s17
	s_wait_alu 0xf1ff
	s_delay_alu instid0(VALU_DEP_1) | instskip(NEXT) | instid1(VALU_DEP_1)
	v_cndmask_b32_e64 v36, 0xfff00000, v0, s0
	v_add_f64_e32 v[13:14], v[33:34], v[35:36]
.LBB61_126:
	s_wait_alu 0xfffe
	s_or_b32 exec_lo, exec_lo, s22
	s_delay_alu instid0(VALU_DEP_1) | instskip(SKIP_1) | instid1(VALU_DEP_2)
	v_max_num_f64_e32 v[33:34], v[13:14], v[13:14]
	v_cmp_u_f64_e64 s0, v[13:14], v[13:14]
	v_min_num_f64_e32 v[35:36], v[33:34], v[53:54]
	v_max_num_f64_e32 v[33:34], v[33:34], v[53:54]
	s_wait_alu 0xf1ff
	s_delay_alu instid0(VALU_DEP_2) | instskip(NEXT) | instid1(VALU_DEP_3)
	v_cndmask_b32_e64 v0, v35, v13, s0
	v_cndmask_b32_e64 v35, v36, v14, s0
	s_delay_alu instid0(VALU_DEP_3) | instskip(NEXT) | instid1(VALU_DEP_4)
	v_cndmask_b32_e64 v34, v34, v14, s0
	v_cndmask_b32_e64 v33, v33, v13, s0
	s_delay_alu instid0(VALU_DEP_3) | instskip(SKIP_1) | instid1(VALU_DEP_4)
	v_cndmask_b32_e64 v36, v35, v16, s27
	v_cndmask_b32_e64 v35, v0, v15, s27
	;; [unrolled: 1-line block ×3, first 2 shown]
	s_delay_alu instid0(VALU_DEP_4) | instskip(SKIP_1) | instid1(VALU_DEP_4)
	v_cndmask_b32_e64 v33, v33, v15, s27
	v_dual_mov_b32 v16, v14 :: v_dual_mov_b32 v15, v13
	v_cmp_class_f64_e64 s1, v[35:36], 0x1f8
	s_delay_alu instid0(VALU_DEP_3)
	v_cmp_neq_f64_e64 s0, v[35:36], v[33:34]
	s_or_b32 s0, s0, s1
	s_wait_alu 0xfffe
	s_and_saveexec_b32 s22, s0
	s_cbranch_execz .LBB61_128
; %bb.127:
	v_add_f64_e64 v[15:16], v[35:36], -v[33:34]
	s_mov_b32 s0, 0x652b82fe
	s_mov_b32 s1, 0x3ff71547
	;; [unrolled: 1-line block ×10, first 2 shown]
	s_wait_alu 0xfffe
	s_delay_alu instid0(VALU_DEP_1) | instskip(SKIP_2) | instid1(VALU_DEP_1)
	v_mul_f64_e32 v[35:36], s[0:1], v[15:16]
	s_mov_b32 s0, 0xfca7ab0c
	s_mov_b32 s1, 0x3e928af3
	v_rndne_f64_e32 v[35:36], v[35:36]
	s_delay_alu instid0(VALU_DEP_1) | instskip(SKIP_2) | instid1(VALU_DEP_2)
	v_fma_f64 v[37:38], v[35:36], s[18:19], v[15:16]
	v_cvt_i32_f64_e32 v0, v[35:36]
	s_mov_b32 s19, 0x3fe62e42
	v_fma_f64 v[37:38], v[35:36], s[20:21], v[37:38]
	s_mov_b32 s21, 0x3c7abc9e
	s_wait_alu 0xfffe
	s_delay_alu instid0(VALU_DEP_1)
	v_fma_f64 v[39:40], v[37:38], s[24:25], s[0:1]
	s_mov_b32 s0, 0x623fde64
	s_mov_b32 s1, 0x3ec71dee
	;; [unrolled: 1-line block ×4, first 2 shown]
	s_wait_alu 0xfffe
	s_delay_alu instid0(VALU_DEP_1) | instskip(SKIP_3) | instid1(VALU_DEP_1)
	v_fma_f64 v[39:40], v[37:38], v[39:40], s[0:1]
	s_mov_b32 s0, 0x7c89e6b0
	s_mov_b32 s1, 0x3efa0199
	s_wait_alu 0xfffe
	v_fma_f64 v[39:40], v[37:38], v[39:40], s[0:1]
	s_mov_b32 s0, 0x14761f6e
	s_mov_b32 s1, 0x3f2a01a0
	s_wait_alu 0xfffe
	s_delay_alu instid0(VALU_DEP_1) | instskip(SKIP_3) | instid1(VALU_DEP_1)
	v_fma_f64 v[39:40], v[37:38], v[39:40], s[0:1]
	s_mov_b32 s0, 0x1852b7b0
	s_mov_b32 s1, 0x3f56c16c
	s_wait_alu 0xfffe
	v_fma_f64 v[39:40], v[37:38], v[39:40], s[0:1]
	s_mov_b32 s0, 0x11122322
	s_mov_b32 s1, 0x3f811111
	;; [unrolled: 9-line block ×3, first 2 shown]
	s_wait_alu 0xfffe
	s_delay_alu instid0(VALU_DEP_1) | instskip(SKIP_3) | instid1(VALU_DEP_1)
	v_fma_f64 v[39:40], v[37:38], v[39:40], s[0:1]
	s_mov_b32 s0, 11
	s_mov_b32 s1, 0x3fe00000
	s_wait_alu 0xfffe
	v_fma_f64 v[39:40], v[37:38], v[39:40], s[0:1]
	v_cmp_nlt_f64_e64 s0, 0x40900000, v[15:16]
	v_cmp_ngt_f64_e64 s1, 0xc090cc00, v[15:16]
	s_delay_alu instid0(VALU_DEP_3) | instskip(NEXT) | instid1(VALU_DEP_1)
	v_fma_f64 v[39:40], v[37:38], v[39:40], 1.0
	v_fma_f64 v[35:36], v[37:38], v[39:40], 1.0
	s_delay_alu instid0(VALU_DEP_1) | instskip(SKIP_1) | instid1(VALU_DEP_1)
	v_ldexp_f64 v[35:36], v[35:36], v0
	s_wait_alu 0xf1ff
	v_cndmask_b32_e64 v0, 0x7ff00000, v36, s0
	s_and_b32 s0, s1, s0
	s_wait_alu 0xfffe
	s_delay_alu instid0(VALU_DEP_2) | instskip(SKIP_3) | instid1(VALU_DEP_1)
	v_cndmask_b32_e64 v15, 0, v35, s0
	s_mov_b32 s0, 0x55555555
	v_cndmask_b32_e64 v16, 0, v0, s1
	s_mov_b32 s1, 0x3fe55555
	v_add_f64_e32 v[35:36], 1.0, v[15:16]
	v_cmp_ngt_f64_e64 s17, -1.0, v[15:16]
	s_delay_alu instid0(VALU_DEP_2) | instskip(SKIP_3) | instid1(VALU_DEP_3)
	v_frexp_mant_f64_e32 v[37:38], v[35:36]
	v_frexp_exp_i32_f64_e32 v0, v[35:36]
	v_add_f64_e32 v[39:40], -1.0, v[35:36]
	s_wait_alu 0xfffe
	v_cmp_gt_f64_e64 s0, s[0:1], v[37:38]
	s_delay_alu instid0(VALU_DEP_2) | instskip(SKIP_2) | instid1(VALU_DEP_3)
	v_add_f64_e64 v[37:38], v[39:40], -v[35:36]
	v_add_f64_e64 v[39:40], v[15:16], -v[39:40]
	s_wait_alu 0xf1ff
	v_subrev_co_ci_u32_e64 v0, null, 0, v0, s0
	s_delay_alu instid0(VALU_DEP_3) | instskip(SKIP_1) | instid1(VALU_DEP_2)
	v_add_f64_e32 v[37:38], 1.0, v[37:38]
	s_mov_b32 s0, 0x55555780
	v_sub_nc_u32_e32 v43, 0, v0
	s_delay_alu instid0(VALU_DEP_1) | instskip(NEXT) | instid1(VALU_DEP_3)
	v_ldexp_f64 v[35:36], v[35:36], v43
	v_add_f64_e32 v[37:38], v[39:40], v[37:38]
	s_delay_alu instid0(VALU_DEP_2) | instskip(SKIP_1) | instid1(VALU_DEP_3)
	v_add_f64_e32 v[41:42], 1.0, v[35:36]
	v_add_f64_e32 v[47:48], -1.0, v[35:36]
	v_ldexp_f64 v[37:38], v[37:38], v43
	s_delay_alu instid0(VALU_DEP_3) | instskip(NEXT) | instid1(VALU_DEP_3)
	v_add_f64_e32 v[39:40], -1.0, v[41:42]
	v_add_f64_e32 v[49:50], 1.0, v[47:48]
	s_delay_alu instid0(VALU_DEP_2) | instskip(NEXT) | instid1(VALU_DEP_2)
	v_add_f64_e64 v[39:40], v[35:36], -v[39:40]
	v_add_f64_e64 v[35:36], v[35:36], -v[49:50]
	s_delay_alu instid0(VALU_DEP_2) | instskip(NEXT) | instid1(VALU_DEP_2)
	v_add_f64_e32 v[39:40], v[37:38], v[39:40]
	v_add_f64_e32 v[35:36], v[37:38], v[35:36]
	s_delay_alu instid0(VALU_DEP_2) | instskip(NEXT) | instid1(VALU_DEP_2)
	v_add_f64_e32 v[43:44], v[41:42], v[39:40]
	v_add_f64_e32 v[49:50], v[47:48], v[35:36]
	s_delay_alu instid0(VALU_DEP_2) | instskip(SKIP_1) | instid1(VALU_DEP_2)
	v_rcp_f64_e32 v[45:46], v[43:44]
	v_add_f64_e64 v[41:42], v[43:44], -v[41:42]
	v_add_f64_e64 v[47:48], v[49:50], -v[47:48]
	s_delay_alu instid0(VALU_DEP_2) | instskip(NEXT) | instid1(TRANS32_DEP_1)
	v_add_f64_e64 v[39:40], v[39:40], -v[41:42]
	v_fma_f64 v[51:52], -v[43:44], v[45:46], 1.0
	s_delay_alu instid0(VALU_DEP_3) | instskip(NEXT) | instid1(VALU_DEP_2)
	v_add_f64_e64 v[35:36], v[35:36], -v[47:48]
	v_fma_f64 v[45:46], v[51:52], v[45:46], v[45:46]
	s_delay_alu instid0(VALU_DEP_1) | instskip(NEXT) | instid1(VALU_DEP_1)
	v_fma_f64 v[37:38], -v[43:44], v[45:46], 1.0
	v_fma_f64 v[37:38], v[37:38], v[45:46], v[45:46]
	s_delay_alu instid0(VALU_DEP_1) | instskip(NEXT) | instid1(VALU_DEP_1)
	v_mul_f64_e32 v[45:46], v[49:50], v[37:38]
	v_mul_f64_e32 v[51:52], v[43:44], v[45:46]
	s_delay_alu instid0(VALU_DEP_1) | instskip(NEXT) | instid1(VALU_DEP_1)
	v_fma_f64 v[41:42], v[45:46], v[43:44], -v[51:52]
	v_fma_f64 v[41:42], v[45:46], v[39:40], v[41:42]
	s_delay_alu instid0(VALU_DEP_1) | instskip(NEXT) | instid1(VALU_DEP_1)
	v_add_f64_e32 v[53:54], v[51:52], v[41:42]
	v_add_f64_e64 v[63:64], v[49:50], -v[53:54]
	v_add_f64_e64 v[47:48], v[53:54], -v[51:52]
	s_delay_alu instid0(VALU_DEP_2) | instskip(NEXT) | instid1(VALU_DEP_2)
	v_add_f64_e64 v[49:50], v[49:50], -v[63:64]
	v_add_f64_e64 v[41:42], v[47:48], -v[41:42]
	s_delay_alu instid0(VALU_DEP_2) | instskip(NEXT) | instid1(VALU_DEP_1)
	v_add_f64_e64 v[49:50], v[49:50], -v[53:54]
	v_add_f64_e32 v[35:36], v[35:36], v[49:50]
	s_delay_alu instid0(VALU_DEP_1) | instskip(NEXT) | instid1(VALU_DEP_1)
	v_add_f64_e32 v[35:36], v[41:42], v[35:36]
	v_add_f64_e32 v[41:42], v[63:64], v[35:36]
	s_delay_alu instid0(VALU_DEP_1) | instskip(SKIP_1) | instid1(VALU_DEP_2)
	v_mul_f64_e32 v[47:48], v[37:38], v[41:42]
	v_add_f64_e64 v[53:54], v[63:64], -v[41:42]
	v_mul_f64_e32 v[49:50], v[43:44], v[47:48]
	s_delay_alu instid0(VALU_DEP_2) | instskip(NEXT) | instid1(VALU_DEP_2)
	v_add_f64_e32 v[35:36], v[35:36], v[53:54]
	v_fma_f64 v[43:44], v[47:48], v[43:44], -v[49:50]
	s_delay_alu instid0(VALU_DEP_1) | instskip(NEXT) | instid1(VALU_DEP_1)
	v_fma_f64 v[39:40], v[47:48], v[39:40], v[43:44]
	v_add_f64_e32 v[43:44], v[49:50], v[39:40]
	s_delay_alu instid0(VALU_DEP_1) | instskip(SKIP_1) | instid1(VALU_DEP_2)
	v_add_f64_e64 v[51:52], v[41:42], -v[43:44]
	v_add_f64_e64 v[49:50], v[43:44], -v[49:50]
	;; [unrolled: 1-line block ×3, first 2 shown]
	s_delay_alu instid0(VALU_DEP_2) | instskip(NEXT) | instid1(VALU_DEP_2)
	v_add_f64_e64 v[39:40], v[49:50], -v[39:40]
	v_add_f64_e64 v[41:42], v[41:42], -v[43:44]
	s_delay_alu instid0(VALU_DEP_1) | instskip(SKIP_1) | instid1(VALU_DEP_2)
	v_add_f64_e32 v[35:36], v[35:36], v[41:42]
	v_add_f64_e32 v[41:42], v[45:46], v[47:48]
	;; [unrolled: 1-line block ×3, first 2 shown]
	s_delay_alu instid0(VALU_DEP_2) | instskip(NEXT) | instid1(VALU_DEP_2)
	v_add_f64_e64 v[39:40], v[41:42], -v[45:46]
	v_add_f64_e32 v[35:36], v[51:52], v[35:36]
	s_delay_alu instid0(VALU_DEP_2) | instskip(NEXT) | instid1(VALU_DEP_2)
	v_add_f64_e64 v[39:40], v[47:48], -v[39:40]
	v_mul_f64_e32 v[35:36], v[37:38], v[35:36]
	s_delay_alu instid0(VALU_DEP_1) | instskip(NEXT) | instid1(VALU_DEP_1)
	v_add_f64_e32 v[35:36], v[39:40], v[35:36]
	v_add_f64_e32 v[37:38], v[41:42], v[35:36]
	s_delay_alu instid0(VALU_DEP_1) | instskip(NEXT) | instid1(VALU_DEP_1)
	v_mul_f64_e32 v[39:40], v[37:38], v[37:38]
	v_fma_f64 v[43:44], v[39:40], s[26:27], s[24:25]
	s_mov_b32 s24, 0xd7f4df2e
	s_mov_b32 s25, 0x3fc7474d
	v_mul_f64_e32 v[45:46], v[37:38], v[39:40]
	s_wait_alu 0xfffe
	s_delay_alu instid0(VALU_DEP_2) | instskip(SKIP_3) | instid1(VALU_DEP_1)
	v_fma_f64 v[43:44], v[39:40], v[43:44], s[24:25]
	s_mov_b32 s24, 0x16291751
	s_mov_b32 s25, 0x3fcc71c0
	s_wait_alu 0xfffe
	v_fma_f64 v[43:44], v[39:40], v[43:44], s[24:25]
	s_mov_b32 s24, 0x9b27acf1
	s_mov_b32 s25, 0x3fd24924
	s_wait_alu 0xfffe
	s_delay_alu instid0(VALU_DEP_1) | instskip(SKIP_3) | instid1(VALU_DEP_1)
	v_fma_f64 v[43:44], v[39:40], v[43:44], s[24:25]
	s_mov_b32 s24, 0x998ef7b6
	s_mov_b32 s25, 0x3fd99999
	s_wait_alu 0xfffe
	v_fma_f64 v[43:44], v[39:40], v[43:44], s[24:25]
	s_delay_alu instid0(VALU_DEP_1)
	v_fma_f64 v[39:40], v[39:40], v[43:44], s[0:1]
	v_ldexp_f64 v[43:44], v[37:38], 1
	v_add_f64_e64 v[37:38], v[37:38], -v[41:42]
	v_cmp_nge_f64_e64 s0, -1.0, v[15:16]
	v_cmp_neq_f64_e64 s1, 0x7ff00000, v[15:16]
	v_mul_f64_e32 v[39:40], v[45:46], v[39:40]
	v_cvt_f64_i32_e32 v[45:46], v0
	v_add_f64_e64 v[35:36], v[35:36], -v[37:38]
	s_and_b32 s0, s0, s1
	s_delay_alu instid0(VALU_DEP_3) | instskip(NEXT) | instid1(VALU_DEP_3)
	v_add_f64_e32 v[41:42], v[43:44], v[39:40]
	v_mul_f64_e32 v[47:48], s[18:19], v[45:46]
	s_delay_alu instid0(VALU_DEP_3) | instskip(NEXT) | instid1(VALU_DEP_3)
	v_ldexp_f64 v[35:36], v[35:36], 1
	v_add_f64_e64 v[37:38], v[41:42], -v[43:44]
	s_delay_alu instid0(VALU_DEP_3) | instskip(NEXT) | instid1(VALU_DEP_2)
	v_fma_f64 v[43:44], v[45:46], s[18:19], -v[47:48]
	v_add_f64_e64 v[37:38], v[39:40], -v[37:38]
	s_delay_alu instid0(VALU_DEP_2) | instskip(NEXT) | instid1(VALU_DEP_2)
	v_fma_f64 v[39:40], v[45:46], s[20:21], v[43:44]
	v_add_f64_e32 v[35:36], v[35:36], v[37:38]
	s_delay_alu instid0(VALU_DEP_2) | instskip(NEXT) | instid1(VALU_DEP_2)
	v_add_f64_e32 v[37:38], v[47:48], v[39:40]
	v_add_f64_e32 v[43:44], v[41:42], v[35:36]
	s_delay_alu instid0(VALU_DEP_2) | instskip(NEXT) | instid1(VALU_DEP_2)
	v_add_f64_e64 v[47:48], v[37:38], -v[47:48]
	v_add_f64_e32 v[45:46], v[37:38], v[43:44]
	v_add_f64_e64 v[41:42], v[43:44], -v[41:42]
	s_delay_alu instid0(VALU_DEP_3) | instskip(NEXT) | instid1(VALU_DEP_3)
	v_add_f64_e64 v[39:40], v[39:40], -v[47:48]
	v_add_f64_e64 v[49:50], v[45:46], -v[37:38]
	s_delay_alu instid0(VALU_DEP_3) | instskip(NEXT) | instid1(VALU_DEP_2)
	v_add_f64_e64 v[35:36], v[35:36], -v[41:42]
	v_add_f64_e64 v[51:52], v[45:46], -v[49:50]
	;; [unrolled: 1-line block ×3, first 2 shown]
	s_delay_alu instid0(VALU_DEP_3) | instskip(NEXT) | instid1(VALU_DEP_3)
	v_add_f64_e32 v[43:44], v[39:40], v[35:36]
	v_add_f64_e64 v[37:38], v[37:38], -v[51:52]
	s_delay_alu instid0(VALU_DEP_1) | instskip(NEXT) | instid1(VALU_DEP_3)
	v_add_f64_e32 v[37:38], v[41:42], v[37:38]
	v_add_f64_e64 v[41:42], v[43:44], -v[39:40]
	s_delay_alu instid0(VALU_DEP_2) | instskip(NEXT) | instid1(VALU_DEP_2)
	v_add_f64_e32 v[37:38], v[43:44], v[37:38]
	v_add_f64_e64 v[43:44], v[43:44], -v[41:42]
	v_add_f64_e64 v[35:36], v[35:36], -v[41:42]
	s_delay_alu instid0(VALU_DEP_3) | instskip(NEXT) | instid1(VALU_DEP_3)
	v_add_f64_e32 v[47:48], v[45:46], v[37:38]
	v_add_f64_e64 v[39:40], v[39:40], -v[43:44]
	s_delay_alu instid0(VALU_DEP_2) | instskip(NEXT) | instid1(VALU_DEP_2)
	v_add_f64_e64 v[41:42], v[47:48], -v[45:46]
	v_add_f64_e32 v[35:36], v[35:36], v[39:40]
	s_delay_alu instid0(VALU_DEP_2) | instskip(NEXT) | instid1(VALU_DEP_1)
	v_add_f64_e64 v[37:38], v[37:38], -v[41:42]
	v_add_f64_e32 v[35:36], v[35:36], v[37:38]
	s_delay_alu instid0(VALU_DEP_1) | instskip(SKIP_1) | instid1(VALU_DEP_1)
	v_add_f64_e32 v[35:36], v[47:48], v[35:36]
	s_wait_alu 0xfffe
	v_cndmask_b32_e64 v35, 0, v35, s0
	v_cmp_neq_f64_e64 s0, -1.0, v[15:16]
	s_delay_alu instid0(VALU_DEP_3) | instskip(NEXT) | instid1(VALU_DEP_1)
	v_cndmask_b32_e64 v0, 0x7ff00000, v36, s1
	v_cndmask_b32_e64 v0, 0x7ff80000, v0, s17
	s_wait_alu 0xf1ff
	s_delay_alu instid0(VALU_DEP_1) | instskip(NEXT) | instid1(VALU_DEP_1)
	v_cndmask_b32_e64 v36, 0xfff00000, v0, s0
	v_add_f64_e32 v[15:16], v[33:34], v[35:36]
.LBB61_128:
	s_wait_alu 0xfffe
	s_or_b32 exec_lo, exec_lo, s22
	s_delay_alu instid0(VALU_DEP_1) | instskip(SKIP_1) | instid1(VALU_DEP_2)
	v_max_num_f64_e32 v[33:34], v[15:16], v[15:16]
	v_cmp_u_f64_e64 s0, v[15:16], v[15:16]
	v_min_num_f64_e32 v[35:36], v[33:34], v[55:56]
	v_max_num_f64_e32 v[33:34], v[33:34], v[55:56]
	s_wait_alu 0xf1ff
	s_delay_alu instid0(VALU_DEP_2) | instskip(NEXT) | instid1(VALU_DEP_3)
	v_cndmask_b32_e64 v0, v35, v15, s0
	v_cndmask_b32_e64 v35, v36, v16, s0
	s_delay_alu instid0(VALU_DEP_3) | instskip(NEXT) | instid1(VALU_DEP_4)
	v_cndmask_b32_e64 v34, v34, v16, s0
	v_cndmask_b32_e64 v33, v33, v15, s0
	s_delay_alu instid0(VALU_DEP_3) | instskip(SKIP_1) | instid1(VALU_DEP_4)
	v_cndmask_b32_e64 v36, v35, v10, s28
	v_cndmask_b32_e64 v35, v0, v9, s28
	;; [unrolled: 1-line block ×3, first 2 shown]
	s_delay_alu instid0(VALU_DEP_4) | instskip(SKIP_1) | instid1(VALU_DEP_4)
	v_cndmask_b32_e64 v33, v33, v9, s28
	v_dual_mov_b32 v9, v15 :: v_dual_mov_b32 v10, v16
	v_cmp_class_f64_e64 s1, v[35:36], 0x1f8
	s_delay_alu instid0(VALU_DEP_3)
	v_cmp_neq_f64_e64 s0, v[35:36], v[33:34]
	s_or_b32 s0, s0, s1
	s_wait_alu 0xfffe
	s_and_saveexec_b32 s22, s0
	s_cbranch_execz .LBB61_130
; %bb.129:
	v_add_f64_e64 v[9:10], v[35:36], -v[33:34]
	s_mov_b32 s0, 0x652b82fe
	s_mov_b32 s1, 0x3ff71547
	;; [unrolled: 1-line block ×10, first 2 shown]
	s_wait_alu 0xfffe
	s_delay_alu instid0(VALU_DEP_1) | instskip(SKIP_2) | instid1(VALU_DEP_1)
	v_mul_f64_e32 v[35:36], s[0:1], v[9:10]
	s_mov_b32 s0, 0xfca7ab0c
	s_mov_b32 s1, 0x3e928af3
	v_rndne_f64_e32 v[35:36], v[35:36]
	s_delay_alu instid0(VALU_DEP_1) | instskip(SKIP_2) | instid1(VALU_DEP_2)
	v_fma_f64 v[37:38], v[35:36], s[18:19], v[9:10]
	v_cvt_i32_f64_e32 v0, v[35:36]
	s_mov_b32 s19, 0x3fe62e42
	v_fma_f64 v[37:38], v[35:36], s[20:21], v[37:38]
	s_mov_b32 s21, 0x3c7abc9e
	s_wait_alu 0xfffe
	s_delay_alu instid0(VALU_DEP_1)
	v_fma_f64 v[39:40], v[37:38], s[24:25], s[0:1]
	s_mov_b32 s0, 0x623fde64
	s_mov_b32 s1, 0x3ec71dee
	;; [unrolled: 1-line block ×4, first 2 shown]
	s_wait_alu 0xfffe
	s_delay_alu instid0(VALU_DEP_1) | instskip(SKIP_3) | instid1(VALU_DEP_1)
	v_fma_f64 v[39:40], v[37:38], v[39:40], s[0:1]
	s_mov_b32 s0, 0x7c89e6b0
	s_mov_b32 s1, 0x3efa0199
	s_wait_alu 0xfffe
	v_fma_f64 v[39:40], v[37:38], v[39:40], s[0:1]
	s_mov_b32 s0, 0x14761f6e
	s_mov_b32 s1, 0x3f2a01a0
	s_wait_alu 0xfffe
	s_delay_alu instid0(VALU_DEP_1) | instskip(SKIP_3) | instid1(VALU_DEP_1)
	v_fma_f64 v[39:40], v[37:38], v[39:40], s[0:1]
	s_mov_b32 s0, 0x1852b7b0
	s_mov_b32 s1, 0x3f56c16c
	s_wait_alu 0xfffe
	v_fma_f64 v[39:40], v[37:38], v[39:40], s[0:1]
	s_mov_b32 s0, 0x11122322
	s_mov_b32 s1, 0x3f811111
	;; [unrolled: 9-line block ×3, first 2 shown]
	s_wait_alu 0xfffe
	s_delay_alu instid0(VALU_DEP_1) | instskip(SKIP_3) | instid1(VALU_DEP_1)
	v_fma_f64 v[39:40], v[37:38], v[39:40], s[0:1]
	s_mov_b32 s0, 11
	s_mov_b32 s1, 0x3fe00000
	s_wait_alu 0xfffe
	v_fma_f64 v[39:40], v[37:38], v[39:40], s[0:1]
	v_cmp_nlt_f64_e64 s0, 0x40900000, v[9:10]
	v_cmp_ngt_f64_e64 s1, 0xc090cc00, v[9:10]
	s_delay_alu instid0(VALU_DEP_3) | instskip(NEXT) | instid1(VALU_DEP_1)
	v_fma_f64 v[39:40], v[37:38], v[39:40], 1.0
	v_fma_f64 v[35:36], v[37:38], v[39:40], 1.0
	s_delay_alu instid0(VALU_DEP_1) | instskip(SKIP_1) | instid1(VALU_DEP_1)
	v_ldexp_f64 v[35:36], v[35:36], v0
	s_wait_alu 0xf1ff
	v_cndmask_b32_e64 v0, 0x7ff00000, v36, s0
	s_and_b32 s0, s1, s0
	s_wait_alu 0xfffe
	s_delay_alu instid0(VALU_DEP_2) | instskip(SKIP_3) | instid1(VALU_DEP_1)
	v_cndmask_b32_e64 v9, 0, v35, s0
	s_mov_b32 s0, 0x55555555
	v_cndmask_b32_e64 v10, 0, v0, s1
	s_mov_b32 s1, 0x3fe55555
	v_add_f64_e32 v[35:36], 1.0, v[9:10]
	v_cmp_ngt_f64_e64 s17, -1.0, v[9:10]
	s_delay_alu instid0(VALU_DEP_2) | instskip(SKIP_3) | instid1(VALU_DEP_3)
	v_frexp_mant_f64_e32 v[37:38], v[35:36]
	v_frexp_exp_i32_f64_e32 v0, v[35:36]
	v_add_f64_e32 v[39:40], -1.0, v[35:36]
	s_wait_alu 0xfffe
	v_cmp_gt_f64_e64 s0, s[0:1], v[37:38]
	s_delay_alu instid0(VALU_DEP_2) | instskip(SKIP_2) | instid1(VALU_DEP_3)
	v_add_f64_e64 v[37:38], v[39:40], -v[35:36]
	v_add_f64_e64 v[39:40], v[9:10], -v[39:40]
	s_wait_alu 0xf1ff
	v_subrev_co_ci_u32_e64 v0, null, 0, v0, s0
	s_delay_alu instid0(VALU_DEP_3) | instskip(SKIP_1) | instid1(VALU_DEP_2)
	v_add_f64_e32 v[37:38], 1.0, v[37:38]
	s_mov_b32 s0, 0x55555780
	v_sub_nc_u32_e32 v43, 0, v0
	s_delay_alu instid0(VALU_DEP_1) | instskip(NEXT) | instid1(VALU_DEP_3)
	v_ldexp_f64 v[35:36], v[35:36], v43
	v_add_f64_e32 v[37:38], v[39:40], v[37:38]
	s_delay_alu instid0(VALU_DEP_2) | instskip(SKIP_1) | instid1(VALU_DEP_3)
	v_add_f64_e32 v[41:42], 1.0, v[35:36]
	v_add_f64_e32 v[47:48], -1.0, v[35:36]
	v_ldexp_f64 v[37:38], v[37:38], v43
	s_delay_alu instid0(VALU_DEP_3) | instskip(NEXT) | instid1(VALU_DEP_3)
	v_add_f64_e32 v[39:40], -1.0, v[41:42]
	v_add_f64_e32 v[49:50], 1.0, v[47:48]
	s_delay_alu instid0(VALU_DEP_2) | instskip(NEXT) | instid1(VALU_DEP_2)
	v_add_f64_e64 v[39:40], v[35:36], -v[39:40]
	v_add_f64_e64 v[35:36], v[35:36], -v[49:50]
	s_delay_alu instid0(VALU_DEP_2) | instskip(NEXT) | instid1(VALU_DEP_2)
	v_add_f64_e32 v[39:40], v[37:38], v[39:40]
	v_add_f64_e32 v[35:36], v[37:38], v[35:36]
	s_delay_alu instid0(VALU_DEP_2) | instskip(NEXT) | instid1(VALU_DEP_2)
	v_add_f64_e32 v[43:44], v[41:42], v[39:40]
	v_add_f64_e32 v[49:50], v[47:48], v[35:36]
	s_delay_alu instid0(VALU_DEP_2) | instskip(SKIP_1) | instid1(VALU_DEP_2)
	v_rcp_f64_e32 v[45:46], v[43:44]
	v_add_f64_e64 v[41:42], v[43:44], -v[41:42]
	v_add_f64_e64 v[47:48], v[49:50], -v[47:48]
	s_delay_alu instid0(VALU_DEP_2) | instskip(NEXT) | instid1(TRANS32_DEP_1)
	v_add_f64_e64 v[39:40], v[39:40], -v[41:42]
	v_fma_f64 v[51:52], -v[43:44], v[45:46], 1.0
	s_delay_alu instid0(VALU_DEP_3) | instskip(NEXT) | instid1(VALU_DEP_2)
	v_add_f64_e64 v[35:36], v[35:36], -v[47:48]
	v_fma_f64 v[45:46], v[51:52], v[45:46], v[45:46]
	s_delay_alu instid0(VALU_DEP_1) | instskip(NEXT) | instid1(VALU_DEP_1)
	v_fma_f64 v[37:38], -v[43:44], v[45:46], 1.0
	v_fma_f64 v[37:38], v[37:38], v[45:46], v[45:46]
	s_delay_alu instid0(VALU_DEP_1) | instskip(NEXT) | instid1(VALU_DEP_1)
	v_mul_f64_e32 v[45:46], v[49:50], v[37:38]
	v_mul_f64_e32 v[51:52], v[43:44], v[45:46]
	s_delay_alu instid0(VALU_DEP_1) | instskip(NEXT) | instid1(VALU_DEP_1)
	v_fma_f64 v[41:42], v[45:46], v[43:44], -v[51:52]
	v_fma_f64 v[41:42], v[45:46], v[39:40], v[41:42]
	s_delay_alu instid0(VALU_DEP_1) | instskip(NEXT) | instid1(VALU_DEP_1)
	v_add_f64_e32 v[53:54], v[51:52], v[41:42]
	v_add_f64_e64 v[55:56], v[49:50], -v[53:54]
	v_add_f64_e64 v[47:48], v[53:54], -v[51:52]
	s_delay_alu instid0(VALU_DEP_2) | instskip(NEXT) | instid1(VALU_DEP_2)
	v_add_f64_e64 v[49:50], v[49:50], -v[55:56]
	v_add_f64_e64 v[41:42], v[47:48], -v[41:42]
	s_delay_alu instid0(VALU_DEP_2) | instskip(NEXT) | instid1(VALU_DEP_1)
	v_add_f64_e64 v[49:50], v[49:50], -v[53:54]
	v_add_f64_e32 v[35:36], v[35:36], v[49:50]
	s_delay_alu instid0(VALU_DEP_1) | instskip(NEXT) | instid1(VALU_DEP_1)
	v_add_f64_e32 v[35:36], v[41:42], v[35:36]
	v_add_f64_e32 v[41:42], v[55:56], v[35:36]
	s_delay_alu instid0(VALU_DEP_1) | instskip(SKIP_1) | instid1(VALU_DEP_2)
	v_mul_f64_e32 v[47:48], v[37:38], v[41:42]
	v_add_f64_e64 v[53:54], v[55:56], -v[41:42]
	v_mul_f64_e32 v[49:50], v[43:44], v[47:48]
	s_delay_alu instid0(VALU_DEP_2) | instskip(NEXT) | instid1(VALU_DEP_2)
	v_add_f64_e32 v[35:36], v[35:36], v[53:54]
	v_fma_f64 v[43:44], v[47:48], v[43:44], -v[49:50]
	s_delay_alu instid0(VALU_DEP_1) | instskip(NEXT) | instid1(VALU_DEP_1)
	v_fma_f64 v[39:40], v[47:48], v[39:40], v[43:44]
	v_add_f64_e32 v[43:44], v[49:50], v[39:40]
	s_delay_alu instid0(VALU_DEP_1) | instskip(SKIP_1) | instid1(VALU_DEP_2)
	v_add_f64_e64 v[51:52], v[41:42], -v[43:44]
	v_add_f64_e64 v[49:50], v[43:44], -v[49:50]
	;; [unrolled: 1-line block ×3, first 2 shown]
	s_delay_alu instid0(VALU_DEP_2) | instskip(NEXT) | instid1(VALU_DEP_2)
	v_add_f64_e64 v[39:40], v[49:50], -v[39:40]
	v_add_f64_e64 v[41:42], v[41:42], -v[43:44]
	s_delay_alu instid0(VALU_DEP_1) | instskip(SKIP_1) | instid1(VALU_DEP_2)
	v_add_f64_e32 v[35:36], v[35:36], v[41:42]
	v_add_f64_e32 v[41:42], v[45:46], v[47:48]
	;; [unrolled: 1-line block ×3, first 2 shown]
	s_delay_alu instid0(VALU_DEP_2) | instskip(NEXT) | instid1(VALU_DEP_2)
	v_add_f64_e64 v[39:40], v[41:42], -v[45:46]
	v_add_f64_e32 v[35:36], v[51:52], v[35:36]
	s_delay_alu instid0(VALU_DEP_2) | instskip(NEXT) | instid1(VALU_DEP_2)
	v_add_f64_e64 v[39:40], v[47:48], -v[39:40]
	v_mul_f64_e32 v[35:36], v[37:38], v[35:36]
	s_delay_alu instid0(VALU_DEP_1) | instskip(NEXT) | instid1(VALU_DEP_1)
	v_add_f64_e32 v[35:36], v[39:40], v[35:36]
	v_add_f64_e32 v[37:38], v[41:42], v[35:36]
	s_delay_alu instid0(VALU_DEP_1) | instskip(NEXT) | instid1(VALU_DEP_1)
	v_mul_f64_e32 v[39:40], v[37:38], v[37:38]
	v_fma_f64 v[43:44], v[39:40], s[26:27], s[24:25]
	s_mov_b32 s24, 0xd7f4df2e
	s_mov_b32 s25, 0x3fc7474d
	v_mul_f64_e32 v[45:46], v[37:38], v[39:40]
	s_wait_alu 0xfffe
	s_delay_alu instid0(VALU_DEP_2) | instskip(SKIP_3) | instid1(VALU_DEP_1)
	v_fma_f64 v[43:44], v[39:40], v[43:44], s[24:25]
	s_mov_b32 s24, 0x16291751
	s_mov_b32 s25, 0x3fcc71c0
	s_wait_alu 0xfffe
	v_fma_f64 v[43:44], v[39:40], v[43:44], s[24:25]
	s_mov_b32 s24, 0x9b27acf1
	s_mov_b32 s25, 0x3fd24924
	s_wait_alu 0xfffe
	s_delay_alu instid0(VALU_DEP_1) | instskip(SKIP_3) | instid1(VALU_DEP_1)
	v_fma_f64 v[43:44], v[39:40], v[43:44], s[24:25]
	s_mov_b32 s24, 0x998ef7b6
	s_mov_b32 s25, 0x3fd99999
	s_wait_alu 0xfffe
	v_fma_f64 v[43:44], v[39:40], v[43:44], s[24:25]
	s_delay_alu instid0(VALU_DEP_1)
	v_fma_f64 v[39:40], v[39:40], v[43:44], s[0:1]
	v_ldexp_f64 v[43:44], v[37:38], 1
	v_add_f64_e64 v[37:38], v[37:38], -v[41:42]
	v_cmp_nge_f64_e64 s0, -1.0, v[9:10]
	v_cmp_neq_f64_e64 s1, 0x7ff00000, v[9:10]
	v_mul_f64_e32 v[39:40], v[45:46], v[39:40]
	v_cvt_f64_i32_e32 v[45:46], v0
	v_add_f64_e64 v[35:36], v[35:36], -v[37:38]
	s_and_b32 s0, s0, s1
	s_delay_alu instid0(VALU_DEP_3) | instskip(NEXT) | instid1(VALU_DEP_3)
	v_add_f64_e32 v[41:42], v[43:44], v[39:40]
	v_mul_f64_e32 v[47:48], s[18:19], v[45:46]
	s_delay_alu instid0(VALU_DEP_3) | instskip(NEXT) | instid1(VALU_DEP_3)
	v_ldexp_f64 v[35:36], v[35:36], 1
	v_add_f64_e64 v[37:38], v[41:42], -v[43:44]
	s_delay_alu instid0(VALU_DEP_3) | instskip(NEXT) | instid1(VALU_DEP_2)
	v_fma_f64 v[43:44], v[45:46], s[18:19], -v[47:48]
	v_add_f64_e64 v[37:38], v[39:40], -v[37:38]
	s_delay_alu instid0(VALU_DEP_2) | instskip(NEXT) | instid1(VALU_DEP_2)
	v_fma_f64 v[39:40], v[45:46], s[20:21], v[43:44]
	v_add_f64_e32 v[35:36], v[35:36], v[37:38]
	s_delay_alu instid0(VALU_DEP_2) | instskip(NEXT) | instid1(VALU_DEP_2)
	v_add_f64_e32 v[37:38], v[47:48], v[39:40]
	v_add_f64_e32 v[43:44], v[41:42], v[35:36]
	s_delay_alu instid0(VALU_DEP_2) | instskip(NEXT) | instid1(VALU_DEP_2)
	v_add_f64_e64 v[47:48], v[37:38], -v[47:48]
	v_add_f64_e32 v[45:46], v[37:38], v[43:44]
	v_add_f64_e64 v[41:42], v[43:44], -v[41:42]
	s_delay_alu instid0(VALU_DEP_3) | instskip(NEXT) | instid1(VALU_DEP_3)
	v_add_f64_e64 v[39:40], v[39:40], -v[47:48]
	v_add_f64_e64 v[49:50], v[45:46], -v[37:38]
	s_delay_alu instid0(VALU_DEP_3) | instskip(NEXT) | instid1(VALU_DEP_2)
	v_add_f64_e64 v[35:36], v[35:36], -v[41:42]
	v_add_f64_e64 v[51:52], v[45:46], -v[49:50]
	;; [unrolled: 1-line block ×3, first 2 shown]
	s_delay_alu instid0(VALU_DEP_3) | instskip(NEXT) | instid1(VALU_DEP_3)
	v_add_f64_e32 v[43:44], v[39:40], v[35:36]
	v_add_f64_e64 v[37:38], v[37:38], -v[51:52]
	s_delay_alu instid0(VALU_DEP_1) | instskip(NEXT) | instid1(VALU_DEP_3)
	v_add_f64_e32 v[37:38], v[41:42], v[37:38]
	v_add_f64_e64 v[41:42], v[43:44], -v[39:40]
	s_delay_alu instid0(VALU_DEP_2) | instskip(NEXT) | instid1(VALU_DEP_2)
	v_add_f64_e32 v[37:38], v[43:44], v[37:38]
	v_add_f64_e64 v[43:44], v[43:44], -v[41:42]
	v_add_f64_e64 v[35:36], v[35:36], -v[41:42]
	s_delay_alu instid0(VALU_DEP_3) | instskip(NEXT) | instid1(VALU_DEP_3)
	v_add_f64_e32 v[47:48], v[45:46], v[37:38]
	v_add_f64_e64 v[39:40], v[39:40], -v[43:44]
	s_delay_alu instid0(VALU_DEP_2) | instskip(NEXT) | instid1(VALU_DEP_2)
	v_add_f64_e64 v[41:42], v[47:48], -v[45:46]
	v_add_f64_e32 v[35:36], v[35:36], v[39:40]
	s_delay_alu instid0(VALU_DEP_2) | instskip(NEXT) | instid1(VALU_DEP_1)
	v_add_f64_e64 v[37:38], v[37:38], -v[41:42]
	v_add_f64_e32 v[35:36], v[35:36], v[37:38]
	s_delay_alu instid0(VALU_DEP_1) | instskip(SKIP_1) | instid1(VALU_DEP_1)
	v_add_f64_e32 v[35:36], v[47:48], v[35:36]
	s_wait_alu 0xfffe
	v_cndmask_b32_e64 v35, 0, v35, s0
	v_cmp_neq_f64_e64 s0, -1.0, v[9:10]
	s_delay_alu instid0(VALU_DEP_3) | instskip(NEXT) | instid1(VALU_DEP_1)
	v_cndmask_b32_e64 v0, 0x7ff00000, v36, s1
	v_cndmask_b32_e64 v0, 0x7ff80000, v0, s17
	s_wait_alu 0xf1ff
	s_delay_alu instid0(VALU_DEP_1) | instskip(NEXT) | instid1(VALU_DEP_1)
	v_cndmask_b32_e64 v36, 0xfff00000, v0, s0
	v_add_f64_e32 v[9:10], v[33:34], v[35:36]
.LBB61_130:
	s_wait_alu 0xfffe
	s_or_b32 exec_lo, exec_lo, s22
	s_delay_alu instid0(VALU_DEP_1) | instskip(SKIP_1) | instid1(VALU_DEP_2)
	v_max_num_f64_e32 v[33:34], v[9:10], v[9:10]
	v_cmp_u_f64_e64 s0, v[9:10], v[9:10]
	v_min_num_f64_e32 v[35:36], v[33:34], v[57:58]
	v_max_num_f64_e32 v[33:34], v[33:34], v[57:58]
	s_wait_alu 0xf1ff
	s_delay_alu instid0(VALU_DEP_2) | instskip(NEXT) | instid1(VALU_DEP_3)
	v_cndmask_b32_e64 v0, v35, v9, s0
	v_cndmask_b32_e64 v35, v36, v10, s0
	s_delay_alu instid0(VALU_DEP_3) | instskip(NEXT) | instid1(VALU_DEP_4)
	v_cndmask_b32_e64 v34, v34, v10, s0
	v_cndmask_b32_e64 v33, v33, v9, s0
	s_delay_alu instid0(VALU_DEP_3) | instskip(SKIP_1) | instid1(VALU_DEP_4)
	v_cndmask_b32_e64 v36, v35, v12, s29
	v_cndmask_b32_e64 v35, v0, v11, s29
	;; [unrolled: 1-line block ×3, first 2 shown]
	s_delay_alu instid0(VALU_DEP_4) | instskip(SKIP_1) | instid1(VALU_DEP_4)
	v_cndmask_b32_e64 v33, v33, v11, s29
	v_dual_mov_b32 v12, v10 :: v_dual_mov_b32 v11, v9
	v_cmp_class_f64_e64 s1, v[35:36], 0x1f8
	s_delay_alu instid0(VALU_DEP_3)
	v_cmp_neq_f64_e64 s0, v[35:36], v[33:34]
	s_or_b32 s0, s0, s1
	s_wait_alu 0xfffe
	s_and_saveexec_b32 s22, s0
	s_cbranch_execz .LBB61_132
; %bb.131:
	v_add_f64_e64 v[11:12], v[35:36], -v[33:34]
	s_mov_b32 s0, 0x652b82fe
	s_mov_b32 s1, 0x3ff71547
	;; [unrolled: 1-line block ×10, first 2 shown]
	s_wait_alu 0xfffe
	s_delay_alu instid0(VALU_DEP_1) | instskip(SKIP_2) | instid1(VALU_DEP_1)
	v_mul_f64_e32 v[35:36], s[0:1], v[11:12]
	s_mov_b32 s0, 0xfca7ab0c
	s_mov_b32 s1, 0x3e928af3
	v_rndne_f64_e32 v[35:36], v[35:36]
	s_delay_alu instid0(VALU_DEP_1) | instskip(SKIP_2) | instid1(VALU_DEP_2)
	v_fma_f64 v[37:38], v[35:36], s[18:19], v[11:12]
	v_cvt_i32_f64_e32 v0, v[35:36]
	s_mov_b32 s19, 0x3fe62e42
	v_fma_f64 v[37:38], v[35:36], s[20:21], v[37:38]
	s_mov_b32 s21, 0x3c7abc9e
	s_wait_alu 0xfffe
	s_delay_alu instid0(VALU_DEP_1)
	v_fma_f64 v[39:40], v[37:38], s[24:25], s[0:1]
	s_mov_b32 s0, 0x623fde64
	s_mov_b32 s1, 0x3ec71dee
	;; [unrolled: 1-line block ×4, first 2 shown]
	s_wait_alu 0xfffe
	s_delay_alu instid0(VALU_DEP_1) | instskip(SKIP_3) | instid1(VALU_DEP_1)
	v_fma_f64 v[39:40], v[37:38], v[39:40], s[0:1]
	s_mov_b32 s0, 0x7c89e6b0
	s_mov_b32 s1, 0x3efa0199
	s_wait_alu 0xfffe
	v_fma_f64 v[39:40], v[37:38], v[39:40], s[0:1]
	s_mov_b32 s0, 0x14761f6e
	s_mov_b32 s1, 0x3f2a01a0
	s_wait_alu 0xfffe
	s_delay_alu instid0(VALU_DEP_1) | instskip(SKIP_3) | instid1(VALU_DEP_1)
	v_fma_f64 v[39:40], v[37:38], v[39:40], s[0:1]
	s_mov_b32 s0, 0x1852b7b0
	s_mov_b32 s1, 0x3f56c16c
	s_wait_alu 0xfffe
	v_fma_f64 v[39:40], v[37:38], v[39:40], s[0:1]
	s_mov_b32 s0, 0x11122322
	s_mov_b32 s1, 0x3f811111
	s_wait_alu 0xfffe
	s_delay_alu instid0(VALU_DEP_1) | instskip(SKIP_3) | instid1(VALU_DEP_1)
	v_fma_f64 v[39:40], v[37:38], v[39:40], s[0:1]
	s_mov_b32 s0, 0x555502a1
	s_mov_b32 s1, 0x3fa55555
	s_wait_alu 0xfffe
	v_fma_f64 v[39:40], v[37:38], v[39:40], s[0:1]
	s_mov_b32 s0, 0x55555511
	s_mov_b32 s1, 0x3fc55555
	s_wait_alu 0xfffe
	s_delay_alu instid0(VALU_DEP_1) | instskip(SKIP_3) | instid1(VALU_DEP_1)
	v_fma_f64 v[39:40], v[37:38], v[39:40], s[0:1]
	s_mov_b32 s0, 11
	s_mov_b32 s1, 0x3fe00000
	s_wait_alu 0xfffe
	v_fma_f64 v[39:40], v[37:38], v[39:40], s[0:1]
	v_cmp_nlt_f64_e64 s0, 0x40900000, v[11:12]
	v_cmp_ngt_f64_e64 s1, 0xc090cc00, v[11:12]
	s_delay_alu instid0(VALU_DEP_3) | instskip(NEXT) | instid1(VALU_DEP_1)
	v_fma_f64 v[39:40], v[37:38], v[39:40], 1.0
	v_fma_f64 v[35:36], v[37:38], v[39:40], 1.0
	s_delay_alu instid0(VALU_DEP_1) | instskip(SKIP_1) | instid1(VALU_DEP_1)
	v_ldexp_f64 v[35:36], v[35:36], v0
	s_wait_alu 0xf1ff
	v_cndmask_b32_e64 v0, 0x7ff00000, v36, s0
	s_and_b32 s0, s1, s0
	s_wait_alu 0xfffe
	s_delay_alu instid0(VALU_DEP_2) | instskip(SKIP_3) | instid1(VALU_DEP_1)
	v_cndmask_b32_e64 v11, 0, v35, s0
	s_mov_b32 s0, 0x55555555
	v_cndmask_b32_e64 v12, 0, v0, s1
	s_mov_b32 s1, 0x3fe55555
	v_add_f64_e32 v[35:36], 1.0, v[11:12]
	v_cmp_ngt_f64_e64 s17, -1.0, v[11:12]
	s_delay_alu instid0(VALU_DEP_2) | instskip(SKIP_3) | instid1(VALU_DEP_3)
	v_frexp_mant_f64_e32 v[37:38], v[35:36]
	v_frexp_exp_i32_f64_e32 v0, v[35:36]
	v_add_f64_e32 v[39:40], -1.0, v[35:36]
	s_wait_alu 0xfffe
	v_cmp_gt_f64_e64 s0, s[0:1], v[37:38]
	s_delay_alu instid0(VALU_DEP_2) | instskip(SKIP_2) | instid1(VALU_DEP_3)
	v_add_f64_e64 v[37:38], v[39:40], -v[35:36]
	v_add_f64_e64 v[39:40], v[11:12], -v[39:40]
	s_wait_alu 0xf1ff
	v_subrev_co_ci_u32_e64 v0, null, 0, v0, s0
	s_delay_alu instid0(VALU_DEP_3) | instskip(SKIP_1) | instid1(VALU_DEP_2)
	v_add_f64_e32 v[37:38], 1.0, v[37:38]
	s_mov_b32 s0, 0x55555780
	v_sub_nc_u32_e32 v43, 0, v0
	s_delay_alu instid0(VALU_DEP_1) | instskip(NEXT) | instid1(VALU_DEP_3)
	v_ldexp_f64 v[35:36], v[35:36], v43
	v_add_f64_e32 v[37:38], v[39:40], v[37:38]
	s_delay_alu instid0(VALU_DEP_2) | instskip(SKIP_1) | instid1(VALU_DEP_3)
	v_add_f64_e32 v[41:42], 1.0, v[35:36]
	v_add_f64_e32 v[47:48], -1.0, v[35:36]
	v_ldexp_f64 v[37:38], v[37:38], v43
	s_delay_alu instid0(VALU_DEP_3) | instskip(NEXT) | instid1(VALU_DEP_3)
	v_add_f64_e32 v[39:40], -1.0, v[41:42]
	v_add_f64_e32 v[49:50], 1.0, v[47:48]
	s_delay_alu instid0(VALU_DEP_2) | instskip(NEXT) | instid1(VALU_DEP_2)
	v_add_f64_e64 v[39:40], v[35:36], -v[39:40]
	v_add_f64_e64 v[35:36], v[35:36], -v[49:50]
	s_delay_alu instid0(VALU_DEP_2) | instskip(NEXT) | instid1(VALU_DEP_2)
	v_add_f64_e32 v[39:40], v[37:38], v[39:40]
	v_add_f64_e32 v[35:36], v[37:38], v[35:36]
	s_delay_alu instid0(VALU_DEP_2) | instskip(NEXT) | instid1(VALU_DEP_2)
	v_add_f64_e32 v[43:44], v[41:42], v[39:40]
	v_add_f64_e32 v[49:50], v[47:48], v[35:36]
	s_delay_alu instid0(VALU_DEP_2) | instskip(SKIP_1) | instid1(VALU_DEP_2)
	v_rcp_f64_e32 v[45:46], v[43:44]
	v_add_f64_e64 v[41:42], v[43:44], -v[41:42]
	v_add_f64_e64 v[47:48], v[49:50], -v[47:48]
	s_delay_alu instid0(VALU_DEP_2) | instskip(NEXT) | instid1(TRANS32_DEP_1)
	v_add_f64_e64 v[39:40], v[39:40], -v[41:42]
	v_fma_f64 v[51:52], -v[43:44], v[45:46], 1.0
	s_delay_alu instid0(VALU_DEP_3) | instskip(NEXT) | instid1(VALU_DEP_2)
	v_add_f64_e64 v[35:36], v[35:36], -v[47:48]
	v_fma_f64 v[45:46], v[51:52], v[45:46], v[45:46]
	s_delay_alu instid0(VALU_DEP_1) | instskip(NEXT) | instid1(VALU_DEP_1)
	v_fma_f64 v[37:38], -v[43:44], v[45:46], 1.0
	v_fma_f64 v[37:38], v[37:38], v[45:46], v[45:46]
	s_delay_alu instid0(VALU_DEP_1) | instskip(NEXT) | instid1(VALU_DEP_1)
	v_mul_f64_e32 v[45:46], v[49:50], v[37:38]
	v_mul_f64_e32 v[51:52], v[43:44], v[45:46]
	s_delay_alu instid0(VALU_DEP_1) | instskip(NEXT) | instid1(VALU_DEP_1)
	v_fma_f64 v[41:42], v[45:46], v[43:44], -v[51:52]
	v_fma_f64 v[41:42], v[45:46], v[39:40], v[41:42]
	s_delay_alu instid0(VALU_DEP_1) | instskip(NEXT) | instid1(VALU_DEP_1)
	v_add_f64_e32 v[53:54], v[51:52], v[41:42]
	v_add_f64_e64 v[55:56], v[49:50], -v[53:54]
	v_add_f64_e64 v[47:48], v[53:54], -v[51:52]
	s_delay_alu instid0(VALU_DEP_2) | instskip(NEXT) | instid1(VALU_DEP_2)
	v_add_f64_e64 v[49:50], v[49:50], -v[55:56]
	v_add_f64_e64 v[41:42], v[47:48], -v[41:42]
	s_delay_alu instid0(VALU_DEP_2) | instskip(NEXT) | instid1(VALU_DEP_1)
	v_add_f64_e64 v[49:50], v[49:50], -v[53:54]
	v_add_f64_e32 v[35:36], v[35:36], v[49:50]
	s_delay_alu instid0(VALU_DEP_1) | instskip(NEXT) | instid1(VALU_DEP_1)
	v_add_f64_e32 v[35:36], v[41:42], v[35:36]
	v_add_f64_e32 v[41:42], v[55:56], v[35:36]
	s_delay_alu instid0(VALU_DEP_1) | instskip(SKIP_1) | instid1(VALU_DEP_2)
	v_mul_f64_e32 v[47:48], v[37:38], v[41:42]
	v_add_f64_e64 v[53:54], v[55:56], -v[41:42]
	v_mul_f64_e32 v[49:50], v[43:44], v[47:48]
	s_delay_alu instid0(VALU_DEP_2) | instskip(NEXT) | instid1(VALU_DEP_2)
	v_add_f64_e32 v[35:36], v[35:36], v[53:54]
	v_fma_f64 v[43:44], v[47:48], v[43:44], -v[49:50]
	s_delay_alu instid0(VALU_DEP_1) | instskip(NEXT) | instid1(VALU_DEP_1)
	v_fma_f64 v[39:40], v[47:48], v[39:40], v[43:44]
	v_add_f64_e32 v[43:44], v[49:50], v[39:40]
	s_delay_alu instid0(VALU_DEP_1) | instskip(SKIP_1) | instid1(VALU_DEP_2)
	v_add_f64_e64 v[51:52], v[41:42], -v[43:44]
	v_add_f64_e64 v[49:50], v[43:44], -v[49:50]
	;; [unrolled: 1-line block ×3, first 2 shown]
	s_delay_alu instid0(VALU_DEP_2) | instskip(NEXT) | instid1(VALU_DEP_2)
	v_add_f64_e64 v[39:40], v[49:50], -v[39:40]
	v_add_f64_e64 v[41:42], v[41:42], -v[43:44]
	s_delay_alu instid0(VALU_DEP_1) | instskip(SKIP_1) | instid1(VALU_DEP_2)
	v_add_f64_e32 v[35:36], v[35:36], v[41:42]
	v_add_f64_e32 v[41:42], v[45:46], v[47:48]
	v_add_f64_e32 v[35:36], v[39:40], v[35:36]
	s_delay_alu instid0(VALU_DEP_2) | instskip(NEXT) | instid1(VALU_DEP_2)
	v_add_f64_e64 v[39:40], v[41:42], -v[45:46]
	v_add_f64_e32 v[35:36], v[51:52], v[35:36]
	s_delay_alu instid0(VALU_DEP_2) | instskip(NEXT) | instid1(VALU_DEP_2)
	v_add_f64_e64 v[39:40], v[47:48], -v[39:40]
	v_mul_f64_e32 v[35:36], v[37:38], v[35:36]
	s_delay_alu instid0(VALU_DEP_1) | instskip(NEXT) | instid1(VALU_DEP_1)
	v_add_f64_e32 v[35:36], v[39:40], v[35:36]
	v_add_f64_e32 v[37:38], v[41:42], v[35:36]
	s_delay_alu instid0(VALU_DEP_1) | instskip(NEXT) | instid1(VALU_DEP_1)
	v_mul_f64_e32 v[39:40], v[37:38], v[37:38]
	v_fma_f64 v[43:44], v[39:40], s[26:27], s[24:25]
	s_mov_b32 s24, 0xd7f4df2e
	s_mov_b32 s25, 0x3fc7474d
	v_mul_f64_e32 v[45:46], v[37:38], v[39:40]
	s_wait_alu 0xfffe
	s_delay_alu instid0(VALU_DEP_2) | instskip(SKIP_3) | instid1(VALU_DEP_1)
	v_fma_f64 v[43:44], v[39:40], v[43:44], s[24:25]
	s_mov_b32 s24, 0x16291751
	s_mov_b32 s25, 0x3fcc71c0
	s_wait_alu 0xfffe
	v_fma_f64 v[43:44], v[39:40], v[43:44], s[24:25]
	s_mov_b32 s24, 0x9b27acf1
	s_mov_b32 s25, 0x3fd24924
	s_wait_alu 0xfffe
	s_delay_alu instid0(VALU_DEP_1) | instskip(SKIP_3) | instid1(VALU_DEP_1)
	v_fma_f64 v[43:44], v[39:40], v[43:44], s[24:25]
	s_mov_b32 s24, 0x998ef7b6
	s_mov_b32 s25, 0x3fd99999
	s_wait_alu 0xfffe
	v_fma_f64 v[43:44], v[39:40], v[43:44], s[24:25]
	s_delay_alu instid0(VALU_DEP_1)
	v_fma_f64 v[39:40], v[39:40], v[43:44], s[0:1]
	v_ldexp_f64 v[43:44], v[37:38], 1
	v_add_f64_e64 v[37:38], v[37:38], -v[41:42]
	v_cmp_nge_f64_e64 s0, -1.0, v[11:12]
	v_cmp_neq_f64_e64 s1, 0x7ff00000, v[11:12]
	v_mul_f64_e32 v[39:40], v[45:46], v[39:40]
	v_cvt_f64_i32_e32 v[45:46], v0
	v_add_f64_e64 v[35:36], v[35:36], -v[37:38]
	s_and_b32 s0, s0, s1
	s_delay_alu instid0(VALU_DEP_3) | instskip(NEXT) | instid1(VALU_DEP_3)
	v_add_f64_e32 v[41:42], v[43:44], v[39:40]
	v_mul_f64_e32 v[47:48], s[18:19], v[45:46]
	s_delay_alu instid0(VALU_DEP_3) | instskip(NEXT) | instid1(VALU_DEP_3)
	v_ldexp_f64 v[35:36], v[35:36], 1
	v_add_f64_e64 v[37:38], v[41:42], -v[43:44]
	s_delay_alu instid0(VALU_DEP_3) | instskip(NEXT) | instid1(VALU_DEP_2)
	v_fma_f64 v[43:44], v[45:46], s[18:19], -v[47:48]
	v_add_f64_e64 v[37:38], v[39:40], -v[37:38]
	s_delay_alu instid0(VALU_DEP_2) | instskip(NEXT) | instid1(VALU_DEP_2)
	v_fma_f64 v[39:40], v[45:46], s[20:21], v[43:44]
	v_add_f64_e32 v[35:36], v[35:36], v[37:38]
	s_delay_alu instid0(VALU_DEP_2) | instskip(NEXT) | instid1(VALU_DEP_2)
	v_add_f64_e32 v[37:38], v[47:48], v[39:40]
	v_add_f64_e32 v[43:44], v[41:42], v[35:36]
	s_delay_alu instid0(VALU_DEP_2) | instskip(NEXT) | instid1(VALU_DEP_2)
	v_add_f64_e64 v[47:48], v[37:38], -v[47:48]
	v_add_f64_e32 v[45:46], v[37:38], v[43:44]
	v_add_f64_e64 v[41:42], v[43:44], -v[41:42]
	s_delay_alu instid0(VALU_DEP_3) | instskip(NEXT) | instid1(VALU_DEP_3)
	v_add_f64_e64 v[39:40], v[39:40], -v[47:48]
	v_add_f64_e64 v[49:50], v[45:46], -v[37:38]
	s_delay_alu instid0(VALU_DEP_3) | instskip(NEXT) | instid1(VALU_DEP_2)
	v_add_f64_e64 v[35:36], v[35:36], -v[41:42]
	v_add_f64_e64 v[51:52], v[45:46], -v[49:50]
	;; [unrolled: 1-line block ×3, first 2 shown]
	s_delay_alu instid0(VALU_DEP_3) | instskip(NEXT) | instid1(VALU_DEP_3)
	v_add_f64_e32 v[43:44], v[39:40], v[35:36]
	v_add_f64_e64 v[37:38], v[37:38], -v[51:52]
	s_delay_alu instid0(VALU_DEP_1) | instskip(NEXT) | instid1(VALU_DEP_3)
	v_add_f64_e32 v[37:38], v[41:42], v[37:38]
	v_add_f64_e64 v[41:42], v[43:44], -v[39:40]
	s_delay_alu instid0(VALU_DEP_2) | instskip(NEXT) | instid1(VALU_DEP_2)
	v_add_f64_e32 v[37:38], v[43:44], v[37:38]
	v_add_f64_e64 v[43:44], v[43:44], -v[41:42]
	v_add_f64_e64 v[35:36], v[35:36], -v[41:42]
	s_delay_alu instid0(VALU_DEP_3) | instskip(NEXT) | instid1(VALU_DEP_3)
	v_add_f64_e32 v[47:48], v[45:46], v[37:38]
	v_add_f64_e64 v[39:40], v[39:40], -v[43:44]
	s_delay_alu instid0(VALU_DEP_2) | instskip(NEXT) | instid1(VALU_DEP_2)
	v_add_f64_e64 v[41:42], v[47:48], -v[45:46]
	v_add_f64_e32 v[35:36], v[35:36], v[39:40]
	s_delay_alu instid0(VALU_DEP_2) | instskip(NEXT) | instid1(VALU_DEP_1)
	v_add_f64_e64 v[37:38], v[37:38], -v[41:42]
	v_add_f64_e32 v[35:36], v[35:36], v[37:38]
	s_delay_alu instid0(VALU_DEP_1) | instskip(SKIP_1) | instid1(VALU_DEP_1)
	v_add_f64_e32 v[35:36], v[47:48], v[35:36]
	s_wait_alu 0xfffe
	v_cndmask_b32_e64 v35, 0, v35, s0
	v_cmp_neq_f64_e64 s0, -1.0, v[11:12]
	s_delay_alu instid0(VALU_DEP_3) | instskip(NEXT) | instid1(VALU_DEP_1)
	v_cndmask_b32_e64 v0, 0x7ff00000, v36, s1
	v_cndmask_b32_e64 v0, 0x7ff80000, v0, s17
	s_wait_alu 0xf1ff
	s_delay_alu instid0(VALU_DEP_1) | instskip(NEXT) | instid1(VALU_DEP_1)
	v_cndmask_b32_e64 v36, 0xfff00000, v0, s0
	v_add_f64_e32 v[11:12], v[33:34], v[35:36]
.LBB61_132:
	s_wait_alu 0xfffe
	s_or_b32 exec_lo, exec_lo, s22
	s_delay_alu instid0(VALU_DEP_1) | instskip(SKIP_1) | instid1(VALU_DEP_2)
	v_max_num_f64_e32 v[33:34], v[11:12], v[11:12]
	v_cmp_u_f64_e64 s0, v[11:12], v[11:12]
	v_min_num_f64_e32 v[35:36], v[33:34], v[59:60]
	v_max_num_f64_e32 v[33:34], v[33:34], v[59:60]
	s_wait_alu 0xf1ff
	s_delay_alu instid0(VALU_DEP_2) | instskip(NEXT) | instid1(VALU_DEP_3)
	v_cndmask_b32_e64 v0, v35, v11, s0
	v_cndmask_b32_e64 v35, v36, v12, s0
	s_delay_alu instid0(VALU_DEP_3) | instskip(NEXT) | instid1(VALU_DEP_4)
	v_cndmask_b32_e64 v34, v34, v12, s0
	v_cndmask_b32_e64 v33, v33, v11, s0
	s_delay_alu instid0(VALU_DEP_3) | instskip(SKIP_1) | instid1(VALU_DEP_4)
	v_cndmask_b32_e64 v36, v35, v6, s30
	v_cndmask_b32_e64 v35, v0, v5, s30
	;; [unrolled: 1-line block ×3, first 2 shown]
	s_delay_alu instid0(VALU_DEP_4) | instskip(SKIP_1) | instid1(VALU_DEP_4)
	v_cndmask_b32_e64 v33, v33, v5, s30
	v_dual_mov_b32 v5, v11 :: v_dual_mov_b32 v6, v12
	v_cmp_class_f64_e64 s1, v[35:36], 0x1f8
	s_delay_alu instid0(VALU_DEP_3)
	v_cmp_neq_f64_e64 s0, v[35:36], v[33:34]
	s_or_b32 s0, s0, s1
	s_wait_alu 0xfffe
	s_and_saveexec_b32 s22, s0
	s_cbranch_execz .LBB61_134
; %bb.133:
	v_add_f64_e64 v[5:6], v[35:36], -v[33:34]
	s_mov_b32 s0, 0x652b82fe
	s_mov_b32 s1, 0x3ff71547
	;; [unrolled: 1-line block ×10, first 2 shown]
	s_wait_alu 0xfffe
	s_delay_alu instid0(VALU_DEP_1) | instskip(SKIP_2) | instid1(VALU_DEP_1)
	v_mul_f64_e32 v[35:36], s[0:1], v[5:6]
	s_mov_b32 s0, 0xfca7ab0c
	s_mov_b32 s1, 0x3e928af3
	v_rndne_f64_e32 v[35:36], v[35:36]
	s_delay_alu instid0(VALU_DEP_1) | instskip(SKIP_2) | instid1(VALU_DEP_2)
	v_fma_f64 v[37:38], v[35:36], s[18:19], v[5:6]
	v_cvt_i32_f64_e32 v0, v[35:36]
	s_mov_b32 s19, 0x3fe62e42
	v_fma_f64 v[37:38], v[35:36], s[20:21], v[37:38]
	s_mov_b32 s21, 0x3c7abc9e
	s_wait_alu 0xfffe
	s_delay_alu instid0(VALU_DEP_1)
	v_fma_f64 v[39:40], v[37:38], s[24:25], s[0:1]
	s_mov_b32 s0, 0x623fde64
	s_mov_b32 s1, 0x3ec71dee
	;; [unrolled: 1-line block ×4, first 2 shown]
	s_wait_alu 0xfffe
	s_delay_alu instid0(VALU_DEP_1) | instskip(SKIP_3) | instid1(VALU_DEP_1)
	v_fma_f64 v[39:40], v[37:38], v[39:40], s[0:1]
	s_mov_b32 s0, 0x7c89e6b0
	s_mov_b32 s1, 0x3efa0199
	s_wait_alu 0xfffe
	v_fma_f64 v[39:40], v[37:38], v[39:40], s[0:1]
	s_mov_b32 s0, 0x14761f6e
	s_mov_b32 s1, 0x3f2a01a0
	s_wait_alu 0xfffe
	s_delay_alu instid0(VALU_DEP_1) | instskip(SKIP_3) | instid1(VALU_DEP_1)
	v_fma_f64 v[39:40], v[37:38], v[39:40], s[0:1]
	s_mov_b32 s0, 0x1852b7b0
	s_mov_b32 s1, 0x3f56c16c
	s_wait_alu 0xfffe
	v_fma_f64 v[39:40], v[37:38], v[39:40], s[0:1]
	s_mov_b32 s0, 0x11122322
	s_mov_b32 s1, 0x3f811111
	s_wait_alu 0xfffe
	s_delay_alu instid0(VALU_DEP_1) | instskip(SKIP_3) | instid1(VALU_DEP_1)
	v_fma_f64 v[39:40], v[37:38], v[39:40], s[0:1]
	s_mov_b32 s0, 0x555502a1
	s_mov_b32 s1, 0x3fa55555
	s_wait_alu 0xfffe
	v_fma_f64 v[39:40], v[37:38], v[39:40], s[0:1]
	s_mov_b32 s0, 0x55555511
	s_mov_b32 s1, 0x3fc55555
	s_wait_alu 0xfffe
	s_delay_alu instid0(VALU_DEP_1) | instskip(SKIP_3) | instid1(VALU_DEP_1)
	v_fma_f64 v[39:40], v[37:38], v[39:40], s[0:1]
	s_mov_b32 s0, 11
	s_mov_b32 s1, 0x3fe00000
	s_wait_alu 0xfffe
	v_fma_f64 v[39:40], v[37:38], v[39:40], s[0:1]
	v_cmp_nlt_f64_e64 s0, 0x40900000, v[5:6]
	v_cmp_ngt_f64_e64 s1, 0xc090cc00, v[5:6]
	s_delay_alu instid0(VALU_DEP_3) | instskip(NEXT) | instid1(VALU_DEP_1)
	v_fma_f64 v[39:40], v[37:38], v[39:40], 1.0
	v_fma_f64 v[35:36], v[37:38], v[39:40], 1.0
	s_delay_alu instid0(VALU_DEP_1) | instskip(SKIP_1) | instid1(VALU_DEP_1)
	v_ldexp_f64 v[35:36], v[35:36], v0
	s_wait_alu 0xf1ff
	v_cndmask_b32_e64 v0, 0x7ff00000, v36, s0
	s_and_b32 s0, s1, s0
	s_wait_alu 0xfffe
	s_delay_alu instid0(VALU_DEP_2) | instskip(SKIP_3) | instid1(VALU_DEP_1)
	v_cndmask_b32_e64 v5, 0, v35, s0
	s_mov_b32 s0, 0x55555555
	v_cndmask_b32_e64 v6, 0, v0, s1
	s_mov_b32 s1, 0x3fe55555
	v_add_f64_e32 v[35:36], 1.0, v[5:6]
	v_cmp_ngt_f64_e64 s17, -1.0, v[5:6]
	s_delay_alu instid0(VALU_DEP_2) | instskip(SKIP_3) | instid1(VALU_DEP_3)
	v_frexp_mant_f64_e32 v[37:38], v[35:36]
	v_frexp_exp_i32_f64_e32 v0, v[35:36]
	v_add_f64_e32 v[39:40], -1.0, v[35:36]
	s_wait_alu 0xfffe
	v_cmp_gt_f64_e64 s0, s[0:1], v[37:38]
	s_delay_alu instid0(VALU_DEP_2) | instskip(SKIP_2) | instid1(VALU_DEP_3)
	v_add_f64_e64 v[37:38], v[39:40], -v[35:36]
	v_add_f64_e64 v[39:40], v[5:6], -v[39:40]
	s_wait_alu 0xf1ff
	v_subrev_co_ci_u32_e64 v0, null, 0, v0, s0
	s_delay_alu instid0(VALU_DEP_3) | instskip(SKIP_1) | instid1(VALU_DEP_2)
	v_add_f64_e32 v[37:38], 1.0, v[37:38]
	s_mov_b32 s0, 0x55555780
	v_sub_nc_u32_e32 v43, 0, v0
	s_delay_alu instid0(VALU_DEP_1) | instskip(NEXT) | instid1(VALU_DEP_3)
	v_ldexp_f64 v[35:36], v[35:36], v43
	v_add_f64_e32 v[37:38], v[39:40], v[37:38]
	s_delay_alu instid0(VALU_DEP_2) | instskip(SKIP_1) | instid1(VALU_DEP_3)
	v_add_f64_e32 v[41:42], 1.0, v[35:36]
	v_add_f64_e32 v[47:48], -1.0, v[35:36]
	v_ldexp_f64 v[37:38], v[37:38], v43
	s_delay_alu instid0(VALU_DEP_3) | instskip(NEXT) | instid1(VALU_DEP_3)
	v_add_f64_e32 v[39:40], -1.0, v[41:42]
	v_add_f64_e32 v[49:50], 1.0, v[47:48]
	s_delay_alu instid0(VALU_DEP_2) | instskip(NEXT) | instid1(VALU_DEP_2)
	v_add_f64_e64 v[39:40], v[35:36], -v[39:40]
	v_add_f64_e64 v[35:36], v[35:36], -v[49:50]
	s_delay_alu instid0(VALU_DEP_2) | instskip(NEXT) | instid1(VALU_DEP_2)
	v_add_f64_e32 v[39:40], v[37:38], v[39:40]
	v_add_f64_e32 v[35:36], v[37:38], v[35:36]
	s_delay_alu instid0(VALU_DEP_2) | instskip(NEXT) | instid1(VALU_DEP_2)
	v_add_f64_e32 v[43:44], v[41:42], v[39:40]
	v_add_f64_e32 v[49:50], v[47:48], v[35:36]
	s_delay_alu instid0(VALU_DEP_2) | instskip(SKIP_1) | instid1(VALU_DEP_2)
	v_rcp_f64_e32 v[45:46], v[43:44]
	v_add_f64_e64 v[41:42], v[43:44], -v[41:42]
	v_add_f64_e64 v[47:48], v[49:50], -v[47:48]
	s_delay_alu instid0(VALU_DEP_2) | instskip(NEXT) | instid1(TRANS32_DEP_1)
	v_add_f64_e64 v[39:40], v[39:40], -v[41:42]
	v_fma_f64 v[51:52], -v[43:44], v[45:46], 1.0
	s_delay_alu instid0(VALU_DEP_3) | instskip(NEXT) | instid1(VALU_DEP_2)
	v_add_f64_e64 v[35:36], v[35:36], -v[47:48]
	v_fma_f64 v[45:46], v[51:52], v[45:46], v[45:46]
	s_delay_alu instid0(VALU_DEP_1) | instskip(NEXT) | instid1(VALU_DEP_1)
	v_fma_f64 v[37:38], -v[43:44], v[45:46], 1.0
	v_fma_f64 v[37:38], v[37:38], v[45:46], v[45:46]
	s_delay_alu instid0(VALU_DEP_1) | instskip(NEXT) | instid1(VALU_DEP_1)
	v_mul_f64_e32 v[45:46], v[49:50], v[37:38]
	v_mul_f64_e32 v[51:52], v[43:44], v[45:46]
	s_delay_alu instid0(VALU_DEP_1) | instskip(NEXT) | instid1(VALU_DEP_1)
	v_fma_f64 v[41:42], v[45:46], v[43:44], -v[51:52]
	v_fma_f64 v[41:42], v[45:46], v[39:40], v[41:42]
	s_delay_alu instid0(VALU_DEP_1) | instskip(NEXT) | instid1(VALU_DEP_1)
	v_add_f64_e32 v[53:54], v[51:52], v[41:42]
	v_add_f64_e64 v[55:56], v[49:50], -v[53:54]
	v_add_f64_e64 v[47:48], v[53:54], -v[51:52]
	s_delay_alu instid0(VALU_DEP_2) | instskip(NEXT) | instid1(VALU_DEP_2)
	v_add_f64_e64 v[49:50], v[49:50], -v[55:56]
	v_add_f64_e64 v[41:42], v[47:48], -v[41:42]
	s_delay_alu instid0(VALU_DEP_2) | instskip(NEXT) | instid1(VALU_DEP_1)
	v_add_f64_e64 v[49:50], v[49:50], -v[53:54]
	v_add_f64_e32 v[35:36], v[35:36], v[49:50]
	s_delay_alu instid0(VALU_DEP_1) | instskip(NEXT) | instid1(VALU_DEP_1)
	v_add_f64_e32 v[35:36], v[41:42], v[35:36]
	v_add_f64_e32 v[41:42], v[55:56], v[35:36]
	s_delay_alu instid0(VALU_DEP_1) | instskip(SKIP_1) | instid1(VALU_DEP_2)
	v_mul_f64_e32 v[47:48], v[37:38], v[41:42]
	v_add_f64_e64 v[53:54], v[55:56], -v[41:42]
	v_mul_f64_e32 v[49:50], v[43:44], v[47:48]
	s_delay_alu instid0(VALU_DEP_2) | instskip(NEXT) | instid1(VALU_DEP_2)
	v_add_f64_e32 v[35:36], v[35:36], v[53:54]
	v_fma_f64 v[43:44], v[47:48], v[43:44], -v[49:50]
	s_delay_alu instid0(VALU_DEP_1) | instskip(NEXT) | instid1(VALU_DEP_1)
	v_fma_f64 v[39:40], v[47:48], v[39:40], v[43:44]
	v_add_f64_e32 v[43:44], v[49:50], v[39:40]
	s_delay_alu instid0(VALU_DEP_1) | instskip(SKIP_1) | instid1(VALU_DEP_2)
	v_add_f64_e64 v[51:52], v[41:42], -v[43:44]
	v_add_f64_e64 v[49:50], v[43:44], -v[49:50]
	;; [unrolled: 1-line block ×3, first 2 shown]
	s_delay_alu instid0(VALU_DEP_2) | instskip(NEXT) | instid1(VALU_DEP_2)
	v_add_f64_e64 v[39:40], v[49:50], -v[39:40]
	v_add_f64_e64 v[41:42], v[41:42], -v[43:44]
	s_delay_alu instid0(VALU_DEP_1) | instskip(SKIP_1) | instid1(VALU_DEP_2)
	v_add_f64_e32 v[35:36], v[35:36], v[41:42]
	v_add_f64_e32 v[41:42], v[45:46], v[47:48]
	;; [unrolled: 1-line block ×3, first 2 shown]
	s_delay_alu instid0(VALU_DEP_2) | instskip(NEXT) | instid1(VALU_DEP_2)
	v_add_f64_e64 v[39:40], v[41:42], -v[45:46]
	v_add_f64_e32 v[35:36], v[51:52], v[35:36]
	s_delay_alu instid0(VALU_DEP_2) | instskip(NEXT) | instid1(VALU_DEP_2)
	v_add_f64_e64 v[39:40], v[47:48], -v[39:40]
	v_mul_f64_e32 v[35:36], v[37:38], v[35:36]
	s_delay_alu instid0(VALU_DEP_1) | instskip(NEXT) | instid1(VALU_DEP_1)
	v_add_f64_e32 v[35:36], v[39:40], v[35:36]
	v_add_f64_e32 v[37:38], v[41:42], v[35:36]
	s_delay_alu instid0(VALU_DEP_1) | instskip(NEXT) | instid1(VALU_DEP_1)
	v_mul_f64_e32 v[39:40], v[37:38], v[37:38]
	v_fma_f64 v[43:44], v[39:40], s[26:27], s[24:25]
	s_mov_b32 s24, 0xd7f4df2e
	s_mov_b32 s25, 0x3fc7474d
	v_mul_f64_e32 v[45:46], v[37:38], v[39:40]
	s_wait_alu 0xfffe
	s_delay_alu instid0(VALU_DEP_2) | instskip(SKIP_3) | instid1(VALU_DEP_1)
	v_fma_f64 v[43:44], v[39:40], v[43:44], s[24:25]
	s_mov_b32 s24, 0x16291751
	s_mov_b32 s25, 0x3fcc71c0
	s_wait_alu 0xfffe
	v_fma_f64 v[43:44], v[39:40], v[43:44], s[24:25]
	s_mov_b32 s24, 0x9b27acf1
	s_mov_b32 s25, 0x3fd24924
	s_wait_alu 0xfffe
	s_delay_alu instid0(VALU_DEP_1) | instskip(SKIP_3) | instid1(VALU_DEP_1)
	v_fma_f64 v[43:44], v[39:40], v[43:44], s[24:25]
	s_mov_b32 s24, 0x998ef7b6
	s_mov_b32 s25, 0x3fd99999
	s_wait_alu 0xfffe
	v_fma_f64 v[43:44], v[39:40], v[43:44], s[24:25]
	s_delay_alu instid0(VALU_DEP_1)
	v_fma_f64 v[39:40], v[39:40], v[43:44], s[0:1]
	v_ldexp_f64 v[43:44], v[37:38], 1
	v_add_f64_e64 v[37:38], v[37:38], -v[41:42]
	v_cmp_nge_f64_e64 s0, -1.0, v[5:6]
	v_cmp_neq_f64_e64 s1, 0x7ff00000, v[5:6]
	v_mul_f64_e32 v[39:40], v[45:46], v[39:40]
	v_cvt_f64_i32_e32 v[45:46], v0
	v_add_f64_e64 v[35:36], v[35:36], -v[37:38]
	s_and_b32 s0, s0, s1
	s_delay_alu instid0(VALU_DEP_3) | instskip(NEXT) | instid1(VALU_DEP_3)
	v_add_f64_e32 v[41:42], v[43:44], v[39:40]
	v_mul_f64_e32 v[47:48], s[18:19], v[45:46]
	s_delay_alu instid0(VALU_DEP_3) | instskip(NEXT) | instid1(VALU_DEP_3)
	v_ldexp_f64 v[35:36], v[35:36], 1
	v_add_f64_e64 v[37:38], v[41:42], -v[43:44]
	s_delay_alu instid0(VALU_DEP_3) | instskip(NEXT) | instid1(VALU_DEP_2)
	v_fma_f64 v[43:44], v[45:46], s[18:19], -v[47:48]
	v_add_f64_e64 v[37:38], v[39:40], -v[37:38]
	s_delay_alu instid0(VALU_DEP_2) | instskip(NEXT) | instid1(VALU_DEP_2)
	v_fma_f64 v[39:40], v[45:46], s[20:21], v[43:44]
	v_add_f64_e32 v[35:36], v[35:36], v[37:38]
	s_delay_alu instid0(VALU_DEP_2) | instskip(NEXT) | instid1(VALU_DEP_2)
	v_add_f64_e32 v[37:38], v[47:48], v[39:40]
	v_add_f64_e32 v[43:44], v[41:42], v[35:36]
	s_delay_alu instid0(VALU_DEP_2) | instskip(NEXT) | instid1(VALU_DEP_2)
	v_add_f64_e64 v[47:48], v[37:38], -v[47:48]
	v_add_f64_e32 v[45:46], v[37:38], v[43:44]
	v_add_f64_e64 v[41:42], v[43:44], -v[41:42]
	s_delay_alu instid0(VALU_DEP_3) | instskip(NEXT) | instid1(VALU_DEP_3)
	v_add_f64_e64 v[39:40], v[39:40], -v[47:48]
	v_add_f64_e64 v[49:50], v[45:46], -v[37:38]
	s_delay_alu instid0(VALU_DEP_3) | instskip(NEXT) | instid1(VALU_DEP_2)
	v_add_f64_e64 v[35:36], v[35:36], -v[41:42]
	v_add_f64_e64 v[51:52], v[45:46], -v[49:50]
	;; [unrolled: 1-line block ×3, first 2 shown]
	s_delay_alu instid0(VALU_DEP_3) | instskip(NEXT) | instid1(VALU_DEP_3)
	v_add_f64_e32 v[43:44], v[39:40], v[35:36]
	v_add_f64_e64 v[37:38], v[37:38], -v[51:52]
	s_delay_alu instid0(VALU_DEP_1) | instskip(NEXT) | instid1(VALU_DEP_3)
	v_add_f64_e32 v[37:38], v[41:42], v[37:38]
	v_add_f64_e64 v[41:42], v[43:44], -v[39:40]
	s_delay_alu instid0(VALU_DEP_2) | instskip(NEXT) | instid1(VALU_DEP_2)
	v_add_f64_e32 v[37:38], v[43:44], v[37:38]
	v_add_f64_e64 v[43:44], v[43:44], -v[41:42]
	v_add_f64_e64 v[35:36], v[35:36], -v[41:42]
	s_delay_alu instid0(VALU_DEP_3) | instskip(NEXT) | instid1(VALU_DEP_3)
	v_add_f64_e32 v[47:48], v[45:46], v[37:38]
	v_add_f64_e64 v[39:40], v[39:40], -v[43:44]
	s_delay_alu instid0(VALU_DEP_2) | instskip(NEXT) | instid1(VALU_DEP_2)
	v_add_f64_e64 v[41:42], v[47:48], -v[45:46]
	v_add_f64_e32 v[35:36], v[35:36], v[39:40]
	s_delay_alu instid0(VALU_DEP_2) | instskip(NEXT) | instid1(VALU_DEP_1)
	v_add_f64_e64 v[37:38], v[37:38], -v[41:42]
	v_add_f64_e32 v[35:36], v[35:36], v[37:38]
	s_delay_alu instid0(VALU_DEP_1) | instskip(SKIP_1) | instid1(VALU_DEP_1)
	v_add_f64_e32 v[35:36], v[47:48], v[35:36]
	s_wait_alu 0xfffe
	v_cndmask_b32_e64 v35, 0, v35, s0
	v_cmp_neq_f64_e64 s0, -1.0, v[5:6]
	s_delay_alu instid0(VALU_DEP_3) | instskip(NEXT) | instid1(VALU_DEP_1)
	v_cndmask_b32_e64 v0, 0x7ff00000, v36, s1
	v_cndmask_b32_e64 v0, 0x7ff80000, v0, s17
	s_wait_alu 0xf1ff
	s_delay_alu instid0(VALU_DEP_1) | instskip(NEXT) | instid1(VALU_DEP_1)
	v_cndmask_b32_e64 v36, 0xfff00000, v0, s0
	v_add_f64_e32 v[5:6], v[33:34], v[35:36]
.LBB61_134:
	s_wait_alu 0xfffe
	s_or_b32 exec_lo, exec_lo, s22
	s_delay_alu instid0(VALU_DEP_1) | instskip(SKIP_1) | instid1(VALU_DEP_2)
	v_max_num_f64_e32 v[33:34], v[5:6], v[5:6]
	v_cmp_u_f64_e64 s0, v[5:6], v[5:6]
	v_min_num_f64_e32 v[35:36], v[33:34], v[61:62]
	v_max_num_f64_e32 v[33:34], v[33:34], v[61:62]
	s_wait_alu 0xf1ff
	s_delay_alu instid0(VALU_DEP_2) | instskip(NEXT) | instid1(VALU_DEP_3)
	v_cndmask_b32_e64 v0, v35, v5, s0
	v_cndmask_b32_e64 v35, v36, v6, s0
	s_delay_alu instid0(VALU_DEP_3) | instskip(NEXT) | instid1(VALU_DEP_4)
	v_cndmask_b32_e64 v34, v34, v6, s0
	v_cndmask_b32_e64 v33, v33, v5, s0
	s_delay_alu instid0(VALU_DEP_3) | instskip(SKIP_1) | instid1(VALU_DEP_4)
	v_cndmask_b32_e64 v36, v35, v8, s31
	v_cndmask_b32_e64 v35, v0, v7, s31
	;; [unrolled: 1-line block ×3, first 2 shown]
	s_delay_alu instid0(VALU_DEP_4) | instskip(SKIP_1) | instid1(VALU_DEP_4)
	v_cndmask_b32_e64 v7, v33, v7, s31
	v_dual_mov_b32 v34, v6 :: v_dual_mov_b32 v33, v5
	v_cmp_class_f64_e64 s1, v[35:36], 0x1f8
	s_delay_alu instid0(VALU_DEP_3)
	v_cmp_neq_f64_e64 s0, v[35:36], v[7:8]
	s_or_b32 s0, s0, s1
	s_wait_alu 0xfffe
	s_and_saveexec_b32 s22, s0
	s_cbranch_execz .LBB61_136
; %bb.135:
	v_add_f64_e64 v[33:34], v[35:36], -v[7:8]
	s_mov_b32 s0, 0x652b82fe
	s_mov_b32 s1, 0x3ff71547
	;; [unrolled: 1-line block ×10, first 2 shown]
	s_wait_alu 0xfffe
	s_delay_alu instid0(VALU_DEP_1) | instskip(SKIP_2) | instid1(VALU_DEP_1)
	v_mul_f64_e32 v[35:36], s[0:1], v[33:34]
	s_mov_b32 s0, 0xfca7ab0c
	s_mov_b32 s1, 0x3e928af3
	v_rndne_f64_e32 v[35:36], v[35:36]
	s_delay_alu instid0(VALU_DEP_1) | instskip(SKIP_2) | instid1(VALU_DEP_2)
	v_fma_f64 v[37:38], v[35:36], s[18:19], v[33:34]
	v_cvt_i32_f64_e32 v0, v[35:36]
	s_mov_b32 s19, 0x3fe62e42
	v_fma_f64 v[37:38], v[35:36], s[20:21], v[37:38]
	s_mov_b32 s21, 0x3c7abc9e
	s_wait_alu 0xfffe
	s_delay_alu instid0(VALU_DEP_1)
	v_fma_f64 v[39:40], v[37:38], s[24:25], s[0:1]
	s_mov_b32 s0, 0x623fde64
	s_mov_b32 s1, 0x3ec71dee
	;; [unrolled: 1-line block ×4, first 2 shown]
	s_wait_alu 0xfffe
	s_delay_alu instid0(VALU_DEP_1) | instskip(SKIP_3) | instid1(VALU_DEP_1)
	v_fma_f64 v[39:40], v[37:38], v[39:40], s[0:1]
	s_mov_b32 s0, 0x7c89e6b0
	s_mov_b32 s1, 0x3efa0199
	s_wait_alu 0xfffe
	v_fma_f64 v[39:40], v[37:38], v[39:40], s[0:1]
	s_mov_b32 s0, 0x14761f6e
	s_mov_b32 s1, 0x3f2a01a0
	s_wait_alu 0xfffe
	s_delay_alu instid0(VALU_DEP_1) | instskip(SKIP_3) | instid1(VALU_DEP_1)
	v_fma_f64 v[39:40], v[37:38], v[39:40], s[0:1]
	s_mov_b32 s0, 0x1852b7b0
	s_mov_b32 s1, 0x3f56c16c
	s_wait_alu 0xfffe
	v_fma_f64 v[39:40], v[37:38], v[39:40], s[0:1]
	s_mov_b32 s0, 0x11122322
	s_mov_b32 s1, 0x3f811111
	;; [unrolled: 9-line block ×3, first 2 shown]
	s_wait_alu 0xfffe
	s_delay_alu instid0(VALU_DEP_1) | instskip(SKIP_3) | instid1(VALU_DEP_1)
	v_fma_f64 v[39:40], v[37:38], v[39:40], s[0:1]
	s_mov_b32 s0, 11
	s_mov_b32 s1, 0x3fe00000
	s_wait_alu 0xfffe
	v_fma_f64 v[39:40], v[37:38], v[39:40], s[0:1]
	v_cmp_nlt_f64_e64 s0, 0x40900000, v[33:34]
	v_cmp_ngt_f64_e64 s1, 0xc090cc00, v[33:34]
	s_delay_alu instid0(VALU_DEP_3) | instskip(NEXT) | instid1(VALU_DEP_1)
	v_fma_f64 v[39:40], v[37:38], v[39:40], 1.0
	v_fma_f64 v[35:36], v[37:38], v[39:40], 1.0
	s_delay_alu instid0(VALU_DEP_1) | instskip(SKIP_1) | instid1(VALU_DEP_1)
	v_ldexp_f64 v[35:36], v[35:36], v0
	s_wait_alu 0xf1ff
	v_cndmask_b32_e64 v0, 0x7ff00000, v36, s0
	s_and_b32 s0, s1, s0
	s_wait_alu 0xfffe
	s_delay_alu instid0(VALU_DEP_2) | instskip(SKIP_3) | instid1(VALU_DEP_1)
	v_cndmask_b32_e64 v33, 0, v35, s0
	s_mov_b32 s0, 0x55555555
	v_cndmask_b32_e64 v34, 0, v0, s1
	s_mov_b32 s1, 0x3fe55555
	v_add_f64_e32 v[35:36], 1.0, v[33:34]
	v_cmp_ngt_f64_e64 s17, -1.0, v[33:34]
	s_delay_alu instid0(VALU_DEP_2) | instskip(SKIP_3) | instid1(VALU_DEP_3)
	v_frexp_mant_f64_e32 v[37:38], v[35:36]
	v_frexp_exp_i32_f64_e32 v0, v[35:36]
	v_add_f64_e32 v[39:40], -1.0, v[35:36]
	s_wait_alu 0xfffe
	v_cmp_gt_f64_e64 s0, s[0:1], v[37:38]
	s_delay_alu instid0(VALU_DEP_2) | instskip(SKIP_2) | instid1(VALU_DEP_3)
	v_add_f64_e64 v[37:38], v[39:40], -v[35:36]
	v_add_f64_e64 v[39:40], v[33:34], -v[39:40]
	s_wait_alu 0xf1ff
	v_subrev_co_ci_u32_e64 v0, null, 0, v0, s0
	s_delay_alu instid0(VALU_DEP_3) | instskip(SKIP_1) | instid1(VALU_DEP_2)
	v_add_f64_e32 v[37:38], 1.0, v[37:38]
	s_mov_b32 s0, 0x55555780
	v_sub_nc_u32_e32 v43, 0, v0
	s_delay_alu instid0(VALU_DEP_1) | instskip(NEXT) | instid1(VALU_DEP_3)
	v_ldexp_f64 v[35:36], v[35:36], v43
	v_add_f64_e32 v[37:38], v[39:40], v[37:38]
	s_delay_alu instid0(VALU_DEP_2) | instskip(SKIP_1) | instid1(VALU_DEP_3)
	v_add_f64_e32 v[41:42], 1.0, v[35:36]
	v_add_f64_e32 v[47:48], -1.0, v[35:36]
	v_ldexp_f64 v[37:38], v[37:38], v43
	s_delay_alu instid0(VALU_DEP_3) | instskip(NEXT) | instid1(VALU_DEP_3)
	v_add_f64_e32 v[39:40], -1.0, v[41:42]
	v_add_f64_e32 v[49:50], 1.0, v[47:48]
	s_delay_alu instid0(VALU_DEP_2) | instskip(NEXT) | instid1(VALU_DEP_2)
	v_add_f64_e64 v[39:40], v[35:36], -v[39:40]
	v_add_f64_e64 v[35:36], v[35:36], -v[49:50]
	s_delay_alu instid0(VALU_DEP_2) | instskip(NEXT) | instid1(VALU_DEP_2)
	v_add_f64_e32 v[39:40], v[37:38], v[39:40]
	v_add_f64_e32 v[35:36], v[37:38], v[35:36]
	s_delay_alu instid0(VALU_DEP_2) | instskip(NEXT) | instid1(VALU_DEP_2)
	v_add_f64_e32 v[43:44], v[41:42], v[39:40]
	v_add_f64_e32 v[49:50], v[47:48], v[35:36]
	s_delay_alu instid0(VALU_DEP_2) | instskip(SKIP_1) | instid1(VALU_DEP_2)
	v_rcp_f64_e32 v[45:46], v[43:44]
	v_add_f64_e64 v[41:42], v[43:44], -v[41:42]
	v_add_f64_e64 v[47:48], v[49:50], -v[47:48]
	s_delay_alu instid0(VALU_DEP_2) | instskip(NEXT) | instid1(TRANS32_DEP_1)
	v_add_f64_e64 v[39:40], v[39:40], -v[41:42]
	v_fma_f64 v[51:52], -v[43:44], v[45:46], 1.0
	s_delay_alu instid0(VALU_DEP_3) | instskip(NEXT) | instid1(VALU_DEP_2)
	v_add_f64_e64 v[35:36], v[35:36], -v[47:48]
	v_fma_f64 v[45:46], v[51:52], v[45:46], v[45:46]
	s_delay_alu instid0(VALU_DEP_1) | instskip(NEXT) | instid1(VALU_DEP_1)
	v_fma_f64 v[37:38], -v[43:44], v[45:46], 1.0
	v_fma_f64 v[37:38], v[37:38], v[45:46], v[45:46]
	s_delay_alu instid0(VALU_DEP_1) | instskip(NEXT) | instid1(VALU_DEP_1)
	v_mul_f64_e32 v[45:46], v[49:50], v[37:38]
	v_mul_f64_e32 v[51:52], v[43:44], v[45:46]
	s_delay_alu instid0(VALU_DEP_1) | instskip(NEXT) | instid1(VALU_DEP_1)
	v_fma_f64 v[41:42], v[45:46], v[43:44], -v[51:52]
	v_fma_f64 v[41:42], v[45:46], v[39:40], v[41:42]
	s_delay_alu instid0(VALU_DEP_1) | instskip(NEXT) | instid1(VALU_DEP_1)
	v_add_f64_e32 v[53:54], v[51:52], v[41:42]
	v_add_f64_e64 v[55:56], v[49:50], -v[53:54]
	v_add_f64_e64 v[47:48], v[53:54], -v[51:52]
	s_delay_alu instid0(VALU_DEP_2) | instskip(NEXT) | instid1(VALU_DEP_2)
	v_add_f64_e64 v[49:50], v[49:50], -v[55:56]
	v_add_f64_e64 v[41:42], v[47:48], -v[41:42]
	s_delay_alu instid0(VALU_DEP_2) | instskip(NEXT) | instid1(VALU_DEP_1)
	v_add_f64_e64 v[49:50], v[49:50], -v[53:54]
	v_add_f64_e32 v[35:36], v[35:36], v[49:50]
	s_delay_alu instid0(VALU_DEP_1) | instskip(NEXT) | instid1(VALU_DEP_1)
	v_add_f64_e32 v[35:36], v[41:42], v[35:36]
	v_add_f64_e32 v[41:42], v[55:56], v[35:36]
	s_delay_alu instid0(VALU_DEP_1) | instskip(SKIP_1) | instid1(VALU_DEP_2)
	v_mul_f64_e32 v[47:48], v[37:38], v[41:42]
	v_add_f64_e64 v[53:54], v[55:56], -v[41:42]
	v_mul_f64_e32 v[49:50], v[43:44], v[47:48]
	s_delay_alu instid0(VALU_DEP_2) | instskip(NEXT) | instid1(VALU_DEP_2)
	v_add_f64_e32 v[35:36], v[35:36], v[53:54]
	v_fma_f64 v[43:44], v[47:48], v[43:44], -v[49:50]
	s_delay_alu instid0(VALU_DEP_1) | instskip(NEXT) | instid1(VALU_DEP_1)
	v_fma_f64 v[39:40], v[47:48], v[39:40], v[43:44]
	v_add_f64_e32 v[43:44], v[49:50], v[39:40]
	s_delay_alu instid0(VALU_DEP_1) | instskip(SKIP_1) | instid1(VALU_DEP_2)
	v_add_f64_e64 v[51:52], v[41:42], -v[43:44]
	v_add_f64_e64 v[49:50], v[43:44], -v[49:50]
	;; [unrolled: 1-line block ×3, first 2 shown]
	s_delay_alu instid0(VALU_DEP_2) | instskip(NEXT) | instid1(VALU_DEP_2)
	v_add_f64_e64 v[39:40], v[49:50], -v[39:40]
	v_add_f64_e64 v[41:42], v[41:42], -v[43:44]
	s_delay_alu instid0(VALU_DEP_1) | instskip(SKIP_1) | instid1(VALU_DEP_2)
	v_add_f64_e32 v[35:36], v[35:36], v[41:42]
	v_add_f64_e32 v[41:42], v[45:46], v[47:48]
	;; [unrolled: 1-line block ×3, first 2 shown]
	s_delay_alu instid0(VALU_DEP_2) | instskip(NEXT) | instid1(VALU_DEP_2)
	v_add_f64_e64 v[39:40], v[41:42], -v[45:46]
	v_add_f64_e32 v[35:36], v[51:52], v[35:36]
	s_delay_alu instid0(VALU_DEP_2) | instskip(NEXT) | instid1(VALU_DEP_2)
	v_add_f64_e64 v[39:40], v[47:48], -v[39:40]
	v_mul_f64_e32 v[35:36], v[37:38], v[35:36]
	s_delay_alu instid0(VALU_DEP_1) | instskip(NEXT) | instid1(VALU_DEP_1)
	v_add_f64_e32 v[35:36], v[39:40], v[35:36]
	v_add_f64_e32 v[37:38], v[41:42], v[35:36]
	s_delay_alu instid0(VALU_DEP_1) | instskip(NEXT) | instid1(VALU_DEP_1)
	v_mul_f64_e32 v[39:40], v[37:38], v[37:38]
	v_fma_f64 v[43:44], v[39:40], s[26:27], s[24:25]
	s_mov_b32 s24, 0xd7f4df2e
	s_mov_b32 s25, 0x3fc7474d
	v_mul_f64_e32 v[45:46], v[37:38], v[39:40]
	s_wait_alu 0xfffe
	s_delay_alu instid0(VALU_DEP_2) | instskip(SKIP_3) | instid1(VALU_DEP_1)
	v_fma_f64 v[43:44], v[39:40], v[43:44], s[24:25]
	s_mov_b32 s24, 0x16291751
	s_mov_b32 s25, 0x3fcc71c0
	s_wait_alu 0xfffe
	v_fma_f64 v[43:44], v[39:40], v[43:44], s[24:25]
	s_mov_b32 s24, 0x9b27acf1
	s_mov_b32 s25, 0x3fd24924
	s_wait_alu 0xfffe
	s_delay_alu instid0(VALU_DEP_1) | instskip(SKIP_3) | instid1(VALU_DEP_1)
	v_fma_f64 v[43:44], v[39:40], v[43:44], s[24:25]
	s_mov_b32 s24, 0x998ef7b6
	s_mov_b32 s25, 0x3fd99999
	s_wait_alu 0xfffe
	v_fma_f64 v[43:44], v[39:40], v[43:44], s[24:25]
	s_delay_alu instid0(VALU_DEP_1)
	v_fma_f64 v[39:40], v[39:40], v[43:44], s[0:1]
	v_ldexp_f64 v[43:44], v[37:38], 1
	v_add_f64_e64 v[37:38], v[37:38], -v[41:42]
	v_cmp_nge_f64_e64 s0, -1.0, v[33:34]
	v_cmp_neq_f64_e64 s1, 0x7ff00000, v[33:34]
	v_mul_f64_e32 v[39:40], v[45:46], v[39:40]
	v_cvt_f64_i32_e32 v[45:46], v0
	v_add_f64_e64 v[35:36], v[35:36], -v[37:38]
	s_and_b32 s0, s0, s1
	s_delay_alu instid0(VALU_DEP_3) | instskip(NEXT) | instid1(VALU_DEP_3)
	v_add_f64_e32 v[41:42], v[43:44], v[39:40]
	v_mul_f64_e32 v[47:48], s[18:19], v[45:46]
	s_delay_alu instid0(VALU_DEP_3) | instskip(NEXT) | instid1(VALU_DEP_3)
	v_ldexp_f64 v[35:36], v[35:36], 1
	v_add_f64_e64 v[37:38], v[41:42], -v[43:44]
	s_delay_alu instid0(VALU_DEP_3) | instskip(NEXT) | instid1(VALU_DEP_2)
	v_fma_f64 v[43:44], v[45:46], s[18:19], -v[47:48]
	v_add_f64_e64 v[37:38], v[39:40], -v[37:38]
	s_delay_alu instid0(VALU_DEP_2) | instskip(NEXT) | instid1(VALU_DEP_2)
	v_fma_f64 v[39:40], v[45:46], s[20:21], v[43:44]
	v_add_f64_e32 v[35:36], v[35:36], v[37:38]
	s_delay_alu instid0(VALU_DEP_2) | instskip(NEXT) | instid1(VALU_DEP_2)
	v_add_f64_e32 v[37:38], v[47:48], v[39:40]
	v_add_f64_e32 v[43:44], v[41:42], v[35:36]
	s_delay_alu instid0(VALU_DEP_2) | instskip(NEXT) | instid1(VALU_DEP_2)
	v_add_f64_e64 v[47:48], v[37:38], -v[47:48]
	v_add_f64_e32 v[45:46], v[37:38], v[43:44]
	v_add_f64_e64 v[41:42], v[43:44], -v[41:42]
	s_delay_alu instid0(VALU_DEP_3) | instskip(NEXT) | instid1(VALU_DEP_3)
	v_add_f64_e64 v[39:40], v[39:40], -v[47:48]
	v_add_f64_e64 v[49:50], v[45:46], -v[37:38]
	s_delay_alu instid0(VALU_DEP_3) | instskip(NEXT) | instid1(VALU_DEP_2)
	v_add_f64_e64 v[35:36], v[35:36], -v[41:42]
	v_add_f64_e64 v[51:52], v[45:46], -v[49:50]
	;; [unrolled: 1-line block ×3, first 2 shown]
	s_delay_alu instid0(VALU_DEP_3) | instskip(NEXT) | instid1(VALU_DEP_3)
	v_add_f64_e32 v[43:44], v[39:40], v[35:36]
	v_add_f64_e64 v[37:38], v[37:38], -v[51:52]
	s_delay_alu instid0(VALU_DEP_1) | instskip(NEXT) | instid1(VALU_DEP_3)
	v_add_f64_e32 v[37:38], v[41:42], v[37:38]
	v_add_f64_e64 v[41:42], v[43:44], -v[39:40]
	s_delay_alu instid0(VALU_DEP_2) | instskip(NEXT) | instid1(VALU_DEP_2)
	v_add_f64_e32 v[37:38], v[43:44], v[37:38]
	v_add_f64_e64 v[43:44], v[43:44], -v[41:42]
	v_add_f64_e64 v[35:36], v[35:36], -v[41:42]
	s_delay_alu instid0(VALU_DEP_3) | instskip(NEXT) | instid1(VALU_DEP_3)
	v_add_f64_e32 v[47:48], v[45:46], v[37:38]
	v_add_f64_e64 v[39:40], v[39:40], -v[43:44]
	s_delay_alu instid0(VALU_DEP_2) | instskip(NEXT) | instid1(VALU_DEP_2)
	v_add_f64_e64 v[41:42], v[47:48], -v[45:46]
	v_add_f64_e32 v[35:36], v[35:36], v[39:40]
	s_delay_alu instid0(VALU_DEP_2) | instskip(NEXT) | instid1(VALU_DEP_1)
	v_add_f64_e64 v[37:38], v[37:38], -v[41:42]
	v_add_f64_e32 v[35:36], v[35:36], v[37:38]
	s_delay_alu instid0(VALU_DEP_1) | instskip(SKIP_1) | instid1(VALU_DEP_1)
	v_add_f64_e32 v[35:36], v[47:48], v[35:36]
	s_wait_alu 0xfffe
	v_cndmask_b32_e64 v35, 0, v35, s0
	v_cmp_neq_f64_e64 s0, -1.0, v[33:34]
	s_delay_alu instid0(VALU_DEP_3) | instskip(NEXT) | instid1(VALU_DEP_1)
	v_cndmask_b32_e64 v0, 0x7ff00000, v36, s1
	v_cndmask_b32_e64 v0, 0x7ff80000, v0, s17
	s_wait_alu 0xf1ff
	s_delay_alu instid0(VALU_DEP_1) | instskip(NEXT) | instid1(VALU_DEP_1)
	v_cndmask_b32_e64 v36, 0xfff00000, v0, s0
	v_add_f64_e32 v[33:34], v[7:8], v[35:36]
.LBB61_136:
	s_wait_alu 0xfffe
	s_or_b32 exec_lo, exec_lo, s22
	s_wait_loadcnt_dscnt 0x0
	s_barrier_signal -1
	s_barrier_wait -1
	global_inv scope:SCOPE_SE
	ds_store_2addr_b64 v94, v[1:2], v[3:4] offset1:1
	ds_store_2addr_b64 v94, v[29:30], v[31:32] offset0:2 offset1:3
	ds_store_2addr_b64 v94, v[25:26], v[27:28] offset0:4 offset1:5
	;; [unrolled: 1-line block ×7, first 2 shown]
	s_wait_loadcnt_dscnt 0x0
	s_barrier_signal -1
	s_barrier_wait -1
	global_inv scope:SCOPE_SE
	ds_load_b64 v[30:31], v79 offset:2048
	ds_load_b64 v[28:29], v80 offset:4096
	;; [unrolled: 1-line block ×15, first 2 shown]
	s_wait_kmcnt 0x0
	v_add_co_u32 v2, s0, s36, v77
	s_wait_alu 0xf1ff
	v_add_co_ci_u32_e64 v3, null, s37, 0, s0
	s_and_saveexec_b32 s0, vcc_lo
	s_cbranch_execnz .LBB61_153
; %bb.137:
	s_wait_alu 0xfffe
	s_or_b32 exec_lo, exec_lo, s0
	s_and_saveexec_b32 s0, s2
	s_cbranch_execnz .LBB61_154
.LBB61_138:
	s_wait_alu 0xfffe
	s_or_b32 exec_lo, exec_lo, s0
	s_and_saveexec_b32 s0, s3
	s_cbranch_execnz .LBB61_155
.LBB61_139:
	s_wait_alu 0xfffe
	s_or_b32 exec_lo, exec_lo, s0
	s_and_saveexec_b32 s0, s4
	s_cbranch_execnz .LBB61_156
.LBB61_140:
	s_wait_alu 0xfffe
	s_or_b32 exec_lo, exec_lo, s0
	s_and_saveexec_b32 s0, s5
	s_cbranch_execnz .LBB61_157
.LBB61_141:
	s_wait_alu 0xfffe
	s_or_b32 exec_lo, exec_lo, s0
	s_and_saveexec_b32 s0, s6
	s_cbranch_execnz .LBB61_158
.LBB61_142:
	s_wait_alu 0xfffe
	s_or_b32 exec_lo, exec_lo, s0
	s_and_saveexec_b32 s0, s7
	s_cbranch_execnz .LBB61_159
.LBB61_143:
	s_wait_alu 0xfffe
	s_or_b32 exec_lo, exec_lo, s0
	s_and_saveexec_b32 s0, s8
	s_cbranch_execnz .LBB61_160
.LBB61_144:
	s_wait_alu 0xfffe
	s_or_b32 exec_lo, exec_lo, s0
	s_and_saveexec_b32 s0, s9
	s_cbranch_execnz .LBB61_161
.LBB61_145:
	s_wait_alu 0xfffe
	s_or_b32 exec_lo, exec_lo, s0
	s_and_saveexec_b32 s0, s10
	s_cbranch_execnz .LBB61_162
.LBB61_146:
	s_wait_alu 0xfffe
	s_or_b32 exec_lo, exec_lo, s0
	s_and_saveexec_b32 s0, s11
	s_cbranch_execnz .LBB61_163
.LBB61_147:
	s_wait_alu 0xfffe
	s_or_b32 exec_lo, exec_lo, s0
	s_and_saveexec_b32 s0, s12
	s_cbranch_execnz .LBB61_164
.LBB61_148:
	s_wait_alu 0xfffe
	s_or_b32 exec_lo, exec_lo, s0
	s_and_saveexec_b32 s0, s13
	s_cbranch_execnz .LBB61_165
.LBB61_149:
	s_wait_alu 0xfffe
	s_or_b32 exec_lo, exec_lo, s0
	s_and_saveexec_b32 s0, s14
	s_cbranch_execnz .LBB61_166
.LBB61_150:
	s_wait_alu 0xfffe
	s_or_b32 exec_lo, exec_lo, s0
	s_and_saveexec_b32 s0, s15
	s_cbranch_execnz .LBB61_167
.LBB61_151:
	s_wait_alu 0xfffe
	s_or_b32 exec_lo, exec_lo, s0
	s_and_saveexec_b32 s0, s16
	s_cbranch_execnz .LBB61_168
.LBB61_152:
	s_nop 0
	s_sendmsg sendmsg(MSG_DEALLOC_VGPRS)
	s_endpgm
.LBB61_153:
	ds_load_b64 v[32:33], v78
	s_wait_dscnt 0x0
	global_store_b64 v[2:3], v[32:33], off
	s_wait_alu 0xfffe
	s_or_b32 exec_lo, exec_lo, s0
	s_and_saveexec_b32 s0, s2
	s_cbranch_execz .LBB61_138
.LBB61_154:
	s_wait_dscnt 0xe
	global_store_b64 v[2:3], v[30:31], off offset:2048
	s_wait_alu 0xfffe
	s_or_b32 exec_lo, exec_lo, s0
	s_and_saveexec_b32 s0, s3
	s_cbranch_execz .LBB61_139
.LBB61_155:
	s_wait_dscnt 0xd
	global_store_b64 v[2:3], v[28:29], off offset:4096
	s_wait_alu 0xfffe
	s_or_b32 exec_lo, exec_lo, s0
	s_and_saveexec_b32 s0, s4
	s_cbranch_execz .LBB61_140
.LBB61_156:
	s_wait_dscnt 0xc
	global_store_b64 v[2:3], v[26:27], off offset:6144
	s_wait_alu 0xfffe
	s_or_b32 exec_lo, exec_lo, s0
	s_and_saveexec_b32 s0, s5
	s_cbranch_execz .LBB61_141
.LBB61_157:
	s_wait_dscnt 0xb
	global_store_b64 v[2:3], v[24:25], off offset:8192
	s_wait_alu 0xfffe
	s_or_b32 exec_lo, exec_lo, s0
	s_and_saveexec_b32 s0, s6
	s_cbranch_execz .LBB61_142
.LBB61_158:
	s_wait_dscnt 0xa
	global_store_b64 v[2:3], v[22:23], off offset:10240
	s_wait_alu 0xfffe
	s_or_b32 exec_lo, exec_lo, s0
	s_and_saveexec_b32 s0, s7
	s_cbranch_execz .LBB61_143
.LBB61_159:
	s_wait_dscnt 0x9
	global_store_b64 v[2:3], v[20:21], off offset:12288
	s_wait_alu 0xfffe
	s_or_b32 exec_lo, exec_lo, s0
	s_and_saveexec_b32 s0, s8
	s_cbranch_execz .LBB61_144
.LBB61_160:
	s_wait_dscnt 0x8
	global_store_b64 v[2:3], v[18:19], off offset:14336
	s_wait_alu 0xfffe
	s_or_b32 exec_lo, exec_lo, s0
	s_and_saveexec_b32 s0, s9
	s_cbranch_execz .LBB61_145
.LBB61_161:
	s_wait_dscnt 0x7
	global_store_b64 v[2:3], v[16:17], off offset:16384
	s_wait_alu 0xfffe
	s_or_b32 exec_lo, exec_lo, s0
	s_and_saveexec_b32 s0, s10
	s_cbranch_execz .LBB61_146
.LBB61_162:
	s_wait_dscnt 0x6
	global_store_b64 v[2:3], v[14:15], off offset:18432
	s_wait_alu 0xfffe
	s_or_b32 exec_lo, exec_lo, s0
	s_and_saveexec_b32 s0, s11
	s_cbranch_execz .LBB61_147
.LBB61_163:
	s_wait_dscnt 0x5
	global_store_b64 v[2:3], v[12:13], off offset:20480
	s_wait_alu 0xfffe
	s_or_b32 exec_lo, exec_lo, s0
	s_and_saveexec_b32 s0, s12
	s_cbranch_execz .LBB61_148
.LBB61_164:
	s_wait_dscnt 0x4
	global_store_b64 v[2:3], v[10:11], off offset:22528
	s_wait_alu 0xfffe
	s_or_b32 exec_lo, exec_lo, s0
	s_and_saveexec_b32 s0, s13
	s_cbranch_execz .LBB61_149
.LBB61_165:
	s_wait_dscnt 0x3
	global_store_b64 v[2:3], v[8:9], off offset:24576
	s_wait_alu 0xfffe
	s_or_b32 exec_lo, exec_lo, s0
	s_and_saveexec_b32 s0, s14
	s_cbranch_execz .LBB61_150
.LBB61_166:
	s_wait_dscnt 0x2
	global_store_b64 v[2:3], v[6:7], off offset:26624
	s_wait_alu 0xfffe
	s_or_b32 exec_lo, exec_lo, s0
	s_and_saveexec_b32 s0, s15
	s_cbranch_execz .LBB61_151
.LBB61_167:
	s_wait_dscnt 0x1
	global_store_b64 v[2:3], v[4:5], off offset:28672
	s_wait_alu 0xfffe
	s_or_b32 exec_lo, exec_lo, s0
	s_and_saveexec_b32 s0, s16
	s_cbranch_execz .LBB61_152
.LBB61_168:
	s_wait_dscnt 0x0
	global_store_b64 v[2:3], v[0:1], off offset:30720
	s_nop 0
	s_sendmsg sendmsg(MSG_DEALLOC_VGPRS)
	s_endpgm
	.section	.rodata,"a",@progbits
	.p2align	6, 0x0
	.amdhsa_kernel _ZN7rocprim17ROCPRIM_400000_NS6detail17trampoline_kernelINS0_14default_configENS1_20scan_config_selectorIdEEZZNS1_9scan_implILNS1_25lookback_scan_determinismE0ELb0ELb0ES3_PKdPddZZZN2at6native31launch_logcumsumexp_cuda_kernelERKNSB_10TensorBaseESF_lENKUlvE_clEvENKUlvE_clEvEUlddE_dEEDaPvRmT3_T4_T5_mT6_P12ihipStream_tbENKUlT_T0_E_clISt17integral_constantIbLb1EESV_IbLb0EEEEDaSR_SS_EUlSR_E0_NS1_11comp_targetILNS1_3genE10ELNS1_11target_archE1201ELNS1_3gpuE5ELNS1_3repE0EEENS1_30default_config_static_selectorELNS0_4arch9wavefront6targetE0EEEvT1_
		.amdhsa_group_segment_fixed_size 33792
		.amdhsa_private_segment_fixed_size 0
		.amdhsa_kernarg_size 40
		.amdhsa_user_sgpr_count 2
		.amdhsa_user_sgpr_dispatch_ptr 0
		.amdhsa_user_sgpr_queue_ptr 0
		.amdhsa_user_sgpr_kernarg_segment_ptr 1
		.amdhsa_user_sgpr_dispatch_id 0
		.amdhsa_user_sgpr_private_segment_size 0
		.amdhsa_wavefront_size32 1
		.amdhsa_uses_dynamic_stack 0
		.amdhsa_enable_private_segment 0
		.amdhsa_system_sgpr_workgroup_id_x 1
		.amdhsa_system_sgpr_workgroup_id_y 0
		.amdhsa_system_sgpr_workgroup_id_z 0
		.amdhsa_system_sgpr_workgroup_info 0
		.amdhsa_system_vgpr_workitem_id 0
		.amdhsa_next_free_vgpr 217
		.amdhsa_next_free_sgpr 48
		.amdhsa_reserve_vcc 1
		.amdhsa_float_round_mode_32 0
		.amdhsa_float_round_mode_16_64 0
		.amdhsa_float_denorm_mode_32 3
		.amdhsa_float_denorm_mode_16_64 3
		.amdhsa_fp16_overflow 0
		.amdhsa_workgroup_processor_mode 1
		.amdhsa_memory_ordered 1
		.amdhsa_forward_progress 1
		.amdhsa_inst_pref_size 255
		.amdhsa_round_robin_scheduling 0
		.amdhsa_exception_fp_ieee_invalid_op 0
		.amdhsa_exception_fp_denorm_src 0
		.amdhsa_exception_fp_ieee_div_zero 0
		.amdhsa_exception_fp_ieee_overflow 0
		.amdhsa_exception_fp_ieee_underflow 0
		.amdhsa_exception_fp_ieee_inexact 0
		.amdhsa_exception_int_div_zero 0
	.end_amdhsa_kernel
	.section	.text._ZN7rocprim17ROCPRIM_400000_NS6detail17trampoline_kernelINS0_14default_configENS1_20scan_config_selectorIdEEZZNS1_9scan_implILNS1_25lookback_scan_determinismE0ELb0ELb0ES3_PKdPddZZZN2at6native31launch_logcumsumexp_cuda_kernelERKNSB_10TensorBaseESF_lENKUlvE_clEvENKUlvE_clEvEUlddE_dEEDaPvRmT3_T4_T5_mT6_P12ihipStream_tbENKUlT_T0_E_clISt17integral_constantIbLb1EESV_IbLb0EEEEDaSR_SS_EUlSR_E0_NS1_11comp_targetILNS1_3genE10ELNS1_11target_archE1201ELNS1_3gpuE5ELNS1_3repE0EEENS1_30default_config_static_selectorELNS0_4arch9wavefront6targetE0EEEvT1_,"axG",@progbits,_ZN7rocprim17ROCPRIM_400000_NS6detail17trampoline_kernelINS0_14default_configENS1_20scan_config_selectorIdEEZZNS1_9scan_implILNS1_25lookback_scan_determinismE0ELb0ELb0ES3_PKdPddZZZN2at6native31launch_logcumsumexp_cuda_kernelERKNSB_10TensorBaseESF_lENKUlvE_clEvENKUlvE_clEvEUlddE_dEEDaPvRmT3_T4_T5_mT6_P12ihipStream_tbENKUlT_T0_E_clISt17integral_constantIbLb1EESV_IbLb0EEEEDaSR_SS_EUlSR_E0_NS1_11comp_targetILNS1_3genE10ELNS1_11target_archE1201ELNS1_3gpuE5ELNS1_3repE0EEENS1_30default_config_static_selectorELNS0_4arch9wavefront6targetE0EEEvT1_,comdat
.Lfunc_end61:
	.size	_ZN7rocprim17ROCPRIM_400000_NS6detail17trampoline_kernelINS0_14default_configENS1_20scan_config_selectorIdEEZZNS1_9scan_implILNS1_25lookback_scan_determinismE0ELb0ELb0ES3_PKdPddZZZN2at6native31launch_logcumsumexp_cuda_kernelERKNSB_10TensorBaseESF_lENKUlvE_clEvENKUlvE_clEvEUlddE_dEEDaPvRmT3_T4_T5_mT6_P12ihipStream_tbENKUlT_T0_E_clISt17integral_constantIbLb1EESV_IbLb0EEEEDaSR_SS_EUlSR_E0_NS1_11comp_targetILNS1_3genE10ELNS1_11target_archE1201ELNS1_3gpuE5ELNS1_3repE0EEENS1_30default_config_static_selectorELNS0_4arch9wavefront6targetE0EEEvT1_, .Lfunc_end61-_ZN7rocprim17ROCPRIM_400000_NS6detail17trampoline_kernelINS0_14default_configENS1_20scan_config_selectorIdEEZZNS1_9scan_implILNS1_25lookback_scan_determinismE0ELb0ELb0ES3_PKdPddZZZN2at6native31launch_logcumsumexp_cuda_kernelERKNSB_10TensorBaseESF_lENKUlvE_clEvENKUlvE_clEvEUlddE_dEEDaPvRmT3_T4_T5_mT6_P12ihipStream_tbENKUlT_T0_E_clISt17integral_constantIbLb1EESV_IbLb0EEEEDaSR_SS_EUlSR_E0_NS1_11comp_targetILNS1_3genE10ELNS1_11target_archE1201ELNS1_3gpuE5ELNS1_3repE0EEENS1_30default_config_static_selectorELNS0_4arch9wavefront6targetE0EEEvT1_
                                        ; -- End function
	.set _ZN7rocprim17ROCPRIM_400000_NS6detail17trampoline_kernelINS0_14default_configENS1_20scan_config_selectorIdEEZZNS1_9scan_implILNS1_25lookback_scan_determinismE0ELb0ELb0ES3_PKdPddZZZN2at6native31launch_logcumsumexp_cuda_kernelERKNSB_10TensorBaseESF_lENKUlvE_clEvENKUlvE_clEvEUlddE_dEEDaPvRmT3_T4_T5_mT6_P12ihipStream_tbENKUlT_T0_E_clISt17integral_constantIbLb1EESV_IbLb0EEEEDaSR_SS_EUlSR_E0_NS1_11comp_targetILNS1_3genE10ELNS1_11target_archE1201ELNS1_3gpuE5ELNS1_3repE0EEENS1_30default_config_static_selectorELNS0_4arch9wavefront6targetE0EEEvT1_.num_vgpr, 119
	.set _ZN7rocprim17ROCPRIM_400000_NS6detail17trampoline_kernelINS0_14default_configENS1_20scan_config_selectorIdEEZZNS1_9scan_implILNS1_25lookback_scan_determinismE0ELb0ELb0ES3_PKdPddZZZN2at6native31launch_logcumsumexp_cuda_kernelERKNSB_10TensorBaseESF_lENKUlvE_clEvENKUlvE_clEvEUlddE_dEEDaPvRmT3_T4_T5_mT6_P12ihipStream_tbENKUlT_T0_E_clISt17integral_constantIbLb1EESV_IbLb0EEEEDaSR_SS_EUlSR_E0_NS1_11comp_targetILNS1_3genE10ELNS1_11target_archE1201ELNS1_3gpuE5ELNS1_3repE0EEENS1_30default_config_static_selectorELNS0_4arch9wavefront6targetE0EEEvT1_.num_agpr, 0
	.set _ZN7rocprim17ROCPRIM_400000_NS6detail17trampoline_kernelINS0_14default_configENS1_20scan_config_selectorIdEEZZNS1_9scan_implILNS1_25lookback_scan_determinismE0ELb0ELb0ES3_PKdPddZZZN2at6native31launch_logcumsumexp_cuda_kernelERKNSB_10TensorBaseESF_lENKUlvE_clEvENKUlvE_clEvEUlddE_dEEDaPvRmT3_T4_T5_mT6_P12ihipStream_tbENKUlT_T0_E_clISt17integral_constantIbLb1EESV_IbLb0EEEEDaSR_SS_EUlSR_E0_NS1_11comp_targetILNS1_3genE10ELNS1_11target_archE1201ELNS1_3gpuE5ELNS1_3repE0EEENS1_30default_config_static_selectorELNS0_4arch9wavefront6targetE0EEEvT1_.numbered_sgpr, 48
	.set _ZN7rocprim17ROCPRIM_400000_NS6detail17trampoline_kernelINS0_14default_configENS1_20scan_config_selectorIdEEZZNS1_9scan_implILNS1_25lookback_scan_determinismE0ELb0ELb0ES3_PKdPddZZZN2at6native31launch_logcumsumexp_cuda_kernelERKNSB_10TensorBaseESF_lENKUlvE_clEvENKUlvE_clEvEUlddE_dEEDaPvRmT3_T4_T5_mT6_P12ihipStream_tbENKUlT_T0_E_clISt17integral_constantIbLb1EESV_IbLb0EEEEDaSR_SS_EUlSR_E0_NS1_11comp_targetILNS1_3genE10ELNS1_11target_archE1201ELNS1_3gpuE5ELNS1_3repE0EEENS1_30default_config_static_selectorELNS0_4arch9wavefront6targetE0EEEvT1_.num_named_barrier, 0
	.set _ZN7rocprim17ROCPRIM_400000_NS6detail17trampoline_kernelINS0_14default_configENS1_20scan_config_selectorIdEEZZNS1_9scan_implILNS1_25lookback_scan_determinismE0ELb0ELb0ES3_PKdPddZZZN2at6native31launch_logcumsumexp_cuda_kernelERKNSB_10TensorBaseESF_lENKUlvE_clEvENKUlvE_clEvEUlddE_dEEDaPvRmT3_T4_T5_mT6_P12ihipStream_tbENKUlT_T0_E_clISt17integral_constantIbLb1EESV_IbLb0EEEEDaSR_SS_EUlSR_E0_NS1_11comp_targetILNS1_3genE10ELNS1_11target_archE1201ELNS1_3gpuE5ELNS1_3repE0EEENS1_30default_config_static_selectorELNS0_4arch9wavefront6targetE0EEEvT1_.private_seg_size, 0
	.set _ZN7rocprim17ROCPRIM_400000_NS6detail17trampoline_kernelINS0_14default_configENS1_20scan_config_selectorIdEEZZNS1_9scan_implILNS1_25lookback_scan_determinismE0ELb0ELb0ES3_PKdPddZZZN2at6native31launch_logcumsumexp_cuda_kernelERKNSB_10TensorBaseESF_lENKUlvE_clEvENKUlvE_clEvEUlddE_dEEDaPvRmT3_T4_T5_mT6_P12ihipStream_tbENKUlT_T0_E_clISt17integral_constantIbLb1EESV_IbLb0EEEEDaSR_SS_EUlSR_E0_NS1_11comp_targetILNS1_3genE10ELNS1_11target_archE1201ELNS1_3gpuE5ELNS1_3repE0EEENS1_30default_config_static_selectorELNS0_4arch9wavefront6targetE0EEEvT1_.uses_vcc, 1
	.set _ZN7rocprim17ROCPRIM_400000_NS6detail17trampoline_kernelINS0_14default_configENS1_20scan_config_selectorIdEEZZNS1_9scan_implILNS1_25lookback_scan_determinismE0ELb0ELb0ES3_PKdPddZZZN2at6native31launch_logcumsumexp_cuda_kernelERKNSB_10TensorBaseESF_lENKUlvE_clEvENKUlvE_clEvEUlddE_dEEDaPvRmT3_T4_T5_mT6_P12ihipStream_tbENKUlT_T0_E_clISt17integral_constantIbLb1EESV_IbLb0EEEEDaSR_SS_EUlSR_E0_NS1_11comp_targetILNS1_3genE10ELNS1_11target_archE1201ELNS1_3gpuE5ELNS1_3repE0EEENS1_30default_config_static_selectorELNS0_4arch9wavefront6targetE0EEEvT1_.uses_flat_scratch, 0
	.set _ZN7rocprim17ROCPRIM_400000_NS6detail17trampoline_kernelINS0_14default_configENS1_20scan_config_selectorIdEEZZNS1_9scan_implILNS1_25lookback_scan_determinismE0ELb0ELb0ES3_PKdPddZZZN2at6native31launch_logcumsumexp_cuda_kernelERKNSB_10TensorBaseESF_lENKUlvE_clEvENKUlvE_clEvEUlddE_dEEDaPvRmT3_T4_T5_mT6_P12ihipStream_tbENKUlT_T0_E_clISt17integral_constantIbLb1EESV_IbLb0EEEEDaSR_SS_EUlSR_E0_NS1_11comp_targetILNS1_3genE10ELNS1_11target_archE1201ELNS1_3gpuE5ELNS1_3repE0EEENS1_30default_config_static_selectorELNS0_4arch9wavefront6targetE0EEEvT1_.has_dyn_sized_stack, 0
	.set _ZN7rocprim17ROCPRIM_400000_NS6detail17trampoline_kernelINS0_14default_configENS1_20scan_config_selectorIdEEZZNS1_9scan_implILNS1_25lookback_scan_determinismE0ELb0ELb0ES3_PKdPddZZZN2at6native31launch_logcumsumexp_cuda_kernelERKNSB_10TensorBaseESF_lENKUlvE_clEvENKUlvE_clEvEUlddE_dEEDaPvRmT3_T4_T5_mT6_P12ihipStream_tbENKUlT_T0_E_clISt17integral_constantIbLb1EESV_IbLb0EEEEDaSR_SS_EUlSR_E0_NS1_11comp_targetILNS1_3genE10ELNS1_11target_archE1201ELNS1_3gpuE5ELNS1_3repE0EEENS1_30default_config_static_selectorELNS0_4arch9wavefront6targetE0EEEvT1_.has_recursion, 0
	.set _ZN7rocprim17ROCPRIM_400000_NS6detail17trampoline_kernelINS0_14default_configENS1_20scan_config_selectorIdEEZZNS1_9scan_implILNS1_25lookback_scan_determinismE0ELb0ELb0ES3_PKdPddZZZN2at6native31launch_logcumsumexp_cuda_kernelERKNSB_10TensorBaseESF_lENKUlvE_clEvENKUlvE_clEvEUlddE_dEEDaPvRmT3_T4_T5_mT6_P12ihipStream_tbENKUlT_T0_E_clISt17integral_constantIbLb1EESV_IbLb0EEEEDaSR_SS_EUlSR_E0_NS1_11comp_targetILNS1_3genE10ELNS1_11target_archE1201ELNS1_3gpuE5ELNS1_3repE0EEENS1_30default_config_static_selectorELNS0_4arch9wavefront6targetE0EEEvT1_.has_indirect_call, 0
	.section	.AMDGPU.csdata,"",@progbits
; Kernel info:
; codeLenInByte = 74652
; TotalNumSgprs: 50
; NumVgprs: 119
; ScratchSize: 0
; MemoryBound: 0
; FloatMode: 240
; IeeeMode: 1
; LDSByteSize: 33792 bytes/workgroup (compile time only)
; SGPRBlocks: 0
; VGPRBlocks: 27
; NumSGPRsForWavesPerEU: 50
; NumVGPRsForWavesPerEU: 217
; Occupancy: 6
; WaveLimiterHint : 0
; COMPUTE_PGM_RSRC2:SCRATCH_EN: 0
; COMPUTE_PGM_RSRC2:USER_SGPR: 2
; COMPUTE_PGM_RSRC2:TRAP_HANDLER: 0
; COMPUTE_PGM_RSRC2:TGID_X_EN: 1
; COMPUTE_PGM_RSRC2:TGID_Y_EN: 0
; COMPUTE_PGM_RSRC2:TGID_Z_EN: 0
; COMPUTE_PGM_RSRC2:TIDIG_COMP_CNT: 0
	.section	.text._ZN7rocprim17ROCPRIM_400000_NS6detail17trampoline_kernelINS0_14default_configENS1_20scan_config_selectorIdEEZZNS1_9scan_implILNS1_25lookback_scan_determinismE0ELb0ELb0ES3_PKdPddZZZN2at6native31launch_logcumsumexp_cuda_kernelERKNSB_10TensorBaseESF_lENKUlvE_clEvENKUlvE_clEvEUlddE_dEEDaPvRmT3_T4_T5_mT6_P12ihipStream_tbENKUlT_T0_E_clISt17integral_constantIbLb1EESV_IbLb0EEEEDaSR_SS_EUlSR_E0_NS1_11comp_targetILNS1_3genE10ELNS1_11target_archE1200ELNS1_3gpuE4ELNS1_3repE0EEENS1_30default_config_static_selectorELNS0_4arch9wavefront6targetE0EEEvT1_,"axG",@progbits,_ZN7rocprim17ROCPRIM_400000_NS6detail17trampoline_kernelINS0_14default_configENS1_20scan_config_selectorIdEEZZNS1_9scan_implILNS1_25lookback_scan_determinismE0ELb0ELb0ES3_PKdPddZZZN2at6native31launch_logcumsumexp_cuda_kernelERKNSB_10TensorBaseESF_lENKUlvE_clEvENKUlvE_clEvEUlddE_dEEDaPvRmT3_T4_T5_mT6_P12ihipStream_tbENKUlT_T0_E_clISt17integral_constantIbLb1EESV_IbLb0EEEEDaSR_SS_EUlSR_E0_NS1_11comp_targetILNS1_3genE10ELNS1_11target_archE1200ELNS1_3gpuE4ELNS1_3repE0EEENS1_30default_config_static_selectorELNS0_4arch9wavefront6targetE0EEEvT1_,comdat
	.globl	_ZN7rocprim17ROCPRIM_400000_NS6detail17trampoline_kernelINS0_14default_configENS1_20scan_config_selectorIdEEZZNS1_9scan_implILNS1_25lookback_scan_determinismE0ELb0ELb0ES3_PKdPddZZZN2at6native31launch_logcumsumexp_cuda_kernelERKNSB_10TensorBaseESF_lENKUlvE_clEvENKUlvE_clEvEUlddE_dEEDaPvRmT3_T4_T5_mT6_P12ihipStream_tbENKUlT_T0_E_clISt17integral_constantIbLb1EESV_IbLb0EEEEDaSR_SS_EUlSR_E0_NS1_11comp_targetILNS1_3genE10ELNS1_11target_archE1200ELNS1_3gpuE4ELNS1_3repE0EEENS1_30default_config_static_selectorELNS0_4arch9wavefront6targetE0EEEvT1_ ; -- Begin function _ZN7rocprim17ROCPRIM_400000_NS6detail17trampoline_kernelINS0_14default_configENS1_20scan_config_selectorIdEEZZNS1_9scan_implILNS1_25lookback_scan_determinismE0ELb0ELb0ES3_PKdPddZZZN2at6native31launch_logcumsumexp_cuda_kernelERKNSB_10TensorBaseESF_lENKUlvE_clEvENKUlvE_clEvEUlddE_dEEDaPvRmT3_T4_T5_mT6_P12ihipStream_tbENKUlT_T0_E_clISt17integral_constantIbLb1EESV_IbLb0EEEEDaSR_SS_EUlSR_E0_NS1_11comp_targetILNS1_3genE10ELNS1_11target_archE1200ELNS1_3gpuE4ELNS1_3repE0EEENS1_30default_config_static_selectorELNS0_4arch9wavefront6targetE0EEEvT1_
	.p2align	8
	.type	_ZN7rocprim17ROCPRIM_400000_NS6detail17trampoline_kernelINS0_14default_configENS1_20scan_config_selectorIdEEZZNS1_9scan_implILNS1_25lookback_scan_determinismE0ELb0ELb0ES3_PKdPddZZZN2at6native31launch_logcumsumexp_cuda_kernelERKNSB_10TensorBaseESF_lENKUlvE_clEvENKUlvE_clEvEUlddE_dEEDaPvRmT3_T4_T5_mT6_P12ihipStream_tbENKUlT_T0_E_clISt17integral_constantIbLb1EESV_IbLb0EEEEDaSR_SS_EUlSR_E0_NS1_11comp_targetILNS1_3genE10ELNS1_11target_archE1200ELNS1_3gpuE4ELNS1_3repE0EEENS1_30default_config_static_selectorELNS0_4arch9wavefront6targetE0EEEvT1_,@function
_ZN7rocprim17ROCPRIM_400000_NS6detail17trampoline_kernelINS0_14default_configENS1_20scan_config_selectorIdEEZZNS1_9scan_implILNS1_25lookback_scan_determinismE0ELb0ELb0ES3_PKdPddZZZN2at6native31launch_logcumsumexp_cuda_kernelERKNSB_10TensorBaseESF_lENKUlvE_clEvENKUlvE_clEvEUlddE_dEEDaPvRmT3_T4_T5_mT6_P12ihipStream_tbENKUlT_T0_E_clISt17integral_constantIbLb1EESV_IbLb0EEEEDaSR_SS_EUlSR_E0_NS1_11comp_targetILNS1_3genE10ELNS1_11target_archE1200ELNS1_3gpuE4ELNS1_3repE0EEENS1_30default_config_static_selectorELNS0_4arch9wavefront6targetE0EEEvT1_: ; @_ZN7rocprim17ROCPRIM_400000_NS6detail17trampoline_kernelINS0_14default_configENS1_20scan_config_selectorIdEEZZNS1_9scan_implILNS1_25lookback_scan_determinismE0ELb0ELb0ES3_PKdPddZZZN2at6native31launch_logcumsumexp_cuda_kernelERKNSB_10TensorBaseESF_lENKUlvE_clEvENKUlvE_clEvEUlddE_dEEDaPvRmT3_T4_T5_mT6_P12ihipStream_tbENKUlT_T0_E_clISt17integral_constantIbLb1EESV_IbLb0EEEEDaSR_SS_EUlSR_E0_NS1_11comp_targetILNS1_3genE10ELNS1_11target_archE1200ELNS1_3gpuE4ELNS1_3repE0EEENS1_30default_config_static_selectorELNS0_4arch9wavefront6targetE0EEEvT1_
; %bb.0:
	.section	.rodata,"a",@progbits
	.p2align	6, 0x0
	.amdhsa_kernel _ZN7rocprim17ROCPRIM_400000_NS6detail17trampoline_kernelINS0_14default_configENS1_20scan_config_selectorIdEEZZNS1_9scan_implILNS1_25lookback_scan_determinismE0ELb0ELb0ES3_PKdPddZZZN2at6native31launch_logcumsumexp_cuda_kernelERKNSB_10TensorBaseESF_lENKUlvE_clEvENKUlvE_clEvEUlddE_dEEDaPvRmT3_T4_T5_mT6_P12ihipStream_tbENKUlT_T0_E_clISt17integral_constantIbLb1EESV_IbLb0EEEEDaSR_SS_EUlSR_E0_NS1_11comp_targetILNS1_3genE10ELNS1_11target_archE1200ELNS1_3gpuE4ELNS1_3repE0EEENS1_30default_config_static_selectorELNS0_4arch9wavefront6targetE0EEEvT1_
		.amdhsa_group_segment_fixed_size 0
		.amdhsa_private_segment_fixed_size 0
		.amdhsa_kernarg_size 40
		.amdhsa_user_sgpr_count 2
		.amdhsa_user_sgpr_dispatch_ptr 0
		.amdhsa_user_sgpr_queue_ptr 0
		.amdhsa_user_sgpr_kernarg_segment_ptr 1
		.amdhsa_user_sgpr_dispatch_id 0
		.amdhsa_user_sgpr_private_segment_size 0
		.amdhsa_wavefront_size32 1
		.amdhsa_uses_dynamic_stack 0
		.amdhsa_enable_private_segment 0
		.amdhsa_system_sgpr_workgroup_id_x 1
		.amdhsa_system_sgpr_workgroup_id_y 0
		.amdhsa_system_sgpr_workgroup_id_z 0
		.amdhsa_system_sgpr_workgroup_info 0
		.amdhsa_system_vgpr_workitem_id 0
		.amdhsa_next_free_vgpr 1
		.amdhsa_next_free_sgpr 1
		.amdhsa_reserve_vcc 0
		.amdhsa_float_round_mode_32 0
		.amdhsa_float_round_mode_16_64 0
		.amdhsa_float_denorm_mode_32 3
		.amdhsa_float_denorm_mode_16_64 3
		.amdhsa_fp16_overflow 0
		.amdhsa_workgroup_processor_mode 1
		.amdhsa_memory_ordered 1
		.amdhsa_forward_progress 1
		.amdhsa_inst_pref_size 0
		.amdhsa_round_robin_scheduling 0
		.amdhsa_exception_fp_ieee_invalid_op 0
		.amdhsa_exception_fp_denorm_src 0
		.amdhsa_exception_fp_ieee_div_zero 0
		.amdhsa_exception_fp_ieee_overflow 0
		.amdhsa_exception_fp_ieee_underflow 0
		.amdhsa_exception_fp_ieee_inexact 0
		.amdhsa_exception_int_div_zero 0
	.end_amdhsa_kernel
	.section	.text._ZN7rocprim17ROCPRIM_400000_NS6detail17trampoline_kernelINS0_14default_configENS1_20scan_config_selectorIdEEZZNS1_9scan_implILNS1_25lookback_scan_determinismE0ELb0ELb0ES3_PKdPddZZZN2at6native31launch_logcumsumexp_cuda_kernelERKNSB_10TensorBaseESF_lENKUlvE_clEvENKUlvE_clEvEUlddE_dEEDaPvRmT3_T4_T5_mT6_P12ihipStream_tbENKUlT_T0_E_clISt17integral_constantIbLb1EESV_IbLb0EEEEDaSR_SS_EUlSR_E0_NS1_11comp_targetILNS1_3genE10ELNS1_11target_archE1200ELNS1_3gpuE4ELNS1_3repE0EEENS1_30default_config_static_selectorELNS0_4arch9wavefront6targetE0EEEvT1_,"axG",@progbits,_ZN7rocprim17ROCPRIM_400000_NS6detail17trampoline_kernelINS0_14default_configENS1_20scan_config_selectorIdEEZZNS1_9scan_implILNS1_25lookback_scan_determinismE0ELb0ELb0ES3_PKdPddZZZN2at6native31launch_logcumsumexp_cuda_kernelERKNSB_10TensorBaseESF_lENKUlvE_clEvENKUlvE_clEvEUlddE_dEEDaPvRmT3_T4_T5_mT6_P12ihipStream_tbENKUlT_T0_E_clISt17integral_constantIbLb1EESV_IbLb0EEEEDaSR_SS_EUlSR_E0_NS1_11comp_targetILNS1_3genE10ELNS1_11target_archE1200ELNS1_3gpuE4ELNS1_3repE0EEENS1_30default_config_static_selectorELNS0_4arch9wavefront6targetE0EEEvT1_,comdat
.Lfunc_end62:
	.size	_ZN7rocprim17ROCPRIM_400000_NS6detail17trampoline_kernelINS0_14default_configENS1_20scan_config_selectorIdEEZZNS1_9scan_implILNS1_25lookback_scan_determinismE0ELb0ELb0ES3_PKdPddZZZN2at6native31launch_logcumsumexp_cuda_kernelERKNSB_10TensorBaseESF_lENKUlvE_clEvENKUlvE_clEvEUlddE_dEEDaPvRmT3_T4_T5_mT6_P12ihipStream_tbENKUlT_T0_E_clISt17integral_constantIbLb1EESV_IbLb0EEEEDaSR_SS_EUlSR_E0_NS1_11comp_targetILNS1_3genE10ELNS1_11target_archE1200ELNS1_3gpuE4ELNS1_3repE0EEENS1_30default_config_static_selectorELNS0_4arch9wavefront6targetE0EEEvT1_, .Lfunc_end62-_ZN7rocprim17ROCPRIM_400000_NS6detail17trampoline_kernelINS0_14default_configENS1_20scan_config_selectorIdEEZZNS1_9scan_implILNS1_25lookback_scan_determinismE0ELb0ELb0ES3_PKdPddZZZN2at6native31launch_logcumsumexp_cuda_kernelERKNSB_10TensorBaseESF_lENKUlvE_clEvENKUlvE_clEvEUlddE_dEEDaPvRmT3_T4_T5_mT6_P12ihipStream_tbENKUlT_T0_E_clISt17integral_constantIbLb1EESV_IbLb0EEEEDaSR_SS_EUlSR_E0_NS1_11comp_targetILNS1_3genE10ELNS1_11target_archE1200ELNS1_3gpuE4ELNS1_3repE0EEENS1_30default_config_static_selectorELNS0_4arch9wavefront6targetE0EEEvT1_
                                        ; -- End function
	.set _ZN7rocprim17ROCPRIM_400000_NS6detail17trampoline_kernelINS0_14default_configENS1_20scan_config_selectorIdEEZZNS1_9scan_implILNS1_25lookback_scan_determinismE0ELb0ELb0ES3_PKdPddZZZN2at6native31launch_logcumsumexp_cuda_kernelERKNSB_10TensorBaseESF_lENKUlvE_clEvENKUlvE_clEvEUlddE_dEEDaPvRmT3_T4_T5_mT6_P12ihipStream_tbENKUlT_T0_E_clISt17integral_constantIbLb1EESV_IbLb0EEEEDaSR_SS_EUlSR_E0_NS1_11comp_targetILNS1_3genE10ELNS1_11target_archE1200ELNS1_3gpuE4ELNS1_3repE0EEENS1_30default_config_static_selectorELNS0_4arch9wavefront6targetE0EEEvT1_.num_vgpr, 0
	.set _ZN7rocprim17ROCPRIM_400000_NS6detail17trampoline_kernelINS0_14default_configENS1_20scan_config_selectorIdEEZZNS1_9scan_implILNS1_25lookback_scan_determinismE0ELb0ELb0ES3_PKdPddZZZN2at6native31launch_logcumsumexp_cuda_kernelERKNSB_10TensorBaseESF_lENKUlvE_clEvENKUlvE_clEvEUlddE_dEEDaPvRmT3_T4_T5_mT6_P12ihipStream_tbENKUlT_T0_E_clISt17integral_constantIbLb1EESV_IbLb0EEEEDaSR_SS_EUlSR_E0_NS1_11comp_targetILNS1_3genE10ELNS1_11target_archE1200ELNS1_3gpuE4ELNS1_3repE0EEENS1_30default_config_static_selectorELNS0_4arch9wavefront6targetE0EEEvT1_.num_agpr, 0
	.set _ZN7rocprim17ROCPRIM_400000_NS6detail17trampoline_kernelINS0_14default_configENS1_20scan_config_selectorIdEEZZNS1_9scan_implILNS1_25lookback_scan_determinismE0ELb0ELb0ES3_PKdPddZZZN2at6native31launch_logcumsumexp_cuda_kernelERKNSB_10TensorBaseESF_lENKUlvE_clEvENKUlvE_clEvEUlddE_dEEDaPvRmT3_T4_T5_mT6_P12ihipStream_tbENKUlT_T0_E_clISt17integral_constantIbLb1EESV_IbLb0EEEEDaSR_SS_EUlSR_E0_NS1_11comp_targetILNS1_3genE10ELNS1_11target_archE1200ELNS1_3gpuE4ELNS1_3repE0EEENS1_30default_config_static_selectorELNS0_4arch9wavefront6targetE0EEEvT1_.numbered_sgpr, 0
	.set _ZN7rocprim17ROCPRIM_400000_NS6detail17trampoline_kernelINS0_14default_configENS1_20scan_config_selectorIdEEZZNS1_9scan_implILNS1_25lookback_scan_determinismE0ELb0ELb0ES3_PKdPddZZZN2at6native31launch_logcumsumexp_cuda_kernelERKNSB_10TensorBaseESF_lENKUlvE_clEvENKUlvE_clEvEUlddE_dEEDaPvRmT3_T4_T5_mT6_P12ihipStream_tbENKUlT_T0_E_clISt17integral_constantIbLb1EESV_IbLb0EEEEDaSR_SS_EUlSR_E0_NS1_11comp_targetILNS1_3genE10ELNS1_11target_archE1200ELNS1_3gpuE4ELNS1_3repE0EEENS1_30default_config_static_selectorELNS0_4arch9wavefront6targetE0EEEvT1_.num_named_barrier, 0
	.set _ZN7rocprim17ROCPRIM_400000_NS6detail17trampoline_kernelINS0_14default_configENS1_20scan_config_selectorIdEEZZNS1_9scan_implILNS1_25lookback_scan_determinismE0ELb0ELb0ES3_PKdPddZZZN2at6native31launch_logcumsumexp_cuda_kernelERKNSB_10TensorBaseESF_lENKUlvE_clEvENKUlvE_clEvEUlddE_dEEDaPvRmT3_T4_T5_mT6_P12ihipStream_tbENKUlT_T0_E_clISt17integral_constantIbLb1EESV_IbLb0EEEEDaSR_SS_EUlSR_E0_NS1_11comp_targetILNS1_3genE10ELNS1_11target_archE1200ELNS1_3gpuE4ELNS1_3repE0EEENS1_30default_config_static_selectorELNS0_4arch9wavefront6targetE0EEEvT1_.private_seg_size, 0
	.set _ZN7rocprim17ROCPRIM_400000_NS6detail17trampoline_kernelINS0_14default_configENS1_20scan_config_selectorIdEEZZNS1_9scan_implILNS1_25lookback_scan_determinismE0ELb0ELb0ES3_PKdPddZZZN2at6native31launch_logcumsumexp_cuda_kernelERKNSB_10TensorBaseESF_lENKUlvE_clEvENKUlvE_clEvEUlddE_dEEDaPvRmT3_T4_T5_mT6_P12ihipStream_tbENKUlT_T0_E_clISt17integral_constantIbLb1EESV_IbLb0EEEEDaSR_SS_EUlSR_E0_NS1_11comp_targetILNS1_3genE10ELNS1_11target_archE1200ELNS1_3gpuE4ELNS1_3repE0EEENS1_30default_config_static_selectorELNS0_4arch9wavefront6targetE0EEEvT1_.uses_vcc, 0
	.set _ZN7rocprim17ROCPRIM_400000_NS6detail17trampoline_kernelINS0_14default_configENS1_20scan_config_selectorIdEEZZNS1_9scan_implILNS1_25lookback_scan_determinismE0ELb0ELb0ES3_PKdPddZZZN2at6native31launch_logcumsumexp_cuda_kernelERKNSB_10TensorBaseESF_lENKUlvE_clEvENKUlvE_clEvEUlddE_dEEDaPvRmT3_T4_T5_mT6_P12ihipStream_tbENKUlT_T0_E_clISt17integral_constantIbLb1EESV_IbLb0EEEEDaSR_SS_EUlSR_E0_NS1_11comp_targetILNS1_3genE10ELNS1_11target_archE1200ELNS1_3gpuE4ELNS1_3repE0EEENS1_30default_config_static_selectorELNS0_4arch9wavefront6targetE0EEEvT1_.uses_flat_scratch, 0
	.set _ZN7rocprim17ROCPRIM_400000_NS6detail17trampoline_kernelINS0_14default_configENS1_20scan_config_selectorIdEEZZNS1_9scan_implILNS1_25lookback_scan_determinismE0ELb0ELb0ES3_PKdPddZZZN2at6native31launch_logcumsumexp_cuda_kernelERKNSB_10TensorBaseESF_lENKUlvE_clEvENKUlvE_clEvEUlddE_dEEDaPvRmT3_T4_T5_mT6_P12ihipStream_tbENKUlT_T0_E_clISt17integral_constantIbLb1EESV_IbLb0EEEEDaSR_SS_EUlSR_E0_NS1_11comp_targetILNS1_3genE10ELNS1_11target_archE1200ELNS1_3gpuE4ELNS1_3repE0EEENS1_30default_config_static_selectorELNS0_4arch9wavefront6targetE0EEEvT1_.has_dyn_sized_stack, 0
	.set _ZN7rocprim17ROCPRIM_400000_NS6detail17trampoline_kernelINS0_14default_configENS1_20scan_config_selectorIdEEZZNS1_9scan_implILNS1_25lookback_scan_determinismE0ELb0ELb0ES3_PKdPddZZZN2at6native31launch_logcumsumexp_cuda_kernelERKNSB_10TensorBaseESF_lENKUlvE_clEvENKUlvE_clEvEUlddE_dEEDaPvRmT3_T4_T5_mT6_P12ihipStream_tbENKUlT_T0_E_clISt17integral_constantIbLb1EESV_IbLb0EEEEDaSR_SS_EUlSR_E0_NS1_11comp_targetILNS1_3genE10ELNS1_11target_archE1200ELNS1_3gpuE4ELNS1_3repE0EEENS1_30default_config_static_selectorELNS0_4arch9wavefront6targetE0EEEvT1_.has_recursion, 0
	.set _ZN7rocprim17ROCPRIM_400000_NS6detail17trampoline_kernelINS0_14default_configENS1_20scan_config_selectorIdEEZZNS1_9scan_implILNS1_25lookback_scan_determinismE0ELb0ELb0ES3_PKdPddZZZN2at6native31launch_logcumsumexp_cuda_kernelERKNSB_10TensorBaseESF_lENKUlvE_clEvENKUlvE_clEvEUlddE_dEEDaPvRmT3_T4_T5_mT6_P12ihipStream_tbENKUlT_T0_E_clISt17integral_constantIbLb1EESV_IbLb0EEEEDaSR_SS_EUlSR_E0_NS1_11comp_targetILNS1_3genE10ELNS1_11target_archE1200ELNS1_3gpuE4ELNS1_3repE0EEENS1_30default_config_static_selectorELNS0_4arch9wavefront6targetE0EEEvT1_.has_indirect_call, 0
	.section	.AMDGPU.csdata,"",@progbits
; Kernel info:
; codeLenInByte = 0
; TotalNumSgprs: 0
; NumVgprs: 0
; ScratchSize: 0
; MemoryBound: 0
; FloatMode: 240
; IeeeMode: 1
; LDSByteSize: 0 bytes/workgroup (compile time only)
; SGPRBlocks: 0
; VGPRBlocks: 0
; NumSGPRsForWavesPerEU: 1
; NumVGPRsForWavesPerEU: 1
; Occupancy: 16
; WaveLimiterHint : 0
; COMPUTE_PGM_RSRC2:SCRATCH_EN: 0
; COMPUTE_PGM_RSRC2:USER_SGPR: 2
; COMPUTE_PGM_RSRC2:TRAP_HANDLER: 0
; COMPUTE_PGM_RSRC2:TGID_X_EN: 1
; COMPUTE_PGM_RSRC2:TGID_Y_EN: 0
; COMPUTE_PGM_RSRC2:TGID_Z_EN: 0
; COMPUTE_PGM_RSRC2:TIDIG_COMP_CNT: 0
	.section	.text._ZN7rocprim17ROCPRIM_400000_NS6detail17trampoline_kernelINS0_14default_configENS1_20scan_config_selectorIdEEZZNS1_9scan_implILNS1_25lookback_scan_determinismE0ELb0ELb0ES3_PKdPddZZZN2at6native31launch_logcumsumexp_cuda_kernelERKNSB_10TensorBaseESF_lENKUlvE_clEvENKUlvE_clEvEUlddE_dEEDaPvRmT3_T4_T5_mT6_P12ihipStream_tbENKUlT_T0_E_clISt17integral_constantIbLb1EESV_IbLb0EEEEDaSR_SS_EUlSR_E0_NS1_11comp_targetILNS1_3genE9ELNS1_11target_archE1100ELNS1_3gpuE3ELNS1_3repE0EEENS1_30default_config_static_selectorELNS0_4arch9wavefront6targetE0EEEvT1_,"axG",@progbits,_ZN7rocprim17ROCPRIM_400000_NS6detail17trampoline_kernelINS0_14default_configENS1_20scan_config_selectorIdEEZZNS1_9scan_implILNS1_25lookback_scan_determinismE0ELb0ELb0ES3_PKdPddZZZN2at6native31launch_logcumsumexp_cuda_kernelERKNSB_10TensorBaseESF_lENKUlvE_clEvENKUlvE_clEvEUlddE_dEEDaPvRmT3_T4_T5_mT6_P12ihipStream_tbENKUlT_T0_E_clISt17integral_constantIbLb1EESV_IbLb0EEEEDaSR_SS_EUlSR_E0_NS1_11comp_targetILNS1_3genE9ELNS1_11target_archE1100ELNS1_3gpuE3ELNS1_3repE0EEENS1_30default_config_static_selectorELNS0_4arch9wavefront6targetE0EEEvT1_,comdat
	.globl	_ZN7rocprim17ROCPRIM_400000_NS6detail17trampoline_kernelINS0_14default_configENS1_20scan_config_selectorIdEEZZNS1_9scan_implILNS1_25lookback_scan_determinismE0ELb0ELb0ES3_PKdPddZZZN2at6native31launch_logcumsumexp_cuda_kernelERKNSB_10TensorBaseESF_lENKUlvE_clEvENKUlvE_clEvEUlddE_dEEDaPvRmT3_T4_T5_mT6_P12ihipStream_tbENKUlT_T0_E_clISt17integral_constantIbLb1EESV_IbLb0EEEEDaSR_SS_EUlSR_E0_NS1_11comp_targetILNS1_3genE9ELNS1_11target_archE1100ELNS1_3gpuE3ELNS1_3repE0EEENS1_30default_config_static_selectorELNS0_4arch9wavefront6targetE0EEEvT1_ ; -- Begin function _ZN7rocprim17ROCPRIM_400000_NS6detail17trampoline_kernelINS0_14default_configENS1_20scan_config_selectorIdEEZZNS1_9scan_implILNS1_25lookback_scan_determinismE0ELb0ELb0ES3_PKdPddZZZN2at6native31launch_logcumsumexp_cuda_kernelERKNSB_10TensorBaseESF_lENKUlvE_clEvENKUlvE_clEvEUlddE_dEEDaPvRmT3_T4_T5_mT6_P12ihipStream_tbENKUlT_T0_E_clISt17integral_constantIbLb1EESV_IbLb0EEEEDaSR_SS_EUlSR_E0_NS1_11comp_targetILNS1_3genE9ELNS1_11target_archE1100ELNS1_3gpuE3ELNS1_3repE0EEENS1_30default_config_static_selectorELNS0_4arch9wavefront6targetE0EEEvT1_
	.p2align	8
	.type	_ZN7rocprim17ROCPRIM_400000_NS6detail17trampoline_kernelINS0_14default_configENS1_20scan_config_selectorIdEEZZNS1_9scan_implILNS1_25lookback_scan_determinismE0ELb0ELb0ES3_PKdPddZZZN2at6native31launch_logcumsumexp_cuda_kernelERKNSB_10TensorBaseESF_lENKUlvE_clEvENKUlvE_clEvEUlddE_dEEDaPvRmT3_T4_T5_mT6_P12ihipStream_tbENKUlT_T0_E_clISt17integral_constantIbLb1EESV_IbLb0EEEEDaSR_SS_EUlSR_E0_NS1_11comp_targetILNS1_3genE9ELNS1_11target_archE1100ELNS1_3gpuE3ELNS1_3repE0EEENS1_30default_config_static_selectorELNS0_4arch9wavefront6targetE0EEEvT1_,@function
_ZN7rocprim17ROCPRIM_400000_NS6detail17trampoline_kernelINS0_14default_configENS1_20scan_config_selectorIdEEZZNS1_9scan_implILNS1_25lookback_scan_determinismE0ELb0ELb0ES3_PKdPddZZZN2at6native31launch_logcumsumexp_cuda_kernelERKNSB_10TensorBaseESF_lENKUlvE_clEvENKUlvE_clEvEUlddE_dEEDaPvRmT3_T4_T5_mT6_P12ihipStream_tbENKUlT_T0_E_clISt17integral_constantIbLb1EESV_IbLb0EEEEDaSR_SS_EUlSR_E0_NS1_11comp_targetILNS1_3genE9ELNS1_11target_archE1100ELNS1_3gpuE3ELNS1_3repE0EEENS1_30default_config_static_selectorELNS0_4arch9wavefront6targetE0EEEvT1_: ; @_ZN7rocprim17ROCPRIM_400000_NS6detail17trampoline_kernelINS0_14default_configENS1_20scan_config_selectorIdEEZZNS1_9scan_implILNS1_25lookback_scan_determinismE0ELb0ELb0ES3_PKdPddZZZN2at6native31launch_logcumsumexp_cuda_kernelERKNSB_10TensorBaseESF_lENKUlvE_clEvENKUlvE_clEvEUlddE_dEEDaPvRmT3_T4_T5_mT6_P12ihipStream_tbENKUlT_T0_E_clISt17integral_constantIbLb1EESV_IbLb0EEEEDaSR_SS_EUlSR_E0_NS1_11comp_targetILNS1_3genE9ELNS1_11target_archE1100ELNS1_3gpuE3ELNS1_3repE0EEENS1_30default_config_static_selectorELNS0_4arch9wavefront6targetE0EEEvT1_
; %bb.0:
	.section	.rodata,"a",@progbits
	.p2align	6, 0x0
	.amdhsa_kernel _ZN7rocprim17ROCPRIM_400000_NS6detail17trampoline_kernelINS0_14default_configENS1_20scan_config_selectorIdEEZZNS1_9scan_implILNS1_25lookback_scan_determinismE0ELb0ELb0ES3_PKdPddZZZN2at6native31launch_logcumsumexp_cuda_kernelERKNSB_10TensorBaseESF_lENKUlvE_clEvENKUlvE_clEvEUlddE_dEEDaPvRmT3_T4_T5_mT6_P12ihipStream_tbENKUlT_T0_E_clISt17integral_constantIbLb1EESV_IbLb0EEEEDaSR_SS_EUlSR_E0_NS1_11comp_targetILNS1_3genE9ELNS1_11target_archE1100ELNS1_3gpuE3ELNS1_3repE0EEENS1_30default_config_static_selectorELNS0_4arch9wavefront6targetE0EEEvT1_
		.amdhsa_group_segment_fixed_size 0
		.amdhsa_private_segment_fixed_size 0
		.amdhsa_kernarg_size 40
		.amdhsa_user_sgpr_count 2
		.amdhsa_user_sgpr_dispatch_ptr 0
		.amdhsa_user_sgpr_queue_ptr 0
		.amdhsa_user_sgpr_kernarg_segment_ptr 1
		.amdhsa_user_sgpr_dispatch_id 0
		.amdhsa_user_sgpr_private_segment_size 0
		.amdhsa_wavefront_size32 1
		.amdhsa_uses_dynamic_stack 0
		.amdhsa_enable_private_segment 0
		.amdhsa_system_sgpr_workgroup_id_x 1
		.amdhsa_system_sgpr_workgroup_id_y 0
		.amdhsa_system_sgpr_workgroup_id_z 0
		.amdhsa_system_sgpr_workgroup_info 0
		.amdhsa_system_vgpr_workitem_id 0
		.amdhsa_next_free_vgpr 1
		.amdhsa_next_free_sgpr 1
		.amdhsa_reserve_vcc 0
		.amdhsa_float_round_mode_32 0
		.amdhsa_float_round_mode_16_64 0
		.amdhsa_float_denorm_mode_32 3
		.amdhsa_float_denorm_mode_16_64 3
		.amdhsa_fp16_overflow 0
		.amdhsa_workgroup_processor_mode 1
		.amdhsa_memory_ordered 1
		.amdhsa_forward_progress 1
		.amdhsa_inst_pref_size 0
		.amdhsa_round_robin_scheduling 0
		.amdhsa_exception_fp_ieee_invalid_op 0
		.amdhsa_exception_fp_denorm_src 0
		.amdhsa_exception_fp_ieee_div_zero 0
		.amdhsa_exception_fp_ieee_overflow 0
		.amdhsa_exception_fp_ieee_underflow 0
		.amdhsa_exception_fp_ieee_inexact 0
		.amdhsa_exception_int_div_zero 0
	.end_amdhsa_kernel
	.section	.text._ZN7rocprim17ROCPRIM_400000_NS6detail17trampoline_kernelINS0_14default_configENS1_20scan_config_selectorIdEEZZNS1_9scan_implILNS1_25lookback_scan_determinismE0ELb0ELb0ES3_PKdPddZZZN2at6native31launch_logcumsumexp_cuda_kernelERKNSB_10TensorBaseESF_lENKUlvE_clEvENKUlvE_clEvEUlddE_dEEDaPvRmT3_T4_T5_mT6_P12ihipStream_tbENKUlT_T0_E_clISt17integral_constantIbLb1EESV_IbLb0EEEEDaSR_SS_EUlSR_E0_NS1_11comp_targetILNS1_3genE9ELNS1_11target_archE1100ELNS1_3gpuE3ELNS1_3repE0EEENS1_30default_config_static_selectorELNS0_4arch9wavefront6targetE0EEEvT1_,"axG",@progbits,_ZN7rocprim17ROCPRIM_400000_NS6detail17trampoline_kernelINS0_14default_configENS1_20scan_config_selectorIdEEZZNS1_9scan_implILNS1_25lookback_scan_determinismE0ELb0ELb0ES3_PKdPddZZZN2at6native31launch_logcumsumexp_cuda_kernelERKNSB_10TensorBaseESF_lENKUlvE_clEvENKUlvE_clEvEUlddE_dEEDaPvRmT3_T4_T5_mT6_P12ihipStream_tbENKUlT_T0_E_clISt17integral_constantIbLb1EESV_IbLb0EEEEDaSR_SS_EUlSR_E0_NS1_11comp_targetILNS1_3genE9ELNS1_11target_archE1100ELNS1_3gpuE3ELNS1_3repE0EEENS1_30default_config_static_selectorELNS0_4arch9wavefront6targetE0EEEvT1_,comdat
.Lfunc_end63:
	.size	_ZN7rocprim17ROCPRIM_400000_NS6detail17trampoline_kernelINS0_14default_configENS1_20scan_config_selectorIdEEZZNS1_9scan_implILNS1_25lookback_scan_determinismE0ELb0ELb0ES3_PKdPddZZZN2at6native31launch_logcumsumexp_cuda_kernelERKNSB_10TensorBaseESF_lENKUlvE_clEvENKUlvE_clEvEUlddE_dEEDaPvRmT3_T4_T5_mT6_P12ihipStream_tbENKUlT_T0_E_clISt17integral_constantIbLb1EESV_IbLb0EEEEDaSR_SS_EUlSR_E0_NS1_11comp_targetILNS1_3genE9ELNS1_11target_archE1100ELNS1_3gpuE3ELNS1_3repE0EEENS1_30default_config_static_selectorELNS0_4arch9wavefront6targetE0EEEvT1_, .Lfunc_end63-_ZN7rocprim17ROCPRIM_400000_NS6detail17trampoline_kernelINS0_14default_configENS1_20scan_config_selectorIdEEZZNS1_9scan_implILNS1_25lookback_scan_determinismE0ELb0ELb0ES3_PKdPddZZZN2at6native31launch_logcumsumexp_cuda_kernelERKNSB_10TensorBaseESF_lENKUlvE_clEvENKUlvE_clEvEUlddE_dEEDaPvRmT3_T4_T5_mT6_P12ihipStream_tbENKUlT_T0_E_clISt17integral_constantIbLb1EESV_IbLb0EEEEDaSR_SS_EUlSR_E0_NS1_11comp_targetILNS1_3genE9ELNS1_11target_archE1100ELNS1_3gpuE3ELNS1_3repE0EEENS1_30default_config_static_selectorELNS0_4arch9wavefront6targetE0EEEvT1_
                                        ; -- End function
	.set _ZN7rocprim17ROCPRIM_400000_NS6detail17trampoline_kernelINS0_14default_configENS1_20scan_config_selectorIdEEZZNS1_9scan_implILNS1_25lookback_scan_determinismE0ELb0ELb0ES3_PKdPddZZZN2at6native31launch_logcumsumexp_cuda_kernelERKNSB_10TensorBaseESF_lENKUlvE_clEvENKUlvE_clEvEUlddE_dEEDaPvRmT3_T4_T5_mT6_P12ihipStream_tbENKUlT_T0_E_clISt17integral_constantIbLb1EESV_IbLb0EEEEDaSR_SS_EUlSR_E0_NS1_11comp_targetILNS1_3genE9ELNS1_11target_archE1100ELNS1_3gpuE3ELNS1_3repE0EEENS1_30default_config_static_selectorELNS0_4arch9wavefront6targetE0EEEvT1_.num_vgpr, 0
	.set _ZN7rocprim17ROCPRIM_400000_NS6detail17trampoline_kernelINS0_14default_configENS1_20scan_config_selectorIdEEZZNS1_9scan_implILNS1_25lookback_scan_determinismE0ELb0ELb0ES3_PKdPddZZZN2at6native31launch_logcumsumexp_cuda_kernelERKNSB_10TensorBaseESF_lENKUlvE_clEvENKUlvE_clEvEUlddE_dEEDaPvRmT3_T4_T5_mT6_P12ihipStream_tbENKUlT_T0_E_clISt17integral_constantIbLb1EESV_IbLb0EEEEDaSR_SS_EUlSR_E0_NS1_11comp_targetILNS1_3genE9ELNS1_11target_archE1100ELNS1_3gpuE3ELNS1_3repE0EEENS1_30default_config_static_selectorELNS0_4arch9wavefront6targetE0EEEvT1_.num_agpr, 0
	.set _ZN7rocprim17ROCPRIM_400000_NS6detail17trampoline_kernelINS0_14default_configENS1_20scan_config_selectorIdEEZZNS1_9scan_implILNS1_25lookback_scan_determinismE0ELb0ELb0ES3_PKdPddZZZN2at6native31launch_logcumsumexp_cuda_kernelERKNSB_10TensorBaseESF_lENKUlvE_clEvENKUlvE_clEvEUlddE_dEEDaPvRmT3_T4_T5_mT6_P12ihipStream_tbENKUlT_T0_E_clISt17integral_constantIbLb1EESV_IbLb0EEEEDaSR_SS_EUlSR_E0_NS1_11comp_targetILNS1_3genE9ELNS1_11target_archE1100ELNS1_3gpuE3ELNS1_3repE0EEENS1_30default_config_static_selectorELNS0_4arch9wavefront6targetE0EEEvT1_.numbered_sgpr, 0
	.set _ZN7rocprim17ROCPRIM_400000_NS6detail17trampoline_kernelINS0_14default_configENS1_20scan_config_selectorIdEEZZNS1_9scan_implILNS1_25lookback_scan_determinismE0ELb0ELb0ES3_PKdPddZZZN2at6native31launch_logcumsumexp_cuda_kernelERKNSB_10TensorBaseESF_lENKUlvE_clEvENKUlvE_clEvEUlddE_dEEDaPvRmT3_T4_T5_mT6_P12ihipStream_tbENKUlT_T0_E_clISt17integral_constantIbLb1EESV_IbLb0EEEEDaSR_SS_EUlSR_E0_NS1_11comp_targetILNS1_3genE9ELNS1_11target_archE1100ELNS1_3gpuE3ELNS1_3repE0EEENS1_30default_config_static_selectorELNS0_4arch9wavefront6targetE0EEEvT1_.num_named_barrier, 0
	.set _ZN7rocprim17ROCPRIM_400000_NS6detail17trampoline_kernelINS0_14default_configENS1_20scan_config_selectorIdEEZZNS1_9scan_implILNS1_25lookback_scan_determinismE0ELb0ELb0ES3_PKdPddZZZN2at6native31launch_logcumsumexp_cuda_kernelERKNSB_10TensorBaseESF_lENKUlvE_clEvENKUlvE_clEvEUlddE_dEEDaPvRmT3_T4_T5_mT6_P12ihipStream_tbENKUlT_T0_E_clISt17integral_constantIbLb1EESV_IbLb0EEEEDaSR_SS_EUlSR_E0_NS1_11comp_targetILNS1_3genE9ELNS1_11target_archE1100ELNS1_3gpuE3ELNS1_3repE0EEENS1_30default_config_static_selectorELNS0_4arch9wavefront6targetE0EEEvT1_.private_seg_size, 0
	.set _ZN7rocprim17ROCPRIM_400000_NS6detail17trampoline_kernelINS0_14default_configENS1_20scan_config_selectorIdEEZZNS1_9scan_implILNS1_25lookback_scan_determinismE0ELb0ELb0ES3_PKdPddZZZN2at6native31launch_logcumsumexp_cuda_kernelERKNSB_10TensorBaseESF_lENKUlvE_clEvENKUlvE_clEvEUlddE_dEEDaPvRmT3_T4_T5_mT6_P12ihipStream_tbENKUlT_T0_E_clISt17integral_constantIbLb1EESV_IbLb0EEEEDaSR_SS_EUlSR_E0_NS1_11comp_targetILNS1_3genE9ELNS1_11target_archE1100ELNS1_3gpuE3ELNS1_3repE0EEENS1_30default_config_static_selectorELNS0_4arch9wavefront6targetE0EEEvT1_.uses_vcc, 0
	.set _ZN7rocprim17ROCPRIM_400000_NS6detail17trampoline_kernelINS0_14default_configENS1_20scan_config_selectorIdEEZZNS1_9scan_implILNS1_25lookback_scan_determinismE0ELb0ELb0ES3_PKdPddZZZN2at6native31launch_logcumsumexp_cuda_kernelERKNSB_10TensorBaseESF_lENKUlvE_clEvENKUlvE_clEvEUlddE_dEEDaPvRmT3_T4_T5_mT6_P12ihipStream_tbENKUlT_T0_E_clISt17integral_constantIbLb1EESV_IbLb0EEEEDaSR_SS_EUlSR_E0_NS1_11comp_targetILNS1_3genE9ELNS1_11target_archE1100ELNS1_3gpuE3ELNS1_3repE0EEENS1_30default_config_static_selectorELNS0_4arch9wavefront6targetE0EEEvT1_.uses_flat_scratch, 0
	.set _ZN7rocprim17ROCPRIM_400000_NS6detail17trampoline_kernelINS0_14default_configENS1_20scan_config_selectorIdEEZZNS1_9scan_implILNS1_25lookback_scan_determinismE0ELb0ELb0ES3_PKdPddZZZN2at6native31launch_logcumsumexp_cuda_kernelERKNSB_10TensorBaseESF_lENKUlvE_clEvENKUlvE_clEvEUlddE_dEEDaPvRmT3_T4_T5_mT6_P12ihipStream_tbENKUlT_T0_E_clISt17integral_constantIbLb1EESV_IbLb0EEEEDaSR_SS_EUlSR_E0_NS1_11comp_targetILNS1_3genE9ELNS1_11target_archE1100ELNS1_3gpuE3ELNS1_3repE0EEENS1_30default_config_static_selectorELNS0_4arch9wavefront6targetE0EEEvT1_.has_dyn_sized_stack, 0
	.set _ZN7rocprim17ROCPRIM_400000_NS6detail17trampoline_kernelINS0_14default_configENS1_20scan_config_selectorIdEEZZNS1_9scan_implILNS1_25lookback_scan_determinismE0ELb0ELb0ES3_PKdPddZZZN2at6native31launch_logcumsumexp_cuda_kernelERKNSB_10TensorBaseESF_lENKUlvE_clEvENKUlvE_clEvEUlddE_dEEDaPvRmT3_T4_T5_mT6_P12ihipStream_tbENKUlT_T0_E_clISt17integral_constantIbLb1EESV_IbLb0EEEEDaSR_SS_EUlSR_E0_NS1_11comp_targetILNS1_3genE9ELNS1_11target_archE1100ELNS1_3gpuE3ELNS1_3repE0EEENS1_30default_config_static_selectorELNS0_4arch9wavefront6targetE0EEEvT1_.has_recursion, 0
	.set _ZN7rocprim17ROCPRIM_400000_NS6detail17trampoline_kernelINS0_14default_configENS1_20scan_config_selectorIdEEZZNS1_9scan_implILNS1_25lookback_scan_determinismE0ELb0ELb0ES3_PKdPddZZZN2at6native31launch_logcumsumexp_cuda_kernelERKNSB_10TensorBaseESF_lENKUlvE_clEvENKUlvE_clEvEUlddE_dEEDaPvRmT3_T4_T5_mT6_P12ihipStream_tbENKUlT_T0_E_clISt17integral_constantIbLb1EESV_IbLb0EEEEDaSR_SS_EUlSR_E0_NS1_11comp_targetILNS1_3genE9ELNS1_11target_archE1100ELNS1_3gpuE3ELNS1_3repE0EEENS1_30default_config_static_selectorELNS0_4arch9wavefront6targetE0EEEvT1_.has_indirect_call, 0
	.section	.AMDGPU.csdata,"",@progbits
; Kernel info:
; codeLenInByte = 0
; TotalNumSgprs: 0
; NumVgprs: 0
; ScratchSize: 0
; MemoryBound: 0
; FloatMode: 240
; IeeeMode: 1
; LDSByteSize: 0 bytes/workgroup (compile time only)
; SGPRBlocks: 0
; VGPRBlocks: 0
; NumSGPRsForWavesPerEU: 1
; NumVGPRsForWavesPerEU: 1
; Occupancy: 16
; WaveLimiterHint : 0
; COMPUTE_PGM_RSRC2:SCRATCH_EN: 0
; COMPUTE_PGM_RSRC2:USER_SGPR: 2
; COMPUTE_PGM_RSRC2:TRAP_HANDLER: 0
; COMPUTE_PGM_RSRC2:TGID_X_EN: 1
; COMPUTE_PGM_RSRC2:TGID_Y_EN: 0
; COMPUTE_PGM_RSRC2:TGID_Z_EN: 0
; COMPUTE_PGM_RSRC2:TIDIG_COMP_CNT: 0
	.section	.text._ZN7rocprim17ROCPRIM_400000_NS6detail17trampoline_kernelINS0_14default_configENS1_20scan_config_selectorIdEEZZNS1_9scan_implILNS1_25lookback_scan_determinismE0ELb0ELb0ES3_PKdPddZZZN2at6native31launch_logcumsumexp_cuda_kernelERKNSB_10TensorBaseESF_lENKUlvE_clEvENKUlvE_clEvEUlddE_dEEDaPvRmT3_T4_T5_mT6_P12ihipStream_tbENKUlT_T0_E_clISt17integral_constantIbLb1EESV_IbLb0EEEEDaSR_SS_EUlSR_E0_NS1_11comp_targetILNS1_3genE8ELNS1_11target_archE1030ELNS1_3gpuE2ELNS1_3repE0EEENS1_30default_config_static_selectorELNS0_4arch9wavefront6targetE0EEEvT1_,"axG",@progbits,_ZN7rocprim17ROCPRIM_400000_NS6detail17trampoline_kernelINS0_14default_configENS1_20scan_config_selectorIdEEZZNS1_9scan_implILNS1_25lookback_scan_determinismE0ELb0ELb0ES3_PKdPddZZZN2at6native31launch_logcumsumexp_cuda_kernelERKNSB_10TensorBaseESF_lENKUlvE_clEvENKUlvE_clEvEUlddE_dEEDaPvRmT3_T4_T5_mT6_P12ihipStream_tbENKUlT_T0_E_clISt17integral_constantIbLb1EESV_IbLb0EEEEDaSR_SS_EUlSR_E0_NS1_11comp_targetILNS1_3genE8ELNS1_11target_archE1030ELNS1_3gpuE2ELNS1_3repE0EEENS1_30default_config_static_selectorELNS0_4arch9wavefront6targetE0EEEvT1_,comdat
	.globl	_ZN7rocprim17ROCPRIM_400000_NS6detail17trampoline_kernelINS0_14default_configENS1_20scan_config_selectorIdEEZZNS1_9scan_implILNS1_25lookback_scan_determinismE0ELb0ELb0ES3_PKdPddZZZN2at6native31launch_logcumsumexp_cuda_kernelERKNSB_10TensorBaseESF_lENKUlvE_clEvENKUlvE_clEvEUlddE_dEEDaPvRmT3_T4_T5_mT6_P12ihipStream_tbENKUlT_T0_E_clISt17integral_constantIbLb1EESV_IbLb0EEEEDaSR_SS_EUlSR_E0_NS1_11comp_targetILNS1_3genE8ELNS1_11target_archE1030ELNS1_3gpuE2ELNS1_3repE0EEENS1_30default_config_static_selectorELNS0_4arch9wavefront6targetE0EEEvT1_ ; -- Begin function _ZN7rocprim17ROCPRIM_400000_NS6detail17trampoline_kernelINS0_14default_configENS1_20scan_config_selectorIdEEZZNS1_9scan_implILNS1_25lookback_scan_determinismE0ELb0ELb0ES3_PKdPddZZZN2at6native31launch_logcumsumexp_cuda_kernelERKNSB_10TensorBaseESF_lENKUlvE_clEvENKUlvE_clEvEUlddE_dEEDaPvRmT3_T4_T5_mT6_P12ihipStream_tbENKUlT_T0_E_clISt17integral_constantIbLb1EESV_IbLb0EEEEDaSR_SS_EUlSR_E0_NS1_11comp_targetILNS1_3genE8ELNS1_11target_archE1030ELNS1_3gpuE2ELNS1_3repE0EEENS1_30default_config_static_selectorELNS0_4arch9wavefront6targetE0EEEvT1_
	.p2align	8
	.type	_ZN7rocprim17ROCPRIM_400000_NS6detail17trampoline_kernelINS0_14default_configENS1_20scan_config_selectorIdEEZZNS1_9scan_implILNS1_25lookback_scan_determinismE0ELb0ELb0ES3_PKdPddZZZN2at6native31launch_logcumsumexp_cuda_kernelERKNSB_10TensorBaseESF_lENKUlvE_clEvENKUlvE_clEvEUlddE_dEEDaPvRmT3_T4_T5_mT6_P12ihipStream_tbENKUlT_T0_E_clISt17integral_constantIbLb1EESV_IbLb0EEEEDaSR_SS_EUlSR_E0_NS1_11comp_targetILNS1_3genE8ELNS1_11target_archE1030ELNS1_3gpuE2ELNS1_3repE0EEENS1_30default_config_static_selectorELNS0_4arch9wavefront6targetE0EEEvT1_,@function
_ZN7rocprim17ROCPRIM_400000_NS6detail17trampoline_kernelINS0_14default_configENS1_20scan_config_selectorIdEEZZNS1_9scan_implILNS1_25lookback_scan_determinismE0ELb0ELb0ES3_PKdPddZZZN2at6native31launch_logcumsumexp_cuda_kernelERKNSB_10TensorBaseESF_lENKUlvE_clEvENKUlvE_clEvEUlddE_dEEDaPvRmT3_T4_T5_mT6_P12ihipStream_tbENKUlT_T0_E_clISt17integral_constantIbLb1EESV_IbLb0EEEEDaSR_SS_EUlSR_E0_NS1_11comp_targetILNS1_3genE8ELNS1_11target_archE1030ELNS1_3gpuE2ELNS1_3repE0EEENS1_30default_config_static_selectorELNS0_4arch9wavefront6targetE0EEEvT1_: ; @_ZN7rocprim17ROCPRIM_400000_NS6detail17trampoline_kernelINS0_14default_configENS1_20scan_config_selectorIdEEZZNS1_9scan_implILNS1_25lookback_scan_determinismE0ELb0ELb0ES3_PKdPddZZZN2at6native31launch_logcumsumexp_cuda_kernelERKNSB_10TensorBaseESF_lENKUlvE_clEvENKUlvE_clEvEUlddE_dEEDaPvRmT3_T4_T5_mT6_P12ihipStream_tbENKUlT_T0_E_clISt17integral_constantIbLb1EESV_IbLb0EEEEDaSR_SS_EUlSR_E0_NS1_11comp_targetILNS1_3genE8ELNS1_11target_archE1030ELNS1_3gpuE2ELNS1_3repE0EEENS1_30default_config_static_selectorELNS0_4arch9wavefront6targetE0EEEvT1_
; %bb.0:
	.section	.rodata,"a",@progbits
	.p2align	6, 0x0
	.amdhsa_kernel _ZN7rocprim17ROCPRIM_400000_NS6detail17trampoline_kernelINS0_14default_configENS1_20scan_config_selectorIdEEZZNS1_9scan_implILNS1_25lookback_scan_determinismE0ELb0ELb0ES3_PKdPddZZZN2at6native31launch_logcumsumexp_cuda_kernelERKNSB_10TensorBaseESF_lENKUlvE_clEvENKUlvE_clEvEUlddE_dEEDaPvRmT3_T4_T5_mT6_P12ihipStream_tbENKUlT_T0_E_clISt17integral_constantIbLb1EESV_IbLb0EEEEDaSR_SS_EUlSR_E0_NS1_11comp_targetILNS1_3genE8ELNS1_11target_archE1030ELNS1_3gpuE2ELNS1_3repE0EEENS1_30default_config_static_selectorELNS0_4arch9wavefront6targetE0EEEvT1_
		.amdhsa_group_segment_fixed_size 0
		.amdhsa_private_segment_fixed_size 0
		.amdhsa_kernarg_size 40
		.amdhsa_user_sgpr_count 2
		.amdhsa_user_sgpr_dispatch_ptr 0
		.amdhsa_user_sgpr_queue_ptr 0
		.amdhsa_user_sgpr_kernarg_segment_ptr 1
		.amdhsa_user_sgpr_dispatch_id 0
		.amdhsa_user_sgpr_private_segment_size 0
		.amdhsa_wavefront_size32 1
		.amdhsa_uses_dynamic_stack 0
		.amdhsa_enable_private_segment 0
		.amdhsa_system_sgpr_workgroup_id_x 1
		.amdhsa_system_sgpr_workgroup_id_y 0
		.amdhsa_system_sgpr_workgroup_id_z 0
		.amdhsa_system_sgpr_workgroup_info 0
		.amdhsa_system_vgpr_workitem_id 0
		.amdhsa_next_free_vgpr 1
		.amdhsa_next_free_sgpr 1
		.amdhsa_reserve_vcc 0
		.amdhsa_float_round_mode_32 0
		.amdhsa_float_round_mode_16_64 0
		.amdhsa_float_denorm_mode_32 3
		.amdhsa_float_denorm_mode_16_64 3
		.amdhsa_fp16_overflow 0
		.amdhsa_workgroup_processor_mode 1
		.amdhsa_memory_ordered 1
		.amdhsa_forward_progress 1
		.amdhsa_inst_pref_size 0
		.amdhsa_round_robin_scheduling 0
		.amdhsa_exception_fp_ieee_invalid_op 0
		.amdhsa_exception_fp_denorm_src 0
		.amdhsa_exception_fp_ieee_div_zero 0
		.amdhsa_exception_fp_ieee_overflow 0
		.amdhsa_exception_fp_ieee_underflow 0
		.amdhsa_exception_fp_ieee_inexact 0
		.amdhsa_exception_int_div_zero 0
	.end_amdhsa_kernel
	.section	.text._ZN7rocprim17ROCPRIM_400000_NS6detail17trampoline_kernelINS0_14default_configENS1_20scan_config_selectorIdEEZZNS1_9scan_implILNS1_25lookback_scan_determinismE0ELb0ELb0ES3_PKdPddZZZN2at6native31launch_logcumsumexp_cuda_kernelERKNSB_10TensorBaseESF_lENKUlvE_clEvENKUlvE_clEvEUlddE_dEEDaPvRmT3_T4_T5_mT6_P12ihipStream_tbENKUlT_T0_E_clISt17integral_constantIbLb1EESV_IbLb0EEEEDaSR_SS_EUlSR_E0_NS1_11comp_targetILNS1_3genE8ELNS1_11target_archE1030ELNS1_3gpuE2ELNS1_3repE0EEENS1_30default_config_static_selectorELNS0_4arch9wavefront6targetE0EEEvT1_,"axG",@progbits,_ZN7rocprim17ROCPRIM_400000_NS6detail17trampoline_kernelINS0_14default_configENS1_20scan_config_selectorIdEEZZNS1_9scan_implILNS1_25lookback_scan_determinismE0ELb0ELb0ES3_PKdPddZZZN2at6native31launch_logcumsumexp_cuda_kernelERKNSB_10TensorBaseESF_lENKUlvE_clEvENKUlvE_clEvEUlddE_dEEDaPvRmT3_T4_T5_mT6_P12ihipStream_tbENKUlT_T0_E_clISt17integral_constantIbLb1EESV_IbLb0EEEEDaSR_SS_EUlSR_E0_NS1_11comp_targetILNS1_3genE8ELNS1_11target_archE1030ELNS1_3gpuE2ELNS1_3repE0EEENS1_30default_config_static_selectorELNS0_4arch9wavefront6targetE0EEEvT1_,comdat
.Lfunc_end64:
	.size	_ZN7rocprim17ROCPRIM_400000_NS6detail17trampoline_kernelINS0_14default_configENS1_20scan_config_selectorIdEEZZNS1_9scan_implILNS1_25lookback_scan_determinismE0ELb0ELb0ES3_PKdPddZZZN2at6native31launch_logcumsumexp_cuda_kernelERKNSB_10TensorBaseESF_lENKUlvE_clEvENKUlvE_clEvEUlddE_dEEDaPvRmT3_T4_T5_mT6_P12ihipStream_tbENKUlT_T0_E_clISt17integral_constantIbLb1EESV_IbLb0EEEEDaSR_SS_EUlSR_E0_NS1_11comp_targetILNS1_3genE8ELNS1_11target_archE1030ELNS1_3gpuE2ELNS1_3repE0EEENS1_30default_config_static_selectorELNS0_4arch9wavefront6targetE0EEEvT1_, .Lfunc_end64-_ZN7rocprim17ROCPRIM_400000_NS6detail17trampoline_kernelINS0_14default_configENS1_20scan_config_selectorIdEEZZNS1_9scan_implILNS1_25lookback_scan_determinismE0ELb0ELb0ES3_PKdPddZZZN2at6native31launch_logcumsumexp_cuda_kernelERKNSB_10TensorBaseESF_lENKUlvE_clEvENKUlvE_clEvEUlddE_dEEDaPvRmT3_T4_T5_mT6_P12ihipStream_tbENKUlT_T0_E_clISt17integral_constantIbLb1EESV_IbLb0EEEEDaSR_SS_EUlSR_E0_NS1_11comp_targetILNS1_3genE8ELNS1_11target_archE1030ELNS1_3gpuE2ELNS1_3repE0EEENS1_30default_config_static_selectorELNS0_4arch9wavefront6targetE0EEEvT1_
                                        ; -- End function
	.set _ZN7rocprim17ROCPRIM_400000_NS6detail17trampoline_kernelINS0_14default_configENS1_20scan_config_selectorIdEEZZNS1_9scan_implILNS1_25lookback_scan_determinismE0ELb0ELb0ES3_PKdPddZZZN2at6native31launch_logcumsumexp_cuda_kernelERKNSB_10TensorBaseESF_lENKUlvE_clEvENKUlvE_clEvEUlddE_dEEDaPvRmT3_T4_T5_mT6_P12ihipStream_tbENKUlT_T0_E_clISt17integral_constantIbLb1EESV_IbLb0EEEEDaSR_SS_EUlSR_E0_NS1_11comp_targetILNS1_3genE8ELNS1_11target_archE1030ELNS1_3gpuE2ELNS1_3repE0EEENS1_30default_config_static_selectorELNS0_4arch9wavefront6targetE0EEEvT1_.num_vgpr, 0
	.set _ZN7rocprim17ROCPRIM_400000_NS6detail17trampoline_kernelINS0_14default_configENS1_20scan_config_selectorIdEEZZNS1_9scan_implILNS1_25lookback_scan_determinismE0ELb0ELb0ES3_PKdPddZZZN2at6native31launch_logcumsumexp_cuda_kernelERKNSB_10TensorBaseESF_lENKUlvE_clEvENKUlvE_clEvEUlddE_dEEDaPvRmT3_T4_T5_mT6_P12ihipStream_tbENKUlT_T0_E_clISt17integral_constantIbLb1EESV_IbLb0EEEEDaSR_SS_EUlSR_E0_NS1_11comp_targetILNS1_3genE8ELNS1_11target_archE1030ELNS1_3gpuE2ELNS1_3repE0EEENS1_30default_config_static_selectorELNS0_4arch9wavefront6targetE0EEEvT1_.num_agpr, 0
	.set _ZN7rocprim17ROCPRIM_400000_NS6detail17trampoline_kernelINS0_14default_configENS1_20scan_config_selectorIdEEZZNS1_9scan_implILNS1_25lookback_scan_determinismE0ELb0ELb0ES3_PKdPddZZZN2at6native31launch_logcumsumexp_cuda_kernelERKNSB_10TensorBaseESF_lENKUlvE_clEvENKUlvE_clEvEUlddE_dEEDaPvRmT3_T4_T5_mT6_P12ihipStream_tbENKUlT_T0_E_clISt17integral_constantIbLb1EESV_IbLb0EEEEDaSR_SS_EUlSR_E0_NS1_11comp_targetILNS1_3genE8ELNS1_11target_archE1030ELNS1_3gpuE2ELNS1_3repE0EEENS1_30default_config_static_selectorELNS0_4arch9wavefront6targetE0EEEvT1_.numbered_sgpr, 0
	.set _ZN7rocprim17ROCPRIM_400000_NS6detail17trampoline_kernelINS0_14default_configENS1_20scan_config_selectorIdEEZZNS1_9scan_implILNS1_25lookback_scan_determinismE0ELb0ELb0ES3_PKdPddZZZN2at6native31launch_logcumsumexp_cuda_kernelERKNSB_10TensorBaseESF_lENKUlvE_clEvENKUlvE_clEvEUlddE_dEEDaPvRmT3_T4_T5_mT6_P12ihipStream_tbENKUlT_T0_E_clISt17integral_constantIbLb1EESV_IbLb0EEEEDaSR_SS_EUlSR_E0_NS1_11comp_targetILNS1_3genE8ELNS1_11target_archE1030ELNS1_3gpuE2ELNS1_3repE0EEENS1_30default_config_static_selectorELNS0_4arch9wavefront6targetE0EEEvT1_.num_named_barrier, 0
	.set _ZN7rocprim17ROCPRIM_400000_NS6detail17trampoline_kernelINS0_14default_configENS1_20scan_config_selectorIdEEZZNS1_9scan_implILNS1_25lookback_scan_determinismE0ELb0ELb0ES3_PKdPddZZZN2at6native31launch_logcumsumexp_cuda_kernelERKNSB_10TensorBaseESF_lENKUlvE_clEvENKUlvE_clEvEUlddE_dEEDaPvRmT3_T4_T5_mT6_P12ihipStream_tbENKUlT_T0_E_clISt17integral_constantIbLb1EESV_IbLb0EEEEDaSR_SS_EUlSR_E0_NS1_11comp_targetILNS1_3genE8ELNS1_11target_archE1030ELNS1_3gpuE2ELNS1_3repE0EEENS1_30default_config_static_selectorELNS0_4arch9wavefront6targetE0EEEvT1_.private_seg_size, 0
	.set _ZN7rocprim17ROCPRIM_400000_NS6detail17trampoline_kernelINS0_14default_configENS1_20scan_config_selectorIdEEZZNS1_9scan_implILNS1_25lookback_scan_determinismE0ELb0ELb0ES3_PKdPddZZZN2at6native31launch_logcumsumexp_cuda_kernelERKNSB_10TensorBaseESF_lENKUlvE_clEvENKUlvE_clEvEUlddE_dEEDaPvRmT3_T4_T5_mT6_P12ihipStream_tbENKUlT_T0_E_clISt17integral_constantIbLb1EESV_IbLb0EEEEDaSR_SS_EUlSR_E0_NS1_11comp_targetILNS1_3genE8ELNS1_11target_archE1030ELNS1_3gpuE2ELNS1_3repE0EEENS1_30default_config_static_selectorELNS0_4arch9wavefront6targetE0EEEvT1_.uses_vcc, 0
	.set _ZN7rocprim17ROCPRIM_400000_NS6detail17trampoline_kernelINS0_14default_configENS1_20scan_config_selectorIdEEZZNS1_9scan_implILNS1_25lookback_scan_determinismE0ELb0ELb0ES3_PKdPddZZZN2at6native31launch_logcumsumexp_cuda_kernelERKNSB_10TensorBaseESF_lENKUlvE_clEvENKUlvE_clEvEUlddE_dEEDaPvRmT3_T4_T5_mT6_P12ihipStream_tbENKUlT_T0_E_clISt17integral_constantIbLb1EESV_IbLb0EEEEDaSR_SS_EUlSR_E0_NS1_11comp_targetILNS1_3genE8ELNS1_11target_archE1030ELNS1_3gpuE2ELNS1_3repE0EEENS1_30default_config_static_selectorELNS0_4arch9wavefront6targetE0EEEvT1_.uses_flat_scratch, 0
	.set _ZN7rocprim17ROCPRIM_400000_NS6detail17trampoline_kernelINS0_14default_configENS1_20scan_config_selectorIdEEZZNS1_9scan_implILNS1_25lookback_scan_determinismE0ELb0ELb0ES3_PKdPddZZZN2at6native31launch_logcumsumexp_cuda_kernelERKNSB_10TensorBaseESF_lENKUlvE_clEvENKUlvE_clEvEUlddE_dEEDaPvRmT3_T4_T5_mT6_P12ihipStream_tbENKUlT_T0_E_clISt17integral_constantIbLb1EESV_IbLb0EEEEDaSR_SS_EUlSR_E0_NS1_11comp_targetILNS1_3genE8ELNS1_11target_archE1030ELNS1_3gpuE2ELNS1_3repE0EEENS1_30default_config_static_selectorELNS0_4arch9wavefront6targetE0EEEvT1_.has_dyn_sized_stack, 0
	.set _ZN7rocprim17ROCPRIM_400000_NS6detail17trampoline_kernelINS0_14default_configENS1_20scan_config_selectorIdEEZZNS1_9scan_implILNS1_25lookback_scan_determinismE0ELb0ELb0ES3_PKdPddZZZN2at6native31launch_logcumsumexp_cuda_kernelERKNSB_10TensorBaseESF_lENKUlvE_clEvENKUlvE_clEvEUlddE_dEEDaPvRmT3_T4_T5_mT6_P12ihipStream_tbENKUlT_T0_E_clISt17integral_constantIbLb1EESV_IbLb0EEEEDaSR_SS_EUlSR_E0_NS1_11comp_targetILNS1_3genE8ELNS1_11target_archE1030ELNS1_3gpuE2ELNS1_3repE0EEENS1_30default_config_static_selectorELNS0_4arch9wavefront6targetE0EEEvT1_.has_recursion, 0
	.set _ZN7rocprim17ROCPRIM_400000_NS6detail17trampoline_kernelINS0_14default_configENS1_20scan_config_selectorIdEEZZNS1_9scan_implILNS1_25lookback_scan_determinismE0ELb0ELb0ES3_PKdPddZZZN2at6native31launch_logcumsumexp_cuda_kernelERKNSB_10TensorBaseESF_lENKUlvE_clEvENKUlvE_clEvEUlddE_dEEDaPvRmT3_T4_T5_mT6_P12ihipStream_tbENKUlT_T0_E_clISt17integral_constantIbLb1EESV_IbLb0EEEEDaSR_SS_EUlSR_E0_NS1_11comp_targetILNS1_3genE8ELNS1_11target_archE1030ELNS1_3gpuE2ELNS1_3repE0EEENS1_30default_config_static_selectorELNS0_4arch9wavefront6targetE0EEEvT1_.has_indirect_call, 0
	.section	.AMDGPU.csdata,"",@progbits
; Kernel info:
; codeLenInByte = 0
; TotalNumSgprs: 0
; NumVgprs: 0
; ScratchSize: 0
; MemoryBound: 0
; FloatMode: 240
; IeeeMode: 1
; LDSByteSize: 0 bytes/workgroup (compile time only)
; SGPRBlocks: 0
; VGPRBlocks: 0
; NumSGPRsForWavesPerEU: 1
; NumVGPRsForWavesPerEU: 1
; Occupancy: 16
; WaveLimiterHint : 0
; COMPUTE_PGM_RSRC2:SCRATCH_EN: 0
; COMPUTE_PGM_RSRC2:USER_SGPR: 2
; COMPUTE_PGM_RSRC2:TRAP_HANDLER: 0
; COMPUTE_PGM_RSRC2:TGID_X_EN: 1
; COMPUTE_PGM_RSRC2:TGID_Y_EN: 0
; COMPUTE_PGM_RSRC2:TGID_Z_EN: 0
; COMPUTE_PGM_RSRC2:TIDIG_COMP_CNT: 0
	.section	.text._ZN7rocprim17ROCPRIM_400000_NS6detail31init_lookback_scan_state_kernelINS1_19lookback_scan_stateIdLb0ELb1EEENS1_16block_id_wrapperIjLb1EEEEEvT_jT0_jPNS7_10value_typeE,"axG",@progbits,_ZN7rocprim17ROCPRIM_400000_NS6detail31init_lookback_scan_state_kernelINS1_19lookback_scan_stateIdLb0ELb1EEENS1_16block_id_wrapperIjLb1EEEEEvT_jT0_jPNS7_10value_typeE,comdat
	.protected	_ZN7rocprim17ROCPRIM_400000_NS6detail31init_lookback_scan_state_kernelINS1_19lookback_scan_stateIdLb0ELb1EEENS1_16block_id_wrapperIjLb1EEEEEvT_jT0_jPNS7_10value_typeE ; -- Begin function _ZN7rocprim17ROCPRIM_400000_NS6detail31init_lookback_scan_state_kernelINS1_19lookback_scan_stateIdLb0ELb1EEENS1_16block_id_wrapperIjLb1EEEEEvT_jT0_jPNS7_10value_typeE
	.globl	_ZN7rocprim17ROCPRIM_400000_NS6detail31init_lookback_scan_state_kernelINS1_19lookback_scan_stateIdLb0ELb1EEENS1_16block_id_wrapperIjLb1EEEEEvT_jT0_jPNS7_10value_typeE
	.p2align	8
	.type	_ZN7rocprim17ROCPRIM_400000_NS6detail31init_lookback_scan_state_kernelINS1_19lookback_scan_stateIdLb0ELb1EEENS1_16block_id_wrapperIjLb1EEEEEvT_jT0_jPNS7_10value_typeE,@function
_ZN7rocprim17ROCPRIM_400000_NS6detail31init_lookback_scan_state_kernelINS1_19lookback_scan_stateIdLb0ELb1EEENS1_16block_id_wrapperIjLb1EEEEEvT_jT0_jPNS7_10value_typeE: ; @_ZN7rocprim17ROCPRIM_400000_NS6detail31init_lookback_scan_state_kernelINS1_19lookback_scan_stateIdLb0ELb1EEENS1_16block_id_wrapperIjLb1EEEEEvT_jT0_jPNS7_10value_typeE
; %bb.0:
	s_clause 0x2
	s_load_b32 s7, s[0:1], 0x34
	s_load_b64 s[2:3], s[0:1], 0x20
	s_load_b96 s[4:6], s[0:1], 0x0
	s_wait_kmcnt 0x0
	s_and_b32 s7, s7, 0xffff
	s_cmp_eq_u64 s[2:3], 0
	v_mad_co_u64_u32 v[0:1], null, ttmp9, s7, v[0:1]
	s_cbranch_scc1 .LBB65_8
; %bb.1:
	s_load_b32 s8, s[0:1], 0x18
	s_mov_b32 s9, 0
	s_wait_kmcnt 0x0
	s_cmp_lt_u32 s8, s6
	s_cselect_b32 s7, s8, 0
	s_wait_alu 0xfffe
	v_cmp_eq_u32_e32 vcc_lo, s7, v0
	s_and_saveexec_b32 s7, vcc_lo
	s_cbranch_execz .LBB65_7
; %bb.2:
	s_add_co_i32 s8, s8, 32
	s_mov_b32 s10, exec_lo
	s_lshl_b64 s[8:9], s[8:9], 4
	v_mov_b32_e32 v5, 0
	s_add_nc_u64 s[8:9], s[4:5], s[8:9]
	s_delay_alu instid0(SALU_CYCLE_1) | instskip(SKIP_2) | instid1(VALU_DEP_1)
	v_dual_mov_b32 v1, s8 :: v_dual_mov_b32 v2, s9
	;;#ASMSTART
	global_load_b128 v[1:4], v[1:2] off scope:SCOPE_DEV	
s_wait_loadcnt 0x0
	;;#ASMEND
	v_and_b32_e32 v4, 0xff, v3
	v_cmpx_eq_u64_e32 0, v[4:5]
	s_cbranch_execz .LBB65_6
; %bb.3:
	v_dual_mov_b32 v6, s8 :: v_dual_mov_b32 v7, s9
	s_mov_b32 s8, 0
.LBB65_4:                               ; =>This Inner Loop Header: Depth=1
	;;#ASMSTART
	global_load_b128 v[1:4], v[6:7] off scope:SCOPE_DEV	
s_wait_loadcnt 0x0
	;;#ASMEND
	v_and_b32_e32 v4, 0xff, v3
	s_delay_alu instid0(VALU_DEP_1)
	v_cmp_ne_u64_e32 vcc_lo, 0, v[4:5]
	s_wait_alu 0xfffe
	s_or_b32 s8, vcc_lo, s8
	s_wait_alu 0xfffe
	s_and_not1_b32 exec_lo, exec_lo, s8
	s_cbranch_execnz .LBB65_4
; %bb.5:
	s_or_b32 exec_lo, exec_lo, s8
.LBB65_6:
	s_delay_alu instid0(SALU_CYCLE_1)
	s_or_b32 exec_lo, exec_lo, s10
	v_mov_b32_e32 v3, 0
	global_store_b64 v3, v[1:2], s[2:3]
.LBB65_7:
	s_wait_alu 0xfffe
	s_or_b32 exec_lo, exec_lo, s7
.LBB65_8:
	s_delay_alu instid0(SALU_CYCLE_1)
	s_mov_b32 s2, exec_lo
	v_cmpx_eq_u32_e32 0, v0
	s_cbranch_execz .LBB65_10
; %bb.9:
	s_load_b64 s[0:1], s[0:1], 0x10
	v_mov_b32_e32 v1, 0
	s_wait_kmcnt 0x0
	global_store_b32 v1, v1, s[0:1]
.LBB65_10:
	s_or_b32 exec_lo, exec_lo, s2
	s_delay_alu instid0(SALU_CYCLE_1)
	s_mov_b32 s0, exec_lo
	v_cmpx_gt_u32_e64 s6, v0
	s_cbranch_execz .LBB65_12
; %bb.11:
	v_dual_mov_b32 v2, 0 :: v_dual_add_nc_u32 v1, 32, v0
	s_delay_alu instid0(VALU_DEP_1) | instskip(SKIP_2) | instid1(VALU_DEP_3)
	v_lshlrev_b64_e32 v[4:5], 4, v[1:2]
	v_mov_b32_e32 v1, v2
	v_mov_b32_e32 v3, v2
	v_add_co_u32 v6, vcc_lo, s4, v4
	s_delay_alu instid0(VALU_DEP_1)
	v_add_co_ci_u32_e64 v7, null, s5, v5, vcc_lo
	v_mov_b32_e32 v4, v2
	global_store_b128 v[6:7], v[1:4], off
.LBB65_12:
	s_wait_alu 0xfffe
	s_or_b32 exec_lo, exec_lo, s0
	s_delay_alu instid0(SALU_CYCLE_1)
	s_mov_b32 s0, exec_lo
	v_cmpx_gt_u32_e32 32, v0
	s_cbranch_execz .LBB65_14
; %bb.13:
	v_dual_mov_b32 v1, 0 :: v_dual_mov_b32 v2, 0xff
	s_delay_alu instid0(VALU_DEP_1) | instskip(SKIP_1) | instid1(VALU_DEP_2)
	v_lshlrev_b64_e32 v[3:4], 4, v[0:1]
	v_mov_b32_e32 v0, v1
	v_add_co_u32 v5, vcc_lo, s4, v3
	s_wait_alu 0xfffd
	s_delay_alu instid0(VALU_DEP_3)
	v_add_co_ci_u32_e64 v6, null, s5, v4, vcc_lo
	v_mov_b32_e32 v3, v1
	global_store_b128 v[5:6], v[0:3], off
.LBB65_14:
	s_endpgm
	.section	.rodata,"a",@progbits
	.p2align	6, 0x0
	.amdhsa_kernel _ZN7rocprim17ROCPRIM_400000_NS6detail31init_lookback_scan_state_kernelINS1_19lookback_scan_stateIdLb0ELb1EEENS1_16block_id_wrapperIjLb1EEEEEvT_jT0_jPNS7_10value_typeE
		.amdhsa_group_segment_fixed_size 0
		.amdhsa_private_segment_fixed_size 0
		.amdhsa_kernarg_size 296
		.amdhsa_user_sgpr_count 2
		.amdhsa_user_sgpr_dispatch_ptr 0
		.amdhsa_user_sgpr_queue_ptr 0
		.amdhsa_user_sgpr_kernarg_segment_ptr 1
		.amdhsa_user_sgpr_dispatch_id 0
		.amdhsa_user_sgpr_private_segment_size 0
		.amdhsa_wavefront_size32 1
		.amdhsa_uses_dynamic_stack 0
		.amdhsa_enable_private_segment 0
		.amdhsa_system_sgpr_workgroup_id_x 1
		.amdhsa_system_sgpr_workgroup_id_y 0
		.amdhsa_system_sgpr_workgroup_id_z 0
		.amdhsa_system_sgpr_workgroup_info 0
		.amdhsa_system_vgpr_workitem_id 0
		.amdhsa_next_free_vgpr 8
		.amdhsa_next_free_sgpr 11
		.amdhsa_reserve_vcc 1
		.amdhsa_float_round_mode_32 0
		.amdhsa_float_round_mode_16_64 0
		.amdhsa_float_denorm_mode_32 3
		.amdhsa_float_denorm_mode_16_64 3
		.amdhsa_fp16_overflow 0
		.amdhsa_workgroup_processor_mode 1
		.amdhsa_memory_ordered 1
		.amdhsa_forward_progress 1
		.amdhsa_inst_pref_size 4
		.amdhsa_round_robin_scheduling 0
		.amdhsa_exception_fp_ieee_invalid_op 0
		.amdhsa_exception_fp_denorm_src 0
		.amdhsa_exception_fp_ieee_div_zero 0
		.amdhsa_exception_fp_ieee_overflow 0
		.amdhsa_exception_fp_ieee_underflow 0
		.amdhsa_exception_fp_ieee_inexact 0
		.amdhsa_exception_int_div_zero 0
	.end_amdhsa_kernel
	.section	.text._ZN7rocprim17ROCPRIM_400000_NS6detail31init_lookback_scan_state_kernelINS1_19lookback_scan_stateIdLb0ELb1EEENS1_16block_id_wrapperIjLb1EEEEEvT_jT0_jPNS7_10value_typeE,"axG",@progbits,_ZN7rocprim17ROCPRIM_400000_NS6detail31init_lookback_scan_state_kernelINS1_19lookback_scan_stateIdLb0ELb1EEENS1_16block_id_wrapperIjLb1EEEEEvT_jT0_jPNS7_10value_typeE,comdat
.Lfunc_end65:
	.size	_ZN7rocprim17ROCPRIM_400000_NS6detail31init_lookback_scan_state_kernelINS1_19lookback_scan_stateIdLb0ELb1EEENS1_16block_id_wrapperIjLb1EEEEEvT_jT0_jPNS7_10value_typeE, .Lfunc_end65-_ZN7rocprim17ROCPRIM_400000_NS6detail31init_lookback_scan_state_kernelINS1_19lookback_scan_stateIdLb0ELb1EEENS1_16block_id_wrapperIjLb1EEEEEvT_jT0_jPNS7_10value_typeE
                                        ; -- End function
	.set _ZN7rocprim17ROCPRIM_400000_NS6detail31init_lookback_scan_state_kernelINS1_19lookback_scan_stateIdLb0ELb1EEENS1_16block_id_wrapperIjLb1EEEEEvT_jT0_jPNS7_10value_typeE.num_vgpr, 8
	.set _ZN7rocprim17ROCPRIM_400000_NS6detail31init_lookback_scan_state_kernelINS1_19lookback_scan_stateIdLb0ELb1EEENS1_16block_id_wrapperIjLb1EEEEEvT_jT0_jPNS7_10value_typeE.num_agpr, 0
	.set _ZN7rocprim17ROCPRIM_400000_NS6detail31init_lookback_scan_state_kernelINS1_19lookback_scan_stateIdLb0ELb1EEENS1_16block_id_wrapperIjLb1EEEEEvT_jT0_jPNS7_10value_typeE.numbered_sgpr, 11
	.set _ZN7rocprim17ROCPRIM_400000_NS6detail31init_lookback_scan_state_kernelINS1_19lookback_scan_stateIdLb0ELb1EEENS1_16block_id_wrapperIjLb1EEEEEvT_jT0_jPNS7_10value_typeE.num_named_barrier, 0
	.set _ZN7rocprim17ROCPRIM_400000_NS6detail31init_lookback_scan_state_kernelINS1_19lookback_scan_stateIdLb0ELb1EEENS1_16block_id_wrapperIjLb1EEEEEvT_jT0_jPNS7_10value_typeE.private_seg_size, 0
	.set _ZN7rocprim17ROCPRIM_400000_NS6detail31init_lookback_scan_state_kernelINS1_19lookback_scan_stateIdLb0ELb1EEENS1_16block_id_wrapperIjLb1EEEEEvT_jT0_jPNS7_10value_typeE.uses_vcc, 1
	.set _ZN7rocprim17ROCPRIM_400000_NS6detail31init_lookback_scan_state_kernelINS1_19lookback_scan_stateIdLb0ELb1EEENS1_16block_id_wrapperIjLb1EEEEEvT_jT0_jPNS7_10value_typeE.uses_flat_scratch, 0
	.set _ZN7rocprim17ROCPRIM_400000_NS6detail31init_lookback_scan_state_kernelINS1_19lookback_scan_stateIdLb0ELb1EEENS1_16block_id_wrapperIjLb1EEEEEvT_jT0_jPNS7_10value_typeE.has_dyn_sized_stack, 0
	.set _ZN7rocprim17ROCPRIM_400000_NS6detail31init_lookback_scan_state_kernelINS1_19lookback_scan_stateIdLb0ELb1EEENS1_16block_id_wrapperIjLb1EEEEEvT_jT0_jPNS7_10value_typeE.has_recursion, 0
	.set _ZN7rocprim17ROCPRIM_400000_NS6detail31init_lookback_scan_state_kernelINS1_19lookback_scan_stateIdLb0ELb1EEENS1_16block_id_wrapperIjLb1EEEEEvT_jT0_jPNS7_10value_typeE.has_indirect_call, 0
	.section	.AMDGPU.csdata,"",@progbits
; Kernel info:
; codeLenInByte = 448
; TotalNumSgprs: 13
; NumVgprs: 8
; ScratchSize: 0
; MemoryBound: 0
; FloatMode: 240
; IeeeMode: 1
; LDSByteSize: 0 bytes/workgroup (compile time only)
; SGPRBlocks: 0
; VGPRBlocks: 0
; NumSGPRsForWavesPerEU: 13
; NumVGPRsForWavesPerEU: 8
; Occupancy: 16
; WaveLimiterHint : 0
; COMPUTE_PGM_RSRC2:SCRATCH_EN: 0
; COMPUTE_PGM_RSRC2:USER_SGPR: 2
; COMPUTE_PGM_RSRC2:TRAP_HANDLER: 0
; COMPUTE_PGM_RSRC2:TGID_X_EN: 1
; COMPUTE_PGM_RSRC2:TGID_Y_EN: 0
; COMPUTE_PGM_RSRC2:TGID_Z_EN: 0
; COMPUTE_PGM_RSRC2:TIDIG_COMP_CNT: 0
	.section	.text._ZN7rocprim17ROCPRIM_400000_NS6detail17trampoline_kernelINS0_14default_configENS1_20scan_config_selectorIdEEZZNS1_9scan_implILNS1_25lookback_scan_determinismE0ELb0ELb0ES3_PKdPddZZZN2at6native31launch_logcumsumexp_cuda_kernelERKNSB_10TensorBaseESF_lENKUlvE_clEvENKUlvE_clEvEUlddE_dEEDaPvRmT3_T4_T5_mT6_P12ihipStream_tbENKUlT_T0_E_clISt17integral_constantIbLb0EESV_IbLb1EEEEDaSR_SS_EUlSR_E_NS1_11comp_targetILNS1_3genE0ELNS1_11target_archE4294967295ELNS1_3gpuE0ELNS1_3repE0EEENS1_30default_config_static_selectorELNS0_4arch9wavefront6targetE0EEEvT1_,"axG",@progbits,_ZN7rocprim17ROCPRIM_400000_NS6detail17trampoline_kernelINS0_14default_configENS1_20scan_config_selectorIdEEZZNS1_9scan_implILNS1_25lookback_scan_determinismE0ELb0ELb0ES3_PKdPddZZZN2at6native31launch_logcumsumexp_cuda_kernelERKNSB_10TensorBaseESF_lENKUlvE_clEvENKUlvE_clEvEUlddE_dEEDaPvRmT3_T4_T5_mT6_P12ihipStream_tbENKUlT_T0_E_clISt17integral_constantIbLb0EESV_IbLb1EEEEDaSR_SS_EUlSR_E_NS1_11comp_targetILNS1_3genE0ELNS1_11target_archE4294967295ELNS1_3gpuE0ELNS1_3repE0EEENS1_30default_config_static_selectorELNS0_4arch9wavefront6targetE0EEEvT1_,comdat
	.globl	_ZN7rocprim17ROCPRIM_400000_NS6detail17trampoline_kernelINS0_14default_configENS1_20scan_config_selectorIdEEZZNS1_9scan_implILNS1_25lookback_scan_determinismE0ELb0ELb0ES3_PKdPddZZZN2at6native31launch_logcumsumexp_cuda_kernelERKNSB_10TensorBaseESF_lENKUlvE_clEvENKUlvE_clEvEUlddE_dEEDaPvRmT3_T4_T5_mT6_P12ihipStream_tbENKUlT_T0_E_clISt17integral_constantIbLb0EESV_IbLb1EEEEDaSR_SS_EUlSR_E_NS1_11comp_targetILNS1_3genE0ELNS1_11target_archE4294967295ELNS1_3gpuE0ELNS1_3repE0EEENS1_30default_config_static_selectorELNS0_4arch9wavefront6targetE0EEEvT1_ ; -- Begin function _ZN7rocprim17ROCPRIM_400000_NS6detail17trampoline_kernelINS0_14default_configENS1_20scan_config_selectorIdEEZZNS1_9scan_implILNS1_25lookback_scan_determinismE0ELb0ELb0ES3_PKdPddZZZN2at6native31launch_logcumsumexp_cuda_kernelERKNSB_10TensorBaseESF_lENKUlvE_clEvENKUlvE_clEvEUlddE_dEEDaPvRmT3_T4_T5_mT6_P12ihipStream_tbENKUlT_T0_E_clISt17integral_constantIbLb0EESV_IbLb1EEEEDaSR_SS_EUlSR_E_NS1_11comp_targetILNS1_3genE0ELNS1_11target_archE4294967295ELNS1_3gpuE0ELNS1_3repE0EEENS1_30default_config_static_selectorELNS0_4arch9wavefront6targetE0EEEvT1_
	.p2align	8
	.type	_ZN7rocprim17ROCPRIM_400000_NS6detail17trampoline_kernelINS0_14default_configENS1_20scan_config_selectorIdEEZZNS1_9scan_implILNS1_25lookback_scan_determinismE0ELb0ELb0ES3_PKdPddZZZN2at6native31launch_logcumsumexp_cuda_kernelERKNSB_10TensorBaseESF_lENKUlvE_clEvENKUlvE_clEvEUlddE_dEEDaPvRmT3_T4_T5_mT6_P12ihipStream_tbENKUlT_T0_E_clISt17integral_constantIbLb0EESV_IbLb1EEEEDaSR_SS_EUlSR_E_NS1_11comp_targetILNS1_3genE0ELNS1_11target_archE4294967295ELNS1_3gpuE0ELNS1_3repE0EEENS1_30default_config_static_selectorELNS0_4arch9wavefront6targetE0EEEvT1_,@function
_ZN7rocprim17ROCPRIM_400000_NS6detail17trampoline_kernelINS0_14default_configENS1_20scan_config_selectorIdEEZZNS1_9scan_implILNS1_25lookback_scan_determinismE0ELb0ELb0ES3_PKdPddZZZN2at6native31launch_logcumsumexp_cuda_kernelERKNSB_10TensorBaseESF_lENKUlvE_clEvENKUlvE_clEvEUlddE_dEEDaPvRmT3_T4_T5_mT6_P12ihipStream_tbENKUlT_T0_E_clISt17integral_constantIbLb0EESV_IbLb1EEEEDaSR_SS_EUlSR_E_NS1_11comp_targetILNS1_3genE0ELNS1_11target_archE4294967295ELNS1_3gpuE0ELNS1_3repE0EEENS1_30default_config_static_selectorELNS0_4arch9wavefront6targetE0EEEvT1_: ; @_ZN7rocprim17ROCPRIM_400000_NS6detail17trampoline_kernelINS0_14default_configENS1_20scan_config_selectorIdEEZZNS1_9scan_implILNS1_25lookback_scan_determinismE0ELb0ELb0ES3_PKdPddZZZN2at6native31launch_logcumsumexp_cuda_kernelERKNSB_10TensorBaseESF_lENKUlvE_clEvENKUlvE_clEvEUlddE_dEEDaPvRmT3_T4_T5_mT6_P12ihipStream_tbENKUlT_T0_E_clISt17integral_constantIbLb0EESV_IbLb1EEEEDaSR_SS_EUlSR_E_NS1_11comp_targetILNS1_3genE0ELNS1_11target_archE4294967295ELNS1_3gpuE0ELNS1_3repE0EEENS1_30default_config_static_selectorELNS0_4arch9wavefront6targetE0EEEvT1_
; %bb.0:
	.section	.rodata,"a",@progbits
	.p2align	6, 0x0
	.amdhsa_kernel _ZN7rocprim17ROCPRIM_400000_NS6detail17trampoline_kernelINS0_14default_configENS1_20scan_config_selectorIdEEZZNS1_9scan_implILNS1_25lookback_scan_determinismE0ELb0ELb0ES3_PKdPddZZZN2at6native31launch_logcumsumexp_cuda_kernelERKNSB_10TensorBaseESF_lENKUlvE_clEvENKUlvE_clEvEUlddE_dEEDaPvRmT3_T4_T5_mT6_P12ihipStream_tbENKUlT_T0_E_clISt17integral_constantIbLb0EESV_IbLb1EEEEDaSR_SS_EUlSR_E_NS1_11comp_targetILNS1_3genE0ELNS1_11target_archE4294967295ELNS1_3gpuE0ELNS1_3repE0EEENS1_30default_config_static_selectorELNS0_4arch9wavefront6targetE0EEEvT1_
		.amdhsa_group_segment_fixed_size 0
		.amdhsa_private_segment_fixed_size 0
		.amdhsa_kernarg_size 104
		.amdhsa_user_sgpr_count 2
		.amdhsa_user_sgpr_dispatch_ptr 0
		.amdhsa_user_sgpr_queue_ptr 0
		.amdhsa_user_sgpr_kernarg_segment_ptr 1
		.amdhsa_user_sgpr_dispatch_id 0
		.amdhsa_user_sgpr_private_segment_size 0
		.amdhsa_wavefront_size32 1
		.amdhsa_uses_dynamic_stack 0
		.amdhsa_enable_private_segment 0
		.amdhsa_system_sgpr_workgroup_id_x 1
		.amdhsa_system_sgpr_workgroup_id_y 0
		.amdhsa_system_sgpr_workgroup_id_z 0
		.amdhsa_system_sgpr_workgroup_info 0
		.amdhsa_system_vgpr_workitem_id 0
		.amdhsa_next_free_vgpr 1
		.amdhsa_next_free_sgpr 1
		.amdhsa_reserve_vcc 0
		.amdhsa_float_round_mode_32 0
		.amdhsa_float_round_mode_16_64 0
		.amdhsa_float_denorm_mode_32 3
		.amdhsa_float_denorm_mode_16_64 3
		.amdhsa_fp16_overflow 0
		.amdhsa_workgroup_processor_mode 1
		.amdhsa_memory_ordered 1
		.amdhsa_forward_progress 1
		.amdhsa_inst_pref_size 0
		.amdhsa_round_robin_scheduling 0
		.amdhsa_exception_fp_ieee_invalid_op 0
		.amdhsa_exception_fp_denorm_src 0
		.amdhsa_exception_fp_ieee_div_zero 0
		.amdhsa_exception_fp_ieee_overflow 0
		.amdhsa_exception_fp_ieee_underflow 0
		.amdhsa_exception_fp_ieee_inexact 0
		.amdhsa_exception_int_div_zero 0
	.end_amdhsa_kernel
	.section	.text._ZN7rocprim17ROCPRIM_400000_NS6detail17trampoline_kernelINS0_14default_configENS1_20scan_config_selectorIdEEZZNS1_9scan_implILNS1_25lookback_scan_determinismE0ELb0ELb0ES3_PKdPddZZZN2at6native31launch_logcumsumexp_cuda_kernelERKNSB_10TensorBaseESF_lENKUlvE_clEvENKUlvE_clEvEUlddE_dEEDaPvRmT3_T4_T5_mT6_P12ihipStream_tbENKUlT_T0_E_clISt17integral_constantIbLb0EESV_IbLb1EEEEDaSR_SS_EUlSR_E_NS1_11comp_targetILNS1_3genE0ELNS1_11target_archE4294967295ELNS1_3gpuE0ELNS1_3repE0EEENS1_30default_config_static_selectorELNS0_4arch9wavefront6targetE0EEEvT1_,"axG",@progbits,_ZN7rocprim17ROCPRIM_400000_NS6detail17trampoline_kernelINS0_14default_configENS1_20scan_config_selectorIdEEZZNS1_9scan_implILNS1_25lookback_scan_determinismE0ELb0ELb0ES3_PKdPddZZZN2at6native31launch_logcumsumexp_cuda_kernelERKNSB_10TensorBaseESF_lENKUlvE_clEvENKUlvE_clEvEUlddE_dEEDaPvRmT3_T4_T5_mT6_P12ihipStream_tbENKUlT_T0_E_clISt17integral_constantIbLb0EESV_IbLb1EEEEDaSR_SS_EUlSR_E_NS1_11comp_targetILNS1_3genE0ELNS1_11target_archE4294967295ELNS1_3gpuE0ELNS1_3repE0EEENS1_30default_config_static_selectorELNS0_4arch9wavefront6targetE0EEEvT1_,comdat
.Lfunc_end66:
	.size	_ZN7rocprim17ROCPRIM_400000_NS6detail17trampoline_kernelINS0_14default_configENS1_20scan_config_selectorIdEEZZNS1_9scan_implILNS1_25lookback_scan_determinismE0ELb0ELb0ES3_PKdPddZZZN2at6native31launch_logcumsumexp_cuda_kernelERKNSB_10TensorBaseESF_lENKUlvE_clEvENKUlvE_clEvEUlddE_dEEDaPvRmT3_T4_T5_mT6_P12ihipStream_tbENKUlT_T0_E_clISt17integral_constantIbLb0EESV_IbLb1EEEEDaSR_SS_EUlSR_E_NS1_11comp_targetILNS1_3genE0ELNS1_11target_archE4294967295ELNS1_3gpuE0ELNS1_3repE0EEENS1_30default_config_static_selectorELNS0_4arch9wavefront6targetE0EEEvT1_, .Lfunc_end66-_ZN7rocprim17ROCPRIM_400000_NS6detail17trampoline_kernelINS0_14default_configENS1_20scan_config_selectorIdEEZZNS1_9scan_implILNS1_25lookback_scan_determinismE0ELb0ELb0ES3_PKdPddZZZN2at6native31launch_logcumsumexp_cuda_kernelERKNSB_10TensorBaseESF_lENKUlvE_clEvENKUlvE_clEvEUlddE_dEEDaPvRmT3_T4_T5_mT6_P12ihipStream_tbENKUlT_T0_E_clISt17integral_constantIbLb0EESV_IbLb1EEEEDaSR_SS_EUlSR_E_NS1_11comp_targetILNS1_3genE0ELNS1_11target_archE4294967295ELNS1_3gpuE0ELNS1_3repE0EEENS1_30default_config_static_selectorELNS0_4arch9wavefront6targetE0EEEvT1_
                                        ; -- End function
	.set _ZN7rocprim17ROCPRIM_400000_NS6detail17trampoline_kernelINS0_14default_configENS1_20scan_config_selectorIdEEZZNS1_9scan_implILNS1_25lookback_scan_determinismE0ELb0ELb0ES3_PKdPddZZZN2at6native31launch_logcumsumexp_cuda_kernelERKNSB_10TensorBaseESF_lENKUlvE_clEvENKUlvE_clEvEUlddE_dEEDaPvRmT3_T4_T5_mT6_P12ihipStream_tbENKUlT_T0_E_clISt17integral_constantIbLb0EESV_IbLb1EEEEDaSR_SS_EUlSR_E_NS1_11comp_targetILNS1_3genE0ELNS1_11target_archE4294967295ELNS1_3gpuE0ELNS1_3repE0EEENS1_30default_config_static_selectorELNS0_4arch9wavefront6targetE0EEEvT1_.num_vgpr, 0
	.set _ZN7rocprim17ROCPRIM_400000_NS6detail17trampoline_kernelINS0_14default_configENS1_20scan_config_selectorIdEEZZNS1_9scan_implILNS1_25lookback_scan_determinismE0ELb0ELb0ES3_PKdPddZZZN2at6native31launch_logcumsumexp_cuda_kernelERKNSB_10TensorBaseESF_lENKUlvE_clEvENKUlvE_clEvEUlddE_dEEDaPvRmT3_T4_T5_mT6_P12ihipStream_tbENKUlT_T0_E_clISt17integral_constantIbLb0EESV_IbLb1EEEEDaSR_SS_EUlSR_E_NS1_11comp_targetILNS1_3genE0ELNS1_11target_archE4294967295ELNS1_3gpuE0ELNS1_3repE0EEENS1_30default_config_static_selectorELNS0_4arch9wavefront6targetE0EEEvT1_.num_agpr, 0
	.set _ZN7rocprim17ROCPRIM_400000_NS6detail17trampoline_kernelINS0_14default_configENS1_20scan_config_selectorIdEEZZNS1_9scan_implILNS1_25lookback_scan_determinismE0ELb0ELb0ES3_PKdPddZZZN2at6native31launch_logcumsumexp_cuda_kernelERKNSB_10TensorBaseESF_lENKUlvE_clEvENKUlvE_clEvEUlddE_dEEDaPvRmT3_T4_T5_mT6_P12ihipStream_tbENKUlT_T0_E_clISt17integral_constantIbLb0EESV_IbLb1EEEEDaSR_SS_EUlSR_E_NS1_11comp_targetILNS1_3genE0ELNS1_11target_archE4294967295ELNS1_3gpuE0ELNS1_3repE0EEENS1_30default_config_static_selectorELNS0_4arch9wavefront6targetE0EEEvT1_.numbered_sgpr, 0
	.set _ZN7rocprim17ROCPRIM_400000_NS6detail17trampoline_kernelINS0_14default_configENS1_20scan_config_selectorIdEEZZNS1_9scan_implILNS1_25lookback_scan_determinismE0ELb0ELb0ES3_PKdPddZZZN2at6native31launch_logcumsumexp_cuda_kernelERKNSB_10TensorBaseESF_lENKUlvE_clEvENKUlvE_clEvEUlddE_dEEDaPvRmT3_T4_T5_mT6_P12ihipStream_tbENKUlT_T0_E_clISt17integral_constantIbLb0EESV_IbLb1EEEEDaSR_SS_EUlSR_E_NS1_11comp_targetILNS1_3genE0ELNS1_11target_archE4294967295ELNS1_3gpuE0ELNS1_3repE0EEENS1_30default_config_static_selectorELNS0_4arch9wavefront6targetE0EEEvT1_.num_named_barrier, 0
	.set _ZN7rocprim17ROCPRIM_400000_NS6detail17trampoline_kernelINS0_14default_configENS1_20scan_config_selectorIdEEZZNS1_9scan_implILNS1_25lookback_scan_determinismE0ELb0ELb0ES3_PKdPddZZZN2at6native31launch_logcumsumexp_cuda_kernelERKNSB_10TensorBaseESF_lENKUlvE_clEvENKUlvE_clEvEUlddE_dEEDaPvRmT3_T4_T5_mT6_P12ihipStream_tbENKUlT_T0_E_clISt17integral_constantIbLb0EESV_IbLb1EEEEDaSR_SS_EUlSR_E_NS1_11comp_targetILNS1_3genE0ELNS1_11target_archE4294967295ELNS1_3gpuE0ELNS1_3repE0EEENS1_30default_config_static_selectorELNS0_4arch9wavefront6targetE0EEEvT1_.private_seg_size, 0
	.set _ZN7rocprim17ROCPRIM_400000_NS6detail17trampoline_kernelINS0_14default_configENS1_20scan_config_selectorIdEEZZNS1_9scan_implILNS1_25lookback_scan_determinismE0ELb0ELb0ES3_PKdPddZZZN2at6native31launch_logcumsumexp_cuda_kernelERKNSB_10TensorBaseESF_lENKUlvE_clEvENKUlvE_clEvEUlddE_dEEDaPvRmT3_T4_T5_mT6_P12ihipStream_tbENKUlT_T0_E_clISt17integral_constantIbLb0EESV_IbLb1EEEEDaSR_SS_EUlSR_E_NS1_11comp_targetILNS1_3genE0ELNS1_11target_archE4294967295ELNS1_3gpuE0ELNS1_3repE0EEENS1_30default_config_static_selectorELNS0_4arch9wavefront6targetE0EEEvT1_.uses_vcc, 0
	.set _ZN7rocprim17ROCPRIM_400000_NS6detail17trampoline_kernelINS0_14default_configENS1_20scan_config_selectorIdEEZZNS1_9scan_implILNS1_25lookback_scan_determinismE0ELb0ELb0ES3_PKdPddZZZN2at6native31launch_logcumsumexp_cuda_kernelERKNSB_10TensorBaseESF_lENKUlvE_clEvENKUlvE_clEvEUlddE_dEEDaPvRmT3_T4_T5_mT6_P12ihipStream_tbENKUlT_T0_E_clISt17integral_constantIbLb0EESV_IbLb1EEEEDaSR_SS_EUlSR_E_NS1_11comp_targetILNS1_3genE0ELNS1_11target_archE4294967295ELNS1_3gpuE0ELNS1_3repE0EEENS1_30default_config_static_selectorELNS0_4arch9wavefront6targetE0EEEvT1_.uses_flat_scratch, 0
	.set _ZN7rocprim17ROCPRIM_400000_NS6detail17trampoline_kernelINS0_14default_configENS1_20scan_config_selectorIdEEZZNS1_9scan_implILNS1_25lookback_scan_determinismE0ELb0ELb0ES3_PKdPddZZZN2at6native31launch_logcumsumexp_cuda_kernelERKNSB_10TensorBaseESF_lENKUlvE_clEvENKUlvE_clEvEUlddE_dEEDaPvRmT3_T4_T5_mT6_P12ihipStream_tbENKUlT_T0_E_clISt17integral_constantIbLb0EESV_IbLb1EEEEDaSR_SS_EUlSR_E_NS1_11comp_targetILNS1_3genE0ELNS1_11target_archE4294967295ELNS1_3gpuE0ELNS1_3repE0EEENS1_30default_config_static_selectorELNS0_4arch9wavefront6targetE0EEEvT1_.has_dyn_sized_stack, 0
	.set _ZN7rocprim17ROCPRIM_400000_NS6detail17trampoline_kernelINS0_14default_configENS1_20scan_config_selectorIdEEZZNS1_9scan_implILNS1_25lookback_scan_determinismE0ELb0ELb0ES3_PKdPddZZZN2at6native31launch_logcumsumexp_cuda_kernelERKNSB_10TensorBaseESF_lENKUlvE_clEvENKUlvE_clEvEUlddE_dEEDaPvRmT3_T4_T5_mT6_P12ihipStream_tbENKUlT_T0_E_clISt17integral_constantIbLb0EESV_IbLb1EEEEDaSR_SS_EUlSR_E_NS1_11comp_targetILNS1_3genE0ELNS1_11target_archE4294967295ELNS1_3gpuE0ELNS1_3repE0EEENS1_30default_config_static_selectorELNS0_4arch9wavefront6targetE0EEEvT1_.has_recursion, 0
	.set _ZN7rocprim17ROCPRIM_400000_NS6detail17trampoline_kernelINS0_14default_configENS1_20scan_config_selectorIdEEZZNS1_9scan_implILNS1_25lookback_scan_determinismE0ELb0ELb0ES3_PKdPddZZZN2at6native31launch_logcumsumexp_cuda_kernelERKNSB_10TensorBaseESF_lENKUlvE_clEvENKUlvE_clEvEUlddE_dEEDaPvRmT3_T4_T5_mT6_P12ihipStream_tbENKUlT_T0_E_clISt17integral_constantIbLb0EESV_IbLb1EEEEDaSR_SS_EUlSR_E_NS1_11comp_targetILNS1_3genE0ELNS1_11target_archE4294967295ELNS1_3gpuE0ELNS1_3repE0EEENS1_30default_config_static_selectorELNS0_4arch9wavefront6targetE0EEEvT1_.has_indirect_call, 0
	.section	.AMDGPU.csdata,"",@progbits
; Kernel info:
; codeLenInByte = 0
; TotalNumSgprs: 0
; NumVgprs: 0
; ScratchSize: 0
; MemoryBound: 0
; FloatMode: 240
; IeeeMode: 1
; LDSByteSize: 0 bytes/workgroup (compile time only)
; SGPRBlocks: 0
; VGPRBlocks: 0
; NumSGPRsForWavesPerEU: 1
; NumVGPRsForWavesPerEU: 1
; Occupancy: 16
; WaveLimiterHint : 0
; COMPUTE_PGM_RSRC2:SCRATCH_EN: 0
; COMPUTE_PGM_RSRC2:USER_SGPR: 2
; COMPUTE_PGM_RSRC2:TRAP_HANDLER: 0
; COMPUTE_PGM_RSRC2:TGID_X_EN: 1
; COMPUTE_PGM_RSRC2:TGID_Y_EN: 0
; COMPUTE_PGM_RSRC2:TGID_Z_EN: 0
; COMPUTE_PGM_RSRC2:TIDIG_COMP_CNT: 0
	.section	.text._ZN7rocprim17ROCPRIM_400000_NS6detail17trampoline_kernelINS0_14default_configENS1_20scan_config_selectorIdEEZZNS1_9scan_implILNS1_25lookback_scan_determinismE0ELb0ELb0ES3_PKdPddZZZN2at6native31launch_logcumsumexp_cuda_kernelERKNSB_10TensorBaseESF_lENKUlvE_clEvENKUlvE_clEvEUlddE_dEEDaPvRmT3_T4_T5_mT6_P12ihipStream_tbENKUlT_T0_E_clISt17integral_constantIbLb0EESV_IbLb1EEEEDaSR_SS_EUlSR_E_NS1_11comp_targetILNS1_3genE5ELNS1_11target_archE942ELNS1_3gpuE9ELNS1_3repE0EEENS1_30default_config_static_selectorELNS0_4arch9wavefront6targetE0EEEvT1_,"axG",@progbits,_ZN7rocprim17ROCPRIM_400000_NS6detail17trampoline_kernelINS0_14default_configENS1_20scan_config_selectorIdEEZZNS1_9scan_implILNS1_25lookback_scan_determinismE0ELb0ELb0ES3_PKdPddZZZN2at6native31launch_logcumsumexp_cuda_kernelERKNSB_10TensorBaseESF_lENKUlvE_clEvENKUlvE_clEvEUlddE_dEEDaPvRmT3_T4_T5_mT6_P12ihipStream_tbENKUlT_T0_E_clISt17integral_constantIbLb0EESV_IbLb1EEEEDaSR_SS_EUlSR_E_NS1_11comp_targetILNS1_3genE5ELNS1_11target_archE942ELNS1_3gpuE9ELNS1_3repE0EEENS1_30default_config_static_selectorELNS0_4arch9wavefront6targetE0EEEvT1_,comdat
	.globl	_ZN7rocprim17ROCPRIM_400000_NS6detail17trampoline_kernelINS0_14default_configENS1_20scan_config_selectorIdEEZZNS1_9scan_implILNS1_25lookback_scan_determinismE0ELb0ELb0ES3_PKdPddZZZN2at6native31launch_logcumsumexp_cuda_kernelERKNSB_10TensorBaseESF_lENKUlvE_clEvENKUlvE_clEvEUlddE_dEEDaPvRmT3_T4_T5_mT6_P12ihipStream_tbENKUlT_T0_E_clISt17integral_constantIbLb0EESV_IbLb1EEEEDaSR_SS_EUlSR_E_NS1_11comp_targetILNS1_3genE5ELNS1_11target_archE942ELNS1_3gpuE9ELNS1_3repE0EEENS1_30default_config_static_selectorELNS0_4arch9wavefront6targetE0EEEvT1_ ; -- Begin function _ZN7rocprim17ROCPRIM_400000_NS6detail17trampoline_kernelINS0_14default_configENS1_20scan_config_selectorIdEEZZNS1_9scan_implILNS1_25lookback_scan_determinismE0ELb0ELb0ES3_PKdPddZZZN2at6native31launch_logcumsumexp_cuda_kernelERKNSB_10TensorBaseESF_lENKUlvE_clEvENKUlvE_clEvEUlddE_dEEDaPvRmT3_T4_T5_mT6_P12ihipStream_tbENKUlT_T0_E_clISt17integral_constantIbLb0EESV_IbLb1EEEEDaSR_SS_EUlSR_E_NS1_11comp_targetILNS1_3genE5ELNS1_11target_archE942ELNS1_3gpuE9ELNS1_3repE0EEENS1_30default_config_static_selectorELNS0_4arch9wavefront6targetE0EEEvT1_
	.p2align	8
	.type	_ZN7rocprim17ROCPRIM_400000_NS6detail17trampoline_kernelINS0_14default_configENS1_20scan_config_selectorIdEEZZNS1_9scan_implILNS1_25lookback_scan_determinismE0ELb0ELb0ES3_PKdPddZZZN2at6native31launch_logcumsumexp_cuda_kernelERKNSB_10TensorBaseESF_lENKUlvE_clEvENKUlvE_clEvEUlddE_dEEDaPvRmT3_T4_T5_mT6_P12ihipStream_tbENKUlT_T0_E_clISt17integral_constantIbLb0EESV_IbLb1EEEEDaSR_SS_EUlSR_E_NS1_11comp_targetILNS1_3genE5ELNS1_11target_archE942ELNS1_3gpuE9ELNS1_3repE0EEENS1_30default_config_static_selectorELNS0_4arch9wavefront6targetE0EEEvT1_,@function
_ZN7rocprim17ROCPRIM_400000_NS6detail17trampoline_kernelINS0_14default_configENS1_20scan_config_selectorIdEEZZNS1_9scan_implILNS1_25lookback_scan_determinismE0ELb0ELb0ES3_PKdPddZZZN2at6native31launch_logcumsumexp_cuda_kernelERKNSB_10TensorBaseESF_lENKUlvE_clEvENKUlvE_clEvEUlddE_dEEDaPvRmT3_T4_T5_mT6_P12ihipStream_tbENKUlT_T0_E_clISt17integral_constantIbLb0EESV_IbLb1EEEEDaSR_SS_EUlSR_E_NS1_11comp_targetILNS1_3genE5ELNS1_11target_archE942ELNS1_3gpuE9ELNS1_3repE0EEENS1_30default_config_static_selectorELNS0_4arch9wavefront6targetE0EEEvT1_: ; @_ZN7rocprim17ROCPRIM_400000_NS6detail17trampoline_kernelINS0_14default_configENS1_20scan_config_selectorIdEEZZNS1_9scan_implILNS1_25lookback_scan_determinismE0ELb0ELb0ES3_PKdPddZZZN2at6native31launch_logcumsumexp_cuda_kernelERKNSB_10TensorBaseESF_lENKUlvE_clEvENKUlvE_clEvEUlddE_dEEDaPvRmT3_T4_T5_mT6_P12ihipStream_tbENKUlT_T0_E_clISt17integral_constantIbLb0EESV_IbLb1EEEEDaSR_SS_EUlSR_E_NS1_11comp_targetILNS1_3genE5ELNS1_11target_archE942ELNS1_3gpuE9ELNS1_3repE0EEENS1_30default_config_static_selectorELNS0_4arch9wavefront6targetE0EEEvT1_
; %bb.0:
	.section	.rodata,"a",@progbits
	.p2align	6, 0x0
	.amdhsa_kernel _ZN7rocprim17ROCPRIM_400000_NS6detail17trampoline_kernelINS0_14default_configENS1_20scan_config_selectorIdEEZZNS1_9scan_implILNS1_25lookback_scan_determinismE0ELb0ELb0ES3_PKdPddZZZN2at6native31launch_logcumsumexp_cuda_kernelERKNSB_10TensorBaseESF_lENKUlvE_clEvENKUlvE_clEvEUlddE_dEEDaPvRmT3_T4_T5_mT6_P12ihipStream_tbENKUlT_T0_E_clISt17integral_constantIbLb0EESV_IbLb1EEEEDaSR_SS_EUlSR_E_NS1_11comp_targetILNS1_3genE5ELNS1_11target_archE942ELNS1_3gpuE9ELNS1_3repE0EEENS1_30default_config_static_selectorELNS0_4arch9wavefront6targetE0EEEvT1_
		.amdhsa_group_segment_fixed_size 0
		.amdhsa_private_segment_fixed_size 0
		.amdhsa_kernarg_size 104
		.amdhsa_user_sgpr_count 2
		.amdhsa_user_sgpr_dispatch_ptr 0
		.amdhsa_user_sgpr_queue_ptr 0
		.amdhsa_user_sgpr_kernarg_segment_ptr 1
		.amdhsa_user_sgpr_dispatch_id 0
		.amdhsa_user_sgpr_private_segment_size 0
		.amdhsa_wavefront_size32 1
		.amdhsa_uses_dynamic_stack 0
		.amdhsa_enable_private_segment 0
		.amdhsa_system_sgpr_workgroup_id_x 1
		.amdhsa_system_sgpr_workgroup_id_y 0
		.amdhsa_system_sgpr_workgroup_id_z 0
		.amdhsa_system_sgpr_workgroup_info 0
		.amdhsa_system_vgpr_workitem_id 0
		.amdhsa_next_free_vgpr 1
		.amdhsa_next_free_sgpr 1
		.amdhsa_reserve_vcc 0
		.amdhsa_float_round_mode_32 0
		.amdhsa_float_round_mode_16_64 0
		.amdhsa_float_denorm_mode_32 3
		.amdhsa_float_denorm_mode_16_64 3
		.amdhsa_fp16_overflow 0
		.amdhsa_workgroup_processor_mode 1
		.amdhsa_memory_ordered 1
		.amdhsa_forward_progress 1
		.amdhsa_inst_pref_size 0
		.amdhsa_round_robin_scheduling 0
		.amdhsa_exception_fp_ieee_invalid_op 0
		.amdhsa_exception_fp_denorm_src 0
		.amdhsa_exception_fp_ieee_div_zero 0
		.amdhsa_exception_fp_ieee_overflow 0
		.amdhsa_exception_fp_ieee_underflow 0
		.amdhsa_exception_fp_ieee_inexact 0
		.amdhsa_exception_int_div_zero 0
	.end_amdhsa_kernel
	.section	.text._ZN7rocprim17ROCPRIM_400000_NS6detail17trampoline_kernelINS0_14default_configENS1_20scan_config_selectorIdEEZZNS1_9scan_implILNS1_25lookback_scan_determinismE0ELb0ELb0ES3_PKdPddZZZN2at6native31launch_logcumsumexp_cuda_kernelERKNSB_10TensorBaseESF_lENKUlvE_clEvENKUlvE_clEvEUlddE_dEEDaPvRmT3_T4_T5_mT6_P12ihipStream_tbENKUlT_T0_E_clISt17integral_constantIbLb0EESV_IbLb1EEEEDaSR_SS_EUlSR_E_NS1_11comp_targetILNS1_3genE5ELNS1_11target_archE942ELNS1_3gpuE9ELNS1_3repE0EEENS1_30default_config_static_selectorELNS0_4arch9wavefront6targetE0EEEvT1_,"axG",@progbits,_ZN7rocprim17ROCPRIM_400000_NS6detail17trampoline_kernelINS0_14default_configENS1_20scan_config_selectorIdEEZZNS1_9scan_implILNS1_25lookback_scan_determinismE0ELb0ELb0ES3_PKdPddZZZN2at6native31launch_logcumsumexp_cuda_kernelERKNSB_10TensorBaseESF_lENKUlvE_clEvENKUlvE_clEvEUlddE_dEEDaPvRmT3_T4_T5_mT6_P12ihipStream_tbENKUlT_T0_E_clISt17integral_constantIbLb0EESV_IbLb1EEEEDaSR_SS_EUlSR_E_NS1_11comp_targetILNS1_3genE5ELNS1_11target_archE942ELNS1_3gpuE9ELNS1_3repE0EEENS1_30default_config_static_selectorELNS0_4arch9wavefront6targetE0EEEvT1_,comdat
.Lfunc_end67:
	.size	_ZN7rocprim17ROCPRIM_400000_NS6detail17trampoline_kernelINS0_14default_configENS1_20scan_config_selectorIdEEZZNS1_9scan_implILNS1_25lookback_scan_determinismE0ELb0ELb0ES3_PKdPddZZZN2at6native31launch_logcumsumexp_cuda_kernelERKNSB_10TensorBaseESF_lENKUlvE_clEvENKUlvE_clEvEUlddE_dEEDaPvRmT3_T4_T5_mT6_P12ihipStream_tbENKUlT_T0_E_clISt17integral_constantIbLb0EESV_IbLb1EEEEDaSR_SS_EUlSR_E_NS1_11comp_targetILNS1_3genE5ELNS1_11target_archE942ELNS1_3gpuE9ELNS1_3repE0EEENS1_30default_config_static_selectorELNS0_4arch9wavefront6targetE0EEEvT1_, .Lfunc_end67-_ZN7rocprim17ROCPRIM_400000_NS6detail17trampoline_kernelINS0_14default_configENS1_20scan_config_selectorIdEEZZNS1_9scan_implILNS1_25lookback_scan_determinismE0ELb0ELb0ES3_PKdPddZZZN2at6native31launch_logcumsumexp_cuda_kernelERKNSB_10TensorBaseESF_lENKUlvE_clEvENKUlvE_clEvEUlddE_dEEDaPvRmT3_T4_T5_mT6_P12ihipStream_tbENKUlT_T0_E_clISt17integral_constantIbLb0EESV_IbLb1EEEEDaSR_SS_EUlSR_E_NS1_11comp_targetILNS1_3genE5ELNS1_11target_archE942ELNS1_3gpuE9ELNS1_3repE0EEENS1_30default_config_static_selectorELNS0_4arch9wavefront6targetE0EEEvT1_
                                        ; -- End function
	.set _ZN7rocprim17ROCPRIM_400000_NS6detail17trampoline_kernelINS0_14default_configENS1_20scan_config_selectorIdEEZZNS1_9scan_implILNS1_25lookback_scan_determinismE0ELb0ELb0ES3_PKdPddZZZN2at6native31launch_logcumsumexp_cuda_kernelERKNSB_10TensorBaseESF_lENKUlvE_clEvENKUlvE_clEvEUlddE_dEEDaPvRmT3_T4_T5_mT6_P12ihipStream_tbENKUlT_T0_E_clISt17integral_constantIbLb0EESV_IbLb1EEEEDaSR_SS_EUlSR_E_NS1_11comp_targetILNS1_3genE5ELNS1_11target_archE942ELNS1_3gpuE9ELNS1_3repE0EEENS1_30default_config_static_selectorELNS0_4arch9wavefront6targetE0EEEvT1_.num_vgpr, 0
	.set _ZN7rocprim17ROCPRIM_400000_NS6detail17trampoline_kernelINS0_14default_configENS1_20scan_config_selectorIdEEZZNS1_9scan_implILNS1_25lookback_scan_determinismE0ELb0ELb0ES3_PKdPddZZZN2at6native31launch_logcumsumexp_cuda_kernelERKNSB_10TensorBaseESF_lENKUlvE_clEvENKUlvE_clEvEUlddE_dEEDaPvRmT3_T4_T5_mT6_P12ihipStream_tbENKUlT_T0_E_clISt17integral_constantIbLb0EESV_IbLb1EEEEDaSR_SS_EUlSR_E_NS1_11comp_targetILNS1_3genE5ELNS1_11target_archE942ELNS1_3gpuE9ELNS1_3repE0EEENS1_30default_config_static_selectorELNS0_4arch9wavefront6targetE0EEEvT1_.num_agpr, 0
	.set _ZN7rocprim17ROCPRIM_400000_NS6detail17trampoline_kernelINS0_14default_configENS1_20scan_config_selectorIdEEZZNS1_9scan_implILNS1_25lookback_scan_determinismE0ELb0ELb0ES3_PKdPddZZZN2at6native31launch_logcumsumexp_cuda_kernelERKNSB_10TensorBaseESF_lENKUlvE_clEvENKUlvE_clEvEUlddE_dEEDaPvRmT3_T4_T5_mT6_P12ihipStream_tbENKUlT_T0_E_clISt17integral_constantIbLb0EESV_IbLb1EEEEDaSR_SS_EUlSR_E_NS1_11comp_targetILNS1_3genE5ELNS1_11target_archE942ELNS1_3gpuE9ELNS1_3repE0EEENS1_30default_config_static_selectorELNS0_4arch9wavefront6targetE0EEEvT1_.numbered_sgpr, 0
	.set _ZN7rocprim17ROCPRIM_400000_NS6detail17trampoline_kernelINS0_14default_configENS1_20scan_config_selectorIdEEZZNS1_9scan_implILNS1_25lookback_scan_determinismE0ELb0ELb0ES3_PKdPddZZZN2at6native31launch_logcumsumexp_cuda_kernelERKNSB_10TensorBaseESF_lENKUlvE_clEvENKUlvE_clEvEUlddE_dEEDaPvRmT3_T4_T5_mT6_P12ihipStream_tbENKUlT_T0_E_clISt17integral_constantIbLb0EESV_IbLb1EEEEDaSR_SS_EUlSR_E_NS1_11comp_targetILNS1_3genE5ELNS1_11target_archE942ELNS1_3gpuE9ELNS1_3repE0EEENS1_30default_config_static_selectorELNS0_4arch9wavefront6targetE0EEEvT1_.num_named_barrier, 0
	.set _ZN7rocprim17ROCPRIM_400000_NS6detail17trampoline_kernelINS0_14default_configENS1_20scan_config_selectorIdEEZZNS1_9scan_implILNS1_25lookback_scan_determinismE0ELb0ELb0ES3_PKdPddZZZN2at6native31launch_logcumsumexp_cuda_kernelERKNSB_10TensorBaseESF_lENKUlvE_clEvENKUlvE_clEvEUlddE_dEEDaPvRmT3_T4_T5_mT6_P12ihipStream_tbENKUlT_T0_E_clISt17integral_constantIbLb0EESV_IbLb1EEEEDaSR_SS_EUlSR_E_NS1_11comp_targetILNS1_3genE5ELNS1_11target_archE942ELNS1_3gpuE9ELNS1_3repE0EEENS1_30default_config_static_selectorELNS0_4arch9wavefront6targetE0EEEvT1_.private_seg_size, 0
	.set _ZN7rocprim17ROCPRIM_400000_NS6detail17trampoline_kernelINS0_14default_configENS1_20scan_config_selectorIdEEZZNS1_9scan_implILNS1_25lookback_scan_determinismE0ELb0ELb0ES3_PKdPddZZZN2at6native31launch_logcumsumexp_cuda_kernelERKNSB_10TensorBaseESF_lENKUlvE_clEvENKUlvE_clEvEUlddE_dEEDaPvRmT3_T4_T5_mT6_P12ihipStream_tbENKUlT_T0_E_clISt17integral_constantIbLb0EESV_IbLb1EEEEDaSR_SS_EUlSR_E_NS1_11comp_targetILNS1_3genE5ELNS1_11target_archE942ELNS1_3gpuE9ELNS1_3repE0EEENS1_30default_config_static_selectorELNS0_4arch9wavefront6targetE0EEEvT1_.uses_vcc, 0
	.set _ZN7rocprim17ROCPRIM_400000_NS6detail17trampoline_kernelINS0_14default_configENS1_20scan_config_selectorIdEEZZNS1_9scan_implILNS1_25lookback_scan_determinismE0ELb0ELb0ES3_PKdPddZZZN2at6native31launch_logcumsumexp_cuda_kernelERKNSB_10TensorBaseESF_lENKUlvE_clEvENKUlvE_clEvEUlddE_dEEDaPvRmT3_T4_T5_mT6_P12ihipStream_tbENKUlT_T0_E_clISt17integral_constantIbLb0EESV_IbLb1EEEEDaSR_SS_EUlSR_E_NS1_11comp_targetILNS1_3genE5ELNS1_11target_archE942ELNS1_3gpuE9ELNS1_3repE0EEENS1_30default_config_static_selectorELNS0_4arch9wavefront6targetE0EEEvT1_.uses_flat_scratch, 0
	.set _ZN7rocprim17ROCPRIM_400000_NS6detail17trampoline_kernelINS0_14default_configENS1_20scan_config_selectorIdEEZZNS1_9scan_implILNS1_25lookback_scan_determinismE0ELb0ELb0ES3_PKdPddZZZN2at6native31launch_logcumsumexp_cuda_kernelERKNSB_10TensorBaseESF_lENKUlvE_clEvENKUlvE_clEvEUlddE_dEEDaPvRmT3_T4_T5_mT6_P12ihipStream_tbENKUlT_T0_E_clISt17integral_constantIbLb0EESV_IbLb1EEEEDaSR_SS_EUlSR_E_NS1_11comp_targetILNS1_3genE5ELNS1_11target_archE942ELNS1_3gpuE9ELNS1_3repE0EEENS1_30default_config_static_selectorELNS0_4arch9wavefront6targetE0EEEvT1_.has_dyn_sized_stack, 0
	.set _ZN7rocprim17ROCPRIM_400000_NS6detail17trampoline_kernelINS0_14default_configENS1_20scan_config_selectorIdEEZZNS1_9scan_implILNS1_25lookback_scan_determinismE0ELb0ELb0ES3_PKdPddZZZN2at6native31launch_logcumsumexp_cuda_kernelERKNSB_10TensorBaseESF_lENKUlvE_clEvENKUlvE_clEvEUlddE_dEEDaPvRmT3_T4_T5_mT6_P12ihipStream_tbENKUlT_T0_E_clISt17integral_constantIbLb0EESV_IbLb1EEEEDaSR_SS_EUlSR_E_NS1_11comp_targetILNS1_3genE5ELNS1_11target_archE942ELNS1_3gpuE9ELNS1_3repE0EEENS1_30default_config_static_selectorELNS0_4arch9wavefront6targetE0EEEvT1_.has_recursion, 0
	.set _ZN7rocprim17ROCPRIM_400000_NS6detail17trampoline_kernelINS0_14default_configENS1_20scan_config_selectorIdEEZZNS1_9scan_implILNS1_25lookback_scan_determinismE0ELb0ELb0ES3_PKdPddZZZN2at6native31launch_logcumsumexp_cuda_kernelERKNSB_10TensorBaseESF_lENKUlvE_clEvENKUlvE_clEvEUlddE_dEEDaPvRmT3_T4_T5_mT6_P12ihipStream_tbENKUlT_T0_E_clISt17integral_constantIbLb0EESV_IbLb1EEEEDaSR_SS_EUlSR_E_NS1_11comp_targetILNS1_3genE5ELNS1_11target_archE942ELNS1_3gpuE9ELNS1_3repE0EEENS1_30default_config_static_selectorELNS0_4arch9wavefront6targetE0EEEvT1_.has_indirect_call, 0
	.section	.AMDGPU.csdata,"",@progbits
; Kernel info:
; codeLenInByte = 0
; TotalNumSgprs: 0
; NumVgprs: 0
; ScratchSize: 0
; MemoryBound: 0
; FloatMode: 240
; IeeeMode: 1
; LDSByteSize: 0 bytes/workgroup (compile time only)
; SGPRBlocks: 0
; VGPRBlocks: 0
; NumSGPRsForWavesPerEU: 1
; NumVGPRsForWavesPerEU: 1
; Occupancy: 16
; WaveLimiterHint : 0
; COMPUTE_PGM_RSRC2:SCRATCH_EN: 0
; COMPUTE_PGM_RSRC2:USER_SGPR: 2
; COMPUTE_PGM_RSRC2:TRAP_HANDLER: 0
; COMPUTE_PGM_RSRC2:TGID_X_EN: 1
; COMPUTE_PGM_RSRC2:TGID_Y_EN: 0
; COMPUTE_PGM_RSRC2:TGID_Z_EN: 0
; COMPUTE_PGM_RSRC2:TIDIG_COMP_CNT: 0
	.section	.text._ZN7rocprim17ROCPRIM_400000_NS6detail17trampoline_kernelINS0_14default_configENS1_20scan_config_selectorIdEEZZNS1_9scan_implILNS1_25lookback_scan_determinismE0ELb0ELb0ES3_PKdPddZZZN2at6native31launch_logcumsumexp_cuda_kernelERKNSB_10TensorBaseESF_lENKUlvE_clEvENKUlvE_clEvEUlddE_dEEDaPvRmT3_T4_T5_mT6_P12ihipStream_tbENKUlT_T0_E_clISt17integral_constantIbLb0EESV_IbLb1EEEEDaSR_SS_EUlSR_E_NS1_11comp_targetILNS1_3genE4ELNS1_11target_archE910ELNS1_3gpuE8ELNS1_3repE0EEENS1_30default_config_static_selectorELNS0_4arch9wavefront6targetE0EEEvT1_,"axG",@progbits,_ZN7rocprim17ROCPRIM_400000_NS6detail17trampoline_kernelINS0_14default_configENS1_20scan_config_selectorIdEEZZNS1_9scan_implILNS1_25lookback_scan_determinismE0ELb0ELb0ES3_PKdPddZZZN2at6native31launch_logcumsumexp_cuda_kernelERKNSB_10TensorBaseESF_lENKUlvE_clEvENKUlvE_clEvEUlddE_dEEDaPvRmT3_T4_T5_mT6_P12ihipStream_tbENKUlT_T0_E_clISt17integral_constantIbLb0EESV_IbLb1EEEEDaSR_SS_EUlSR_E_NS1_11comp_targetILNS1_3genE4ELNS1_11target_archE910ELNS1_3gpuE8ELNS1_3repE0EEENS1_30default_config_static_selectorELNS0_4arch9wavefront6targetE0EEEvT1_,comdat
	.globl	_ZN7rocprim17ROCPRIM_400000_NS6detail17trampoline_kernelINS0_14default_configENS1_20scan_config_selectorIdEEZZNS1_9scan_implILNS1_25lookback_scan_determinismE0ELb0ELb0ES3_PKdPddZZZN2at6native31launch_logcumsumexp_cuda_kernelERKNSB_10TensorBaseESF_lENKUlvE_clEvENKUlvE_clEvEUlddE_dEEDaPvRmT3_T4_T5_mT6_P12ihipStream_tbENKUlT_T0_E_clISt17integral_constantIbLb0EESV_IbLb1EEEEDaSR_SS_EUlSR_E_NS1_11comp_targetILNS1_3genE4ELNS1_11target_archE910ELNS1_3gpuE8ELNS1_3repE0EEENS1_30default_config_static_selectorELNS0_4arch9wavefront6targetE0EEEvT1_ ; -- Begin function _ZN7rocprim17ROCPRIM_400000_NS6detail17trampoline_kernelINS0_14default_configENS1_20scan_config_selectorIdEEZZNS1_9scan_implILNS1_25lookback_scan_determinismE0ELb0ELb0ES3_PKdPddZZZN2at6native31launch_logcumsumexp_cuda_kernelERKNSB_10TensorBaseESF_lENKUlvE_clEvENKUlvE_clEvEUlddE_dEEDaPvRmT3_T4_T5_mT6_P12ihipStream_tbENKUlT_T0_E_clISt17integral_constantIbLb0EESV_IbLb1EEEEDaSR_SS_EUlSR_E_NS1_11comp_targetILNS1_3genE4ELNS1_11target_archE910ELNS1_3gpuE8ELNS1_3repE0EEENS1_30default_config_static_selectorELNS0_4arch9wavefront6targetE0EEEvT1_
	.p2align	8
	.type	_ZN7rocprim17ROCPRIM_400000_NS6detail17trampoline_kernelINS0_14default_configENS1_20scan_config_selectorIdEEZZNS1_9scan_implILNS1_25lookback_scan_determinismE0ELb0ELb0ES3_PKdPddZZZN2at6native31launch_logcumsumexp_cuda_kernelERKNSB_10TensorBaseESF_lENKUlvE_clEvENKUlvE_clEvEUlddE_dEEDaPvRmT3_T4_T5_mT6_P12ihipStream_tbENKUlT_T0_E_clISt17integral_constantIbLb0EESV_IbLb1EEEEDaSR_SS_EUlSR_E_NS1_11comp_targetILNS1_3genE4ELNS1_11target_archE910ELNS1_3gpuE8ELNS1_3repE0EEENS1_30default_config_static_selectorELNS0_4arch9wavefront6targetE0EEEvT1_,@function
_ZN7rocprim17ROCPRIM_400000_NS6detail17trampoline_kernelINS0_14default_configENS1_20scan_config_selectorIdEEZZNS1_9scan_implILNS1_25lookback_scan_determinismE0ELb0ELb0ES3_PKdPddZZZN2at6native31launch_logcumsumexp_cuda_kernelERKNSB_10TensorBaseESF_lENKUlvE_clEvENKUlvE_clEvEUlddE_dEEDaPvRmT3_T4_T5_mT6_P12ihipStream_tbENKUlT_T0_E_clISt17integral_constantIbLb0EESV_IbLb1EEEEDaSR_SS_EUlSR_E_NS1_11comp_targetILNS1_3genE4ELNS1_11target_archE910ELNS1_3gpuE8ELNS1_3repE0EEENS1_30default_config_static_selectorELNS0_4arch9wavefront6targetE0EEEvT1_: ; @_ZN7rocprim17ROCPRIM_400000_NS6detail17trampoline_kernelINS0_14default_configENS1_20scan_config_selectorIdEEZZNS1_9scan_implILNS1_25lookback_scan_determinismE0ELb0ELb0ES3_PKdPddZZZN2at6native31launch_logcumsumexp_cuda_kernelERKNSB_10TensorBaseESF_lENKUlvE_clEvENKUlvE_clEvEUlddE_dEEDaPvRmT3_T4_T5_mT6_P12ihipStream_tbENKUlT_T0_E_clISt17integral_constantIbLb0EESV_IbLb1EEEEDaSR_SS_EUlSR_E_NS1_11comp_targetILNS1_3genE4ELNS1_11target_archE910ELNS1_3gpuE8ELNS1_3repE0EEENS1_30default_config_static_selectorELNS0_4arch9wavefront6targetE0EEEvT1_
; %bb.0:
	.section	.rodata,"a",@progbits
	.p2align	6, 0x0
	.amdhsa_kernel _ZN7rocprim17ROCPRIM_400000_NS6detail17trampoline_kernelINS0_14default_configENS1_20scan_config_selectorIdEEZZNS1_9scan_implILNS1_25lookback_scan_determinismE0ELb0ELb0ES3_PKdPddZZZN2at6native31launch_logcumsumexp_cuda_kernelERKNSB_10TensorBaseESF_lENKUlvE_clEvENKUlvE_clEvEUlddE_dEEDaPvRmT3_T4_T5_mT6_P12ihipStream_tbENKUlT_T0_E_clISt17integral_constantIbLb0EESV_IbLb1EEEEDaSR_SS_EUlSR_E_NS1_11comp_targetILNS1_3genE4ELNS1_11target_archE910ELNS1_3gpuE8ELNS1_3repE0EEENS1_30default_config_static_selectorELNS0_4arch9wavefront6targetE0EEEvT1_
		.amdhsa_group_segment_fixed_size 0
		.amdhsa_private_segment_fixed_size 0
		.amdhsa_kernarg_size 104
		.amdhsa_user_sgpr_count 2
		.amdhsa_user_sgpr_dispatch_ptr 0
		.amdhsa_user_sgpr_queue_ptr 0
		.amdhsa_user_sgpr_kernarg_segment_ptr 1
		.amdhsa_user_sgpr_dispatch_id 0
		.amdhsa_user_sgpr_private_segment_size 0
		.amdhsa_wavefront_size32 1
		.amdhsa_uses_dynamic_stack 0
		.amdhsa_enable_private_segment 0
		.amdhsa_system_sgpr_workgroup_id_x 1
		.amdhsa_system_sgpr_workgroup_id_y 0
		.amdhsa_system_sgpr_workgroup_id_z 0
		.amdhsa_system_sgpr_workgroup_info 0
		.amdhsa_system_vgpr_workitem_id 0
		.amdhsa_next_free_vgpr 1
		.amdhsa_next_free_sgpr 1
		.amdhsa_reserve_vcc 0
		.amdhsa_float_round_mode_32 0
		.amdhsa_float_round_mode_16_64 0
		.amdhsa_float_denorm_mode_32 3
		.amdhsa_float_denorm_mode_16_64 3
		.amdhsa_fp16_overflow 0
		.amdhsa_workgroup_processor_mode 1
		.amdhsa_memory_ordered 1
		.amdhsa_forward_progress 1
		.amdhsa_inst_pref_size 0
		.amdhsa_round_robin_scheduling 0
		.amdhsa_exception_fp_ieee_invalid_op 0
		.amdhsa_exception_fp_denorm_src 0
		.amdhsa_exception_fp_ieee_div_zero 0
		.amdhsa_exception_fp_ieee_overflow 0
		.amdhsa_exception_fp_ieee_underflow 0
		.amdhsa_exception_fp_ieee_inexact 0
		.amdhsa_exception_int_div_zero 0
	.end_amdhsa_kernel
	.section	.text._ZN7rocprim17ROCPRIM_400000_NS6detail17trampoline_kernelINS0_14default_configENS1_20scan_config_selectorIdEEZZNS1_9scan_implILNS1_25lookback_scan_determinismE0ELb0ELb0ES3_PKdPddZZZN2at6native31launch_logcumsumexp_cuda_kernelERKNSB_10TensorBaseESF_lENKUlvE_clEvENKUlvE_clEvEUlddE_dEEDaPvRmT3_T4_T5_mT6_P12ihipStream_tbENKUlT_T0_E_clISt17integral_constantIbLb0EESV_IbLb1EEEEDaSR_SS_EUlSR_E_NS1_11comp_targetILNS1_3genE4ELNS1_11target_archE910ELNS1_3gpuE8ELNS1_3repE0EEENS1_30default_config_static_selectorELNS0_4arch9wavefront6targetE0EEEvT1_,"axG",@progbits,_ZN7rocprim17ROCPRIM_400000_NS6detail17trampoline_kernelINS0_14default_configENS1_20scan_config_selectorIdEEZZNS1_9scan_implILNS1_25lookback_scan_determinismE0ELb0ELb0ES3_PKdPddZZZN2at6native31launch_logcumsumexp_cuda_kernelERKNSB_10TensorBaseESF_lENKUlvE_clEvENKUlvE_clEvEUlddE_dEEDaPvRmT3_T4_T5_mT6_P12ihipStream_tbENKUlT_T0_E_clISt17integral_constantIbLb0EESV_IbLb1EEEEDaSR_SS_EUlSR_E_NS1_11comp_targetILNS1_3genE4ELNS1_11target_archE910ELNS1_3gpuE8ELNS1_3repE0EEENS1_30default_config_static_selectorELNS0_4arch9wavefront6targetE0EEEvT1_,comdat
.Lfunc_end68:
	.size	_ZN7rocprim17ROCPRIM_400000_NS6detail17trampoline_kernelINS0_14default_configENS1_20scan_config_selectorIdEEZZNS1_9scan_implILNS1_25lookback_scan_determinismE0ELb0ELb0ES3_PKdPddZZZN2at6native31launch_logcumsumexp_cuda_kernelERKNSB_10TensorBaseESF_lENKUlvE_clEvENKUlvE_clEvEUlddE_dEEDaPvRmT3_T4_T5_mT6_P12ihipStream_tbENKUlT_T0_E_clISt17integral_constantIbLb0EESV_IbLb1EEEEDaSR_SS_EUlSR_E_NS1_11comp_targetILNS1_3genE4ELNS1_11target_archE910ELNS1_3gpuE8ELNS1_3repE0EEENS1_30default_config_static_selectorELNS0_4arch9wavefront6targetE0EEEvT1_, .Lfunc_end68-_ZN7rocprim17ROCPRIM_400000_NS6detail17trampoline_kernelINS0_14default_configENS1_20scan_config_selectorIdEEZZNS1_9scan_implILNS1_25lookback_scan_determinismE0ELb0ELb0ES3_PKdPddZZZN2at6native31launch_logcumsumexp_cuda_kernelERKNSB_10TensorBaseESF_lENKUlvE_clEvENKUlvE_clEvEUlddE_dEEDaPvRmT3_T4_T5_mT6_P12ihipStream_tbENKUlT_T0_E_clISt17integral_constantIbLb0EESV_IbLb1EEEEDaSR_SS_EUlSR_E_NS1_11comp_targetILNS1_3genE4ELNS1_11target_archE910ELNS1_3gpuE8ELNS1_3repE0EEENS1_30default_config_static_selectorELNS0_4arch9wavefront6targetE0EEEvT1_
                                        ; -- End function
	.set _ZN7rocprim17ROCPRIM_400000_NS6detail17trampoline_kernelINS0_14default_configENS1_20scan_config_selectorIdEEZZNS1_9scan_implILNS1_25lookback_scan_determinismE0ELb0ELb0ES3_PKdPddZZZN2at6native31launch_logcumsumexp_cuda_kernelERKNSB_10TensorBaseESF_lENKUlvE_clEvENKUlvE_clEvEUlddE_dEEDaPvRmT3_T4_T5_mT6_P12ihipStream_tbENKUlT_T0_E_clISt17integral_constantIbLb0EESV_IbLb1EEEEDaSR_SS_EUlSR_E_NS1_11comp_targetILNS1_3genE4ELNS1_11target_archE910ELNS1_3gpuE8ELNS1_3repE0EEENS1_30default_config_static_selectorELNS0_4arch9wavefront6targetE0EEEvT1_.num_vgpr, 0
	.set _ZN7rocprim17ROCPRIM_400000_NS6detail17trampoline_kernelINS0_14default_configENS1_20scan_config_selectorIdEEZZNS1_9scan_implILNS1_25lookback_scan_determinismE0ELb0ELb0ES3_PKdPddZZZN2at6native31launch_logcumsumexp_cuda_kernelERKNSB_10TensorBaseESF_lENKUlvE_clEvENKUlvE_clEvEUlddE_dEEDaPvRmT3_T4_T5_mT6_P12ihipStream_tbENKUlT_T0_E_clISt17integral_constantIbLb0EESV_IbLb1EEEEDaSR_SS_EUlSR_E_NS1_11comp_targetILNS1_3genE4ELNS1_11target_archE910ELNS1_3gpuE8ELNS1_3repE0EEENS1_30default_config_static_selectorELNS0_4arch9wavefront6targetE0EEEvT1_.num_agpr, 0
	.set _ZN7rocprim17ROCPRIM_400000_NS6detail17trampoline_kernelINS0_14default_configENS1_20scan_config_selectorIdEEZZNS1_9scan_implILNS1_25lookback_scan_determinismE0ELb0ELb0ES3_PKdPddZZZN2at6native31launch_logcumsumexp_cuda_kernelERKNSB_10TensorBaseESF_lENKUlvE_clEvENKUlvE_clEvEUlddE_dEEDaPvRmT3_T4_T5_mT6_P12ihipStream_tbENKUlT_T0_E_clISt17integral_constantIbLb0EESV_IbLb1EEEEDaSR_SS_EUlSR_E_NS1_11comp_targetILNS1_3genE4ELNS1_11target_archE910ELNS1_3gpuE8ELNS1_3repE0EEENS1_30default_config_static_selectorELNS0_4arch9wavefront6targetE0EEEvT1_.numbered_sgpr, 0
	.set _ZN7rocprim17ROCPRIM_400000_NS6detail17trampoline_kernelINS0_14default_configENS1_20scan_config_selectorIdEEZZNS1_9scan_implILNS1_25lookback_scan_determinismE0ELb0ELb0ES3_PKdPddZZZN2at6native31launch_logcumsumexp_cuda_kernelERKNSB_10TensorBaseESF_lENKUlvE_clEvENKUlvE_clEvEUlddE_dEEDaPvRmT3_T4_T5_mT6_P12ihipStream_tbENKUlT_T0_E_clISt17integral_constantIbLb0EESV_IbLb1EEEEDaSR_SS_EUlSR_E_NS1_11comp_targetILNS1_3genE4ELNS1_11target_archE910ELNS1_3gpuE8ELNS1_3repE0EEENS1_30default_config_static_selectorELNS0_4arch9wavefront6targetE0EEEvT1_.num_named_barrier, 0
	.set _ZN7rocprim17ROCPRIM_400000_NS6detail17trampoline_kernelINS0_14default_configENS1_20scan_config_selectorIdEEZZNS1_9scan_implILNS1_25lookback_scan_determinismE0ELb0ELb0ES3_PKdPddZZZN2at6native31launch_logcumsumexp_cuda_kernelERKNSB_10TensorBaseESF_lENKUlvE_clEvENKUlvE_clEvEUlddE_dEEDaPvRmT3_T4_T5_mT6_P12ihipStream_tbENKUlT_T0_E_clISt17integral_constantIbLb0EESV_IbLb1EEEEDaSR_SS_EUlSR_E_NS1_11comp_targetILNS1_3genE4ELNS1_11target_archE910ELNS1_3gpuE8ELNS1_3repE0EEENS1_30default_config_static_selectorELNS0_4arch9wavefront6targetE0EEEvT1_.private_seg_size, 0
	.set _ZN7rocprim17ROCPRIM_400000_NS6detail17trampoline_kernelINS0_14default_configENS1_20scan_config_selectorIdEEZZNS1_9scan_implILNS1_25lookback_scan_determinismE0ELb0ELb0ES3_PKdPddZZZN2at6native31launch_logcumsumexp_cuda_kernelERKNSB_10TensorBaseESF_lENKUlvE_clEvENKUlvE_clEvEUlddE_dEEDaPvRmT3_T4_T5_mT6_P12ihipStream_tbENKUlT_T0_E_clISt17integral_constantIbLb0EESV_IbLb1EEEEDaSR_SS_EUlSR_E_NS1_11comp_targetILNS1_3genE4ELNS1_11target_archE910ELNS1_3gpuE8ELNS1_3repE0EEENS1_30default_config_static_selectorELNS0_4arch9wavefront6targetE0EEEvT1_.uses_vcc, 0
	.set _ZN7rocprim17ROCPRIM_400000_NS6detail17trampoline_kernelINS0_14default_configENS1_20scan_config_selectorIdEEZZNS1_9scan_implILNS1_25lookback_scan_determinismE0ELb0ELb0ES3_PKdPddZZZN2at6native31launch_logcumsumexp_cuda_kernelERKNSB_10TensorBaseESF_lENKUlvE_clEvENKUlvE_clEvEUlddE_dEEDaPvRmT3_T4_T5_mT6_P12ihipStream_tbENKUlT_T0_E_clISt17integral_constantIbLb0EESV_IbLb1EEEEDaSR_SS_EUlSR_E_NS1_11comp_targetILNS1_3genE4ELNS1_11target_archE910ELNS1_3gpuE8ELNS1_3repE0EEENS1_30default_config_static_selectorELNS0_4arch9wavefront6targetE0EEEvT1_.uses_flat_scratch, 0
	.set _ZN7rocprim17ROCPRIM_400000_NS6detail17trampoline_kernelINS0_14default_configENS1_20scan_config_selectorIdEEZZNS1_9scan_implILNS1_25lookback_scan_determinismE0ELb0ELb0ES3_PKdPddZZZN2at6native31launch_logcumsumexp_cuda_kernelERKNSB_10TensorBaseESF_lENKUlvE_clEvENKUlvE_clEvEUlddE_dEEDaPvRmT3_T4_T5_mT6_P12ihipStream_tbENKUlT_T0_E_clISt17integral_constantIbLb0EESV_IbLb1EEEEDaSR_SS_EUlSR_E_NS1_11comp_targetILNS1_3genE4ELNS1_11target_archE910ELNS1_3gpuE8ELNS1_3repE0EEENS1_30default_config_static_selectorELNS0_4arch9wavefront6targetE0EEEvT1_.has_dyn_sized_stack, 0
	.set _ZN7rocprim17ROCPRIM_400000_NS6detail17trampoline_kernelINS0_14default_configENS1_20scan_config_selectorIdEEZZNS1_9scan_implILNS1_25lookback_scan_determinismE0ELb0ELb0ES3_PKdPddZZZN2at6native31launch_logcumsumexp_cuda_kernelERKNSB_10TensorBaseESF_lENKUlvE_clEvENKUlvE_clEvEUlddE_dEEDaPvRmT3_T4_T5_mT6_P12ihipStream_tbENKUlT_T0_E_clISt17integral_constantIbLb0EESV_IbLb1EEEEDaSR_SS_EUlSR_E_NS1_11comp_targetILNS1_3genE4ELNS1_11target_archE910ELNS1_3gpuE8ELNS1_3repE0EEENS1_30default_config_static_selectorELNS0_4arch9wavefront6targetE0EEEvT1_.has_recursion, 0
	.set _ZN7rocprim17ROCPRIM_400000_NS6detail17trampoline_kernelINS0_14default_configENS1_20scan_config_selectorIdEEZZNS1_9scan_implILNS1_25lookback_scan_determinismE0ELb0ELb0ES3_PKdPddZZZN2at6native31launch_logcumsumexp_cuda_kernelERKNSB_10TensorBaseESF_lENKUlvE_clEvENKUlvE_clEvEUlddE_dEEDaPvRmT3_T4_T5_mT6_P12ihipStream_tbENKUlT_T0_E_clISt17integral_constantIbLb0EESV_IbLb1EEEEDaSR_SS_EUlSR_E_NS1_11comp_targetILNS1_3genE4ELNS1_11target_archE910ELNS1_3gpuE8ELNS1_3repE0EEENS1_30default_config_static_selectorELNS0_4arch9wavefront6targetE0EEEvT1_.has_indirect_call, 0
	.section	.AMDGPU.csdata,"",@progbits
; Kernel info:
; codeLenInByte = 0
; TotalNumSgprs: 0
; NumVgprs: 0
; ScratchSize: 0
; MemoryBound: 0
; FloatMode: 240
; IeeeMode: 1
; LDSByteSize: 0 bytes/workgroup (compile time only)
; SGPRBlocks: 0
; VGPRBlocks: 0
; NumSGPRsForWavesPerEU: 1
; NumVGPRsForWavesPerEU: 1
; Occupancy: 16
; WaveLimiterHint : 0
; COMPUTE_PGM_RSRC2:SCRATCH_EN: 0
; COMPUTE_PGM_RSRC2:USER_SGPR: 2
; COMPUTE_PGM_RSRC2:TRAP_HANDLER: 0
; COMPUTE_PGM_RSRC2:TGID_X_EN: 1
; COMPUTE_PGM_RSRC2:TGID_Y_EN: 0
; COMPUTE_PGM_RSRC2:TGID_Z_EN: 0
; COMPUTE_PGM_RSRC2:TIDIG_COMP_CNT: 0
	.section	.text._ZN7rocprim17ROCPRIM_400000_NS6detail17trampoline_kernelINS0_14default_configENS1_20scan_config_selectorIdEEZZNS1_9scan_implILNS1_25lookback_scan_determinismE0ELb0ELb0ES3_PKdPddZZZN2at6native31launch_logcumsumexp_cuda_kernelERKNSB_10TensorBaseESF_lENKUlvE_clEvENKUlvE_clEvEUlddE_dEEDaPvRmT3_T4_T5_mT6_P12ihipStream_tbENKUlT_T0_E_clISt17integral_constantIbLb0EESV_IbLb1EEEEDaSR_SS_EUlSR_E_NS1_11comp_targetILNS1_3genE3ELNS1_11target_archE908ELNS1_3gpuE7ELNS1_3repE0EEENS1_30default_config_static_selectorELNS0_4arch9wavefront6targetE0EEEvT1_,"axG",@progbits,_ZN7rocprim17ROCPRIM_400000_NS6detail17trampoline_kernelINS0_14default_configENS1_20scan_config_selectorIdEEZZNS1_9scan_implILNS1_25lookback_scan_determinismE0ELb0ELb0ES3_PKdPddZZZN2at6native31launch_logcumsumexp_cuda_kernelERKNSB_10TensorBaseESF_lENKUlvE_clEvENKUlvE_clEvEUlddE_dEEDaPvRmT3_T4_T5_mT6_P12ihipStream_tbENKUlT_T0_E_clISt17integral_constantIbLb0EESV_IbLb1EEEEDaSR_SS_EUlSR_E_NS1_11comp_targetILNS1_3genE3ELNS1_11target_archE908ELNS1_3gpuE7ELNS1_3repE0EEENS1_30default_config_static_selectorELNS0_4arch9wavefront6targetE0EEEvT1_,comdat
	.globl	_ZN7rocprim17ROCPRIM_400000_NS6detail17trampoline_kernelINS0_14default_configENS1_20scan_config_selectorIdEEZZNS1_9scan_implILNS1_25lookback_scan_determinismE0ELb0ELb0ES3_PKdPddZZZN2at6native31launch_logcumsumexp_cuda_kernelERKNSB_10TensorBaseESF_lENKUlvE_clEvENKUlvE_clEvEUlddE_dEEDaPvRmT3_T4_T5_mT6_P12ihipStream_tbENKUlT_T0_E_clISt17integral_constantIbLb0EESV_IbLb1EEEEDaSR_SS_EUlSR_E_NS1_11comp_targetILNS1_3genE3ELNS1_11target_archE908ELNS1_3gpuE7ELNS1_3repE0EEENS1_30default_config_static_selectorELNS0_4arch9wavefront6targetE0EEEvT1_ ; -- Begin function _ZN7rocprim17ROCPRIM_400000_NS6detail17trampoline_kernelINS0_14default_configENS1_20scan_config_selectorIdEEZZNS1_9scan_implILNS1_25lookback_scan_determinismE0ELb0ELb0ES3_PKdPddZZZN2at6native31launch_logcumsumexp_cuda_kernelERKNSB_10TensorBaseESF_lENKUlvE_clEvENKUlvE_clEvEUlddE_dEEDaPvRmT3_T4_T5_mT6_P12ihipStream_tbENKUlT_T0_E_clISt17integral_constantIbLb0EESV_IbLb1EEEEDaSR_SS_EUlSR_E_NS1_11comp_targetILNS1_3genE3ELNS1_11target_archE908ELNS1_3gpuE7ELNS1_3repE0EEENS1_30default_config_static_selectorELNS0_4arch9wavefront6targetE0EEEvT1_
	.p2align	8
	.type	_ZN7rocprim17ROCPRIM_400000_NS6detail17trampoline_kernelINS0_14default_configENS1_20scan_config_selectorIdEEZZNS1_9scan_implILNS1_25lookback_scan_determinismE0ELb0ELb0ES3_PKdPddZZZN2at6native31launch_logcumsumexp_cuda_kernelERKNSB_10TensorBaseESF_lENKUlvE_clEvENKUlvE_clEvEUlddE_dEEDaPvRmT3_T4_T5_mT6_P12ihipStream_tbENKUlT_T0_E_clISt17integral_constantIbLb0EESV_IbLb1EEEEDaSR_SS_EUlSR_E_NS1_11comp_targetILNS1_3genE3ELNS1_11target_archE908ELNS1_3gpuE7ELNS1_3repE0EEENS1_30default_config_static_selectorELNS0_4arch9wavefront6targetE0EEEvT1_,@function
_ZN7rocprim17ROCPRIM_400000_NS6detail17trampoline_kernelINS0_14default_configENS1_20scan_config_selectorIdEEZZNS1_9scan_implILNS1_25lookback_scan_determinismE0ELb0ELb0ES3_PKdPddZZZN2at6native31launch_logcumsumexp_cuda_kernelERKNSB_10TensorBaseESF_lENKUlvE_clEvENKUlvE_clEvEUlddE_dEEDaPvRmT3_T4_T5_mT6_P12ihipStream_tbENKUlT_T0_E_clISt17integral_constantIbLb0EESV_IbLb1EEEEDaSR_SS_EUlSR_E_NS1_11comp_targetILNS1_3genE3ELNS1_11target_archE908ELNS1_3gpuE7ELNS1_3repE0EEENS1_30default_config_static_selectorELNS0_4arch9wavefront6targetE0EEEvT1_: ; @_ZN7rocprim17ROCPRIM_400000_NS6detail17trampoline_kernelINS0_14default_configENS1_20scan_config_selectorIdEEZZNS1_9scan_implILNS1_25lookback_scan_determinismE0ELb0ELb0ES3_PKdPddZZZN2at6native31launch_logcumsumexp_cuda_kernelERKNSB_10TensorBaseESF_lENKUlvE_clEvENKUlvE_clEvEUlddE_dEEDaPvRmT3_T4_T5_mT6_P12ihipStream_tbENKUlT_T0_E_clISt17integral_constantIbLb0EESV_IbLb1EEEEDaSR_SS_EUlSR_E_NS1_11comp_targetILNS1_3genE3ELNS1_11target_archE908ELNS1_3gpuE7ELNS1_3repE0EEENS1_30default_config_static_selectorELNS0_4arch9wavefront6targetE0EEEvT1_
; %bb.0:
	.section	.rodata,"a",@progbits
	.p2align	6, 0x0
	.amdhsa_kernel _ZN7rocprim17ROCPRIM_400000_NS6detail17trampoline_kernelINS0_14default_configENS1_20scan_config_selectorIdEEZZNS1_9scan_implILNS1_25lookback_scan_determinismE0ELb0ELb0ES3_PKdPddZZZN2at6native31launch_logcumsumexp_cuda_kernelERKNSB_10TensorBaseESF_lENKUlvE_clEvENKUlvE_clEvEUlddE_dEEDaPvRmT3_T4_T5_mT6_P12ihipStream_tbENKUlT_T0_E_clISt17integral_constantIbLb0EESV_IbLb1EEEEDaSR_SS_EUlSR_E_NS1_11comp_targetILNS1_3genE3ELNS1_11target_archE908ELNS1_3gpuE7ELNS1_3repE0EEENS1_30default_config_static_selectorELNS0_4arch9wavefront6targetE0EEEvT1_
		.amdhsa_group_segment_fixed_size 0
		.amdhsa_private_segment_fixed_size 0
		.amdhsa_kernarg_size 104
		.amdhsa_user_sgpr_count 2
		.amdhsa_user_sgpr_dispatch_ptr 0
		.amdhsa_user_sgpr_queue_ptr 0
		.amdhsa_user_sgpr_kernarg_segment_ptr 1
		.amdhsa_user_sgpr_dispatch_id 0
		.amdhsa_user_sgpr_private_segment_size 0
		.amdhsa_wavefront_size32 1
		.amdhsa_uses_dynamic_stack 0
		.amdhsa_enable_private_segment 0
		.amdhsa_system_sgpr_workgroup_id_x 1
		.amdhsa_system_sgpr_workgroup_id_y 0
		.amdhsa_system_sgpr_workgroup_id_z 0
		.amdhsa_system_sgpr_workgroup_info 0
		.amdhsa_system_vgpr_workitem_id 0
		.amdhsa_next_free_vgpr 1
		.amdhsa_next_free_sgpr 1
		.amdhsa_reserve_vcc 0
		.amdhsa_float_round_mode_32 0
		.amdhsa_float_round_mode_16_64 0
		.amdhsa_float_denorm_mode_32 3
		.amdhsa_float_denorm_mode_16_64 3
		.amdhsa_fp16_overflow 0
		.amdhsa_workgroup_processor_mode 1
		.amdhsa_memory_ordered 1
		.amdhsa_forward_progress 1
		.amdhsa_inst_pref_size 0
		.amdhsa_round_robin_scheduling 0
		.amdhsa_exception_fp_ieee_invalid_op 0
		.amdhsa_exception_fp_denorm_src 0
		.amdhsa_exception_fp_ieee_div_zero 0
		.amdhsa_exception_fp_ieee_overflow 0
		.amdhsa_exception_fp_ieee_underflow 0
		.amdhsa_exception_fp_ieee_inexact 0
		.amdhsa_exception_int_div_zero 0
	.end_amdhsa_kernel
	.section	.text._ZN7rocprim17ROCPRIM_400000_NS6detail17trampoline_kernelINS0_14default_configENS1_20scan_config_selectorIdEEZZNS1_9scan_implILNS1_25lookback_scan_determinismE0ELb0ELb0ES3_PKdPddZZZN2at6native31launch_logcumsumexp_cuda_kernelERKNSB_10TensorBaseESF_lENKUlvE_clEvENKUlvE_clEvEUlddE_dEEDaPvRmT3_T4_T5_mT6_P12ihipStream_tbENKUlT_T0_E_clISt17integral_constantIbLb0EESV_IbLb1EEEEDaSR_SS_EUlSR_E_NS1_11comp_targetILNS1_3genE3ELNS1_11target_archE908ELNS1_3gpuE7ELNS1_3repE0EEENS1_30default_config_static_selectorELNS0_4arch9wavefront6targetE0EEEvT1_,"axG",@progbits,_ZN7rocprim17ROCPRIM_400000_NS6detail17trampoline_kernelINS0_14default_configENS1_20scan_config_selectorIdEEZZNS1_9scan_implILNS1_25lookback_scan_determinismE0ELb0ELb0ES3_PKdPddZZZN2at6native31launch_logcumsumexp_cuda_kernelERKNSB_10TensorBaseESF_lENKUlvE_clEvENKUlvE_clEvEUlddE_dEEDaPvRmT3_T4_T5_mT6_P12ihipStream_tbENKUlT_T0_E_clISt17integral_constantIbLb0EESV_IbLb1EEEEDaSR_SS_EUlSR_E_NS1_11comp_targetILNS1_3genE3ELNS1_11target_archE908ELNS1_3gpuE7ELNS1_3repE0EEENS1_30default_config_static_selectorELNS0_4arch9wavefront6targetE0EEEvT1_,comdat
.Lfunc_end69:
	.size	_ZN7rocprim17ROCPRIM_400000_NS6detail17trampoline_kernelINS0_14default_configENS1_20scan_config_selectorIdEEZZNS1_9scan_implILNS1_25lookback_scan_determinismE0ELb0ELb0ES3_PKdPddZZZN2at6native31launch_logcumsumexp_cuda_kernelERKNSB_10TensorBaseESF_lENKUlvE_clEvENKUlvE_clEvEUlddE_dEEDaPvRmT3_T4_T5_mT6_P12ihipStream_tbENKUlT_T0_E_clISt17integral_constantIbLb0EESV_IbLb1EEEEDaSR_SS_EUlSR_E_NS1_11comp_targetILNS1_3genE3ELNS1_11target_archE908ELNS1_3gpuE7ELNS1_3repE0EEENS1_30default_config_static_selectorELNS0_4arch9wavefront6targetE0EEEvT1_, .Lfunc_end69-_ZN7rocprim17ROCPRIM_400000_NS6detail17trampoline_kernelINS0_14default_configENS1_20scan_config_selectorIdEEZZNS1_9scan_implILNS1_25lookback_scan_determinismE0ELb0ELb0ES3_PKdPddZZZN2at6native31launch_logcumsumexp_cuda_kernelERKNSB_10TensorBaseESF_lENKUlvE_clEvENKUlvE_clEvEUlddE_dEEDaPvRmT3_T4_T5_mT6_P12ihipStream_tbENKUlT_T0_E_clISt17integral_constantIbLb0EESV_IbLb1EEEEDaSR_SS_EUlSR_E_NS1_11comp_targetILNS1_3genE3ELNS1_11target_archE908ELNS1_3gpuE7ELNS1_3repE0EEENS1_30default_config_static_selectorELNS0_4arch9wavefront6targetE0EEEvT1_
                                        ; -- End function
	.set _ZN7rocprim17ROCPRIM_400000_NS6detail17trampoline_kernelINS0_14default_configENS1_20scan_config_selectorIdEEZZNS1_9scan_implILNS1_25lookback_scan_determinismE0ELb0ELb0ES3_PKdPddZZZN2at6native31launch_logcumsumexp_cuda_kernelERKNSB_10TensorBaseESF_lENKUlvE_clEvENKUlvE_clEvEUlddE_dEEDaPvRmT3_T4_T5_mT6_P12ihipStream_tbENKUlT_T0_E_clISt17integral_constantIbLb0EESV_IbLb1EEEEDaSR_SS_EUlSR_E_NS1_11comp_targetILNS1_3genE3ELNS1_11target_archE908ELNS1_3gpuE7ELNS1_3repE0EEENS1_30default_config_static_selectorELNS0_4arch9wavefront6targetE0EEEvT1_.num_vgpr, 0
	.set _ZN7rocprim17ROCPRIM_400000_NS6detail17trampoline_kernelINS0_14default_configENS1_20scan_config_selectorIdEEZZNS1_9scan_implILNS1_25lookback_scan_determinismE0ELb0ELb0ES3_PKdPddZZZN2at6native31launch_logcumsumexp_cuda_kernelERKNSB_10TensorBaseESF_lENKUlvE_clEvENKUlvE_clEvEUlddE_dEEDaPvRmT3_T4_T5_mT6_P12ihipStream_tbENKUlT_T0_E_clISt17integral_constantIbLb0EESV_IbLb1EEEEDaSR_SS_EUlSR_E_NS1_11comp_targetILNS1_3genE3ELNS1_11target_archE908ELNS1_3gpuE7ELNS1_3repE0EEENS1_30default_config_static_selectorELNS0_4arch9wavefront6targetE0EEEvT1_.num_agpr, 0
	.set _ZN7rocprim17ROCPRIM_400000_NS6detail17trampoline_kernelINS0_14default_configENS1_20scan_config_selectorIdEEZZNS1_9scan_implILNS1_25lookback_scan_determinismE0ELb0ELb0ES3_PKdPddZZZN2at6native31launch_logcumsumexp_cuda_kernelERKNSB_10TensorBaseESF_lENKUlvE_clEvENKUlvE_clEvEUlddE_dEEDaPvRmT3_T4_T5_mT6_P12ihipStream_tbENKUlT_T0_E_clISt17integral_constantIbLb0EESV_IbLb1EEEEDaSR_SS_EUlSR_E_NS1_11comp_targetILNS1_3genE3ELNS1_11target_archE908ELNS1_3gpuE7ELNS1_3repE0EEENS1_30default_config_static_selectorELNS0_4arch9wavefront6targetE0EEEvT1_.numbered_sgpr, 0
	.set _ZN7rocprim17ROCPRIM_400000_NS6detail17trampoline_kernelINS0_14default_configENS1_20scan_config_selectorIdEEZZNS1_9scan_implILNS1_25lookback_scan_determinismE0ELb0ELb0ES3_PKdPddZZZN2at6native31launch_logcumsumexp_cuda_kernelERKNSB_10TensorBaseESF_lENKUlvE_clEvENKUlvE_clEvEUlddE_dEEDaPvRmT3_T4_T5_mT6_P12ihipStream_tbENKUlT_T0_E_clISt17integral_constantIbLb0EESV_IbLb1EEEEDaSR_SS_EUlSR_E_NS1_11comp_targetILNS1_3genE3ELNS1_11target_archE908ELNS1_3gpuE7ELNS1_3repE0EEENS1_30default_config_static_selectorELNS0_4arch9wavefront6targetE0EEEvT1_.num_named_barrier, 0
	.set _ZN7rocprim17ROCPRIM_400000_NS6detail17trampoline_kernelINS0_14default_configENS1_20scan_config_selectorIdEEZZNS1_9scan_implILNS1_25lookback_scan_determinismE0ELb0ELb0ES3_PKdPddZZZN2at6native31launch_logcumsumexp_cuda_kernelERKNSB_10TensorBaseESF_lENKUlvE_clEvENKUlvE_clEvEUlddE_dEEDaPvRmT3_T4_T5_mT6_P12ihipStream_tbENKUlT_T0_E_clISt17integral_constantIbLb0EESV_IbLb1EEEEDaSR_SS_EUlSR_E_NS1_11comp_targetILNS1_3genE3ELNS1_11target_archE908ELNS1_3gpuE7ELNS1_3repE0EEENS1_30default_config_static_selectorELNS0_4arch9wavefront6targetE0EEEvT1_.private_seg_size, 0
	.set _ZN7rocprim17ROCPRIM_400000_NS6detail17trampoline_kernelINS0_14default_configENS1_20scan_config_selectorIdEEZZNS1_9scan_implILNS1_25lookback_scan_determinismE0ELb0ELb0ES3_PKdPddZZZN2at6native31launch_logcumsumexp_cuda_kernelERKNSB_10TensorBaseESF_lENKUlvE_clEvENKUlvE_clEvEUlddE_dEEDaPvRmT3_T4_T5_mT6_P12ihipStream_tbENKUlT_T0_E_clISt17integral_constantIbLb0EESV_IbLb1EEEEDaSR_SS_EUlSR_E_NS1_11comp_targetILNS1_3genE3ELNS1_11target_archE908ELNS1_3gpuE7ELNS1_3repE0EEENS1_30default_config_static_selectorELNS0_4arch9wavefront6targetE0EEEvT1_.uses_vcc, 0
	.set _ZN7rocprim17ROCPRIM_400000_NS6detail17trampoline_kernelINS0_14default_configENS1_20scan_config_selectorIdEEZZNS1_9scan_implILNS1_25lookback_scan_determinismE0ELb0ELb0ES3_PKdPddZZZN2at6native31launch_logcumsumexp_cuda_kernelERKNSB_10TensorBaseESF_lENKUlvE_clEvENKUlvE_clEvEUlddE_dEEDaPvRmT3_T4_T5_mT6_P12ihipStream_tbENKUlT_T0_E_clISt17integral_constantIbLb0EESV_IbLb1EEEEDaSR_SS_EUlSR_E_NS1_11comp_targetILNS1_3genE3ELNS1_11target_archE908ELNS1_3gpuE7ELNS1_3repE0EEENS1_30default_config_static_selectorELNS0_4arch9wavefront6targetE0EEEvT1_.uses_flat_scratch, 0
	.set _ZN7rocprim17ROCPRIM_400000_NS6detail17trampoline_kernelINS0_14default_configENS1_20scan_config_selectorIdEEZZNS1_9scan_implILNS1_25lookback_scan_determinismE0ELb0ELb0ES3_PKdPddZZZN2at6native31launch_logcumsumexp_cuda_kernelERKNSB_10TensorBaseESF_lENKUlvE_clEvENKUlvE_clEvEUlddE_dEEDaPvRmT3_T4_T5_mT6_P12ihipStream_tbENKUlT_T0_E_clISt17integral_constantIbLb0EESV_IbLb1EEEEDaSR_SS_EUlSR_E_NS1_11comp_targetILNS1_3genE3ELNS1_11target_archE908ELNS1_3gpuE7ELNS1_3repE0EEENS1_30default_config_static_selectorELNS0_4arch9wavefront6targetE0EEEvT1_.has_dyn_sized_stack, 0
	.set _ZN7rocprim17ROCPRIM_400000_NS6detail17trampoline_kernelINS0_14default_configENS1_20scan_config_selectorIdEEZZNS1_9scan_implILNS1_25lookback_scan_determinismE0ELb0ELb0ES3_PKdPddZZZN2at6native31launch_logcumsumexp_cuda_kernelERKNSB_10TensorBaseESF_lENKUlvE_clEvENKUlvE_clEvEUlddE_dEEDaPvRmT3_T4_T5_mT6_P12ihipStream_tbENKUlT_T0_E_clISt17integral_constantIbLb0EESV_IbLb1EEEEDaSR_SS_EUlSR_E_NS1_11comp_targetILNS1_3genE3ELNS1_11target_archE908ELNS1_3gpuE7ELNS1_3repE0EEENS1_30default_config_static_selectorELNS0_4arch9wavefront6targetE0EEEvT1_.has_recursion, 0
	.set _ZN7rocprim17ROCPRIM_400000_NS6detail17trampoline_kernelINS0_14default_configENS1_20scan_config_selectorIdEEZZNS1_9scan_implILNS1_25lookback_scan_determinismE0ELb0ELb0ES3_PKdPddZZZN2at6native31launch_logcumsumexp_cuda_kernelERKNSB_10TensorBaseESF_lENKUlvE_clEvENKUlvE_clEvEUlddE_dEEDaPvRmT3_T4_T5_mT6_P12ihipStream_tbENKUlT_T0_E_clISt17integral_constantIbLb0EESV_IbLb1EEEEDaSR_SS_EUlSR_E_NS1_11comp_targetILNS1_3genE3ELNS1_11target_archE908ELNS1_3gpuE7ELNS1_3repE0EEENS1_30default_config_static_selectorELNS0_4arch9wavefront6targetE0EEEvT1_.has_indirect_call, 0
	.section	.AMDGPU.csdata,"",@progbits
; Kernel info:
; codeLenInByte = 0
; TotalNumSgprs: 0
; NumVgprs: 0
; ScratchSize: 0
; MemoryBound: 0
; FloatMode: 240
; IeeeMode: 1
; LDSByteSize: 0 bytes/workgroup (compile time only)
; SGPRBlocks: 0
; VGPRBlocks: 0
; NumSGPRsForWavesPerEU: 1
; NumVGPRsForWavesPerEU: 1
; Occupancy: 16
; WaveLimiterHint : 0
; COMPUTE_PGM_RSRC2:SCRATCH_EN: 0
; COMPUTE_PGM_RSRC2:USER_SGPR: 2
; COMPUTE_PGM_RSRC2:TRAP_HANDLER: 0
; COMPUTE_PGM_RSRC2:TGID_X_EN: 1
; COMPUTE_PGM_RSRC2:TGID_Y_EN: 0
; COMPUTE_PGM_RSRC2:TGID_Z_EN: 0
; COMPUTE_PGM_RSRC2:TIDIG_COMP_CNT: 0
	.section	.text._ZN7rocprim17ROCPRIM_400000_NS6detail17trampoline_kernelINS0_14default_configENS1_20scan_config_selectorIdEEZZNS1_9scan_implILNS1_25lookback_scan_determinismE0ELb0ELb0ES3_PKdPddZZZN2at6native31launch_logcumsumexp_cuda_kernelERKNSB_10TensorBaseESF_lENKUlvE_clEvENKUlvE_clEvEUlddE_dEEDaPvRmT3_T4_T5_mT6_P12ihipStream_tbENKUlT_T0_E_clISt17integral_constantIbLb0EESV_IbLb1EEEEDaSR_SS_EUlSR_E_NS1_11comp_targetILNS1_3genE2ELNS1_11target_archE906ELNS1_3gpuE6ELNS1_3repE0EEENS1_30default_config_static_selectorELNS0_4arch9wavefront6targetE0EEEvT1_,"axG",@progbits,_ZN7rocprim17ROCPRIM_400000_NS6detail17trampoline_kernelINS0_14default_configENS1_20scan_config_selectorIdEEZZNS1_9scan_implILNS1_25lookback_scan_determinismE0ELb0ELb0ES3_PKdPddZZZN2at6native31launch_logcumsumexp_cuda_kernelERKNSB_10TensorBaseESF_lENKUlvE_clEvENKUlvE_clEvEUlddE_dEEDaPvRmT3_T4_T5_mT6_P12ihipStream_tbENKUlT_T0_E_clISt17integral_constantIbLb0EESV_IbLb1EEEEDaSR_SS_EUlSR_E_NS1_11comp_targetILNS1_3genE2ELNS1_11target_archE906ELNS1_3gpuE6ELNS1_3repE0EEENS1_30default_config_static_selectorELNS0_4arch9wavefront6targetE0EEEvT1_,comdat
	.globl	_ZN7rocprim17ROCPRIM_400000_NS6detail17trampoline_kernelINS0_14default_configENS1_20scan_config_selectorIdEEZZNS1_9scan_implILNS1_25lookback_scan_determinismE0ELb0ELb0ES3_PKdPddZZZN2at6native31launch_logcumsumexp_cuda_kernelERKNSB_10TensorBaseESF_lENKUlvE_clEvENKUlvE_clEvEUlddE_dEEDaPvRmT3_T4_T5_mT6_P12ihipStream_tbENKUlT_T0_E_clISt17integral_constantIbLb0EESV_IbLb1EEEEDaSR_SS_EUlSR_E_NS1_11comp_targetILNS1_3genE2ELNS1_11target_archE906ELNS1_3gpuE6ELNS1_3repE0EEENS1_30default_config_static_selectorELNS0_4arch9wavefront6targetE0EEEvT1_ ; -- Begin function _ZN7rocprim17ROCPRIM_400000_NS6detail17trampoline_kernelINS0_14default_configENS1_20scan_config_selectorIdEEZZNS1_9scan_implILNS1_25lookback_scan_determinismE0ELb0ELb0ES3_PKdPddZZZN2at6native31launch_logcumsumexp_cuda_kernelERKNSB_10TensorBaseESF_lENKUlvE_clEvENKUlvE_clEvEUlddE_dEEDaPvRmT3_T4_T5_mT6_P12ihipStream_tbENKUlT_T0_E_clISt17integral_constantIbLb0EESV_IbLb1EEEEDaSR_SS_EUlSR_E_NS1_11comp_targetILNS1_3genE2ELNS1_11target_archE906ELNS1_3gpuE6ELNS1_3repE0EEENS1_30default_config_static_selectorELNS0_4arch9wavefront6targetE0EEEvT1_
	.p2align	8
	.type	_ZN7rocprim17ROCPRIM_400000_NS6detail17trampoline_kernelINS0_14default_configENS1_20scan_config_selectorIdEEZZNS1_9scan_implILNS1_25lookback_scan_determinismE0ELb0ELb0ES3_PKdPddZZZN2at6native31launch_logcumsumexp_cuda_kernelERKNSB_10TensorBaseESF_lENKUlvE_clEvENKUlvE_clEvEUlddE_dEEDaPvRmT3_T4_T5_mT6_P12ihipStream_tbENKUlT_T0_E_clISt17integral_constantIbLb0EESV_IbLb1EEEEDaSR_SS_EUlSR_E_NS1_11comp_targetILNS1_3genE2ELNS1_11target_archE906ELNS1_3gpuE6ELNS1_3repE0EEENS1_30default_config_static_selectorELNS0_4arch9wavefront6targetE0EEEvT1_,@function
_ZN7rocprim17ROCPRIM_400000_NS6detail17trampoline_kernelINS0_14default_configENS1_20scan_config_selectorIdEEZZNS1_9scan_implILNS1_25lookback_scan_determinismE0ELb0ELb0ES3_PKdPddZZZN2at6native31launch_logcumsumexp_cuda_kernelERKNSB_10TensorBaseESF_lENKUlvE_clEvENKUlvE_clEvEUlddE_dEEDaPvRmT3_T4_T5_mT6_P12ihipStream_tbENKUlT_T0_E_clISt17integral_constantIbLb0EESV_IbLb1EEEEDaSR_SS_EUlSR_E_NS1_11comp_targetILNS1_3genE2ELNS1_11target_archE906ELNS1_3gpuE6ELNS1_3repE0EEENS1_30default_config_static_selectorELNS0_4arch9wavefront6targetE0EEEvT1_: ; @_ZN7rocprim17ROCPRIM_400000_NS6detail17trampoline_kernelINS0_14default_configENS1_20scan_config_selectorIdEEZZNS1_9scan_implILNS1_25lookback_scan_determinismE0ELb0ELb0ES3_PKdPddZZZN2at6native31launch_logcumsumexp_cuda_kernelERKNSB_10TensorBaseESF_lENKUlvE_clEvENKUlvE_clEvEUlddE_dEEDaPvRmT3_T4_T5_mT6_P12ihipStream_tbENKUlT_T0_E_clISt17integral_constantIbLb0EESV_IbLb1EEEEDaSR_SS_EUlSR_E_NS1_11comp_targetILNS1_3genE2ELNS1_11target_archE906ELNS1_3gpuE6ELNS1_3repE0EEENS1_30default_config_static_selectorELNS0_4arch9wavefront6targetE0EEEvT1_
; %bb.0:
	.section	.rodata,"a",@progbits
	.p2align	6, 0x0
	.amdhsa_kernel _ZN7rocprim17ROCPRIM_400000_NS6detail17trampoline_kernelINS0_14default_configENS1_20scan_config_selectorIdEEZZNS1_9scan_implILNS1_25lookback_scan_determinismE0ELb0ELb0ES3_PKdPddZZZN2at6native31launch_logcumsumexp_cuda_kernelERKNSB_10TensorBaseESF_lENKUlvE_clEvENKUlvE_clEvEUlddE_dEEDaPvRmT3_T4_T5_mT6_P12ihipStream_tbENKUlT_T0_E_clISt17integral_constantIbLb0EESV_IbLb1EEEEDaSR_SS_EUlSR_E_NS1_11comp_targetILNS1_3genE2ELNS1_11target_archE906ELNS1_3gpuE6ELNS1_3repE0EEENS1_30default_config_static_selectorELNS0_4arch9wavefront6targetE0EEEvT1_
		.amdhsa_group_segment_fixed_size 0
		.amdhsa_private_segment_fixed_size 0
		.amdhsa_kernarg_size 104
		.amdhsa_user_sgpr_count 2
		.amdhsa_user_sgpr_dispatch_ptr 0
		.amdhsa_user_sgpr_queue_ptr 0
		.amdhsa_user_sgpr_kernarg_segment_ptr 1
		.amdhsa_user_sgpr_dispatch_id 0
		.amdhsa_user_sgpr_private_segment_size 0
		.amdhsa_wavefront_size32 1
		.amdhsa_uses_dynamic_stack 0
		.amdhsa_enable_private_segment 0
		.amdhsa_system_sgpr_workgroup_id_x 1
		.amdhsa_system_sgpr_workgroup_id_y 0
		.amdhsa_system_sgpr_workgroup_id_z 0
		.amdhsa_system_sgpr_workgroup_info 0
		.amdhsa_system_vgpr_workitem_id 0
		.amdhsa_next_free_vgpr 1
		.amdhsa_next_free_sgpr 1
		.amdhsa_reserve_vcc 0
		.amdhsa_float_round_mode_32 0
		.amdhsa_float_round_mode_16_64 0
		.amdhsa_float_denorm_mode_32 3
		.amdhsa_float_denorm_mode_16_64 3
		.amdhsa_fp16_overflow 0
		.amdhsa_workgroup_processor_mode 1
		.amdhsa_memory_ordered 1
		.amdhsa_forward_progress 1
		.amdhsa_inst_pref_size 0
		.amdhsa_round_robin_scheduling 0
		.amdhsa_exception_fp_ieee_invalid_op 0
		.amdhsa_exception_fp_denorm_src 0
		.amdhsa_exception_fp_ieee_div_zero 0
		.amdhsa_exception_fp_ieee_overflow 0
		.amdhsa_exception_fp_ieee_underflow 0
		.amdhsa_exception_fp_ieee_inexact 0
		.amdhsa_exception_int_div_zero 0
	.end_amdhsa_kernel
	.section	.text._ZN7rocprim17ROCPRIM_400000_NS6detail17trampoline_kernelINS0_14default_configENS1_20scan_config_selectorIdEEZZNS1_9scan_implILNS1_25lookback_scan_determinismE0ELb0ELb0ES3_PKdPddZZZN2at6native31launch_logcumsumexp_cuda_kernelERKNSB_10TensorBaseESF_lENKUlvE_clEvENKUlvE_clEvEUlddE_dEEDaPvRmT3_T4_T5_mT6_P12ihipStream_tbENKUlT_T0_E_clISt17integral_constantIbLb0EESV_IbLb1EEEEDaSR_SS_EUlSR_E_NS1_11comp_targetILNS1_3genE2ELNS1_11target_archE906ELNS1_3gpuE6ELNS1_3repE0EEENS1_30default_config_static_selectorELNS0_4arch9wavefront6targetE0EEEvT1_,"axG",@progbits,_ZN7rocprim17ROCPRIM_400000_NS6detail17trampoline_kernelINS0_14default_configENS1_20scan_config_selectorIdEEZZNS1_9scan_implILNS1_25lookback_scan_determinismE0ELb0ELb0ES3_PKdPddZZZN2at6native31launch_logcumsumexp_cuda_kernelERKNSB_10TensorBaseESF_lENKUlvE_clEvENKUlvE_clEvEUlddE_dEEDaPvRmT3_T4_T5_mT6_P12ihipStream_tbENKUlT_T0_E_clISt17integral_constantIbLb0EESV_IbLb1EEEEDaSR_SS_EUlSR_E_NS1_11comp_targetILNS1_3genE2ELNS1_11target_archE906ELNS1_3gpuE6ELNS1_3repE0EEENS1_30default_config_static_selectorELNS0_4arch9wavefront6targetE0EEEvT1_,comdat
.Lfunc_end70:
	.size	_ZN7rocprim17ROCPRIM_400000_NS6detail17trampoline_kernelINS0_14default_configENS1_20scan_config_selectorIdEEZZNS1_9scan_implILNS1_25lookback_scan_determinismE0ELb0ELb0ES3_PKdPddZZZN2at6native31launch_logcumsumexp_cuda_kernelERKNSB_10TensorBaseESF_lENKUlvE_clEvENKUlvE_clEvEUlddE_dEEDaPvRmT3_T4_T5_mT6_P12ihipStream_tbENKUlT_T0_E_clISt17integral_constantIbLb0EESV_IbLb1EEEEDaSR_SS_EUlSR_E_NS1_11comp_targetILNS1_3genE2ELNS1_11target_archE906ELNS1_3gpuE6ELNS1_3repE0EEENS1_30default_config_static_selectorELNS0_4arch9wavefront6targetE0EEEvT1_, .Lfunc_end70-_ZN7rocprim17ROCPRIM_400000_NS6detail17trampoline_kernelINS0_14default_configENS1_20scan_config_selectorIdEEZZNS1_9scan_implILNS1_25lookback_scan_determinismE0ELb0ELb0ES3_PKdPddZZZN2at6native31launch_logcumsumexp_cuda_kernelERKNSB_10TensorBaseESF_lENKUlvE_clEvENKUlvE_clEvEUlddE_dEEDaPvRmT3_T4_T5_mT6_P12ihipStream_tbENKUlT_T0_E_clISt17integral_constantIbLb0EESV_IbLb1EEEEDaSR_SS_EUlSR_E_NS1_11comp_targetILNS1_3genE2ELNS1_11target_archE906ELNS1_3gpuE6ELNS1_3repE0EEENS1_30default_config_static_selectorELNS0_4arch9wavefront6targetE0EEEvT1_
                                        ; -- End function
	.set _ZN7rocprim17ROCPRIM_400000_NS6detail17trampoline_kernelINS0_14default_configENS1_20scan_config_selectorIdEEZZNS1_9scan_implILNS1_25lookback_scan_determinismE0ELb0ELb0ES3_PKdPddZZZN2at6native31launch_logcumsumexp_cuda_kernelERKNSB_10TensorBaseESF_lENKUlvE_clEvENKUlvE_clEvEUlddE_dEEDaPvRmT3_T4_T5_mT6_P12ihipStream_tbENKUlT_T0_E_clISt17integral_constantIbLb0EESV_IbLb1EEEEDaSR_SS_EUlSR_E_NS1_11comp_targetILNS1_3genE2ELNS1_11target_archE906ELNS1_3gpuE6ELNS1_3repE0EEENS1_30default_config_static_selectorELNS0_4arch9wavefront6targetE0EEEvT1_.num_vgpr, 0
	.set _ZN7rocprim17ROCPRIM_400000_NS6detail17trampoline_kernelINS0_14default_configENS1_20scan_config_selectorIdEEZZNS1_9scan_implILNS1_25lookback_scan_determinismE0ELb0ELb0ES3_PKdPddZZZN2at6native31launch_logcumsumexp_cuda_kernelERKNSB_10TensorBaseESF_lENKUlvE_clEvENKUlvE_clEvEUlddE_dEEDaPvRmT3_T4_T5_mT6_P12ihipStream_tbENKUlT_T0_E_clISt17integral_constantIbLb0EESV_IbLb1EEEEDaSR_SS_EUlSR_E_NS1_11comp_targetILNS1_3genE2ELNS1_11target_archE906ELNS1_3gpuE6ELNS1_3repE0EEENS1_30default_config_static_selectorELNS0_4arch9wavefront6targetE0EEEvT1_.num_agpr, 0
	.set _ZN7rocprim17ROCPRIM_400000_NS6detail17trampoline_kernelINS0_14default_configENS1_20scan_config_selectorIdEEZZNS1_9scan_implILNS1_25lookback_scan_determinismE0ELb0ELb0ES3_PKdPddZZZN2at6native31launch_logcumsumexp_cuda_kernelERKNSB_10TensorBaseESF_lENKUlvE_clEvENKUlvE_clEvEUlddE_dEEDaPvRmT3_T4_T5_mT6_P12ihipStream_tbENKUlT_T0_E_clISt17integral_constantIbLb0EESV_IbLb1EEEEDaSR_SS_EUlSR_E_NS1_11comp_targetILNS1_3genE2ELNS1_11target_archE906ELNS1_3gpuE6ELNS1_3repE0EEENS1_30default_config_static_selectorELNS0_4arch9wavefront6targetE0EEEvT1_.numbered_sgpr, 0
	.set _ZN7rocprim17ROCPRIM_400000_NS6detail17trampoline_kernelINS0_14default_configENS1_20scan_config_selectorIdEEZZNS1_9scan_implILNS1_25lookback_scan_determinismE0ELb0ELb0ES3_PKdPddZZZN2at6native31launch_logcumsumexp_cuda_kernelERKNSB_10TensorBaseESF_lENKUlvE_clEvENKUlvE_clEvEUlddE_dEEDaPvRmT3_T4_T5_mT6_P12ihipStream_tbENKUlT_T0_E_clISt17integral_constantIbLb0EESV_IbLb1EEEEDaSR_SS_EUlSR_E_NS1_11comp_targetILNS1_3genE2ELNS1_11target_archE906ELNS1_3gpuE6ELNS1_3repE0EEENS1_30default_config_static_selectorELNS0_4arch9wavefront6targetE0EEEvT1_.num_named_barrier, 0
	.set _ZN7rocprim17ROCPRIM_400000_NS6detail17trampoline_kernelINS0_14default_configENS1_20scan_config_selectorIdEEZZNS1_9scan_implILNS1_25lookback_scan_determinismE0ELb0ELb0ES3_PKdPddZZZN2at6native31launch_logcumsumexp_cuda_kernelERKNSB_10TensorBaseESF_lENKUlvE_clEvENKUlvE_clEvEUlddE_dEEDaPvRmT3_T4_T5_mT6_P12ihipStream_tbENKUlT_T0_E_clISt17integral_constantIbLb0EESV_IbLb1EEEEDaSR_SS_EUlSR_E_NS1_11comp_targetILNS1_3genE2ELNS1_11target_archE906ELNS1_3gpuE6ELNS1_3repE0EEENS1_30default_config_static_selectorELNS0_4arch9wavefront6targetE0EEEvT1_.private_seg_size, 0
	.set _ZN7rocprim17ROCPRIM_400000_NS6detail17trampoline_kernelINS0_14default_configENS1_20scan_config_selectorIdEEZZNS1_9scan_implILNS1_25lookback_scan_determinismE0ELb0ELb0ES3_PKdPddZZZN2at6native31launch_logcumsumexp_cuda_kernelERKNSB_10TensorBaseESF_lENKUlvE_clEvENKUlvE_clEvEUlddE_dEEDaPvRmT3_T4_T5_mT6_P12ihipStream_tbENKUlT_T0_E_clISt17integral_constantIbLb0EESV_IbLb1EEEEDaSR_SS_EUlSR_E_NS1_11comp_targetILNS1_3genE2ELNS1_11target_archE906ELNS1_3gpuE6ELNS1_3repE0EEENS1_30default_config_static_selectorELNS0_4arch9wavefront6targetE0EEEvT1_.uses_vcc, 0
	.set _ZN7rocprim17ROCPRIM_400000_NS6detail17trampoline_kernelINS0_14default_configENS1_20scan_config_selectorIdEEZZNS1_9scan_implILNS1_25lookback_scan_determinismE0ELb0ELb0ES3_PKdPddZZZN2at6native31launch_logcumsumexp_cuda_kernelERKNSB_10TensorBaseESF_lENKUlvE_clEvENKUlvE_clEvEUlddE_dEEDaPvRmT3_T4_T5_mT6_P12ihipStream_tbENKUlT_T0_E_clISt17integral_constantIbLb0EESV_IbLb1EEEEDaSR_SS_EUlSR_E_NS1_11comp_targetILNS1_3genE2ELNS1_11target_archE906ELNS1_3gpuE6ELNS1_3repE0EEENS1_30default_config_static_selectorELNS0_4arch9wavefront6targetE0EEEvT1_.uses_flat_scratch, 0
	.set _ZN7rocprim17ROCPRIM_400000_NS6detail17trampoline_kernelINS0_14default_configENS1_20scan_config_selectorIdEEZZNS1_9scan_implILNS1_25lookback_scan_determinismE0ELb0ELb0ES3_PKdPddZZZN2at6native31launch_logcumsumexp_cuda_kernelERKNSB_10TensorBaseESF_lENKUlvE_clEvENKUlvE_clEvEUlddE_dEEDaPvRmT3_T4_T5_mT6_P12ihipStream_tbENKUlT_T0_E_clISt17integral_constantIbLb0EESV_IbLb1EEEEDaSR_SS_EUlSR_E_NS1_11comp_targetILNS1_3genE2ELNS1_11target_archE906ELNS1_3gpuE6ELNS1_3repE0EEENS1_30default_config_static_selectorELNS0_4arch9wavefront6targetE0EEEvT1_.has_dyn_sized_stack, 0
	.set _ZN7rocprim17ROCPRIM_400000_NS6detail17trampoline_kernelINS0_14default_configENS1_20scan_config_selectorIdEEZZNS1_9scan_implILNS1_25lookback_scan_determinismE0ELb0ELb0ES3_PKdPddZZZN2at6native31launch_logcumsumexp_cuda_kernelERKNSB_10TensorBaseESF_lENKUlvE_clEvENKUlvE_clEvEUlddE_dEEDaPvRmT3_T4_T5_mT6_P12ihipStream_tbENKUlT_T0_E_clISt17integral_constantIbLb0EESV_IbLb1EEEEDaSR_SS_EUlSR_E_NS1_11comp_targetILNS1_3genE2ELNS1_11target_archE906ELNS1_3gpuE6ELNS1_3repE0EEENS1_30default_config_static_selectorELNS0_4arch9wavefront6targetE0EEEvT1_.has_recursion, 0
	.set _ZN7rocprim17ROCPRIM_400000_NS6detail17trampoline_kernelINS0_14default_configENS1_20scan_config_selectorIdEEZZNS1_9scan_implILNS1_25lookback_scan_determinismE0ELb0ELb0ES3_PKdPddZZZN2at6native31launch_logcumsumexp_cuda_kernelERKNSB_10TensorBaseESF_lENKUlvE_clEvENKUlvE_clEvEUlddE_dEEDaPvRmT3_T4_T5_mT6_P12ihipStream_tbENKUlT_T0_E_clISt17integral_constantIbLb0EESV_IbLb1EEEEDaSR_SS_EUlSR_E_NS1_11comp_targetILNS1_3genE2ELNS1_11target_archE906ELNS1_3gpuE6ELNS1_3repE0EEENS1_30default_config_static_selectorELNS0_4arch9wavefront6targetE0EEEvT1_.has_indirect_call, 0
	.section	.AMDGPU.csdata,"",@progbits
; Kernel info:
; codeLenInByte = 0
; TotalNumSgprs: 0
; NumVgprs: 0
; ScratchSize: 0
; MemoryBound: 0
; FloatMode: 240
; IeeeMode: 1
; LDSByteSize: 0 bytes/workgroup (compile time only)
; SGPRBlocks: 0
; VGPRBlocks: 0
; NumSGPRsForWavesPerEU: 1
; NumVGPRsForWavesPerEU: 1
; Occupancy: 16
; WaveLimiterHint : 0
; COMPUTE_PGM_RSRC2:SCRATCH_EN: 0
; COMPUTE_PGM_RSRC2:USER_SGPR: 2
; COMPUTE_PGM_RSRC2:TRAP_HANDLER: 0
; COMPUTE_PGM_RSRC2:TGID_X_EN: 1
; COMPUTE_PGM_RSRC2:TGID_Y_EN: 0
; COMPUTE_PGM_RSRC2:TGID_Z_EN: 0
; COMPUTE_PGM_RSRC2:TIDIG_COMP_CNT: 0
	.section	.text._ZN7rocprim17ROCPRIM_400000_NS6detail17trampoline_kernelINS0_14default_configENS1_20scan_config_selectorIdEEZZNS1_9scan_implILNS1_25lookback_scan_determinismE0ELb0ELb0ES3_PKdPddZZZN2at6native31launch_logcumsumexp_cuda_kernelERKNSB_10TensorBaseESF_lENKUlvE_clEvENKUlvE_clEvEUlddE_dEEDaPvRmT3_T4_T5_mT6_P12ihipStream_tbENKUlT_T0_E_clISt17integral_constantIbLb0EESV_IbLb1EEEEDaSR_SS_EUlSR_E_NS1_11comp_targetILNS1_3genE10ELNS1_11target_archE1201ELNS1_3gpuE5ELNS1_3repE0EEENS1_30default_config_static_selectorELNS0_4arch9wavefront6targetE0EEEvT1_,"axG",@progbits,_ZN7rocprim17ROCPRIM_400000_NS6detail17trampoline_kernelINS0_14default_configENS1_20scan_config_selectorIdEEZZNS1_9scan_implILNS1_25lookback_scan_determinismE0ELb0ELb0ES3_PKdPddZZZN2at6native31launch_logcumsumexp_cuda_kernelERKNSB_10TensorBaseESF_lENKUlvE_clEvENKUlvE_clEvEUlddE_dEEDaPvRmT3_T4_T5_mT6_P12ihipStream_tbENKUlT_T0_E_clISt17integral_constantIbLb0EESV_IbLb1EEEEDaSR_SS_EUlSR_E_NS1_11comp_targetILNS1_3genE10ELNS1_11target_archE1201ELNS1_3gpuE5ELNS1_3repE0EEENS1_30default_config_static_selectorELNS0_4arch9wavefront6targetE0EEEvT1_,comdat
	.globl	_ZN7rocprim17ROCPRIM_400000_NS6detail17trampoline_kernelINS0_14default_configENS1_20scan_config_selectorIdEEZZNS1_9scan_implILNS1_25lookback_scan_determinismE0ELb0ELb0ES3_PKdPddZZZN2at6native31launch_logcumsumexp_cuda_kernelERKNSB_10TensorBaseESF_lENKUlvE_clEvENKUlvE_clEvEUlddE_dEEDaPvRmT3_T4_T5_mT6_P12ihipStream_tbENKUlT_T0_E_clISt17integral_constantIbLb0EESV_IbLb1EEEEDaSR_SS_EUlSR_E_NS1_11comp_targetILNS1_3genE10ELNS1_11target_archE1201ELNS1_3gpuE5ELNS1_3repE0EEENS1_30default_config_static_selectorELNS0_4arch9wavefront6targetE0EEEvT1_ ; -- Begin function _ZN7rocprim17ROCPRIM_400000_NS6detail17trampoline_kernelINS0_14default_configENS1_20scan_config_selectorIdEEZZNS1_9scan_implILNS1_25lookback_scan_determinismE0ELb0ELb0ES3_PKdPddZZZN2at6native31launch_logcumsumexp_cuda_kernelERKNSB_10TensorBaseESF_lENKUlvE_clEvENKUlvE_clEvEUlddE_dEEDaPvRmT3_T4_T5_mT6_P12ihipStream_tbENKUlT_T0_E_clISt17integral_constantIbLb0EESV_IbLb1EEEEDaSR_SS_EUlSR_E_NS1_11comp_targetILNS1_3genE10ELNS1_11target_archE1201ELNS1_3gpuE5ELNS1_3repE0EEENS1_30default_config_static_selectorELNS0_4arch9wavefront6targetE0EEEvT1_
	.p2align	8
	.type	_ZN7rocprim17ROCPRIM_400000_NS6detail17trampoline_kernelINS0_14default_configENS1_20scan_config_selectorIdEEZZNS1_9scan_implILNS1_25lookback_scan_determinismE0ELb0ELb0ES3_PKdPddZZZN2at6native31launch_logcumsumexp_cuda_kernelERKNSB_10TensorBaseESF_lENKUlvE_clEvENKUlvE_clEvEUlddE_dEEDaPvRmT3_T4_T5_mT6_P12ihipStream_tbENKUlT_T0_E_clISt17integral_constantIbLb0EESV_IbLb1EEEEDaSR_SS_EUlSR_E_NS1_11comp_targetILNS1_3genE10ELNS1_11target_archE1201ELNS1_3gpuE5ELNS1_3repE0EEENS1_30default_config_static_selectorELNS0_4arch9wavefront6targetE0EEEvT1_,@function
_ZN7rocprim17ROCPRIM_400000_NS6detail17trampoline_kernelINS0_14default_configENS1_20scan_config_selectorIdEEZZNS1_9scan_implILNS1_25lookback_scan_determinismE0ELb0ELb0ES3_PKdPddZZZN2at6native31launch_logcumsumexp_cuda_kernelERKNSB_10TensorBaseESF_lENKUlvE_clEvENKUlvE_clEvEUlddE_dEEDaPvRmT3_T4_T5_mT6_P12ihipStream_tbENKUlT_T0_E_clISt17integral_constantIbLb0EESV_IbLb1EEEEDaSR_SS_EUlSR_E_NS1_11comp_targetILNS1_3genE10ELNS1_11target_archE1201ELNS1_3gpuE5ELNS1_3repE0EEENS1_30default_config_static_selectorELNS0_4arch9wavefront6targetE0EEEvT1_: ; @_ZN7rocprim17ROCPRIM_400000_NS6detail17trampoline_kernelINS0_14default_configENS1_20scan_config_selectorIdEEZZNS1_9scan_implILNS1_25lookback_scan_determinismE0ELb0ELb0ES3_PKdPddZZZN2at6native31launch_logcumsumexp_cuda_kernelERKNSB_10TensorBaseESF_lENKUlvE_clEvENKUlvE_clEvEUlddE_dEEDaPvRmT3_T4_T5_mT6_P12ihipStream_tbENKUlT_T0_E_clISt17integral_constantIbLb0EESV_IbLb1EEEEDaSR_SS_EUlSR_E_NS1_11comp_targetILNS1_3genE10ELNS1_11target_archE1201ELNS1_3gpuE5ELNS1_3repE0EEENS1_30default_config_static_selectorELNS0_4arch9wavefront6targetE0EEEvT1_
; %bb.0:
	s_load_b64 s[34:35], s[0:1], 0x30
	v_cmp_ne_u32_e64 s2, 0, v0
	v_cmp_eq_u32_e64 s3, 0, v0
	s_and_saveexec_b32 s4, s3
	s_cbranch_execz .LBB71_4
; %bb.1:
	s_mov_b32 s6, exec_lo
	s_mov_b32 s5, exec_lo
	v_mbcnt_lo_u32_b32 v1, s6, 0
                                        ; implicit-def: $vgpr2
	s_delay_alu instid0(VALU_DEP_1)
	v_cmpx_eq_u32_e32 0, v1
	s_cbranch_execz .LBB71_3
; %bb.2:
	s_load_b64 s[8:9], s[0:1], 0x60
	s_bcnt1_i32_b32 s6, s6
	s_wait_alu 0xfffe
	v_dual_mov_b32 v2, 0 :: v_dual_mov_b32 v3, s6
	s_wait_kmcnt 0x0
	global_atomic_add_u32 v2, v2, v3, s[8:9] th:TH_ATOMIC_RETURN scope:SCOPE_DEV
.LBB71_3:
	s_or_b32 exec_lo, exec_lo, s5
	s_wait_loadcnt 0x0
	v_readfirstlane_b32 s5, v2
	s_delay_alu instid0(VALU_DEP_1)
	v_dual_mov_b32 v2, 0 :: v_dual_add_nc_u32 v1, s5, v1
	ds_store_b32 v2, v1
.LBB71_4:
	s_or_b32 exec_lo, exec_lo, s4
	v_dual_mov_b32 v1, 0 :: v_dual_lshlrev_b32 v98, 3, v0
	s_clause 0x2
	s_load_b256 s[36:43], s[0:1], 0x0
	s_load_b32 s4, s[0:1], 0x38
	s_load_b256 s[24:31], s[0:1], 0x40
	s_wait_dscnt 0x0
	s_barrier_signal -1
	s_barrier_wait -1
	global_inv scope:SCOPE_SE
	ds_load_b32 v1, v1
	s_mov_b32 s7, 0
	v_lshrrev_b32_e32 v99, 2, v0
	s_wait_alu 0xfffe
	s_mov_b32 s11, s7
	v_or_b32_e32 v97, 0x100, v0
	v_or_b32_e32 v96, 0x200, v0
	;; [unrolled: 1-line block ×9, first 2 shown]
	s_wait_kmcnt 0x0
	s_lshl_b64 s[38:39], s[38:39], 3
	s_add_co_i32 s0, s4, -1
	v_or_b32_e32 v89, 0xa00, v0
	s_lshl_b32 s6, s0, 12
	v_or_b32_e32 v87, 0xb00, v0
	v_or_b32_e32 v86, 0xc00, v0
	;; [unrolled: 1-line block ×3, first 2 shown]
	s_wait_dscnt 0x0
	v_readfirstlane_b32 s33, v1
	v_cmp_ne_u32_e64 s0, s0, v1
	v_or_b32_e32 v84, 0xe00, v0
	v_or_b32_e32 v83, 0xf00, v0
	s_add_nc_u64 s[4:5], s[36:37], s[38:39]
	s_lshl_b32 s10, s33, 12
	s_mov_b32 s8, -1
	s_lshl_b64 s[36:37], s[10:11], 3
	s_and_b32 vcc_lo, exec_lo, s0
	s_wait_alu 0xfffe
	s_add_nc_u64 s[4:5], s[4:5], s[36:37]
	s_wait_loadcnt 0x0
	s_barrier_signal -1
	s_barrier_wait -1
	global_inv scope:SCOPE_SE
	s_cbranch_vccz .LBB71_6
; %bb.5:
	s_clause 0xf
	global_load_b64 v[1:2], v98, s[4:5]
	global_load_b64 v[3:4], v98, s[4:5] offset:2048
	global_load_b64 v[5:6], v98, s[4:5] offset:4096
	;; [unrolled: 1-line block ×15, first 2 shown]
	v_lshrrev_b32_e32 v34, 2, v97
	v_lshrrev_b32_e32 v35, 2, v96
	v_lshrrev_b32_e32 v36, 2, v95
	v_lshrrev_b32_e32 v37, 2, v94
	v_and_b32_e32 v33, 56, v99
	v_lshrrev_b32_e32 v38, 2, v93
	v_lshrrev_b32_e32 v39, 2, v92
	;; [unrolled: 1-line block ×11, first 2 shown]
	v_and_b32_e32 v34, 0x78, v34
	v_and_b32_e32 v35, 0xb8, v35
	;; [unrolled: 1-line block ×4, first 2 shown]
	v_add_nc_u32_e32 v33, v33, v98
	v_and_b32_e32 v38, 0x178, v38
	v_and_b32_e32 v39, 0x1b8, v39
	;; [unrolled: 1-line block ×11, first 2 shown]
	v_add_nc_u32_e32 v34, v34, v98
	v_add_nc_u32_e32 v35, v35, v98
	;; [unrolled: 1-line block ×4, first 2 shown]
	s_mov_b32 s8, s7
	v_add_nc_u32_e32 v38, v38, v98
	v_add_nc_u32_e32 v39, v39, v98
	;; [unrolled: 1-line block ×11, first 2 shown]
	s_wait_loadcnt 0xf
	ds_store_b64 v33, v[1:2]
	s_wait_loadcnt 0xe
	ds_store_b64 v34, v[3:4] offset:2048
	s_wait_loadcnt 0xd
	ds_store_b64 v35, v[5:6] offset:4096
	;; [unrolled: 2-line block ×15, first 2 shown]
	s_wait_dscnt 0x0
	s_barrier_signal -1
	s_barrier_wait -1
.LBB71_6:
	s_sub_nc_u64 s[22:23], s[42:43], s[6:7]
	s_and_not1_b32 vcc_lo, exec_lo, s8
	v_cmp_gt_u32_e64 s1, s22, v0
	s_cbranch_vccnz .LBB71_25
; %bb.7:
	v_mov_b32_e32 v1, 0
	global_load_b64 v[25:26], v1, s[4:5]
	s_wait_loadcnt 0x0
	v_dual_mov_b32 v15, v25 :: v_dual_mov_b32 v32, v26
	v_dual_mov_b32 v27, v25 :: v_dual_mov_b32 v30, v26
	;; [unrolled: 1-line block ×15, first 2 shown]
	s_and_saveexec_b32 s6, s1
	s_cbranch_execz .LBB71_8
; %bb.415:
	s_getpc_b64 s[92:93]
.Lpost_getpc32:
	s_wait_alu 0xfffe
	s_add_co_u32 s92, s92, (.LBB71_328-.Lpost_getpc32)&4294967295
	s_add_co_ci_u32 s93, s93, (.LBB71_328-.Lpost_getpc32)>>32
	s_wait_alu 0xfffe
	s_setpc_b64 s[92:93]
.LBB71_8:
	s_wait_alu 0xfffe
	s_or_b32 exec_lo, exec_lo, s6
	s_delay_alu instid0(SALU_CYCLE_1)
	s_mov_b32 s1, exec_lo
	v_cmpx_gt_u32_e64 s22, v97
	s_cbranch_execz .LBB71_9
; %bb.417:
	s_getpc_b64 s[92:93]
.Lpost_getpc33:
	s_wait_alu 0xfffe
	s_add_co_u32 s92, s92, (.LBB71_329-.Lpost_getpc33)&4294967295
	s_add_co_ci_u32 s93, s93, (.LBB71_329-.Lpost_getpc33)>>32
	s_wait_alu 0xfffe
	s_setpc_b64 s[92:93]
.LBB71_9:
	s_wait_alu 0xfffe
	s_or_b32 exec_lo, exec_lo, s1
	s_delay_alu instid0(SALU_CYCLE_1)
	s_mov_b32 s1, exec_lo
	v_cmpx_gt_u32_e64 s22, v96
	s_cbranch_execz .LBB71_10
; %bb.419:
	s_getpc_b64 s[92:93]
.Lpost_getpc34:
	s_wait_alu 0xfffe
	s_add_co_u32 s92, s92, (.LBB71_330-.Lpost_getpc34)&4294967295
	s_add_co_ci_u32 s93, s93, (.LBB71_330-.Lpost_getpc34)>>32
	s_wait_alu 0xfffe
	s_setpc_b64 s[92:93]
.LBB71_10:
	s_wait_alu 0xfffe
	s_or_b32 exec_lo, exec_lo, s1
	s_delay_alu instid0(SALU_CYCLE_1)
	s_mov_b32 s1, exec_lo
	v_cmpx_gt_u32_e64 s22, v95
	s_cbranch_execz .LBB71_11
; %bb.421:
	s_getpc_b64 s[92:93]
.Lpost_getpc35:
	s_wait_alu 0xfffe
	s_add_co_u32 s92, s92, (.LBB71_331-.Lpost_getpc35)&4294967295
	s_add_co_ci_u32 s93, s93, (.LBB71_331-.Lpost_getpc35)>>32
	s_wait_alu 0xfffe
	s_setpc_b64 s[92:93]
.LBB71_11:
	s_wait_alu 0xfffe
	s_or_b32 exec_lo, exec_lo, s1
	s_delay_alu instid0(SALU_CYCLE_1)
	s_mov_b32 s1, exec_lo
	v_cmpx_gt_u32_e64 s22, v94
	s_cbranch_execz .LBB71_12
; %bb.423:
	s_getpc_b64 s[92:93]
.Lpost_getpc36:
	s_wait_alu 0xfffe
	s_add_co_u32 s92, s92, (.LBB71_332-.Lpost_getpc36)&4294967295
	s_add_co_ci_u32 s93, s93, (.LBB71_332-.Lpost_getpc36)>>32
	s_wait_alu 0xfffe
	s_setpc_b64 s[92:93]
.LBB71_12:
	s_wait_alu 0xfffe
	s_or_b32 exec_lo, exec_lo, s1
	s_delay_alu instid0(SALU_CYCLE_1)
	s_mov_b32 s1, exec_lo
	v_cmpx_gt_u32_e64 s22, v93
	s_cbranch_execz .LBB71_13
; %bb.425:
	s_getpc_b64 s[92:93]
.Lpost_getpc37:
	s_wait_alu 0xfffe
	s_add_co_u32 s92, s92, (.LBB71_333-.Lpost_getpc37)&4294967295
	s_add_co_ci_u32 s93, s93, (.LBB71_333-.Lpost_getpc37)>>32
	s_wait_alu 0xfffe
	s_setpc_b64 s[92:93]
.LBB71_13:
	s_wait_alu 0xfffe
	s_or_b32 exec_lo, exec_lo, s1
	s_delay_alu instid0(SALU_CYCLE_1)
	s_mov_b32 s1, exec_lo
	v_cmpx_gt_u32_e64 s22, v92
	s_cbranch_execz .LBB71_14
; %bb.427:
	s_getpc_b64 s[92:93]
.Lpost_getpc38:
	s_wait_alu 0xfffe
	s_add_co_u32 s92, s92, (.LBB71_334-.Lpost_getpc38)&4294967295
	s_add_co_ci_u32 s93, s93, (.LBB71_334-.Lpost_getpc38)>>32
	s_wait_alu 0xfffe
	s_setpc_b64 s[92:93]
.LBB71_14:
	s_wait_alu 0xfffe
	s_or_b32 exec_lo, exec_lo, s1
	s_delay_alu instid0(SALU_CYCLE_1)
	s_mov_b32 s1, exec_lo
	v_cmpx_gt_u32_e64 s22, v91
	s_cbranch_execz .LBB71_15
; %bb.429:
	s_getpc_b64 s[92:93]
.Lpost_getpc39:
	s_wait_alu 0xfffe
	s_add_co_u32 s92, s92, (.LBB71_335-.Lpost_getpc39)&4294967295
	s_add_co_ci_u32 s93, s93, (.LBB71_335-.Lpost_getpc39)>>32
	s_wait_alu 0xfffe
	s_setpc_b64 s[92:93]
.LBB71_15:
	s_wait_alu 0xfffe
	s_or_b32 exec_lo, exec_lo, s1
	s_delay_alu instid0(SALU_CYCLE_1)
	s_mov_b32 s1, exec_lo
	v_cmpx_gt_u32_e64 s22, v90
	s_cbranch_execz .LBB71_16
; %bb.431:
	s_getpc_b64 s[92:93]
.Lpost_getpc40:
	s_wait_alu 0xfffe
	s_add_co_u32 s92, s92, (.LBB71_336-.Lpost_getpc40)&4294967295
	s_add_co_ci_u32 s93, s93, (.LBB71_336-.Lpost_getpc40)>>32
	s_wait_alu 0xfffe
	s_setpc_b64 s[92:93]
.LBB71_16:
	s_wait_alu 0xfffe
	s_or_b32 exec_lo, exec_lo, s1
	s_delay_alu instid0(SALU_CYCLE_1)
	s_mov_b32 s1, exec_lo
	v_cmpx_gt_u32_e64 s22, v88
	s_cbranch_execz .LBB71_17
; %bb.433:
	s_getpc_b64 s[92:93]
.Lpost_getpc41:
	s_wait_alu 0xfffe
	s_add_co_u32 s92, s92, (.LBB71_337-.Lpost_getpc41)&4294967295
	s_add_co_ci_u32 s93, s93, (.LBB71_337-.Lpost_getpc41)>>32
	s_wait_alu 0xfffe
	s_setpc_b64 s[92:93]
.LBB71_17:
	s_wait_alu 0xfffe
	s_or_b32 exec_lo, exec_lo, s1
	s_delay_alu instid0(SALU_CYCLE_1)
	s_mov_b32 s1, exec_lo
	v_cmpx_gt_u32_e64 s22, v89
	s_cbranch_execz .LBB71_18
; %bb.435:
	s_getpc_b64 s[92:93]
.Lpost_getpc42:
	s_wait_alu 0xfffe
	s_add_co_u32 s92, s92, (.LBB71_338-.Lpost_getpc42)&4294967295
	s_add_co_ci_u32 s93, s93, (.LBB71_338-.Lpost_getpc42)>>32
	s_wait_alu 0xfffe
	s_setpc_b64 s[92:93]
.LBB71_18:
	s_wait_alu 0xfffe
	s_or_b32 exec_lo, exec_lo, s1
	s_delay_alu instid0(SALU_CYCLE_1)
	s_mov_b32 s1, exec_lo
	v_cmpx_gt_u32_e64 s22, v87
	s_cbranch_execz .LBB71_19
; %bb.437:
	s_getpc_b64 s[92:93]
.Lpost_getpc43:
	s_wait_alu 0xfffe
	s_add_co_u32 s92, s92, (.LBB71_339-.Lpost_getpc43)&4294967295
	s_add_co_ci_u32 s93, s93, (.LBB71_339-.Lpost_getpc43)>>32
	s_wait_alu 0xfffe
	s_setpc_b64 s[92:93]
.LBB71_19:
	s_wait_alu 0xfffe
	s_or_b32 exec_lo, exec_lo, s1
	s_delay_alu instid0(SALU_CYCLE_1)
	s_mov_b32 s1, exec_lo
	v_cmpx_gt_u32_e64 s22, v86
	s_cbranch_execz .LBB71_20
; %bb.439:
	s_getpc_b64 s[92:93]
.Lpost_getpc44:
	s_wait_alu 0xfffe
	s_add_co_u32 s92, s92, (.LBB71_340-.Lpost_getpc44)&4294967295
	s_add_co_ci_u32 s93, s93, (.LBB71_340-.Lpost_getpc44)>>32
	s_wait_alu 0xfffe
	s_setpc_b64 s[92:93]
.LBB71_20:
	s_wait_alu 0xfffe
	s_or_b32 exec_lo, exec_lo, s1
	s_delay_alu instid0(SALU_CYCLE_1)
	s_mov_b32 s1, exec_lo
	v_cmpx_gt_u32_e64 s22, v85
	s_cbranch_execz .LBB71_21
; %bb.441:
	s_getpc_b64 s[92:93]
.Lpost_getpc45:
	s_wait_alu 0xfffe
	s_add_co_u32 s92, s92, (.LBB71_341-.Lpost_getpc45)&4294967295
	s_add_co_ci_u32 s93, s93, (.LBB71_341-.Lpost_getpc45)>>32
	s_wait_alu 0xfffe
	s_setpc_b64 s[92:93]
.LBB71_21:
	s_wait_alu 0xfffe
	s_or_b32 exec_lo, exec_lo, s1
	s_delay_alu instid0(SALU_CYCLE_1)
	s_mov_b32 s1, exec_lo
	v_cmpx_gt_u32_e64 s22, v84
	s_cbranch_execz .LBB71_22
; %bb.443:
	s_getpc_b64 s[92:93]
.Lpost_getpc46:
	s_wait_alu 0xfffe
	s_add_co_u32 s92, s92, (.LBB71_342-.Lpost_getpc46)&4294967295
	s_add_co_ci_u32 s93, s93, (.LBB71_342-.Lpost_getpc46)>>32
	s_wait_alu 0xfffe
	s_setpc_b64 s[92:93]
.LBB71_22:
	s_wait_alu 0xfffe
	s_or_b32 exec_lo, exec_lo, s1
	s_delay_alu instid0(SALU_CYCLE_1)
	s_mov_b32 s1, exec_lo
	v_cmpx_gt_u32_e64 s22, v83
	s_cbranch_execz .LBB71_24
.LBB71_23:
	global_load_b64 v[15:16], v98, s[4:5] offset:30720
.LBB71_24:
	s_wait_alu 0xfffe
	s_or_b32 exec_lo, exec_lo, s1
	v_lshrrev_b32_e32 v33, 2, v97
	v_lshrrev_b32_e32 v34, 2, v96
	;; [unrolled: 1-line block ×3, first 2 shown]
	v_and_b32_e32 v36, 56, v99
	v_lshrrev_b32_e32 v37, 2, v94
	v_and_b32_e32 v33, 0x78, v33
	v_and_b32_e32 v34, 0xf8, v34
	;; [unrolled: 1-line block ×3, first 2 shown]
	v_lshrrev_b32_e32 v38, 2, v93
	v_add_nc_u32_e32 v36, v36, v98
	v_lshrrev_b32_e32 v39, 2, v92
	v_add_nc_u32_e32 v33, v33, v98
	;; [unrolled: 2-line block ×3, first 2 shown]
	v_add_nc_u32_e32 v35, v35, v98
	v_and_b32_e32 v37, 0x1f8, v37
	v_and_b32_e32 v38, 0x1f8, v38
	s_wait_loadcnt 0x0
	ds_store_b64 v36, v[31:32]
	ds_store_b64 v33, v[25:26] offset:2048
	ds_store_b64 v34, v[27:28] offset:4096
	;; [unrolled: 1-line block ×3, first 2 shown]
	v_and_b32_e32 v27, 0x1f8, v39
	v_and_b32_e32 v28, 0x1f8, v40
	v_add_nc_u32_e32 v25, v37, v98
	v_add_nc_u32_e32 v26, v38, v98
	v_lshrrev_b32_e32 v29, 2, v90
	v_add_nc_u32_e32 v27, v27, v98
	v_lshrrev_b32_e32 v30, 2, v88
	;; [unrolled: 2-line block ×3, first 2 shown]
	ds_store_b64 v25, v[17:18] offset:8192
	ds_store_b64 v26, v[19:20] offset:10240
	;; [unrolled: 1-line block ×4, first 2 shown]
	v_lshrrev_b32_e32 v20, 2, v87
	v_lshrrev_b32_e32 v21, 2, v86
	v_and_b32_e32 v29, 0x3f8, v29
	v_lshrrev_b32_e32 v22, 2, v85
	v_lshrrev_b32_e32 v23, 2, v84
	;; [unrolled: 1-line block ×3, first 2 shown]
	v_and_b32_e32 v30, 0x3f8, v30
	v_and_b32_e32 v31, 0x3f8, v31
	;; [unrolled: 1-line block ×4, first 2 shown]
	v_add_nc_u32_e32 v17, v29, v98
	v_and_b32_e32 v22, 0x3f8, v22
	v_and_b32_e32 v23, 0x3f8, v23
	;; [unrolled: 1-line block ×3, first 2 shown]
	v_add_nc_u32_e32 v18, v30, v98
	v_add_nc_u32_e32 v19, v31, v98
	;; [unrolled: 1-line block ×7, first 2 shown]
	ds_store_b64 v17, v[1:2] offset:16384
	ds_store_b64 v18, v[3:4] offset:18432
	;; [unrolled: 1-line block ×8, first 2 shown]
	s_wait_dscnt 0x0
	s_barrier_signal -1
	s_barrier_wait -1
.LBB71_25:
	v_lshlrev_b32_e32 v1, 2, v0
	v_lshlrev_b32_e32 v2, 7, v0
	s_wait_loadcnt 0x0
	global_inv scope:SCOPE_SE
	s_cmp_lg_u32 s33, 0
	v_and_b32_e32 v1, 0x3f8, v1
	s_delay_alu instid0(VALU_DEP_1)
	v_add_nc_u32_e32 v100, v1, v2
	ds_load_2addr_b64 v[1:4], v100 offset1:1
	ds_load_2addr_b64 v[61:64], v100 offset0:2 offset1:3
	ds_load_2addr_b64 v[57:60], v100 offset0:4 offset1:5
	;; [unrolled: 1-line block ×7, first 2 shown]
	s_wait_loadcnt_dscnt 0x0
	s_barrier_signal -1
	s_barrier_wait -1
	global_inv scope:SCOPE_SE
	v_cmp_u_f64_e64 s1, v[3:4], v[3:4]
	v_max_num_f64_e32 v[65:66], v[3:4], v[3:4]
	s_cbranch_scc0 .LBB71_152
; %bb.26:
	v_max_num_f64_e32 v[69:70], v[1:2], v[1:2]
	v_cmp_u_f64_e64 s18, v[1:2], v[1:2]
	s_delay_alu instid0(VALU_DEP_2) | instskip(SKIP_1) | instid1(VALU_DEP_2)
	v_min_num_f64_e32 v[5:6], v[69:70], v[65:66]
	v_max_num_f64_e32 v[7:8], v[69:70], v[65:66]
	v_cndmask_b32_e64 v5, v5, v1, s18
	s_delay_alu instid0(VALU_DEP_3) | instskip(NEXT) | instid1(VALU_DEP_3)
	v_cndmask_b32_e64 v6, v6, v2, s18
	v_cndmask_b32_e64 v8, v8, v2, s18
	s_delay_alu instid0(VALU_DEP_4)
	v_cndmask_b32_e64 v7, v7, v1, s18
	s_wait_alu 0xf1ff
	v_cndmask_b32_e64 v9, v5, v3, s1
	v_cndmask_b32_e64 v10, v6, v4, s1
	;; [unrolled: 1-line block ×4, first 2 shown]
	v_dual_mov_b32 v6, v2 :: v_dual_mov_b32 v5, v1
	s_delay_alu instid0(VALU_DEP_4) | instskip(NEXT) | instid1(VALU_DEP_3)
	v_cmp_class_f64_e64 s4, v[9:10], 0x1f8
	v_cmp_neq_f64_e32 vcc_lo, v[9:10], v[7:8]
	s_wait_alu 0xfffe
	s_or_b32 s4, vcc_lo, s4
	s_wait_alu 0xfffe
	s_and_saveexec_b32 s10, s4
	s_cbranch_execz .LBB71_28
; %bb.27:
	v_add_f64_e64 v[5:6], v[9:10], -v[7:8]
	s_mov_b32 s4, 0x652b82fe
	s_mov_b32 s5, 0x3ff71547
	;; [unrolled: 1-line block ×10, first 2 shown]
	s_wait_alu 0xfffe
	s_delay_alu instid0(VALU_DEP_1) | instskip(SKIP_3) | instid1(VALU_DEP_2)
	v_mul_f64_e32 v[9:10], s[4:5], v[5:6]
	s_mov_b32 s4, 0xfca7ab0c
	s_mov_b32 s5, 0x3e928af3
	v_cmp_nlt_f64_e32 vcc_lo, 0x40900000, v[5:6]
	v_rndne_f64_e32 v[9:10], v[9:10]
	s_delay_alu instid0(VALU_DEP_1) | instskip(SKIP_2) | instid1(VALU_DEP_2)
	v_fma_f64 v[11:12], v[9:10], s[6:7], v[5:6]
	v_cvt_i32_f64_e32 v15, v[9:10]
	s_mov_b32 s7, 0x3fe62e42
	v_fma_f64 v[11:12], v[9:10], s[8:9], v[11:12]
	s_mov_b32 s9, 0x3c7abc9e
	s_wait_alu 0xfffe
	s_delay_alu instid0(VALU_DEP_1)
	v_fma_f64 v[13:14], v[11:12], s[12:13], s[4:5]
	s_mov_b32 s4, 0x623fde64
	s_mov_b32 s5, 0x3ec71dee
	;; [unrolled: 1-line block ×4, first 2 shown]
	s_wait_alu 0xfffe
	s_delay_alu instid0(VALU_DEP_1) | instskip(SKIP_3) | instid1(VALU_DEP_1)
	v_fma_f64 v[13:14], v[11:12], v[13:14], s[4:5]
	s_mov_b32 s4, 0x7c89e6b0
	s_mov_b32 s5, 0x3efa0199
	s_wait_alu 0xfffe
	v_fma_f64 v[13:14], v[11:12], v[13:14], s[4:5]
	s_mov_b32 s4, 0x14761f6e
	s_mov_b32 s5, 0x3f2a01a0
	s_wait_alu 0xfffe
	s_delay_alu instid0(VALU_DEP_1) | instskip(SKIP_3) | instid1(VALU_DEP_1)
	v_fma_f64 v[13:14], v[11:12], v[13:14], s[4:5]
	s_mov_b32 s4, 0x1852b7b0
	s_mov_b32 s5, 0x3f56c16c
	s_wait_alu 0xfffe
	v_fma_f64 v[13:14], v[11:12], v[13:14], s[4:5]
	s_mov_b32 s4, 0x11122322
	s_mov_b32 s5, 0x3f811111
	s_wait_alu 0xfffe
	s_delay_alu instid0(VALU_DEP_1) | instskip(SKIP_3) | instid1(VALU_DEP_1)
	v_fma_f64 v[13:14], v[11:12], v[13:14], s[4:5]
	s_mov_b32 s4, 0x555502a1
	s_mov_b32 s5, 0x3fa55555
	s_wait_alu 0xfffe
	v_fma_f64 v[13:14], v[11:12], v[13:14], s[4:5]
	s_mov_b32 s4, 0x55555511
	s_mov_b32 s5, 0x3fc55555
	s_wait_alu 0xfffe
	s_delay_alu instid0(VALU_DEP_1) | instskip(SKIP_3) | instid1(VALU_DEP_1)
	v_fma_f64 v[13:14], v[11:12], v[13:14], s[4:5]
	s_mov_b32 s4, 11
	s_mov_b32 s5, 0x3fe00000
	s_wait_alu 0xfffe
	v_fma_f64 v[13:14], v[11:12], v[13:14], s[4:5]
	v_cmp_ngt_f64_e64 s4, 0xc090cc00, v[5:6]
	s_mov_b32 s5, 0x3fe55555
	v_fma_f64 v[13:14], v[11:12], v[13:14], 1.0
	s_delay_alu instid0(VALU_DEP_1) | instskip(NEXT) | instid1(VALU_DEP_1)
	v_fma_f64 v[9:10], v[11:12], v[13:14], 1.0
	v_ldexp_f64 v[9:10], v[9:10], v15
	s_delay_alu instid0(VALU_DEP_1) | instskip(SKIP_2) | instid1(VALU_DEP_2)
	v_cndmask_b32_e32 v10, 0x7ff00000, v10, vcc_lo
	s_and_b32 vcc_lo, s4, vcc_lo
	s_wait_alu 0xfffe
	v_cndmask_b32_e32 v5, 0, v9, vcc_lo
	s_delay_alu instid0(VALU_DEP_2) | instskip(SKIP_1) | instid1(VALU_DEP_1)
	v_cndmask_b32_e64 v6, 0, v10, s4
	s_mov_b32 s4, 0x55555555
	v_add_f64_e32 v[9:10], 1.0, v[5:6]
	s_delay_alu instid0(VALU_DEP_1) | instskip(SKIP_3) | instid1(VALU_DEP_3)
	v_frexp_mant_f64_e32 v[11:12], v[9:10]
	v_frexp_exp_i32_f64_e32 v15, v[9:10]
	v_add_f64_e32 v[13:14], -1.0, v[9:10]
	s_wait_alu 0xfffe
	v_cmp_gt_f64_e32 vcc_lo, s[4:5], v[11:12]
	s_mov_b32 s4, 0x55555780
	s_delay_alu instid0(VALU_DEP_2) | instskip(SKIP_3) | instid1(VALU_DEP_3)
	v_add_f64_e64 v[11:12], v[13:14], -v[9:10]
	v_add_f64_e64 v[13:14], v[5:6], -v[13:14]
	s_wait_alu 0xfffd
	v_subrev_co_ci_u32_e64 v31, null, 0, v15, vcc_lo
	v_add_f64_e32 v[11:12], 1.0, v[11:12]
	v_cmp_nge_f64_e32 vcc_lo, -1.0, v[5:6]
	s_delay_alu instid0(VALU_DEP_3) | instskip(NEXT) | instid1(VALU_DEP_1)
	v_sub_nc_u32_e32 v17, 0, v31
	v_ldexp_f64 v[9:10], v[9:10], v17
	s_delay_alu instid0(VALU_DEP_4) | instskip(NEXT) | instid1(VALU_DEP_2)
	v_add_f64_e32 v[11:12], v[13:14], v[11:12]
	v_add_f64_e32 v[15:16], 1.0, v[9:10]
	v_add_f64_e32 v[21:22], -1.0, v[9:10]
	s_delay_alu instid0(VALU_DEP_3) | instskip(NEXT) | instid1(VALU_DEP_3)
	v_ldexp_f64 v[11:12], v[11:12], v17
	v_add_f64_e32 v[13:14], -1.0, v[15:16]
	s_delay_alu instid0(VALU_DEP_3) | instskip(NEXT) | instid1(VALU_DEP_2)
	v_add_f64_e32 v[23:24], 1.0, v[21:22]
	v_add_f64_e64 v[13:14], v[9:10], -v[13:14]
	s_delay_alu instid0(VALU_DEP_2) | instskip(NEXT) | instid1(VALU_DEP_2)
	v_add_f64_e64 v[9:10], v[9:10], -v[23:24]
	v_add_f64_e32 v[13:14], v[11:12], v[13:14]
	s_delay_alu instid0(VALU_DEP_2) | instskip(NEXT) | instid1(VALU_DEP_2)
	v_add_f64_e32 v[9:10], v[11:12], v[9:10]
	v_add_f64_e32 v[17:18], v[15:16], v[13:14]
	s_delay_alu instid0(VALU_DEP_2) | instskip(NEXT) | instid1(VALU_DEP_2)
	v_add_f64_e32 v[23:24], v[21:22], v[9:10]
	v_rcp_f64_e32 v[19:20], v[17:18]
	v_add_f64_e64 v[15:16], v[17:18], -v[15:16]
	s_delay_alu instid0(VALU_DEP_2) | instskip(NEXT) | instid1(VALU_DEP_2)
	v_add_f64_e64 v[21:22], v[23:24], -v[21:22]
	v_add_f64_e64 v[13:14], v[13:14], -v[15:16]
	s_delay_alu instid0(TRANS32_DEP_1) | instskip(NEXT) | instid1(VALU_DEP_3)
	v_fma_f64 v[25:26], -v[17:18], v[19:20], 1.0
	v_add_f64_e64 v[9:10], v[9:10], -v[21:22]
	s_delay_alu instid0(VALU_DEP_2) | instskip(NEXT) | instid1(VALU_DEP_1)
	v_fma_f64 v[19:20], v[25:26], v[19:20], v[19:20]
	v_fma_f64 v[11:12], -v[17:18], v[19:20], 1.0
	s_delay_alu instid0(VALU_DEP_1) | instskip(NEXT) | instid1(VALU_DEP_1)
	v_fma_f64 v[11:12], v[11:12], v[19:20], v[19:20]
	v_mul_f64_e32 v[19:20], v[23:24], v[11:12]
	s_delay_alu instid0(VALU_DEP_1) | instskip(NEXT) | instid1(VALU_DEP_1)
	v_mul_f64_e32 v[25:26], v[17:18], v[19:20]
	v_fma_f64 v[15:16], v[19:20], v[17:18], -v[25:26]
	s_delay_alu instid0(VALU_DEP_1) | instskip(NEXT) | instid1(VALU_DEP_1)
	v_fma_f64 v[15:16], v[19:20], v[13:14], v[15:16]
	v_add_f64_e32 v[27:28], v[25:26], v[15:16]
	s_delay_alu instid0(VALU_DEP_1) | instskip(SKIP_1) | instid1(VALU_DEP_2)
	v_add_f64_e64 v[29:30], v[23:24], -v[27:28]
	v_add_f64_e64 v[21:22], v[27:28], -v[25:26]
	;; [unrolled: 1-line block ×3, first 2 shown]
	s_delay_alu instid0(VALU_DEP_2) | instskip(NEXT) | instid1(VALU_DEP_2)
	v_add_f64_e64 v[15:16], v[21:22], -v[15:16]
	v_add_f64_e64 v[23:24], v[23:24], -v[27:28]
	s_delay_alu instid0(VALU_DEP_1) | instskip(NEXT) | instid1(VALU_DEP_1)
	v_add_f64_e32 v[9:10], v[9:10], v[23:24]
	v_add_f64_e32 v[9:10], v[15:16], v[9:10]
	s_delay_alu instid0(VALU_DEP_1) | instskip(NEXT) | instid1(VALU_DEP_1)
	v_add_f64_e32 v[15:16], v[29:30], v[9:10]
	v_mul_f64_e32 v[21:22], v[11:12], v[15:16]
	v_add_f64_e64 v[27:28], v[29:30], -v[15:16]
	s_delay_alu instid0(VALU_DEP_2) | instskip(NEXT) | instid1(VALU_DEP_2)
	v_mul_f64_e32 v[23:24], v[17:18], v[21:22]
	v_add_f64_e32 v[9:10], v[9:10], v[27:28]
	s_delay_alu instid0(VALU_DEP_2) | instskip(NEXT) | instid1(VALU_DEP_1)
	v_fma_f64 v[17:18], v[21:22], v[17:18], -v[23:24]
	v_fma_f64 v[13:14], v[21:22], v[13:14], v[17:18]
	s_delay_alu instid0(VALU_DEP_1) | instskip(NEXT) | instid1(VALU_DEP_1)
	v_add_f64_e32 v[17:18], v[23:24], v[13:14]
	v_add_f64_e64 v[25:26], v[15:16], -v[17:18]
	v_add_f64_e64 v[23:24], v[17:18], -v[23:24]
	s_delay_alu instid0(VALU_DEP_2) | instskip(NEXT) | instid1(VALU_DEP_2)
	v_add_f64_e64 v[15:16], v[15:16], -v[25:26]
	v_add_f64_e64 v[13:14], v[23:24], -v[13:14]
	s_delay_alu instid0(VALU_DEP_2) | instskip(NEXT) | instid1(VALU_DEP_1)
	v_add_f64_e64 v[15:16], v[15:16], -v[17:18]
	v_add_f64_e32 v[9:10], v[9:10], v[15:16]
	v_add_f64_e32 v[15:16], v[19:20], v[21:22]
	s_delay_alu instid0(VALU_DEP_2) | instskip(NEXT) | instid1(VALU_DEP_2)
	v_add_f64_e32 v[9:10], v[13:14], v[9:10]
	v_add_f64_e64 v[13:14], v[15:16], -v[19:20]
	s_delay_alu instid0(VALU_DEP_2) | instskip(NEXT) | instid1(VALU_DEP_2)
	v_add_f64_e32 v[9:10], v[25:26], v[9:10]
	v_add_f64_e64 v[13:14], v[21:22], -v[13:14]
	s_delay_alu instid0(VALU_DEP_2) | instskip(NEXT) | instid1(VALU_DEP_1)
	v_mul_f64_e32 v[9:10], v[11:12], v[9:10]
	v_add_f64_e32 v[9:10], v[13:14], v[9:10]
	s_delay_alu instid0(VALU_DEP_1) | instskip(NEXT) | instid1(VALU_DEP_1)
	v_add_f64_e32 v[11:12], v[15:16], v[9:10]
	v_mul_f64_e32 v[13:14], v[11:12], v[11:12]
	s_delay_alu instid0(VALU_DEP_1) | instskip(SKIP_4) | instid1(VALU_DEP_2)
	v_fma_f64 v[17:18], v[13:14], s[14:15], s[12:13]
	s_mov_b32 s12, 0xd7f4df2e
	s_mov_b32 s13, 0x3fc7474d
	v_mul_f64_e32 v[19:20], v[11:12], v[13:14]
	s_wait_alu 0xfffe
	v_fma_f64 v[17:18], v[13:14], v[17:18], s[12:13]
	s_mov_b32 s12, 0x16291751
	s_mov_b32 s13, 0x3fcc71c0
	s_wait_alu 0xfffe
	s_delay_alu instid0(VALU_DEP_1) | instskip(SKIP_3) | instid1(VALU_DEP_1)
	v_fma_f64 v[17:18], v[13:14], v[17:18], s[12:13]
	s_mov_b32 s12, 0x9b27acf1
	s_mov_b32 s13, 0x3fd24924
	s_wait_alu 0xfffe
	v_fma_f64 v[17:18], v[13:14], v[17:18], s[12:13]
	s_mov_b32 s12, 0x998ef7b6
	s_mov_b32 s13, 0x3fd99999
	s_wait_alu 0xfffe
	s_delay_alu instid0(VALU_DEP_1) | instskip(NEXT) | instid1(VALU_DEP_1)
	v_fma_f64 v[17:18], v[13:14], v[17:18], s[12:13]
	v_fma_f64 v[13:14], v[13:14], v[17:18], s[4:5]
	v_ldexp_f64 v[17:18], v[11:12], 1
	v_add_f64_e64 v[11:12], v[11:12], -v[15:16]
	v_cmp_neq_f64_e64 s4, 0x7ff00000, v[5:6]
	v_cmp_ngt_f64_e64 s5, -1.0, v[5:6]
	v_mul_f64_e32 v[13:14], v[19:20], v[13:14]
	v_cvt_f64_i32_e32 v[19:20], v31
	v_add_f64_e64 v[9:10], v[9:10], -v[11:12]
	s_and_b32 vcc_lo, vcc_lo, s4
	s_delay_alu instid0(VALU_DEP_3) | instskip(NEXT) | instid1(VALU_DEP_3)
	v_add_f64_e32 v[15:16], v[17:18], v[13:14]
	v_mul_f64_e32 v[21:22], s[6:7], v[19:20]
	s_delay_alu instid0(VALU_DEP_3) | instskip(NEXT) | instid1(VALU_DEP_3)
	v_ldexp_f64 v[9:10], v[9:10], 1
	v_add_f64_e64 v[11:12], v[15:16], -v[17:18]
	s_delay_alu instid0(VALU_DEP_3) | instskip(NEXT) | instid1(VALU_DEP_2)
	v_fma_f64 v[17:18], v[19:20], s[6:7], -v[21:22]
	v_add_f64_e64 v[11:12], v[13:14], -v[11:12]
	s_delay_alu instid0(VALU_DEP_2) | instskip(NEXT) | instid1(VALU_DEP_2)
	v_fma_f64 v[13:14], v[19:20], s[8:9], v[17:18]
	v_add_f64_e32 v[9:10], v[9:10], v[11:12]
	s_delay_alu instid0(VALU_DEP_2) | instskip(NEXT) | instid1(VALU_DEP_2)
	v_add_f64_e32 v[11:12], v[21:22], v[13:14]
	v_add_f64_e32 v[17:18], v[15:16], v[9:10]
	s_delay_alu instid0(VALU_DEP_2) | instskip(NEXT) | instid1(VALU_DEP_2)
	v_add_f64_e64 v[21:22], v[11:12], -v[21:22]
	v_add_f64_e32 v[19:20], v[11:12], v[17:18]
	v_add_f64_e64 v[15:16], v[17:18], -v[15:16]
	s_delay_alu instid0(VALU_DEP_3) | instskip(NEXT) | instid1(VALU_DEP_3)
	v_add_f64_e64 v[13:14], v[13:14], -v[21:22]
	v_add_f64_e64 v[23:24], v[19:20], -v[11:12]
	s_delay_alu instid0(VALU_DEP_3) | instskip(NEXT) | instid1(VALU_DEP_2)
	v_add_f64_e64 v[9:10], v[9:10], -v[15:16]
	v_add_f64_e64 v[25:26], v[19:20], -v[23:24]
	v_add_f64_e64 v[15:16], v[17:18], -v[23:24]
	s_delay_alu instid0(VALU_DEP_3) | instskip(NEXT) | instid1(VALU_DEP_3)
	v_add_f64_e32 v[17:18], v[13:14], v[9:10]
	v_add_f64_e64 v[11:12], v[11:12], -v[25:26]
	s_delay_alu instid0(VALU_DEP_1) | instskip(NEXT) | instid1(VALU_DEP_3)
	v_add_f64_e32 v[11:12], v[15:16], v[11:12]
	v_add_f64_e64 v[15:16], v[17:18], -v[13:14]
	s_delay_alu instid0(VALU_DEP_2) | instskip(NEXT) | instid1(VALU_DEP_2)
	v_add_f64_e32 v[11:12], v[17:18], v[11:12]
	v_add_f64_e64 v[17:18], v[17:18], -v[15:16]
	v_add_f64_e64 v[9:10], v[9:10], -v[15:16]
	s_delay_alu instid0(VALU_DEP_3) | instskip(NEXT) | instid1(VALU_DEP_3)
	v_add_f64_e32 v[21:22], v[19:20], v[11:12]
	v_add_f64_e64 v[13:14], v[13:14], -v[17:18]
	s_delay_alu instid0(VALU_DEP_2) | instskip(NEXT) | instid1(VALU_DEP_2)
	v_add_f64_e64 v[15:16], v[21:22], -v[19:20]
	v_add_f64_e32 v[9:10], v[9:10], v[13:14]
	s_delay_alu instid0(VALU_DEP_2) | instskip(NEXT) | instid1(VALU_DEP_1)
	v_add_f64_e64 v[11:12], v[11:12], -v[15:16]
	v_add_f64_e32 v[9:10], v[9:10], v[11:12]
	s_delay_alu instid0(VALU_DEP_1) | instskip(SKIP_1) | instid1(VALU_DEP_1)
	v_add_f64_e32 v[9:10], v[21:22], v[9:10]
	s_wait_alu 0xfffe
	v_cndmask_b32_e32 v9, 0, v9, vcc_lo
	v_cmp_neq_f64_e32 vcc_lo, -1.0, v[5:6]
	s_delay_alu instid0(VALU_DEP_3) | instskip(NEXT) | instid1(VALU_DEP_1)
	v_cndmask_b32_e64 v10, 0x7ff00000, v10, s4
	v_cndmask_b32_e64 v10, 0x7ff80000, v10, s5
	s_wait_alu 0xfffd
	s_delay_alu instid0(VALU_DEP_1) | instskip(NEXT) | instid1(VALU_DEP_1)
	v_cndmask_b32_e32 v10, 0xfff00000, v10, vcc_lo
	v_add_f64_e32 v[5:6], v[7:8], v[9:10]
.LBB71_28:
	s_or_b32 exec_lo, exec_lo, s10
	v_max_num_f64_e32 v[11:12], v[61:62], v[61:62]
	s_delay_alu instid0(VALU_DEP_2) | instskip(SKIP_2) | instid1(VALU_DEP_3)
	v_max_num_f64_e32 v[7:8], v[5:6], v[5:6]
	v_cmp_u_f64_e32 vcc_lo, v[5:6], v[5:6]
	v_cmp_u_f64_e64 s4, v[61:62], v[61:62]
	v_min_num_f64_e32 v[9:10], v[7:8], v[11:12]
	v_max_num_f64_e32 v[7:8], v[7:8], v[11:12]
	s_wait_alu 0xfffd
	s_delay_alu instid0(VALU_DEP_2) | instskip(NEXT) | instid1(VALU_DEP_2)
	v_dual_cndmask_b32 v9, v9, v5 :: v_dual_cndmask_b32 v10, v10, v6
	v_dual_cndmask_b32 v8, v8, v6 :: v_dual_cndmask_b32 v7, v7, v5
	s_wait_alu 0xf1ff
	s_delay_alu instid0(VALU_DEP_2) | instskip(NEXT) | instid1(VALU_DEP_3)
	v_cndmask_b32_e64 v9, v9, v61, s4
	v_cndmask_b32_e64 v10, v10, v62, s4
	s_delay_alu instid0(VALU_DEP_3) | instskip(SKIP_1) | instid1(VALU_DEP_3)
	v_cndmask_b32_e64 v8, v8, v62, s4
	v_cndmask_b32_e64 v7, v7, v61, s4
	v_cmp_class_f64_e64 s5, v[9:10], 0x1f8
	s_delay_alu instid0(VALU_DEP_2)
	v_cmp_neq_f64_e32 vcc_lo, v[9:10], v[7:8]
	s_or_b32 s5, vcc_lo, s5
	s_wait_alu 0xfffe
	s_and_saveexec_b32 s12, s5
	s_cbranch_execz .LBB71_30
; %bb.29:
	v_add_f64_e64 v[5:6], v[9:10], -v[7:8]
	s_mov_b32 s6, 0x652b82fe
	s_mov_b32 s7, 0x3ff71547
	;; [unrolled: 1-line block ×10, first 2 shown]
	s_wait_alu 0xfffe
	s_delay_alu instid0(VALU_DEP_1) | instskip(SKIP_4) | instid1(VALU_DEP_3)
	v_mul_f64_e32 v[9:10], s[6:7], v[5:6]
	s_mov_b32 s7, 0xbfe62e42
	s_mov_b32 s6, 0xfefa39ef
	v_cmp_nlt_f64_e32 vcc_lo, 0x40900000, v[5:6]
	v_cmp_ngt_f64_e64 s5, 0xc090cc00, v[5:6]
	v_rndne_f64_e32 v[9:10], v[9:10]
	s_wait_alu 0xfffe
	s_delay_alu instid0(VALU_DEP_1) | instskip(SKIP_2) | instid1(VALU_DEP_2)
	v_fma_f64 v[13:14], v[9:10], s[6:7], v[5:6]
	v_cvt_i32_f64_e32 v17, v[9:10]
	s_mov_b32 s7, 0x3fe62e42
	v_fma_f64 v[13:14], v[9:10], s[8:9], v[13:14]
	s_mov_b32 s9, 0x3c7abc9e
	s_delay_alu instid0(VALU_DEP_1)
	v_fma_f64 v[15:16], v[13:14], s[14:15], s[10:11]
	s_mov_b32 s10, 0x623fde64
	s_mov_b32 s11, 0x3ec71dee
	;; [unrolled: 1-line block ×4, first 2 shown]
	s_wait_alu 0xfffe
	s_delay_alu instid0(VALU_DEP_1) | instskip(SKIP_3) | instid1(VALU_DEP_1)
	v_fma_f64 v[15:16], v[13:14], v[15:16], s[10:11]
	s_mov_b32 s10, 0x7c89e6b0
	s_mov_b32 s11, 0x3efa0199
	s_wait_alu 0xfffe
	v_fma_f64 v[15:16], v[13:14], v[15:16], s[10:11]
	s_mov_b32 s10, 0x14761f6e
	s_mov_b32 s11, 0x3f2a01a0
	s_wait_alu 0xfffe
	s_delay_alu instid0(VALU_DEP_1) | instskip(SKIP_3) | instid1(VALU_DEP_1)
	v_fma_f64 v[15:16], v[13:14], v[15:16], s[10:11]
	s_mov_b32 s10, 0x1852b7b0
	s_mov_b32 s11, 0x3f56c16c
	s_wait_alu 0xfffe
	v_fma_f64 v[15:16], v[13:14], v[15:16], s[10:11]
	s_mov_b32 s10, 0x11122322
	s_mov_b32 s11, 0x3f811111
	;; [unrolled: 9-line block ×4, first 2 shown]
	s_delay_alu instid0(VALU_DEP_1) | instskip(NEXT) | instid1(VALU_DEP_1)
	v_fma_f64 v[15:16], v[13:14], v[15:16], 1.0
	v_fma_f64 v[9:10], v[13:14], v[15:16], 1.0
	s_delay_alu instid0(VALU_DEP_1) | instskip(SKIP_1) | instid1(VALU_DEP_1)
	v_ldexp_f64 v[9:10], v[9:10], v17
	s_wait_alu 0xfffd
	v_cndmask_b32_e32 v10, 0x7ff00000, v10, vcc_lo
	s_and_b32 vcc_lo, s5, vcc_lo
	s_wait_alu 0xfffe
	s_delay_alu instid0(VALU_DEP_2) | instskip(NEXT) | instid1(VALU_DEP_2)
	v_cndmask_b32_e32 v5, 0, v9, vcc_lo
	v_cndmask_b32_e64 v6, 0, v10, s5
	s_delay_alu instid0(VALU_DEP_1) | instskip(SKIP_1) | instid1(VALU_DEP_2)
	v_add_f64_e32 v[9:10], 1.0, v[5:6]
	v_cmp_neq_f64_e64 s5, 0x7ff00000, v[5:6]
	v_frexp_mant_f64_e32 v[13:14], v[9:10]
	v_frexp_exp_i32_f64_e32 v17, v[9:10]
	v_add_f64_e32 v[15:16], -1.0, v[9:10]
	s_delay_alu instid0(VALU_DEP_3) | instskip(SKIP_1) | instid1(VALU_DEP_2)
	v_cmp_gt_f64_e32 vcc_lo, s[10:11], v[13:14]
	s_mov_b32 s10, 0x55555780
	v_add_f64_e64 v[13:14], v[15:16], -v[9:10]
	v_add_f64_e64 v[15:16], v[5:6], -v[15:16]
	s_wait_alu 0xfffd
	v_subrev_co_ci_u32_e64 v33, null, 0, v17, vcc_lo
	s_delay_alu instid0(VALU_DEP_3) | instskip(SKIP_1) | instid1(VALU_DEP_3)
	v_add_f64_e32 v[13:14], 1.0, v[13:14]
	v_cmp_nge_f64_e32 vcc_lo, -1.0, v[5:6]
	v_sub_nc_u32_e32 v19, 0, v33
	s_delay_alu instid0(VALU_DEP_1) | instskip(NEXT) | instid1(VALU_DEP_4)
	v_ldexp_f64 v[9:10], v[9:10], v19
	v_add_f64_e32 v[13:14], v[15:16], v[13:14]
	s_and_b32 vcc_lo, vcc_lo, s5
	s_delay_alu instid0(VALU_DEP_2) | instskip(SKIP_1) | instid1(VALU_DEP_3)
	v_add_f64_e32 v[17:18], 1.0, v[9:10]
	v_add_f64_e32 v[23:24], -1.0, v[9:10]
	v_ldexp_f64 v[13:14], v[13:14], v19
	s_delay_alu instid0(VALU_DEP_3) | instskip(NEXT) | instid1(VALU_DEP_3)
	v_add_f64_e32 v[15:16], -1.0, v[17:18]
	v_add_f64_e32 v[25:26], 1.0, v[23:24]
	s_delay_alu instid0(VALU_DEP_2) | instskip(NEXT) | instid1(VALU_DEP_2)
	v_add_f64_e64 v[15:16], v[9:10], -v[15:16]
	v_add_f64_e64 v[9:10], v[9:10], -v[25:26]
	s_delay_alu instid0(VALU_DEP_2) | instskip(NEXT) | instid1(VALU_DEP_2)
	v_add_f64_e32 v[15:16], v[13:14], v[15:16]
	v_add_f64_e32 v[9:10], v[13:14], v[9:10]
	s_delay_alu instid0(VALU_DEP_2) | instskip(NEXT) | instid1(VALU_DEP_2)
	v_add_f64_e32 v[19:20], v[17:18], v[15:16]
	v_add_f64_e32 v[25:26], v[23:24], v[9:10]
	s_delay_alu instid0(VALU_DEP_2) | instskip(SKIP_1) | instid1(VALU_DEP_2)
	v_rcp_f64_e32 v[21:22], v[19:20]
	v_add_f64_e64 v[17:18], v[19:20], -v[17:18]
	v_add_f64_e64 v[23:24], v[25:26], -v[23:24]
	s_delay_alu instid0(VALU_DEP_2) | instskip(NEXT) | instid1(TRANS32_DEP_1)
	v_add_f64_e64 v[15:16], v[15:16], -v[17:18]
	v_fma_f64 v[27:28], -v[19:20], v[21:22], 1.0
	s_delay_alu instid0(VALU_DEP_3) | instskip(NEXT) | instid1(VALU_DEP_2)
	v_add_f64_e64 v[9:10], v[9:10], -v[23:24]
	v_fma_f64 v[21:22], v[27:28], v[21:22], v[21:22]
	s_delay_alu instid0(VALU_DEP_1) | instskip(NEXT) | instid1(VALU_DEP_1)
	v_fma_f64 v[13:14], -v[19:20], v[21:22], 1.0
	v_fma_f64 v[13:14], v[13:14], v[21:22], v[21:22]
	s_delay_alu instid0(VALU_DEP_1) | instskip(NEXT) | instid1(VALU_DEP_1)
	v_mul_f64_e32 v[21:22], v[25:26], v[13:14]
	v_mul_f64_e32 v[27:28], v[19:20], v[21:22]
	s_delay_alu instid0(VALU_DEP_1) | instskip(NEXT) | instid1(VALU_DEP_1)
	v_fma_f64 v[17:18], v[21:22], v[19:20], -v[27:28]
	v_fma_f64 v[17:18], v[21:22], v[15:16], v[17:18]
	s_delay_alu instid0(VALU_DEP_1) | instskip(NEXT) | instid1(VALU_DEP_1)
	v_add_f64_e32 v[29:30], v[27:28], v[17:18]
	v_add_f64_e64 v[31:32], v[25:26], -v[29:30]
	v_add_f64_e64 v[23:24], v[29:30], -v[27:28]
	s_delay_alu instid0(VALU_DEP_2) | instskip(NEXT) | instid1(VALU_DEP_2)
	v_add_f64_e64 v[25:26], v[25:26], -v[31:32]
	v_add_f64_e64 v[17:18], v[23:24], -v[17:18]
	s_delay_alu instid0(VALU_DEP_2) | instskip(NEXT) | instid1(VALU_DEP_1)
	v_add_f64_e64 v[25:26], v[25:26], -v[29:30]
	v_add_f64_e32 v[9:10], v[9:10], v[25:26]
	s_delay_alu instid0(VALU_DEP_1) | instskip(NEXT) | instid1(VALU_DEP_1)
	v_add_f64_e32 v[9:10], v[17:18], v[9:10]
	v_add_f64_e32 v[17:18], v[31:32], v[9:10]
	s_delay_alu instid0(VALU_DEP_1) | instskip(SKIP_1) | instid1(VALU_DEP_2)
	v_mul_f64_e32 v[23:24], v[13:14], v[17:18]
	v_add_f64_e64 v[29:30], v[31:32], -v[17:18]
	v_mul_f64_e32 v[25:26], v[19:20], v[23:24]
	s_delay_alu instid0(VALU_DEP_2) | instskip(NEXT) | instid1(VALU_DEP_2)
	v_add_f64_e32 v[9:10], v[9:10], v[29:30]
	v_fma_f64 v[19:20], v[23:24], v[19:20], -v[25:26]
	s_delay_alu instid0(VALU_DEP_1) | instskip(NEXT) | instid1(VALU_DEP_1)
	v_fma_f64 v[15:16], v[23:24], v[15:16], v[19:20]
	v_add_f64_e32 v[19:20], v[25:26], v[15:16]
	s_delay_alu instid0(VALU_DEP_1) | instskip(SKIP_1) | instid1(VALU_DEP_2)
	v_add_f64_e64 v[27:28], v[17:18], -v[19:20]
	v_add_f64_e64 v[25:26], v[19:20], -v[25:26]
	;; [unrolled: 1-line block ×3, first 2 shown]
	s_delay_alu instid0(VALU_DEP_2) | instskip(NEXT) | instid1(VALU_DEP_2)
	v_add_f64_e64 v[15:16], v[25:26], -v[15:16]
	v_add_f64_e64 v[17:18], v[17:18], -v[19:20]
	s_delay_alu instid0(VALU_DEP_1) | instskip(SKIP_1) | instid1(VALU_DEP_2)
	v_add_f64_e32 v[9:10], v[9:10], v[17:18]
	v_add_f64_e32 v[17:18], v[21:22], v[23:24]
	;; [unrolled: 1-line block ×3, first 2 shown]
	s_delay_alu instid0(VALU_DEP_2) | instskip(NEXT) | instid1(VALU_DEP_2)
	v_add_f64_e64 v[15:16], v[17:18], -v[21:22]
	v_add_f64_e32 v[9:10], v[27:28], v[9:10]
	s_delay_alu instid0(VALU_DEP_2) | instskip(NEXT) | instid1(VALU_DEP_2)
	v_add_f64_e64 v[15:16], v[23:24], -v[15:16]
	v_mul_f64_e32 v[9:10], v[13:14], v[9:10]
	s_delay_alu instid0(VALU_DEP_1) | instskip(NEXT) | instid1(VALU_DEP_1)
	v_add_f64_e32 v[9:10], v[15:16], v[9:10]
	v_add_f64_e32 v[13:14], v[17:18], v[9:10]
	s_delay_alu instid0(VALU_DEP_1) | instskip(NEXT) | instid1(VALU_DEP_1)
	v_mul_f64_e32 v[15:16], v[13:14], v[13:14]
	v_fma_f64 v[19:20], v[15:16], s[16:17], s[14:15]
	s_mov_b32 s14, 0xd7f4df2e
	s_mov_b32 s15, 0x3fc7474d
	v_mul_f64_e32 v[21:22], v[13:14], v[15:16]
	s_wait_alu 0xfffe
	s_delay_alu instid0(VALU_DEP_2) | instskip(SKIP_3) | instid1(VALU_DEP_1)
	v_fma_f64 v[19:20], v[15:16], v[19:20], s[14:15]
	s_mov_b32 s14, 0x16291751
	s_mov_b32 s15, 0x3fcc71c0
	s_wait_alu 0xfffe
	v_fma_f64 v[19:20], v[15:16], v[19:20], s[14:15]
	s_mov_b32 s14, 0x9b27acf1
	s_mov_b32 s15, 0x3fd24924
	s_wait_alu 0xfffe
	s_delay_alu instid0(VALU_DEP_1) | instskip(SKIP_3) | instid1(VALU_DEP_1)
	v_fma_f64 v[19:20], v[15:16], v[19:20], s[14:15]
	s_mov_b32 s14, 0x998ef7b6
	s_mov_b32 s15, 0x3fd99999
	s_wait_alu 0xfffe
	v_fma_f64 v[19:20], v[15:16], v[19:20], s[14:15]
	s_delay_alu instid0(VALU_DEP_1) | instskip(SKIP_2) | instid1(VALU_DEP_3)
	v_fma_f64 v[15:16], v[15:16], v[19:20], s[10:11]
	v_ldexp_f64 v[19:20], v[13:14], 1
	v_add_f64_e64 v[13:14], v[13:14], -v[17:18]
	v_mul_f64_e32 v[15:16], v[21:22], v[15:16]
	v_cvt_f64_i32_e32 v[21:22], v33
	s_delay_alu instid0(VALU_DEP_3) | instskip(NEXT) | instid1(VALU_DEP_3)
	v_add_f64_e64 v[9:10], v[9:10], -v[13:14]
	v_add_f64_e32 v[17:18], v[19:20], v[15:16]
	s_delay_alu instid0(VALU_DEP_3) | instskip(NEXT) | instid1(VALU_DEP_3)
	v_mul_f64_e32 v[23:24], s[6:7], v[21:22]
	v_ldexp_f64 v[9:10], v[9:10], 1
	s_delay_alu instid0(VALU_DEP_3) | instskip(NEXT) | instid1(VALU_DEP_3)
	v_add_f64_e64 v[13:14], v[17:18], -v[19:20]
	v_fma_f64 v[19:20], v[21:22], s[6:7], -v[23:24]
	v_cmp_ngt_f64_e64 s6, -1.0, v[5:6]
	s_delay_alu instid0(VALU_DEP_3) | instskip(NEXT) | instid1(VALU_DEP_3)
	v_add_f64_e64 v[13:14], v[15:16], -v[13:14]
	v_fma_f64 v[15:16], v[21:22], s[8:9], v[19:20]
	s_delay_alu instid0(VALU_DEP_2) | instskip(NEXT) | instid1(VALU_DEP_2)
	v_add_f64_e32 v[9:10], v[9:10], v[13:14]
	v_add_f64_e32 v[13:14], v[23:24], v[15:16]
	s_delay_alu instid0(VALU_DEP_2) | instskip(NEXT) | instid1(VALU_DEP_2)
	v_add_f64_e32 v[19:20], v[17:18], v[9:10]
	v_add_f64_e64 v[23:24], v[13:14], -v[23:24]
	s_delay_alu instid0(VALU_DEP_2) | instskip(SKIP_1) | instid1(VALU_DEP_3)
	v_add_f64_e32 v[21:22], v[13:14], v[19:20]
	v_add_f64_e64 v[17:18], v[19:20], -v[17:18]
	v_add_f64_e64 v[15:16], v[15:16], -v[23:24]
	s_delay_alu instid0(VALU_DEP_3) | instskip(NEXT) | instid1(VALU_DEP_3)
	v_add_f64_e64 v[25:26], v[21:22], -v[13:14]
	v_add_f64_e64 v[9:10], v[9:10], -v[17:18]
	s_delay_alu instid0(VALU_DEP_2) | instskip(SKIP_1) | instid1(VALU_DEP_3)
	v_add_f64_e64 v[27:28], v[21:22], -v[25:26]
	v_add_f64_e64 v[17:18], v[19:20], -v[25:26]
	v_add_f64_e32 v[19:20], v[15:16], v[9:10]
	s_delay_alu instid0(VALU_DEP_3) | instskip(NEXT) | instid1(VALU_DEP_1)
	v_add_f64_e64 v[13:14], v[13:14], -v[27:28]
	v_add_f64_e32 v[13:14], v[17:18], v[13:14]
	s_delay_alu instid0(VALU_DEP_3) | instskip(NEXT) | instid1(VALU_DEP_2)
	v_add_f64_e64 v[17:18], v[19:20], -v[15:16]
	v_add_f64_e32 v[13:14], v[19:20], v[13:14]
	s_delay_alu instid0(VALU_DEP_2) | instskip(SKIP_1) | instid1(VALU_DEP_3)
	v_add_f64_e64 v[19:20], v[19:20], -v[17:18]
	v_add_f64_e64 v[9:10], v[9:10], -v[17:18]
	v_add_f64_e32 v[23:24], v[21:22], v[13:14]
	s_delay_alu instid0(VALU_DEP_3) | instskip(NEXT) | instid1(VALU_DEP_2)
	v_add_f64_e64 v[15:16], v[15:16], -v[19:20]
	v_add_f64_e64 v[17:18], v[23:24], -v[21:22]
	s_delay_alu instid0(VALU_DEP_2) | instskip(NEXT) | instid1(VALU_DEP_2)
	v_add_f64_e32 v[9:10], v[9:10], v[15:16]
	v_add_f64_e64 v[13:14], v[13:14], -v[17:18]
	s_delay_alu instid0(VALU_DEP_1) | instskip(NEXT) | instid1(VALU_DEP_1)
	v_add_f64_e32 v[9:10], v[9:10], v[13:14]
	v_add_f64_e32 v[9:10], v[23:24], v[9:10]
	s_delay_alu instid0(VALU_DEP_1) | instskip(SKIP_1) | instid1(VALU_DEP_3)
	v_cndmask_b32_e32 v9, 0, v9, vcc_lo
	v_cmp_neq_f64_e32 vcc_lo, -1.0, v[5:6]
	v_cndmask_b32_e64 v10, 0x7ff00000, v10, s5
	s_wait_alu 0xf1ff
	s_delay_alu instid0(VALU_DEP_1) | instskip(SKIP_1) | instid1(VALU_DEP_1)
	v_cndmask_b32_e64 v10, 0x7ff80000, v10, s6
	s_wait_alu 0xfffd
	v_cndmask_b32_e32 v10, 0xfff00000, v10, vcc_lo
	s_delay_alu instid0(VALU_DEP_1)
	v_add_f64_e32 v[5:6], v[7:8], v[9:10]
.LBB71_30:
	s_wait_alu 0xfffe
	s_or_b32 exec_lo, exec_lo, s12
	v_max_num_f64_e32 v[13:14], v[63:64], v[63:64]
	s_delay_alu instid0(VALU_DEP_2) | instskip(SKIP_2) | instid1(VALU_DEP_3)
	v_max_num_f64_e32 v[7:8], v[5:6], v[5:6]
	v_cmp_u_f64_e32 vcc_lo, v[5:6], v[5:6]
	v_cmp_u_f64_e64 s5, v[63:64], v[63:64]
	v_min_num_f64_e32 v[9:10], v[7:8], v[13:14]
	v_max_num_f64_e32 v[7:8], v[7:8], v[13:14]
	s_wait_alu 0xfffd
	s_delay_alu instid0(VALU_DEP_2) | instskip(NEXT) | instid1(VALU_DEP_2)
	v_dual_cndmask_b32 v9, v9, v5 :: v_dual_cndmask_b32 v10, v10, v6
	v_dual_cndmask_b32 v8, v8, v6 :: v_dual_cndmask_b32 v7, v7, v5
	s_wait_alu 0xf1ff
	s_delay_alu instid0(VALU_DEP_2) | instskip(NEXT) | instid1(VALU_DEP_3)
	v_cndmask_b32_e64 v9, v9, v63, s5
	v_cndmask_b32_e64 v10, v10, v64, s5
	s_delay_alu instid0(VALU_DEP_3) | instskip(SKIP_1) | instid1(VALU_DEP_3)
	v_cndmask_b32_e64 v8, v8, v64, s5
	v_cndmask_b32_e64 v7, v7, v63, s5
	v_cmp_class_f64_e64 s6, v[9:10], 0x1f8
	s_delay_alu instid0(VALU_DEP_2)
	v_cmp_neq_f64_e32 vcc_lo, v[9:10], v[7:8]
	s_or_b32 s6, vcc_lo, s6
	s_wait_alu 0xfffe
	s_and_saveexec_b32 s12, s6
	s_cbranch_execz .LBB71_32
; %bb.31:
	v_add_f64_e64 v[5:6], v[9:10], -v[7:8]
	s_mov_b32 s6, 0x652b82fe
	s_mov_b32 s7, 0x3ff71547
	;; [unrolled: 1-line block ×10, first 2 shown]
	s_wait_alu 0xfffe
	s_delay_alu instid0(VALU_DEP_1) | instskip(SKIP_3) | instid1(VALU_DEP_2)
	v_mul_f64_e32 v[9:10], s[6:7], v[5:6]
	s_mov_b32 s6, 0xfca7ab0c
	s_mov_b32 s7, 0x3e928af3
	v_cmp_nlt_f64_e32 vcc_lo, 0x40900000, v[5:6]
	v_rndne_f64_e32 v[9:10], v[9:10]
	s_delay_alu instid0(VALU_DEP_1) | instskip(SKIP_2) | instid1(VALU_DEP_2)
	v_fma_f64 v[15:16], v[9:10], s[8:9], v[5:6]
	v_cvt_i32_f64_e32 v19, v[9:10]
	s_mov_b32 s9, 0x3fe62e42
	v_fma_f64 v[15:16], v[9:10], s[10:11], v[15:16]
	s_mov_b32 s11, 0x3c7abc9e
	s_wait_alu 0xfffe
	s_delay_alu instid0(VALU_DEP_1)
	v_fma_f64 v[17:18], v[15:16], s[14:15], s[6:7]
	s_mov_b32 s6, 0x623fde64
	s_mov_b32 s7, 0x3ec71dee
	;; [unrolled: 1-line block ×4, first 2 shown]
	s_wait_alu 0xfffe
	s_delay_alu instid0(VALU_DEP_1) | instskip(SKIP_3) | instid1(VALU_DEP_1)
	v_fma_f64 v[17:18], v[15:16], v[17:18], s[6:7]
	s_mov_b32 s6, 0x7c89e6b0
	s_mov_b32 s7, 0x3efa0199
	s_wait_alu 0xfffe
	v_fma_f64 v[17:18], v[15:16], v[17:18], s[6:7]
	s_mov_b32 s6, 0x14761f6e
	s_mov_b32 s7, 0x3f2a01a0
	s_wait_alu 0xfffe
	s_delay_alu instid0(VALU_DEP_1) | instskip(SKIP_3) | instid1(VALU_DEP_1)
	v_fma_f64 v[17:18], v[15:16], v[17:18], s[6:7]
	s_mov_b32 s6, 0x1852b7b0
	s_mov_b32 s7, 0x3f56c16c
	s_wait_alu 0xfffe
	v_fma_f64 v[17:18], v[15:16], v[17:18], s[6:7]
	s_mov_b32 s6, 0x11122322
	s_mov_b32 s7, 0x3f811111
	s_wait_alu 0xfffe
	s_delay_alu instid0(VALU_DEP_1) | instskip(SKIP_3) | instid1(VALU_DEP_1)
	v_fma_f64 v[17:18], v[15:16], v[17:18], s[6:7]
	s_mov_b32 s6, 0x555502a1
	s_mov_b32 s7, 0x3fa55555
	s_wait_alu 0xfffe
	v_fma_f64 v[17:18], v[15:16], v[17:18], s[6:7]
	s_mov_b32 s6, 0x55555511
	s_mov_b32 s7, 0x3fc55555
	s_wait_alu 0xfffe
	s_delay_alu instid0(VALU_DEP_1) | instskip(SKIP_3) | instid1(VALU_DEP_1)
	v_fma_f64 v[17:18], v[15:16], v[17:18], s[6:7]
	s_mov_b32 s6, 11
	s_mov_b32 s7, 0x3fe00000
	s_wait_alu 0xfffe
	v_fma_f64 v[17:18], v[15:16], v[17:18], s[6:7]
	v_cmp_ngt_f64_e64 s6, 0xc090cc00, v[5:6]
	s_mov_b32 s7, 0x3fe55555
	v_fma_f64 v[17:18], v[15:16], v[17:18], 1.0
	s_delay_alu instid0(VALU_DEP_1) | instskip(NEXT) | instid1(VALU_DEP_1)
	v_fma_f64 v[9:10], v[15:16], v[17:18], 1.0
	v_ldexp_f64 v[9:10], v[9:10], v19
	s_wait_alu 0xfffd
	s_delay_alu instid0(VALU_DEP_1) | instskip(SKIP_2) | instid1(VALU_DEP_2)
	v_cndmask_b32_e32 v10, 0x7ff00000, v10, vcc_lo
	s_and_b32 vcc_lo, s6, vcc_lo
	s_wait_alu 0xfffe
	v_cndmask_b32_e32 v5, 0, v9, vcc_lo
	s_delay_alu instid0(VALU_DEP_2) | instskip(SKIP_1) | instid1(VALU_DEP_1)
	v_cndmask_b32_e64 v6, 0, v10, s6
	s_mov_b32 s6, 0x55555555
	v_add_f64_e32 v[9:10], 1.0, v[5:6]
	s_delay_alu instid0(VALU_DEP_1) | instskip(SKIP_3) | instid1(VALU_DEP_3)
	v_frexp_mant_f64_e32 v[15:16], v[9:10]
	v_frexp_exp_i32_f64_e32 v19, v[9:10]
	v_add_f64_e32 v[17:18], -1.0, v[9:10]
	s_wait_alu 0xfffe
	v_cmp_gt_f64_e32 vcc_lo, s[6:7], v[15:16]
	s_mov_b32 s6, 0x55555780
	s_delay_alu instid0(VALU_DEP_2) | instskip(SKIP_3) | instid1(VALU_DEP_3)
	v_add_f64_e64 v[15:16], v[17:18], -v[9:10]
	v_add_f64_e64 v[17:18], v[5:6], -v[17:18]
	s_wait_alu 0xfffd
	v_subrev_co_ci_u32_e64 v35, null, 0, v19, vcc_lo
	v_add_f64_e32 v[15:16], 1.0, v[15:16]
	v_cmp_nge_f64_e32 vcc_lo, -1.0, v[5:6]
	s_delay_alu instid0(VALU_DEP_3) | instskip(NEXT) | instid1(VALU_DEP_1)
	v_sub_nc_u32_e32 v21, 0, v35
	v_ldexp_f64 v[9:10], v[9:10], v21
	s_delay_alu instid0(VALU_DEP_4) | instskip(NEXT) | instid1(VALU_DEP_2)
	v_add_f64_e32 v[15:16], v[17:18], v[15:16]
	v_add_f64_e32 v[19:20], 1.0, v[9:10]
	v_add_f64_e32 v[25:26], -1.0, v[9:10]
	s_delay_alu instid0(VALU_DEP_3) | instskip(NEXT) | instid1(VALU_DEP_3)
	v_ldexp_f64 v[15:16], v[15:16], v21
	v_add_f64_e32 v[17:18], -1.0, v[19:20]
	s_delay_alu instid0(VALU_DEP_3) | instskip(NEXT) | instid1(VALU_DEP_2)
	v_add_f64_e32 v[27:28], 1.0, v[25:26]
	v_add_f64_e64 v[17:18], v[9:10], -v[17:18]
	s_delay_alu instid0(VALU_DEP_2) | instskip(NEXT) | instid1(VALU_DEP_2)
	v_add_f64_e64 v[9:10], v[9:10], -v[27:28]
	v_add_f64_e32 v[17:18], v[15:16], v[17:18]
	s_delay_alu instid0(VALU_DEP_2) | instskip(NEXT) | instid1(VALU_DEP_2)
	v_add_f64_e32 v[9:10], v[15:16], v[9:10]
	v_add_f64_e32 v[21:22], v[19:20], v[17:18]
	s_delay_alu instid0(VALU_DEP_2) | instskip(NEXT) | instid1(VALU_DEP_2)
	v_add_f64_e32 v[27:28], v[25:26], v[9:10]
	v_rcp_f64_e32 v[23:24], v[21:22]
	v_add_f64_e64 v[19:20], v[21:22], -v[19:20]
	s_delay_alu instid0(VALU_DEP_2) | instskip(NEXT) | instid1(VALU_DEP_2)
	v_add_f64_e64 v[25:26], v[27:28], -v[25:26]
	v_add_f64_e64 v[17:18], v[17:18], -v[19:20]
	s_delay_alu instid0(TRANS32_DEP_1) | instskip(NEXT) | instid1(VALU_DEP_3)
	v_fma_f64 v[29:30], -v[21:22], v[23:24], 1.0
	v_add_f64_e64 v[9:10], v[9:10], -v[25:26]
	s_delay_alu instid0(VALU_DEP_2) | instskip(NEXT) | instid1(VALU_DEP_1)
	v_fma_f64 v[23:24], v[29:30], v[23:24], v[23:24]
	v_fma_f64 v[15:16], -v[21:22], v[23:24], 1.0
	s_delay_alu instid0(VALU_DEP_1) | instskip(NEXT) | instid1(VALU_DEP_1)
	v_fma_f64 v[15:16], v[15:16], v[23:24], v[23:24]
	v_mul_f64_e32 v[23:24], v[27:28], v[15:16]
	s_delay_alu instid0(VALU_DEP_1) | instskip(NEXT) | instid1(VALU_DEP_1)
	v_mul_f64_e32 v[29:30], v[21:22], v[23:24]
	v_fma_f64 v[19:20], v[23:24], v[21:22], -v[29:30]
	s_delay_alu instid0(VALU_DEP_1) | instskip(NEXT) | instid1(VALU_DEP_1)
	v_fma_f64 v[19:20], v[23:24], v[17:18], v[19:20]
	v_add_f64_e32 v[31:32], v[29:30], v[19:20]
	s_delay_alu instid0(VALU_DEP_1) | instskip(SKIP_1) | instid1(VALU_DEP_2)
	v_add_f64_e64 v[33:34], v[27:28], -v[31:32]
	v_add_f64_e64 v[25:26], v[31:32], -v[29:30]
	;; [unrolled: 1-line block ×3, first 2 shown]
	s_delay_alu instid0(VALU_DEP_2) | instskip(NEXT) | instid1(VALU_DEP_2)
	v_add_f64_e64 v[19:20], v[25:26], -v[19:20]
	v_add_f64_e64 v[27:28], v[27:28], -v[31:32]
	s_delay_alu instid0(VALU_DEP_1) | instskip(NEXT) | instid1(VALU_DEP_1)
	v_add_f64_e32 v[9:10], v[9:10], v[27:28]
	v_add_f64_e32 v[9:10], v[19:20], v[9:10]
	s_delay_alu instid0(VALU_DEP_1) | instskip(NEXT) | instid1(VALU_DEP_1)
	v_add_f64_e32 v[19:20], v[33:34], v[9:10]
	v_mul_f64_e32 v[25:26], v[15:16], v[19:20]
	v_add_f64_e64 v[31:32], v[33:34], -v[19:20]
	s_delay_alu instid0(VALU_DEP_2) | instskip(NEXT) | instid1(VALU_DEP_2)
	v_mul_f64_e32 v[27:28], v[21:22], v[25:26]
	v_add_f64_e32 v[9:10], v[9:10], v[31:32]
	s_delay_alu instid0(VALU_DEP_2) | instskip(NEXT) | instid1(VALU_DEP_1)
	v_fma_f64 v[21:22], v[25:26], v[21:22], -v[27:28]
	v_fma_f64 v[17:18], v[25:26], v[17:18], v[21:22]
	s_delay_alu instid0(VALU_DEP_1) | instskip(NEXT) | instid1(VALU_DEP_1)
	v_add_f64_e32 v[21:22], v[27:28], v[17:18]
	v_add_f64_e64 v[29:30], v[19:20], -v[21:22]
	v_add_f64_e64 v[27:28], v[21:22], -v[27:28]
	s_delay_alu instid0(VALU_DEP_2) | instskip(NEXT) | instid1(VALU_DEP_2)
	v_add_f64_e64 v[19:20], v[19:20], -v[29:30]
	v_add_f64_e64 v[17:18], v[27:28], -v[17:18]
	s_delay_alu instid0(VALU_DEP_2) | instskip(NEXT) | instid1(VALU_DEP_1)
	v_add_f64_e64 v[19:20], v[19:20], -v[21:22]
	v_add_f64_e32 v[9:10], v[9:10], v[19:20]
	v_add_f64_e32 v[19:20], v[23:24], v[25:26]
	s_delay_alu instid0(VALU_DEP_2) | instskip(NEXT) | instid1(VALU_DEP_2)
	v_add_f64_e32 v[9:10], v[17:18], v[9:10]
	v_add_f64_e64 v[17:18], v[19:20], -v[23:24]
	s_delay_alu instid0(VALU_DEP_2) | instskip(NEXT) | instid1(VALU_DEP_2)
	v_add_f64_e32 v[9:10], v[29:30], v[9:10]
	v_add_f64_e64 v[17:18], v[25:26], -v[17:18]
	s_delay_alu instid0(VALU_DEP_2) | instskip(NEXT) | instid1(VALU_DEP_1)
	v_mul_f64_e32 v[9:10], v[15:16], v[9:10]
	v_add_f64_e32 v[9:10], v[17:18], v[9:10]
	s_delay_alu instid0(VALU_DEP_1) | instskip(NEXT) | instid1(VALU_DEP_1)
	v_add_f64_e32 v[15:16], v[19:20], v[9:10]
	v_mul_f64_e32 v[17:18], v[15:16], v[15:16]
	s_delay_alu instid0(VALU_DEP_1) | instskip(SKIP_4) | instid1(VALU_DEP_2)
	v_fma_f64 v[21:22], v[17:18], s[16:17], s[14:15]
	s_mov_b32 s14, 0xd7f4df2e
	s_mov_b32 s15, 0x3fc7474d
	v_mul_f64_e32 v[23:24], v[15:16], v[17:18]
	s_wait_alu 0xfffe
	v_fma_f64 v[21:22], v[17:18], v[21:22], s[14:15]
	s_mov_b32 s14, 0x16291751
	s_mov_b32 s15, 0x3fcc71c0
	s_wait_alu 0xfffe
	s_delay_alu instid0(VALU_DEP_1) | instskip(SKIP_3) | instid1(VALU_DEP_1)
	v_fma_f64 v[21:22], v[17:18], v[21:22], s[14:15]
	s_mov_b32 s14, 0x9b27acf1
	s_mov_b32 s15, 0x3fd24924
	s_wait_alu 0xfffe
	v_fma_f64 v[21:22], v[17:18], v[21:22], s[14:15]
	s_mov_b32 s14, 0x998ef7b6
	s_mov_b32 s15, 0x3fd99999
	s_wait_alu 0xfffe
	s_delay_alu instid0(VALU_DEP_1) | instskip(NEXT) | instid1(VALU_DEP_1)
	v_fma_f64 v[21:22], v[17:18], v[21:22], s[14:15]
	v_fma_f64 v[17:18], v[17:18], v[21:22], s[6:7]
	v_ldexp_f64 v[21:22], v[15:16], 1
	v_add_f64_e64 v[15:16], v[15:16], -v[19:20]
	v_cmp_neq_f64_e64 s6, 0x7ff00000, v[5:6]
	v_cmp_ngt_f64_e64 s7, -1.0, v[5:6]
	v_mul_f64_e32 v[17:18], v[23:24], v[17:18]
	v_cvt_f64_i32_e32 v[23:24], v35
	v_add_f64_e64 v[9:10], v[9:10], -v[15:16]
	s_and_b32 vcc_lo, vcc_lo, s6
	s_delay_alu instid0(VALU_DEP_3) | instskip(NEXT) | instid1(VALU_DEP_3)
	v_add_f64_e32 v[19:20], v[21:22], v[17:18]
	v_mul_f64_e32 v[25:26], s[8:9], v[23:24]
	s_delay_alu instid0(VALU_DEP_3) | instskip(NEXT) | instid1(VALU_DEP_3)
	v_ldexp_f64 v[9:10], v[9:10], 1
	v_add_f64_e64 v[15:16], v[19:20], -v[21:22]
	s_delay_alu instid0(VALU_DEP_3) | instskip(NEXT) | instid1(VALU_DEP_2)
	v_fma_f64 v[21:22], v[23:24], s[8:9], -v[25:26]
	v_add_f64_e64 v[15:16], v[17:18], -v[15:16]
	s_delay_alu instid0(VALU_DEP_2) | instskip(NEXT) | instid1(VALU_DEP_2)
	v_fma_f64 v[17:18], v[23:24], s[10:11], v[21:22]
	v_add_f64_e32 v[9:10], v[9:10], v[15:16]
	s_delay_alu instid0(VALU_DEP_2) | instskip(NEXT) | instid1(VALU_DEP_2)
	v_add_f64_e32 v[15:16], v[25:26], v[17:18]
	v_add_f64_e32 v[21:22], v[19:20], v[9:10]
	s_delay_alu instid0(VALU_DEP_2) | instskip(NEXT) | instid1(VALU_DEP_2)
	v_add_f64_e64 v[25:26], v[15:16], -v[25:26]
	v_add_f64_e32 v[23:24], v[15:16], v[21:22]
	v_add_f64_e64 v[19:20], v[21:22], -v[19:20]
	s_delay_alu instid0(VALU_DEP_3) | instskip(NEXT) | instid1(VALU_DEP_3)
	v_add_f64_e64 v[17:18], v[17:18], -v[25:26]
	v_add_f64_e64 v[27:28], v[23:24], -v[15:16]
	s_delay_alu instid0(VALU_DEP_3) | instskip(NEXT) | instid1(VALU_DEP_2)
	v_add_f64_e64 v[9:10], v[9:10], -v[19:20]
	v_add_f64_e64 v[29:30], v[23:24], -v[27:28]
	;; [unrolled: 1-line block ×3, first 2 shown]
	s_delay_alu instid0(VALU_DEP_3) | instskip(NEXT) | instid1(VALU_DEP_3)
	v_add_f64_e32 v[21:22], v[17:18], v[9:10]
	v_add_f64_e64 v[15:16], v[15:16], -v[29:30]
	s_delay_alu instid0(VALU_DEP_1) | instskip(NEXT) | instid1(VALU_DEP_3)
	v_add_f64_e32 v[15:16], v[19:20], v[15:16]
	v_add_f64_e64 v[19:20], v[21:22], -v[17:18]
	s_delay_alu instid0(VALU_DEP_2) | instskip(NEXT) | instid1(VALU_DEP_2)
	v_add_f64_e32 v[15:16], v[21:22], v[15:16]
	v_add_f64_e64 v[21:22], v[21:22], -v[19:20]
	v_add_f64_e64 v[9:10], v[9:10], -v[19:20]
	s_delay_alu instid0(VALU_DEP_3) | instskip(NEXT) | instid1(VALU_DEP_3)
	v_add_f64_e32 v[25:26], v[23:24], v[15:16]
	v_add_f64_e64 v[17:18], v[17:18], -v[21:22]
	s_delay_alu instid0(VALU_DEP_2) | instskip(NEXT) | instid1(VALU_DEP_2)
	v_add_f64_e64 v[19:20], v[25:26], -v[23:24]
	v_add_f64_e32 v[9:10], v[9:10], v[17:18]
	s_delay_alu instid0(VALU_DEP_2) | instskip(NEXT) | instid1(VALU_DEP_1)
	v_add_f64_e64 v[15:16], v[15:16], -v[19:20]
	v_add_f64_e32 v[9:10], v[9:10], v[15:16]
	s_delay_alu instid0(VALU_DEP_1) | instskip(SKIP_1) | instid1(VALU_DEP_1)
	v_add_f64_e32 v[9:10], v[25:26], v[9:10]
	s_wait_alu 0xfffe
	v_cndmask_b32_e32 v9, 0, v9, vcc_lo
	v_cmp_neq_f64_e32 vcc_lo, -1.0, v[5:6]
	s_delay_alu instid0(VALU_DEP_3) | instskip(NEXT) | instid1(VALU_DEP_1)
	v_cndmask_b32_e64 v10, 0x7ff00000, v10, s6
	v_cndmask_b32_e64 v10, 0x7ff80000, v10, s7
	s_wait_alu 0xfffd
	s_delay_alu instid0(VALU_DEP_1) | instskip(NEXT) | instid1(VALU_DEP_1)
	v_cndmask_b32_e32 v10, 0xfff00000, v10, vcc_lo
	v_add_f64_e32 v[5:6], v[7:8], v[9:10]
.LBB71_32:
	s_wait_alu 0xfffe
	s_or_b32 exec_lo, exec_lo, s12
	v_max_num_f64_e32 v[15:16], v[57:58], v[57:58]
	s_delay_alu instid0(VALU_DEP_2) | instskip(SKIP_2) | instid1(VALU_DEP_3)
	v_max_num_f64_e32 v[7:8], v[5:6], v[5:6]
	v_cmp_u_f64_e32 vcc_lo, v[5:6], v[5:6]
	v_cmp_u_f64_e64 s6, v[57:58], v[57:58]
	v_min_num_f64_e32 v[9:10], v[7:8], v[15:16]
	v_max_num_f64_e32 v[7:8], v[7:8], v[15:16]
	s_wait_alu 0xfffd
	s_delay_alu instid0(VALU_DEP_2) | instskip(NEXT) | instid1(VALU_DEP_2)
	v_dual_cndmask_b32 v9, v9, v5 :: v_dual_cndmask_b32 v10, v10, v6
	v_dual_cndmask_b32 v8, v8, v6 :: v_dual_cndmask_b32 v7, v7, v5
	s_wait_alu 0xf1ff
	s_delay_alu instid0(VALU_DEP_2) | instskip(NEXT) | instid1(VALU_DEP_3)
	v_cndmask_b32_e64 v9, v9, v57, s6
	v_cndmask_b32_e64 v10, v10, v58, s6
	s_delay_alu instid0(VALU_DEP_3) | instskip(SKIP_1) | instid1(VALU_DEP_3)
	v_cndmask_b32_e64 v8, v8, v58, s6
	v_cndmask_b32_e64 v7, v7, v57, s6
	v_cmp_class_f64_e64 s7, v[9:10], 0x1f8
	s_delay_alu instid0(VALU_DEP_2)
	v_cmp_neq_f64_e32 vcc_lo, v[9:10], v[7:8]
	s_or_b32 s7, vcc_lo, s7
	s_wait_alu 0xfffe
	s_and_saveexec_b32 s14, s7
	s_cbranch_execz .LBB71_34
; %bb.33:
	v_add_f64_e64 v[5:6], v[9:10], -v[7:8]
	s_mov_b32 s8, 0x652b82fe
	s_mov_b32 s9, 0x3ff71547
	;; [unrolled: 1-line block ×10, first 2 shown]
	s_wait_alu 0xfffe
	s_delay_alu instid0(VALU_DEP_1) | instskip(SKIP_4) | instid1(VALU_DEP_3)
	v_mul_f64_e32 v[9:10], s[8:9], v[5:6]
	s_mov_b32 s9, 0xbfe62e42
	s_mov_b32 s8, 0xfefa39ef
	v_cmp_nlt_f64_e32 vcc_lo, 0x40900000, v[5:6]
	v_cmp_ngt_f64_e64 s7, 0xc090cc00, v[5:6]
	v_rndne_f64_e32 v[9:10], v[9:10]
	s_wait_alu 0xfffe
	s_delay_alu instid0(VALU_DEP_1) | instskip(SKIP_2) | instid1(VALU_DEP_2)
	v_fma_f64 v[17:18], v[9:10], s[8:9], v[5:6]
	v_cvt_i32_f64_e32 v21, v[9:10]
	s_mov_b32 s9, 0x3fe62e42
	v_fma_f64 v[17:18], v[9:10], s[10:11], v[17:18]
	s_mov_b32 s11, 0x3c7abc9e
	s_delay_alu instid0(VALU_DEP_1)
	v_fma_f64 v[19:20], v[17:18], s[16:17], s[12:13]
	s_mov_b32 s12, 0x623fde64
	s_mov_b32 s13, 0x3ec71dee
	;; [unrolled: 1-line block ×4, first 2 shown]
	s_wait_alu 0xfffe
	s_delay_alu instid0(VALU_DEP_1) | instskip(SKIP_3) | instid1(VALU_DEP_1)
	v_fma_f64 v[19:20], v[17:18], v[19:20], s[12:13]
	s_mov_b32 s12, 0x7c89e6b0
	s_mov_b32 s13, 0x3efa0199
	s_wait_alu 0xfffe
	v_fma_f64 v[19:20], v[17:18], v[19:20], s[12:13]
	s_mov_b32 s12, 0x14761f6e
	s_mov_b32 s13, 0x3f2a01a0
	s_wait_alu 0xfffe
	s_delay_alu instid0(VALU_DEP_1) | instskip(SKIP_3) | instid1(VALU_DEP_1)
	v_fma_f64 v[19:20], v[17:18], v[19:20], s[12:13]
	s_mov_b32 s12, 0x1852b7b0
	s_mov_b32 s13, 0x3f56c16c
	s_wait_alu 0xfffe
	v_fma_f64 v[19:20], v[17:18], v[19:20], s[12:13]
	s_mov_b32 s12, 0x11122322
	s_mov_b32 s13, 0x3f811111
	;; [unrolled: 9-line block ×4, first 2 shown]
	s_delay_alu instid0(VALU_DEP_1) | instskip(NEXT) | instid1(VALU_DEP_1)
	v_fma_f64 v[19:20], v[17:18], v[19:20], 1.0
	v_fma_f64 v[9:10], v[17:18], v[19:20], 1.0
	s_delay_alu instid0(VALU_DEP_1) | instskip(SKIP_1) | instid1(VALU_DEP_1)
	v_ldexp_f64 v[9:10], v[9:10], v21
	s_wait_alu 0xfffd
	v_cndmask_b32_e32 v10, 0x7ff00000, v10, vcc_lo
	s_and_b32 vcc_lo, s7, vcc_lo
	s_wait_alu 0xfffe
	s_delay_alu instid0(VALU_DEP_2) | instskip(NEXT) | instid1(VALU_DEP_2)
	v_cndmask_b32_e32 v5, 0, v9, vcc_lo
	v_cndmask_b32_e64 v6, 0, v10, s7
	s_delay_alu instid0(VALU_DEP_1) | instskip(SKIP_1) | instid1(VALU_DEP_2)
	v_add_f64_e32 v[9:10], 1.0, v[5:6]
	v_cmp_neq_f64_e64 s7, 0x7ff00000, v[5:6]
	v_frexp_mant_f64_e32 v[17:18], v[9:10]
	v_frexp_exp_i32_f64_e32 v21, v[9:10]
	v_add_f64_e32 v[19:20], -1.0, v[9:10]
	s_delay_alu instid0(VALU_DEP_3) | instskip(SKIP_1) | instid1(VALU_DEP_2)
	v_cmp_gt_f64_e32 vcc_lo, s[12:13], v[17:18]
	s_mov_b32 s12, 0x55555780
	v_add_f64_e64 v[17:18], v[19:20], -v[9:10]
	v_add_f64_e64 v[19:20], v[5:6], -v[19:20]
	s_wait_alu 0xfffd
	v_subrev_co_ci_u32_e64 v67, null, 0, v21, vcc_lo
	s_delay_alu instid0(VALU_DEP_3) | instskip(SKIP_1) | instid1(VALU_DEP_3)
	v_add_f64_e32 v[17:18], 1.0, v[17:18]
	v_cmp_nge_f64_e32 vcc_lo, -1.0, v[5:6]
	v_sub_nc_u32_e32 v23, 0, v67
	s_delay_alu instid0(VALU_DEP_1) | instskip(NEXT) | instid1(VALU_DEP_4)
	v_ldexp_f64 v[9:10], v[9:10], v23
	v_add_f64_e32 v[17:18], v[19:20], v[17:18]
	s_and_b32 vcc_lo, vcc_lo, s7
	s_delay_alu instid0(VALU_DEP_2) | instskip(SKIP_1) | instid1(VALU_DEP_3)
	v_add_f64_e32 v[21:22], 1.0, v[9:10]
	v_add_f64_e32 v[27:28], -1.0, v[9:10]
	v_ldexp_f64 v[17:18], v[17:18], v23
	s_delay_alu instid0(VALU_DEP_3) | instskip(NEXT) | instid1(VALU_DEP_3)
	v_add_f64_e32 v[19:20], -1.0, v[21:22]
	v_add_f64_e32 v[29:30], 1.0, v[27:28]
	s_delay_alu instid0(VALU_DEP_2) | instskip(NEXT) | instid1(VALU_DEP_2)
	v_add_f64_e64 v[19:20], v[9:10], -v[19:20]
	v_add_f64_e64 v[9:10], v[9:10], -v[29:30]
	s_delay_alu instid0(VALU_DEP_2) | instskip(NEXT) | instid1(VALU_DEP_2)
	v_add_f64_e32 v[19:20], v[17:18], v[19:20]
	v_add_f64_e32 v[9:10], v[17:18], v[9:10]
	s_delay_alu instid0(VALU_DEP_2) | instskip(NEXT) | instid1(VALU_DEP_2)
	v_add_f64_e32 v[23:24], v[21:22], v[19:20]
	v_add_f64_e32 v[29:30], v[27:28], v[9:10]
	s_delay_alu instid0(VALU_DEP_2) | instskip(SKIP_1) | instid1(VALU_DEP_2)
	v_rcp_f64_e32 v[25:26], v[23:24]
	v_add_f64_e64 v[21:22], v[23:24], -v[21:22]
	v_add_f64_e64 v[27:28], v[29:30], -v[27:28]
	s_delay_alu instid0(VALU_DEP_2) | instskip(NEXT) | instid1(TRANS32_DEP_1)
	v_add_f64_e64 v[19:20], v[19:20], -v[21:22]
	v_fma_f64 v[31:32], -v[23:24], v[25:26], 1.0
	s_delay_alu instid0(VALU_DEP_3) | instskip(NEXT) | instid1(VALU_DEP_2)
	v_add_f64_e64 v[9:10], v[9:10], -v[27:28]
	v_fma_f64 v[25:26], v[31:32], v[25:26], v[25:26]
	s_delay_alu instid0(VALU_DEP_1) | instskip(NEXT) | instid1(VALU_DEP_1)
	v_fma_f64 v[17:18], -v[23:24], v[25:26], 1.0
	v_fma_f64 v[17:18], v[17:18], v[25:26], v[25:26]
	s_delay_alu instid0(VALU_DEP_1) | instskip(NEXT) | instid1(VALU_DEP_1)
	v_mul_f64_e32 v[25:26], v[29:30], v[17:18]
	v_mul_f64_e32 v[31:32], v[23:24], v[25:26]
	s_delay_alu instid0(VALU_DEP_1) | instskip(NEXT) | instid1(VALU_DEP_1)
	v_fma_f64 v[21:22], v[25:26], v[23:24], -v[31:32]
	v_fma_f64 v[21:22], v[25:26], v[19:20], v[21:22]
	s_delay_alu instid0(VALU_DEP_1) | instskip(NEXT) | instid1(VALU_DEP_1)
	v_add_f64_e32 v[33:34], v[31:32], v[21:22]
	v_add_f64_e64 v[35:36], v[29:30], -v[33:34]
	v_add_f64_e64 v[27:28], v[33:34], -v[31:32]
	s_delay_alu instid0(VALU_DEP_2) | instskip(NEXT) | instid1(VALU_DEP_2)
	v_add_f64_e64 v[29:30], v[29:30], -v[35:36]
	v_add_f64_e64 v[21:22], v[27:28], -v[21:22]
	s_delay_alu instid0(VALU_DEP_2) | instskip(NEXT) | instid1(VALU_DEP_1)
	v_add_f64_e64 v[29:30], v[29:30], -v[33:34]
	v_add_f64_e32 v[9:10], v[9:10], v[29:30]
	s_delay_alu instid0(VALU_DEP_1) | instskip(NEXT) | instid1(VALU_DEP_1)
	v_add_f64_e32 v[9:10], v[21:22], v[9:10]
	v_add_f64_e32 v[21:22], v[35:36], v[9:10]
	s_delay_alu instid0(VALU_DEP_1) | instskip(SKIP_1) | instid1(VALU_DEP_2)
	v_mul_f64_e32 v[27:28], v[17:18], v[21:22]
	v_add_f64_e64 v[33:34], v[35:36], -v[21:22]
	v_mul_f64_e32 v[29:30], v[23:24], v[27:28]
	s_delay_alu instid0(VALU_DEP_2) | instskip(NEXT) | instid1(VALU_DEP_2)
	v_add_f64_e32 v[9:10], v[9:10], v[33:34]
	v_fma_f64 v[23:24], v[27:28], v[23:24], -v[29:30]
	s_delay_alu instid0(VALU_DEP_1) | instskip(NEXT) | instid1(VALU_DEP_1)
	v_fma_f64 v[19:20], v[27:28], v[19:20], v[23:24]
	v_add_f64_e32 v[23:24], v[29:30], v[19:20]
	s_delay_alu instid0(VALU_DEP_1) | instskip(SKIP_1) | instid1(VALU_DEP_2)
	v_add_f64_e64 v[31:32], v[21:22], -v[23:24]
	v_add_f64_e64 v[29:30], v[23:24], -v[29:30]
	;; [unrolled: 1-line block ×3, first 2 shown]
	s_delay_alu instid0(VALU_DEP_2) | instskip(NEXT) | instid1(VALU_DEP_2)
	v_add_f64_e64 v[19:20], v[29:30], -v[19:20]
	v_add_f64_e64 v[21:22], v[21:22], -v[23:24]
	s_delay_alu instid0(VALU_DEP_1) | instskip(SKIP_1) | instid1(VALU_DEP_2)
	v_add_f64_e32 v[9:10], v[9:10], v[21:22]
	v_add_f64_e32 v[21:22], v[25:26], v[27:28]
	v_add_f64_e32 v[9:10], v[19:20], v[9:10]
	s_delay_alu instid0(VALU_DEP_2) | instskip(NEXT) | instid1(VALU_DEP_2)
	v_add_f64_e64 v[19:20], v[21:22], -v[25:26]
	v_add_f64_e32 v[9:10], v[31:32], v[9:10]
	s_delay_alu instid0(VALU_DEP_2) | instskip(NEXT) | instid1(VALU_DEP_2)
	v_add_f64_e64 v[19:20], v[27:28], -v[19:20]
	v_mul_f64_e32 v[9:10], v[17:18], v[9:10]
	s_delay_alu instid0(VALU_DEP_1) | instskip(NEXT) | instid1(VALU_DEP_1)
	v_add_f64_e32 v[9:10], v[19:20], v[9:10]
	v_add_f64_e32 v[17:18], v[21:22], v[9:10]
	s_delay_alu instid0(VALU_DEP_1) | instskip(NEXT) | instid1(VALU_DEP_1)
	v_mul_f64_e32 v[19:20], v[17:18], v[17:18]
	v_fma_f64 v[23:24], v[19:20], s[20:21], s[16:17]
	s_mov_b32 s16, 0xd7f4df2e
	s_mov_b32 s17, 0x3fc7474d
	v_mul_f64_e32 v[25:26], v[17:18], v[19:20]
	s_wait_alu 0xfffe
	s_delay_alu instid0(VALU_DEP_2) | instskip(SKIP_3) | instid1(VALU_DEP_1)
	v_fma_f64 v[23:24], v[19:20], v[23:24], s[16:17]
	s_mov_b32 s16, 0x16291751
	s_mov_b32 s17, 0x3fcc71c0
	s_wait_alu 0xfffe
	v_fma_f64 v[23:24], v[19:20], v[23:24], s[16:17]
	s_mov_b32 s16, 0x9b27acf1
	s_mov_b32 s17, 0x3fd24924
	s_wait_alu 0xfffe
	s_delay_alu instid0(VALU_DEP_1) | instskip(SKIP_3) | instid1(VALU_DEP_1)
	v_fma_f64 v[23:24], v[19:20], v[23:24], s[16:17]
	s_mov_b32 s16, 0x998ef7b6
	s_mov_b32 s17, 0x3fd99999
	s_wait_alu 0xfffe
	v_fma_f64 v[23:24], v[19:20], v[23:24], s[16:17]
	s_delay_alu instid0(VALU_DEP_1) | instskip(SKIP_2) | instid1(VALU_DEP_3)
	v_fma_f64 v[19:20], v[19:20], v[23:24], s[12:13]
	v_ldexp_f64 v[23:24], v[17:18], 1
	v_add_f64_e64 v[17:18], v[17:18], -v[21:22]
	v_mul_f64_e32 v[19:20], v[25:26], v[19:20]
	v_cvt_f64_i32_e32 v[25:26], v67
	s_delay_alu instid0(VALU_DEP_3) | instskip(NEXT) | instid1(VALU_DEP_3)
	v_add_f64_e64 v[9:10], v[9:10], -v[17:18]
	v_add_f64_e32 v[21:22], v[23:24], v[19:20]
	s_delay_alu instid0(VALU_DEP_3) | instskip(NEXT) | instid1(VALU_DEP_3)
	v_mul_f64_e32 v[27:28], s[8:9], v[25:26]
	v_ldexp_f64 v[9:10], v[9:10], 1
	s_delay_alu instid0(VALU_DEP_3) | instskip(NEXT) | instid1(VALU_DEP_3)
	v_add_f64_e64 v[17:18], v[21:22], -v[23:24]
	v_fma_f64 v[23:24], v[25:26], s[8:9], -v[27:28]
	v_cmp_ngt_f64_e64 s8, -1.0, v[5:6]
	s_delay_alu instid0(VALU_DEP_3) | instskip(NEXT) | instid1(VALU_DEP_3)
	v_add_f64_e64 v[17:18], v[19:20], -v[17:18]
	v_fma_f64 v[19:20], v[25:26], s[10:11], v[23:24]
	s_delay_alu instid0(VALU_DEP_2) | instskip(NEXT) | instid1(VALU_DEP_2)
	v_add_f64_e32 v[9:10], v[9:10], v[17:18]
	v_add_f64_e32 v[17:18], v[27:28], v[19:20]
	s_delay_alu instid0(VALU_DEP_2) | instskip(NEXT) | instid1(VALU_DEP_2)
	v_add_f64_e32 v[23:24], v[21:22], v[9:10]
	v_add_f64_e64 v[27:28], v[17:18], -v[27:28]
	s_delay_alu instid0(VALU_DEP_2) | instskip(SKIP_1) | instid1(VALU_DEP_3)
	v_add_f64_e32 v[25:26], v[17:18], v[23:24]
	v_add_f64_e64 v[21:22], v[23:24], -v[21:22]
	v_add_f64_e64 v[19:20], v[19:20], -v[27:28]
	s_delay_alu instid0(VALU_DEP_3) | instskip(NEXT) | instid1(VALU_DEP_3)
	v_add_f64_e64 v[29:30], v[25:26], -v[17:18]
	v_add_f64_e64 v[9:10], v[9:10], -v[21:22]
	s_delay_alu instid0(VALU_DEP_2) | instskip(SKIP_1) | instid1(VALU_DEP_3)
	v_add_f64_e64 v[31:32], v[25:26], -v[29:30]
	v_add_f64_e64 v[21:22], v[23:24], -v[29:30]
	v_add_f64_e32 v[23:24], v[19:20], v[9:10]
	s_delay_alu instid0(VALU_DEP_3) | instskip(NEXT) | instid1(VALU_DEP_1)
	v_add_f64_e64 v[17:18], v[17:18], -v[31:32]
	v_add_f64_e32 v[17:18], v[21:22], v[17:18]
	s_delay_alu instid0(VALU_DEP_3) | instskip(NEXT) | instid1(VALU_DEP_2)
	v_add_f64_e64 v[21:22], v[23:24], -v[19:20]
	v_add_f64_e32 v[17:18], v[23:24], v[17:18]
	s_delay_alu instid0(VALU_DEP_2) | instskip(SKIP_1) | instid1(VALU_DEP_3)
	v_add_f64_e64 v[23:24], v[23:24], -v[21:22]
	v_add_f64_e64 v[9:10], v[9:10], -v[21:22]
	v_add_f64_e32 v[27:28], v[25:26], v[17:18]
	s_delay_alu instid0(VALU_DEP_3) | instskip(NEXT) | instid1(VALU_DEP_2)
	v_add_f64_e64 v[19:20], v[19:20], -v[23:24]
	v_add_f64_e64 v[21:22], v[27:28], -v[25:26]
	s_delay_alu instid0(VALU_DEP_2) | instskip(NEXT) | instid1(VALU_DEP_2)
	v_add_f64_e32 v[9:10], v[9:10], v[19:20]
	v_add_f64_e64 v[17:18], v[17:18], -v[21:22]
	s_delay_alu instid0(VALU_DEP_1) | instskip(NEXT) | instid1(VALU_DEP_1)
	v_add_f64_e32 v[9:10], v[9:10], v[17:18]
	v_add_f64_e32 v[9:10], v[27:28], v[9:10]
	s_delay_alu instid0(VALU_DEP_1) | instskip(SKIP_1) | instid1(VALU_DEP_3)
	v_cndmask_b32_e32 v9, 0, v9, vcc_lo
	v_cmp_neq_f64_e32 vcc_lo, -1.0, v[5:6]
	v_cndmask_b32_e64 v10, 0x7ff00000, v10, s7
	s_wait_alu 0xf1ff
	s_delay_alu instid0(VALU_DEP_1) | instskip(SKIP_1) | instid1(VALU_DEP_1)
	v_cndmask_b32_e64 v10, 0x7ff80000, v10, s8
	s_wait_alu 0xfffd
	v_cndmask_b32_e32 v10, 0xfff00000, v10, vcc_lo
	s_delay_alu instid0(VALU_DEP_1)
	v_add_f64_e32 v[5:6], v[7:8], v[9:10]
.LBB71_34:
	s_wait_alu 0xfffe
	s_or_b32 exec_lo, exec_lo, s14
	v_max_num_f64_e32 v[17:18], v[59:60], v[59:60]
	s_delay_alu instid0(VALU_DEP_2) | instskip(SKIP_2) | instid1(VALU_DEP_3)
	v_max_num_f64_e32 v[7:8], v[5:6], v[5:6]
	v_cmp_u_f64_e32 vcc_lo, v[5:6], v[5:6]
	v_cmp_u_f64_e64 s7, v[59:60], v[59:60]
	v_min_num_f64_e32 v[9:10], v[7:8], v[17:18]
	v_max_num_f64_e32 v[7:8], v[7:8], v[17:18]
	s_wait_alu 0xfffd
	s_delay_alu instid0(VALU_DEP_2) | instskip(NEXT) | instid1(VALU_DEP_2)
	v_dual_cndmask_b32 v9, v9, v5 :: v_dual_cndmask_b32 v10, v10, v6
	v_dual_cndmask_b32 v8, v8, v6 :: v_dual_cndmask_b32 v7, v7, v5
	s_wait_alu 0xf1ff
	s_delay_alu instid0(VALU_DEP_2) | instskip(NEXT) | instid1(VALU_DEP_3)
	v_cndmask_b32_e64 v9, v9, v59, s7
	v_cndmask_b32_e64 v10, v10, v60, s7
	s_delay_alu instid0(VALU_DEP_3) | instskip(SKIP_1) | instid1(VALU_DEP_3)
	v_cndmask_b32_e64 v8, v8, v60, s7
	v_cndmask_b32_e64 v7, v7, v59, s7
	v_cmp_class_f64_e64 s8, v[9:10], 0x1f8
	s_delay_alu instid0(VALU_DEP_2)
	v_cmp_neq_f64_e32 vcc_lo, v[9:10], v[7:8]
	s_or_b32 s8, vcc_lo, s8
	s_wait_alu 0xfffe
	s_and_saveexec_b32 s14, s8
	s_cbranch_execz .LBB71_36
; %bb.35:
	v_add_f64_e64 v[5:6], v[9:10], -v[7:8]
	s_mov_b32 s8, 0x652b82fe
	s_mov_b32 s9, 0x3ff71547
	;; [unrolled: 1-line block ×10, first 2 shown]
	s_wait_alu 0xfffe
	s_delay_alu instid0(VALU_DEP_1) | instskip(SKIP_3) | instid1(VALU_DEP_2)
	v_mul_f64_e32 v[9:10], s[8:9], v[5:6]
	s_mov_b32 s8, 0xfca7ab0c
	s_mov_b32 s9, 0x3e928af3
	v_cmp_nlt_f64_e32 vcc_lo, 0x40900000, v[5:6]
	v_rndne_f64_e32 v[9:10], v[9:10]
	s_delay_alu instid0(VALU_DEP_1) | instskip(SKIP_2) | instid1(VALU_DEP_2)
	v_fma_f64 v[19:20], v[9:10], s[10:11], v[5:6]
	v_cvt_i32_f64_e32 v23, v[9:10]
	s_mov_b32 s11, 0x3fe62e42
	v_fma_f64 v[19:20], v[9:10], s[12:13], v[19:20]
	s_mov_b32 s13, 0x3c7abc9e
	s_wait_alu 0xfffe
	s_delay_alu instid0(VALU_DEP_1)
	v_fma_f64 v[21:22], v[19:20], s[16:17], s[8:9]
	s_mov_b32 s8, 0x623fde64
	s_mov_b32 s9, 0x3ec71dee
	s_mov_b32 s16, 0x6b47b09a
	s_mov_b32 s17, 0x3fc38538
	s_wait_alu 0xfffe
	s_delay_alu instid0(VALU_DEP_1) | instskip(SKIP_3) | instid1(VALU_DEP_1)
	v_fma_f64 v[21:22], v[19:20], v[21:22], s[8:9]
	s_mov_b32 s8, 0x7c89e6b0
	s_mov_b32 s9, 0x3efa0199
	s_wait_alu 0xfffe
	v_fma_f64 v[21:22], v[19:20], v[21:22], s[8:9]
	s_mov_b32 s8, 0x14761f6e
	s_mov_b32 s9, 0x3f2a01a0
	s_wait_alu 0xfffe
	s_delay_alu instid0(VALU_DEP_1) | instskip(SKIP_3) | instid1(VALU_DEP_1)
	v_fma_f64 v[21:22], v[19:20], v[21:22], s[8:9]
	s_mov_b32 s8, 0x1852b7b0
	s_mov_b32 s9, 0x3f56c16c
	s_wait_alu 0xfffe
	v_fma_f64 v[21:22], v[19:20], v[21:22], s[8:9]
	s_mov_b32 s8, 0x11122322
	s_mov_b32 s9, 0x3f811111
	;; [unrolled: 9-line block ×3, first 2 shown]
	s_wait_alu 0xfffe
	s_delay_alu instid0(VALU_DEP_1) | instskip(SKIP_3) | instid1(VALU_DEP_1)
	v_fma_f64 v[21:22], v[19:20], v[21:22], s[8:9]
	s_mov_b32 s8, 11
	s_mov_b32 s9, 0x3fe00000
	s_wait_alu 0xfffe
	v_fma_f64 v[21:22], v[19:20], v[21:22], s[8:9]
	v_cmp_ngt_f64_e64 s8, 0xc090cc00, v[5:6]
	s_mov_b32 s9, 0x3fe55555
	v_fma_f64 v[21:22], v[19:20], v[21:22], 1.0
	s_delay_alu instid0(VALU_DEP_1) | instskip(NEXT) | instid1(VALU_DEP_1)
	v_fma_f64 v[9:10], v[19:20], v[21:22], 1.0
	v_ldexp_f64 v[9:10], v[9:10], v23
	s_wait_alu 0xfffd
	s_delay_alu instid0(VALU_DEP_1) | instskip(SKIP_2) | instid1(VALU_DEP_2)
	v_cndmask_b32_e32 v10, 0x7ff00000, v10, vcc_lo
	s_and_b32 vcc_lo, s8, vcc_lo
	s_wait_alu 0xfffe
	v_cndmask_b32_e32 v5, 0, v9, vcc_lo
	s_delay_alu instid0(VALU_DEP_2) | instskip(SKIP_1) | instid1(VALU_DEP_1)
	v_cndmask_b32_e64 v6, 0, v10, s8
	s_mov_b32 s8, 0x55555555
	v_add_f64_e32 v[9:10], 1.0, v[5:6]
	s_delay_alu instid0(VALU_DEP_1) | instskip(SKIP_3) | instid1(VALU_DEP_3)
	v_frexp_mant_f64_e32 v[19:20], v[9:10]
	v_frexp_exp_i32_f64_e32 v23, v[9:10]
	v_add_f64_e32 v[21:22], -1.0, v[9:10]
	s_wait_alu 0xfffe
	v_cmp_gt_f64_e32 vcc_lo, s[8:9], v[19:20]
	s_mov_b32 s8, 0x55555780
	s_delay_alu instid0(VALU_DEP_2) | instskip(SKIP_3) | instid1(VALU_DEP_3)
	v_add_f64_e64 v[19:20], v[21:22], -v[9:10]
	v_add_f64_e64 v[21:22], v[5:6], -v[21:22]
	s_wait_alu 0xfffd
	v_subrev_co_ci_u32_e64 v71, null, 0, v23, vcc_lo
	v_add_f64_e32 v[19:20], 1.0, v[19:20]
	v_cmp_nge_f64_e32 vcc_lo, -1.0, v[5:6]
	s_delay_alu instid0(VALU_DEP_3) | instskip(NEXT) | instid1(VALU_DEP_1)
	v_sub_nc_u32_e32 v25, 0, v71
	v_ldexp_f64 v[9:10], v[9:10], v25
	s_delay_alu instid0(VALU_DEP_4) | instskip(NEXT) | instid1(VALU_DEP_2)
	v_add_f64_e32 v[19:20], v[21:22], v[19:20]
	v_add_f64_e32 v[23:24], 1.0, v[9:10]
	v_add_f64_e32 v[29:30], -1.0, v[9:10]
	s_delay_alu instid0(VALU_DEP_3) | instskip(NEXT) | instid1(VALU_DEP_3)
	v_ldexp_f64 v[19:20], v[19:20], v25
	v_add_f64_e32 v[21:22], -1.0, v[23:24]
	s_delay_alu instid0(VALU_DEP_3) | instskip(NEXT) | instid1(VALU_DEP_2)
	v_add_f64_e32 v[31:32], 1.0, v[29:30]
	v_add_f64_e64 v[21:22], v[9:10], -v[21:22]
	s_delay_alu instid0(VALU_DEP_2) | instskip(NEXT) | instid1(VALU_DEP_2)
	v_add_f64_e64 v[9:10], v[9:10], -v[31:32]
	v_add_f64_e32 v[21:22], v[19:20], v[21:22]
	s_delay_alu instid0(VALU_DEP_2) | instskip(NEXT) | instid1(VALU_DEP_2)
	v_add_f64_e32 v[9:10], v[19:20], v[9:10]
	v_add_f64_e32 v[25:26], v[23:24], v[21:22]
	s_delay_alu instid0(VALU_DEP_2) | instskip(NEXT) | instid1(VALU_DEP_2)
	v_add_f64_e32 v[31:32], v[29:30], v[9:10]
	v_rcp_f64_e32 v[27:28], v[25:26]
	v_add_f64_e64 v[23:24], v[25:26], -v[23:24]
	s_delay_alu instid0(VALU_DEP_2) | instskip(NEXT) | instid1(VALU_DEP_2)
	v_add_f64_e64 v[29:30], v[31:32], -v[29:30]
	v_add_f64_e64 v[21:22], v[21:22], -v[23:24]
	s_delay_alu instid0(TRANS32_DEP_1) | instskip(NEXT) | instid1(VALU_DEP_3)
	v_fma_f64 v[33:34], -v[25:26], v[27:28], 1.0
	v_add_f64_e64 v[9:10], v[9:10], -v[29:30]
	s_delay_alu instid0(VALU_DEP_2) | instskip(NEXT) | instid1(VALU_DEP_1)
	v_fma_f64 v[27:28], v[33:34], v[27:28], v[27:28]
	v_fma_f64 v[19:20], -v[25:26], v[27:28], 1.0
	s_delay_alu instid0(VALU_DEP_1) | instskip(NEXT) | instid1(VALU_DEP_1)
	v_fma_f64 v[19:20], v[19:20], v[27:28], v[27:28]
	v_mul_f64_e32 v[27:28], v[31:32], v[19:20]
	s_delay_alu instid0(VALU_DEP_1) | instskip(NEXT) | instid1(VALU_DEP_1)
	v_mul_f64_e32 v[33:34], v[25:26], v[27:28]
	v_fma_f64 v[23:24], v[27:28], v[25:26], -v[33:34]
	s_delay_alu instid0(VALU_DEP_1) | instskip(NEXT) | instid1(VALU_DEP_1)
	v_fma_f64 v[23:24], v[27:28], v[21:22], v[23:24]
	v_add_f64_e32 v[35:36], v[33:34], v[23:24]
	s_delay_alu instid0(VALU_DEP_1) | instskip(SKIP_1) | instid1(VALU_DEP_2)
	v_add_f64_e64 v[67:68], v[31:32], -v[35:36]
	v_add_f64_e64 v[29:30], v[35:36], -v[33:34]
	;; [unrolled: 1-line block ×3, first 2 shown]
	s_delay_alu instid0(VALU_DEP_2) | instskip(NEXT) | instid1(VALU_DEP_2)
	v_add_f64_e64 v[23:24], v[29:30], -v[23:24]
	v_add_f64_e64 v[31:32], v[31:32], -v[35:36]
	s_delay_alu instid0(VALU_DEP_1) | instskip(NEXT) | instid1(VALU_DEP_1)
	v_add_f64_e32 v[9:10], v[9:10], v[31:32]
	v_add_f64_e32 v[9:10], v[23:24], v[9:10]
	s_delay_alu instid0(VALU_DEP_1) | instskip(NEXT) | instid1(VALU_DEP_1)
	v_add_f64_e32 v[23:24], v[67:68], v[9:10]
	v_mul_f64_e32 v[29:30], v[19:20], v[23:24]
	v_add_f64_e64 v[35:36], v[67:68], -v[23:24]
	s_delay_alu instid0(VALU_DEP_2) | instskip(NEXT) | instid1(VALU_DEP_2)
	v_mul_f64_e32 v[31:32], v[25:26], v[29:30]
	v_add_f64_e32 v[9:10], v[9:10], v[35:36]
	s_delay_alu instid0(VALU_DEP_2) | instskip(NEXT) | instid1(VALU_DEP_1)
	v_fma_f64 v[25:26], v[29:30], v[25:26], -v[31:32]
	v_fma_f64 v[21:22], v[29:30], v[21:22], v[25:26]
	s_delay_alu instid0(VALU_DEP_1) | instskip(NEXT) | instid1(VALU_DEP_1)
	v_add_f64_e32 v[25:26], v[31:32], v[21:22]
	v_add_f64_e64 v[33:34], v[23:24], -v[25:26]
	v_add_f64_e64 v[31:32], v[25:26], -v[31:32]
	s_delay_alu instid0(VALU_DEP_2) | instskip(NEXT) | instid1(VALU_DEP_2)
	v_add_f64_e64 v[23:24], v[23:24], -v[33:34]
	v_add_f64_e64 v[21:22], v[31:32], -v[21:22]
	s_delay_alu instid0(VALU_DEP_2) | instskip(NEXT) | instid1(VALU_DEP_1)
	v_add_f64_e64 v[23:24], v[23:24], -v[25:26]
	v_add_f64_e32 v[9:10], v[9:10], v[23:24]
	v_add_f64_e32 v[23:24], v[27:28], v[29:30]
	s_delay_alu instid0(VALU_DEP_2) | instskip(NEXT) | instid1(VALU_DEP_2)
	v_add_f64_e32 v[9:10], v[21:22], v[9:10]
	v_add_f64_e64 v[21:22], v[23:24], -v[27:28]
	s_delay_alu instid0(VALU_DEP_2) | instskip(NEXT) | instid1(VALU_DEP_2)
	v_add_f64_e32 v[9:10], v[33:34], v[9:10]
	v_add_f64_e64 v[21:22], v[29:30], -v[21:22]
	s_delay_alu instid0(VALU_DEP_2) | instskip(NEXT) | instid1(VALU_DEP_1)
	v_mul_f64_e32 v[9:10], v[19:20], v[9:10]
	v_add_f64_e32 v[9:10], v[21:22], v[9:10]
	s_delay_alu instid0(VALU_DEP_1) | instskip(NEXT) | instid1(VALU_DEP_1)
	v_add_f64_e32 v[19:20], v[23:24], v[9:10]
	v_mul_f64_e32 v[21:22], v[19:20], v[19:20]
	s_delay_alu instid0(VALU_DEP_1) | instskip(SKIP_4) | instid1(VALU_DEP_2)
	v_fma_f64 v[25:26], v[21:22], s[20:21], s[16:17]
	s_mov_b32 s16, 0xd7f4df2e
	s_mov_b32 s17, 0x3fc7474d
	v_mul_f64_e32 v[27:28], v[19:20], v[21:22]
	s_wait_alu 0xfffe
	v_fma_f64 v[25:26], v[21:22], v[25:26], s[16:17]
	s_mov_b32 s16, 0x16291751
	s_mov_b32 s17, 0x3fcc71c0
	s_wait_alu 0xfffe
	s_delay_alu instid0(VALU_DEP_1) | instskip(SKIP_3) | instid1(VALU_DEP_1)
	v_fma_f64 v[25:26], v[21:22], v[25:26], s[16:17]
	s_mov_b32 s16, 0x9b27acf1
	s_mov_b32 s17, 0x3fd24924
	s_wait_alu 0xfffe
	v_fma_f64 v[25:26], v[21:22], v[25:26], s[16:17]
	s_mov_b32 s16, 0x998ef7b6
	s_mov_b32 s17, 0x3fd99999
	s_wait_alu 0xfffe
	s_delay_alu instid0(VALU_DEP_1) | instskip(NEXT) | instid1(VALU_DEP_1)
	v_fma_f64 v[25:26], v[21:22], v[25:26], s[16:17]
	v_fma_f64 v[21:22], v[21:22], v[25:26], s[8:9]
	v_ldexp_f64 v[25:26], v[19:20], 1
	v_add_f64_e64 v[19:20], v[19:20], -v[23:24]
	v_cmp_neq_f64_e64 s8, 0x7ff00000, v[5:6]
	v_cmp_ngt_f64_e64 s9, -1.0, v[5:6]
	v_mul_f64_e32 v[21:22], v[27:28], v[21:22]
	v_cvt_f64_i32_e32 v[27:28], v71
	v_add_f64_e64 v[9:10], v[9:10], -v[19:20]
	s_and_b32 vcc_lo, vcc_lo, s8
	s_delay_alu instid0(VALU_DEP_3) | instskip(NEXT) | instid1(VALU_DEP_3)
	v_add_f64_e32 v[23:24], v[25:26], v[21:22]
	v_mul_f64_e32 v[29:30], s[10:11], v[27:28]
	s_delay_alu instid0(VALU_DEP_3) | instskip(NEXT) | instid1(VALU_DEP_3)
	v_ldexp_f64 v[9:10], v[9:10], 1
	v_add_f64_e64 v[19:20], v[23:24], -v[25:26]
	s_delay_alu instid0(VALU_DEP_3) | instskip(NEXT) | instid1(VALU_DEP_2)
	v_fma_f64 v[25:26], v[27:28], s[10:11], -v[29:30]
	v_add_f64_e64 v[19:20], v[21:22], -v[19:20]
	s_delay_alu instid0(VALU_DEP_2) | instskip(NEXT) | instid1(VALU_DEP_2)
	v_fma_f64 v[21:22], v[27:28], s[12:13], v[25:26]
	v_add_f64_e32 v[9:10], v[9:10], v[19:20]
	s_delay_alu instid0(VALU_DEP_2) | instskip(NEXT) | instid1(VALU_DEP_2)
	v_add_f64_e32 v[19:20], v[29:30], v[21:22]
	v_add_f64_e32 v[25:26], v[23:24], v[9:10]
	s_delay_alu instid0(VALU_DEP_2) | instskip(NEXT) | instid1(VALU_DEP_2)
	v_add_f64_e64 v[29:30], v[19:20], -v[29:30]
	v_add_f64_e32 v[27:28], v[19:20], v[25:26]
	v_add_f64_e64 v[23:24], v[25:26], -v[23:24]
	s_delay_alu instid0(VALU_DEP_3) | instskip(NEXT) | instid1(VALU_DEP_3)
	v_add_f64_e64 v[21:22], v[21:22], -v[29:30]
	v_add_f64_e64 v[31:32], v[27:28], -v[19:20]
	s_delay_alu instid0(VALU_DEP_3) | instskip(NEXT) | instid1(VALU_DEP_2)
	v_add_f64_e64 v[9:10], v[9:10], -v[23:24]
	v_add_f64_e64 v[33:34], v[27:28], -v[31:32]
	;; [unrolled: 1-line block ×3, first 2 shown]
	s_delay_alu instid0(VALU_DEP_3) | instskip(NEXT) | instid1(VALU_DEP_3)
	v_add_f64_e32 v[25:26], v[21:22], v[9:10]
	v_add_f64_e64 v[19:20], v[19:20], -v[33:34]
	s_delay_alu instid0(VALU_DEP_1) | instskip(NEXT) | instid1(VALU_DEP_3)
	v_add_f64_e32 v[19:20], v[23:24], v[19:20]
	v_add_f64_e64 v[23:24], v[25:26], -v[21:22]
	s_delay_alu instid0(VALU_DEP_2) | instskip(NEXT) | instid1(VALU_DEP_2)
	v_add_f64_e32 v[19:20], v[25:26], v[19:20]
	v_add_f64_e64 v[25:26], v[25:26], -v[23:24]
	v_add_f64_e64 v[9:10], v[9:10], -v[23:24]
	s_delay_alu instid0(VALU_DEP_3) | instskip(NEXT) | instid1(VALU_DEP_3)
	v_add_f64_e32 v[29:30], v[27:28], v[19:20]
	v_add_f64_e64 v[21:22], v[21:22], -v[25:26]
	s_delay_alu instid0(VALU_DEP_2) | instskip(NEXT) | instid1(VALU_DEP_2)
	v_add_f64_e64 v[23:24], v[29:30], -v[27:28]
	v_add_f64_e32 v[9:10], v[9:10], v[21:22]
	s_delay_alu instid0(VALU_DEP_2) | instskip(NEXT) | instid1(VALU_DEP_1)
	v_add_f64_e64 v[19:20], v[19:20], -v[23:24]
	v_add_f64_e32 v[9:10], v[9:10], v[19:20]
	s_delay_alu instid0(VALU_DEP_1) | instskip(SKIP_1) | instid1(VALU_DEP_1)
	v_add_f64_e32 v[9:10], v[29:30], v[9:10]
	s_wait_alu 0xfffe
	v_cndmask_b32_e32 v9, 0, v9, vcc_lo
	v_cmp_neq_f64_e32 vcc_lo, -1.0, v[5:6]
	s_delay_alu instid0(VALU_DEP_3) | instskip(NEXT) | instid1(VALU_DEP_1)
	v_cndmask_b32_e64 v10, 0x7ff00000, v10, s8
	v_cndmask_b32_e64 v10, 0x7ff80000, v10, s9
	s_wait_alu 0xfffd
	s_delay_alu instid0(VALU_DEP_1) | instskip(NEXT) | instid1(VALU_DEP_1)
	v_cndmask_b32_e32 v10, 0xfff00000, v10, vcc_lo
	v_add_f64_e32 v[5:6], v[7:8], v[9:10]
.LBB71_36:
	s_wait_alu 0xfffe
	s_or_b32 exec_lo, exec_lo, s14
	v_max_num_f64_e32 v[19:20], v[53:54], v[53:54]
	s_delay_alu instid0(VALU_DEP_2) | instskip(SKIP_2) | instid1(VALU_DEP_3)
	v_max_num_f64_e32 v[7:8], v[5:6], v[5:6]
	v_cmp_u_f64_e32 vcc_lo, v[5:6], v[5:6]
	v_cmp_u_f64_e64 s8, v[53:54], v[53:54]
	v_min_num_f64_e32 v[9:10], v[7:8], v[19:20]
	v_max_num_f64_e32 v[7:8], v[7:8], v[19:20]
	s_wait_alu 0xfffd
	s_delay_alu instid0(VALU_DEP_2) | instskip(NEXT) | instid1(VALU_DEP_2)
	v_dual_cndmask_b32 v9, v9, v5 :: v_dual_cndmask_b32 v10, v10, v6
	v_dual_cndmask_b32 v8, v8, v6 :: v_dual_cndmask_b32 v7, v7, v5
	s_wait_alu 0xf1ff
	s_delay_alu instid0(VALU_DEP_2) | instskip(NEXT) | instid1(VALU_DEP_3)
	v_cndmask_b32_e64 v9, v9, v53, s8
	v_cndmask_b32_e64 v10, v10, v54, s8
	s_delay_alu instid0(VALU_DEP_3) | instskip(SKIP_1) | instid1(VALU_DEP_3)
	v_cndmask_b32_e64 v8, v8, v54, s8
	v_cndmask_b32_e64 v7, v7, v53, s8
	v_cmp_class_f64_e64 s9, v[9:10], 0x1f8
	s_delay_alu instid0(VALU_DEP_2)
	v_cmp_neq_f64_e32 vcc_lo, v[9:10], v[7:8]
	s_or_b32 s9, vcc_lo, s9
	s_wait_alu 0xfffe
	s_and_saveexec_b32 s16, s9
	s_cbranch_execz .LBB71_38
; %bb.37:
	v_add_f64_e64 v[5:6], v[9:10], -v[7:8]
	s_mov_b32 s10, 0x652b82fe
	s_mov_b32 s11, 0x3ff71547
	;; [unrolled: 1-line block ×10, first 2 shown]
	s_wait_alu 0xfffe
	s_delay_alu instid0(VALU_DEP_1) | instskip(SKIP_4) | instid1(VALU_DEP_3)
	v_mul_f64_e32 v[9:10], s[10:11], v[5:6]
	s_mov_b32 s11, 0xbfe62e42
	s_mov_b32 s10, 0xfefa39ef
	v_cmp_nlt_f64_e32 vcc_lo, 0x40900000, v[5:6]
	v_cmp_ngt_f64_e64 s9, 0xc090cc00, v[5:6]
	v_rndne_f64_e32 v[9:10], v[9:10]
	s_wait_alu 0xfffe
	s_delay_alu instid0(VALU_DEP_1) | instskip(SKIP_2) | instid1(VALU_DEP_2)
	v_fma_f64 v[21:22], v[9:10], s[10:11], v[5:6]
	v_cvt_i32_f64_e32 v25, v[9:10]
	s_mov_b32 s11, 0x3fe62e42
	v_fma_f64 v[21:22], v[9:10], s[12:13], v[21:22]
	s_mov_b32 s13, 0x3c7abc9e
	s_delay_alu instid0(VALU_DEP_1)
	v_fma_f64 v[23:24], v[21:22], s[20:21], s[14:15]
	s_mov_b32 s14, 0x623fde64
	s_mov_b32 s15, 0x3ec71dee
	;; [unrolled: 1-line block ×4, first 2 shown]
	s_wait_alu 0xfffe
	s_delay_alu instid0(VALU_DEP_1) | instskip(SKIP_3) | instid1(VALU_DEP_1)
	v_fma_f64 v[23:24], v[21:22], v[23:24], s[14:15]
	s_mov_b32 s14, 0x7c89e6b0
	s_mov_b32 s15, 0x3efa0199
	s_wait_alu 0xfffe
	v_fma_f64 v[23:24], v[21:22], v[23:24], s[14:15]
	s_mov_b32 s14, 0x14761f6e
	s_mov_b32 s15, 0x3f2a01a0
	s_wait_alu 0xfffe
	s_delay_alu instid0(VALU_DEP_1) | instskip(SKIP_3) | instid1(VALU_DEP_1)
	v_fma_f64 v[23:24], v[21:22], v[23:24], s[14:15]
	s_mov_b32 s14, 0x1852b7b0
	s_mov_b32 s15, 0x3f56c16c
	s_wait_alu 0xfffe
	v_fma_f64 v[23:24], v[21:22], v[23:24], s[14:15]
	s_mov_b32 s14, 0x11122322
	s_mov_b32 s15, 0x3f811111
	s_wait_alu 0xfffe
	s_delay_alu instid0(VALU_DEP_1) | instskip(SKIP_3) | instid1(VALU_DEP_1)
	v_fma_f64 v[23:24], v[21:22], v[23:24], s[14:15]
	s_mov_b32 s14, 0x555502a1
	s_mov_b32 s15, 0x3fa55555
	s_wait_alu 0xfffe
	v_fma_f64 v[23:24], v[21:22], v[23:24], s[14:15]
	s_mov_b32 s14, 0x55555511
	s_mov_b32 s15, 0x3fc55555
	s_wait_alu 0xfffe
	s_delay_alu instid0(VALU_DEP_1) | instskip(SKIP_3) | instid1(VALU_DEP_1)
	v_fma_f64 v[23:24], v[21:22], v[23:24], s[14:15]
	s_mov_b32 s14, 11
	s_mov_b32 s15, 0x3fe00000
	s_wait_alu 0xfffe
	v_fma_f64 v[23:24], v[21:22], v[23:24], s[14:15]
	s_mov_b32 s15, 0x3fe55555
	s_mov_b32 s14, 0x55555555
	s_delay_alu instid0(VALU_DEP_1) | instskip(NEXT) | instid1(VALU_DEP_1)
	v_fma_f64 v[23:24], v[21:22], v[23:24], 1.0
	v_fma_f64 v[9:10], v[21:22], v[23:24], 1.0
	s_delay_alu instid0(VALU_DEP_1) | instskip(SKIP_1) | instid1(VALU_DEP_1)
	v_ldexp_f64 v[9:10], v[9:10], v25
	s_wait_alu 0xfffd
	v_cndmask_b32_e32 v10, 0x7ff00000, v10, vcc_lo
	s_and_b32 vcc_lo, s9, vcc_lo
	s_wait_alu 0xfffe
	s_delay_alu instid0(VALU_DEP_2) | instskip(NEXT) | instid1(VALU_DEP_2)
	v_cndmask_b32_e32 v5, 0, v9, vcc_lo
	v_cndmask_b32_e64 v6, 0, v10, s9
	s_delay_alu instid0(VALU_DEP_1) | instskip(SKIP_1) | instid1(VALU_DEP_2)
	v_add_f64_e32 v[9:10], 1.0, v[5:6]
	v_cmp_neq_f64_e64 s9, 0x7ff00000, v[5:6]
	v_frexp_mant_f64_e32 v[21:22], v[9:10]
	v_frexp_exp_i32_f64_e32 v25, v[9:10]
	v_add_f64_e32 v[23:24], -1.0, v[9:10]
	s_delay_alu instid0(VALU_DEP_3) | instskip(SKIP_1) | instid1(VALU_DEP_2)
	v_cmp_gt_f64_e32 vcc_lo, s[14:15], v[21:22]
	s_mov_b32 s14, 0x55555780
	v_add_f64_e64 v[21:22], v[23:24], -v[9:10]
	v_add_f64_e64 v[23:24], v[5:6], -v[23:24]
	s_wait_alu 0xfffd
	v_subrev_co_ci_u32_e64 v73, null, 0, v25, vcc_lo
	s_delay_alu instid0(VALU_DEP_3) | instskip(SKIP_1) | instid1(VALU_DEP_3)
	v_add_f64_e32 v[21:22], 1.0, v[21:22]
	v_cmp_nge_f64_e32 vcc_lo, -1.0, v[5:6]
	v_sub_nc_u32_e32 v27, 0, v73
	s_delay_alu instid0(VALU_DEP_1) | instskip(NEXT) | instid1(VALU_DEP_4)
	v_ldexp_f64 v[9:10], v[9:10], v27
	v_add_f64_e32 v[21:22], v[23:24], v[21:22]
	s_and_b32 vcc_lo, vcc_lo, s9
	s_delay_alu instid0(VALU_DEP_2) | instskip(SKIP_1) | instid1(VALU_DEP_3)
	v_add_f64_e32 v[25:26], 1.0, v[9:10]
	v_add_f64_e32 v[31:32], -1.0, v[9:10]
	v_ldexp_f64 v[21:22], v[21:22], v27
	s_delay_alu instid0(VALU_DEP_3) | instskip(NEXT) | instid1(VALU_DEP_3)
	v_add_f64_e32 v[23:24], -1.0, v[25:26]
	v_add_f64_e32 v[33:34], 1.0, v[31:32]
	s_delay_alu instid0(VALU_DEP_2) | instskip(NEXT) | instid1(VALU_DEP_2)
	v_add_f64_e64 v[23:24], v[9:10], -v[23:24]
	v_add_f64_e64 v[9:10], v[9:10], -v[33:34]
	s_delay_alu instid0(VALU_DEP_2) | instskip(NEXT) | instid1(VALU_DEP_2)
	v_add_f64_e32 v[23:24], v[21:22], v[23:24]
	v_add_f64_e32 v[9:10], v[21:22], v[9:10]
	s_delay_alu instid0(VALU_DEP_2) | instskip(NEXT) | instid1(VALU_DEP_2)
	v_add_f64_e32 v[27:28], v[25:26], v[23:24]
	v_add_f64_e32 v[33:34], v[31:32], v[9:10]
	s_delay_alu instid0(VALU_DEP_2) | instskip(SKIP_1) | instid1(VALU_DEP_2)
	v_rcp_f64_e32 v[29:30], v[27:28]
	v_add_f64_e64 v[25:26], v[27:28], -v[25:26]
	v_add_f64_e64 v[31:32], v[33:34], -v[31:32]
	s_delay_alu instid0(VALU_DEP_2) | instskip(NEXT) | instid1(TRANS32_DEP_1)
	v_add_f64_e64 v[23:24], v[23:24], -v[25:26]
	v_fma_f64 v[35:36], -v[27:28], v[29:30], 1.0
	s_delay_alu instid0(VALU_DEP_3) | instskip(NEXT) | instid1(VALU_DEP_2)
	v_add_f64_e64 v[9:10], v[9:10], -v[31:32]
	v_fma_f64 v[29:30], v[35:36], v[29:30], v[29:30]
	s_delay_alu instid0(VALU_DEP_1) | instskip(NEXT) | instid1(VALU_DEP_1)
	v_fma_f64 v[21:22], -v[27:28], v[29:30], 1.0
	v_fma_f64 v[21:22], v[21:22], v[29:30], v[29:30]
	s_delay_alu instid0(VALU_DEP_1) | instskip(NEXT) | instid1(VALU_DEP_1)
	v_mul_f64_e32 v[29:30], v[33:34], v[21:22]
	v_mul_f64_e32 v[35:36], v[27:28], v[29:30]
	s_delay_alu instid0(VALU_DEP_1) | instskip(NEXT) | instid1(VALU_DEP_1)
	v_fma_f64 v[25:26], v[29:30], v[27:28], -v[35:36]
	v_fma_f64 v[25:26], v[29:30], v[23:24], v[25:26]
	s_delay_alu instid0(VALU_DEP_1) | instskip(NEXT) | instid1(VALU_DEP_1)
	v_add_f64_e32 v[67:68], v[35:36], v[25:26]
	v_add_f64_e64 v[71:72], v[33:34], -v[67:68]
	v_add_f64_e64 v[31:32], v[67:68], -v[35:36]
	s_delay_alu instid0(VALU_DEP_2) | instskip(NEXT) | instid1(VALU_DEP_2)
	v_add_f64_e64 v[33:34], v[33:34], -v[71:72]
	v_add_f64_e64 v[25:26], v[31:32], -v[25:26]
	s_delay_alu instid0(VALU_DEP_2) | instskip(NEXT) | instid1(VALU_DEP_1)
	v_add_f64_e64 v[33:34], v[33:34], -v[67:68]
	v_add_f64_e32 v[9:10], v[9:10], v[33:34]
	s_delay_alu instid0(VALU_DEP_1) | instskip(NEXT) | instid1(VALU_DEP_1)
	v_add_f64_e32 v[9:10], v[25:26], v[9:10]
	v_add_f64_e32 v[25:26], v[71:72], v[9:10]
	s_delay_alu instid0(VALU_DEP_1) | instskip(SKIP_1) | instid1(VALU_DEP_2)
	v_mul_f64_e32 v[31:32], v[21:22], v[25:26]
	v_add_f64_e64 v[67:68], v[71:72], -v[25:26]
	v_mul_f64_e32 v[33:34], v[27:28], v[31:32]
	s_delay_alu instid0(VALU_DEP_2) | instskip(NEXT) | instid1(VALU_DEP_2)
	v_add_f64_e32 v[9:10], v[9:10], v[67:68]
	v_fma_f64 v[27:28], v[31:32], v[27:28], -v[33:34]
	s_delay_alu instid0(VALU_DEP_1) | instskip(NEXT) | instid1(VALU_DEP_1)
	v_fma_f64 v[23:24], v[31:32], v[23:24], v[27:28]
	v_add_f64_e32 v[27:28], v[33:34], v[23:24]
	s_delay_alu instid0(VALU_DEP_1) | instskip(SKIP_1) | instid1(VALU_DEP_2)
	v_add_f64_e64 v[35:36], v[25:26], -v[27:28]
	v_add_f64_e64 v[33:34], v[27:28], -v[33:34]
	;; [unrolled: 1-line block ×3, first 2 shown]
	s_delay_alu instid0(VALU_DEP_2) | instskip(NEXT) | instid1(VALU_DEP_2)
	v_add_f64_e64 v[23:24], v[33:34], -v[23:24]
	v_add_f64_e64 v[25:26], v[25:26], -v[27:28]
	s_delay_alu instid0(VALU_DEP_1) | instskip(SKIP_1) | instid1(VALU_DEP_2)
	v_add_f64_e32 v[9:10], v[9:10], v[25:26]
	v_add_f64_e32 v[25:26], v[29:30], v[31:32]
	;; [unrolled: 1-line block ×3, first 2 shown]
	s_delay_alu instid0(VALU_DEP_2) | instskip(NEXT) | instid1(VALU_DEP_2)
	v_add_f64_e64 v[23:24], v[25:26], -v[29:30]
	v_add_f64_e32 v[9:10], v[35:36], v[9:10]
	s_delay_alu instid0(VALU_DEP_2) | instskip(NEXT) | instid1(VALU_DEP_2)
	v_add_f64_e64 v[23:24], v[31:32], -v[23:24]
	v_mul_f64_e32 v[9:10], v[21:22], v[9:10]
	s_delay_alu instid0(VALU_DEP_1) | instskip(NEXT) | instid1(VALU_DEP_1)
	v_add_f64_e32 v[9:10], v[23:24], v[9:10]
	v_add_f64_e32 v[21:22], v[25:26], v[9:10]
	s_delay_alu instid0(VALU_DEP_1) | instskip(NEXT) | instid1(VALU_DEP_1)
	v_mul_f64_e32 v[23:24], v[21:22], v[21:22]
	v_fma_f64 v[27:28], v[23:24], s[42:43], s[20:21]
	s_mov_b32 s20, 0xd7f4df2e
	s_mov_b32 s21, 0x3fc7474d
	v_mul_f64_e32 v[29:30], v[21:22], v[23:24]
	s_wait_alu 0xfffe
	s_delay_alu instid0(VALU_DEP_2) | instskip(SKIP_3) | instid1(VALU_DEP_1)
	v_fma_f64 v[27:28], v[23:24], v[27:28], s[20:21]
	s_mov_b32 s20, 0x16291751
	s_mov_b32 s21, 0x3fcc71c0
	s_wait_alu 0xfffe
	v_fma_f64 v[27:28], v[23:24], v[27:28], s[20:21]
	s_mov_b32 s20, 0x9b27acf1
	s_mov_b32 s21, 0x3fd24924
	s_wait_alu 0xfffe
	s_delay_alu instid0(VALU_DEP_1) | instskip(SKIP_3) | instid1(VALU_DEP_1)
	v_fma_f64 v[27:28], v[23:24], v[27:28], s[20:21]
	s_mov_b32 s20, 0x998ef7b6
	s_mov_b32 s21, 0x3fd99999
	s_wait_alu 0xfffe
	v_fma_f64 v[27:28], v[23:24], v[27:28], s[20:21]
	s_delay_alu instid0(VALU_DEP_1) | instskip(SKIP_2) | instid1(VALU_DEP_3)
	v_fma_f64 v[23:24], v[23:24], v[27:28], s[14:15]
	v_ldexp_f64 v[27:28], v[21:22], 1
	v_add_f64_e64 v[21:22], v[21:22], -v[25:26]
	v_mul_f64_e32 v[23:24], v[29:30], v[23:24]
	v_cvt_f64_i32_e32 v[29:30], v73
	s_delay_alu instid0(VALU_DEP_3) | instskip(NEXT) | instid1(VALU_DEP_3)
	v_add_f64_e64 v[9:10], v[9:10], -v[21:22]
	v_add_f64_e32 v[25:26], v[27:28], v[23:24]
	s_delay_alu instid0(VALU_DEP_3) | instskip(NEXT) | instid1(VALU_DEP_3)
	v_mul_f64_e32 v[31:32], s[10:11], v[29:30]
	v_ldexp_f64 v[9:10], v[9:10], 1
	s_delay_alu instid0(VALU_DEP_3) | instskip(NEXT) | instid1(VALU_DEP_3)
	v_add_f64_e64 v[21:22], v[25:26], -v[27:28]
	v_fma_f64 v[27:28], v[29:30], s[10:11], -v[31:32]
	v_cmp_ngt_f64_e64 s10, -1.0, v[5:6]
	s_delay_alu instid0(VALU_DEP_3) | instskip(NEXT) | instid1(VALU_DEP_3)
	v_add_f64_e64 v[21:22], v[23:24], -v[21:22]
	v_fma_f64 v[23:24], v[29:30], s[12:13], v[27:28]
	s_delay_alu instid0(VALU_DEP_2) | instskip(NEXT) | instid1(VALU_DEP_2)
	v_add_f64_e32 v[9:10], v[9:10], v[21:22]
	v_add_f64_e32 v[21:22], v[31:32], v[23:24]
	s_delay_alu instid0(VALU_DEP_2) | instskip(NEXT) | instid1(VALU_DEP_2)
	v_add_f64_e32 v[27:28], v[25:26], v[9:10]
	v_add_f64_e64 v[31:32], v[21:22], -v[31:32]
	s_delay_alu instid0(VALU_DEP_2) | instskip(SKIP_1) | instid1(VALU_DEP_3)
	v_add_f64_e32 v[29:30], v[21:22], v[27:28]
	v_add_f64_e64 v[25:26], v[27:28], -v[25:26]
	v_add_f64_e64 v[23:24], v[23:24], -v[31:32]
	s_delay_alu instid0(VALU_DEP_3) | instskip(NEXT) | instid1(VALU_DEP_3)
	v_add_f64_e64 v[33:34], v[29:30], -v[21:22]
	v_add_f64_e64 v[9:10], v[9:10], -v[25:26]
	s_delay_alu instid0(VALU_DEP_2) | instskip(SKIP_1) | instid1(VALU_DEP_3)
	v_add_f64_e64 v[35:36], v[29:30], -v[33:34]
	v_add_f64_e64 v[25:26], v[27:28], -v[33:34]
	v_add_f64_e32 v[27:28], v[23:24], v[9:10]
	s_delay_alu instid0(VALU_DEP_3) | instskip(NEXT) | instid1(VALU_DEP_1)
	v_add_f64_e64 v[21:22], v[21:22], -v[35:36]
	v_add_f64_e32 v[21:22], v[25:26], v[21:22]
	s_delay_alu instid0(VALU_DEP_3) | instskip(NEXT) | instid1(VALU_DEP_2)
	v_add_f64_e64 v[25:26], v[27:28], -v[23:24]
	v_add_f64_e32 v[21:22], v[27:28], v[21:22]
	s_delay_alu instid0(VALU_DEP_2) | instskip(SKIP_1) | instid1(VALU_DEP_3)
	v_add_f64_e64 v[27:28], v[27:28], -v[25:26]
	v_add_f64_e64 v[9:10], v[9:10], -v[25:26]
	v_add_f64_e32 v[31:32], v[29:30], v[21:22]
	s_delay_alu instid0(VALU_DEP_3) | instskip(NEXT) | instid1(VALU_DEP_2)
	v_add_f64_e64 v[23:24], v[23:24], -v[27:28]
	v_add_f64_e64 v[25:26], v[31:32], -v[29:30]
	s_delay_alu instid0(VALU_DEP_2) | instskip(NEXT) | instid1(VALU_DEP_2)
	v_add_f64_e32 v[9:10], v[9:10], v[23:24]
	v_add_f64_e64 v[21:22], v[21:22], -v[25:26]
	s_delay_alu instid0(VALU_DEP_1) | instskip(NEXT) | instid1(VALU_DEP_1)
	v_add_f64_e32 v[9:10], v[9:10], v[21:22]
	v_add_f64_e32 v[9:10], v[31:32], v[9:10]
	s_delay_alu instid0(VALU_DEP_1) | instskip(SKIP_1) | instid1(VALU_DEP_3)
	v_cndmask_b32_e32 v9, 0, v9, vcc_lo
	v_cmp_neq_f64_e32 vcc_lo, -1.0, v[5:6]
	v_cndmask_b32_e64 v10, 0x7ff00000, v10, s9
	s_wait_alu 0xf1ff
	s_delay_alu instid0(VALU_DEP_1) | instskip(SKIP_1) | instid1(VALU_DEP_1)
	v_cndmask_b32_e64 v10, 0x7ff80000, v10, s10
	s_wait_alu 0xfffd
	v_cndmask_b32_e32 v10, 0xfff00000, v10, vcc_lo
	s_delay_alu instid0(VALU_DEP_1)
	v_add_f64_e32 v[5:6], v[7:8], v[9:10]
.LBB71_38:
	s_wait_alu 0xfffe
	s_or_b32 exec_lo, exec_lo, s16
	v_max_num_f64_e32 v[21:22], v[55:56], v[55:56]
	s_delay_alu instid0(VALU_DEP_2) | instskip(SKIP_2) | instid1(VALU_DEP_3)
	v_max_num_f64_e32 v[7:8], v[5:6], v[5:6]
	v_cmp_u_f64_e32 vcc_lo, v[5:6], v[5:6]
	v_cmp_u_f64_e64 s9, v[55:56], v[55:56]
	v_min_num_f64_e32 v[9:10], v[7:8], v[21:22]
	v_max_num_f64_e32 v[7:8], v[7:8], v[21:22]
	s_wait_alu 0xfffd
	s_delay_alu instid0(VALU_DEP_2) | instskip(NEXT) | instid1(VALU_DEP_2)
	v_dual_cndmask_b32 v9, v9, v5 :: v_dual_cndmask_b32 v10, v10, v6
	v_dual_cndmask_b32 v8, v8, v6 :: v_dual_cndmask_b32 v7, v7, v5
	s_wait_alu 0xf1ff
	s_delay_alu instid0(VALU_DEP_2) | instskip(NEXT) | instid1(VALU_DEP_3)
	v_cndmask_b32_e64 v9, v9, v55, s9
	v_cndmask_b32_e64 v10, v10, v56, s9
	s_delay_alu instid0(VALU_DEP_3) | instskip(SKIP_1) | instid1(VALU_DEP_3)
	v_cndmask_b32_e64 v8, v8, v56, s9
	v_cndmask_b32_e64 v7, v7, v55, s9
	v_cmp_class_f64_e64 s10, v[9:10], 0x1f8
	s_delay_alu instid0(VALU_DEP_2)
	v_cmp_neq_f64_e32 vcc_lo, v[9:10], v[7:8]
	s_or_b32 s10, vcc_lo, s10
	s_wait_alu 0xfffe
	s_and_saveexec_b32 s16, s10
	s_cbranch_execz .LBB71_40
; %bb.39:
	v_add_f64_e64 v[5:6], v[9:10], -v[7:8]
	s_mov_b32 s10, 0x652b82fe
	s_mov_b32 s11, 0x3ff71547
	;; [unrolled: 1-line block ×10, first 2 shown]
	s_wait_alu 0xfffe
	s_delay_alu instid0(VALU_DEP_1) | instskip(SKIP_3) | instid1(VALU_DEP_2)
	v_mul_f64_e32 v[9:10], s[10:11], v[5:6]
	s_mov_b32 s10, 0xfca7ab0c
	s_mov_b32 s11, 0x3e928af3
	v_cmp_nlt_f64_e32 vcc_lo, 0x40900000, v[5:6]
	v_rndne_f64_e32 v[9:10], v[9:10]
	s_delay_alu instid0(VALU_DEP_1) | instskip(SKIP_2) | instid1(VALU_DEP_2)
	v_fma_f64 v[23:24], v[9:10], s[12:13], v[5:6]
	v_cvt_i32_f64_e32 v27, v[9:10]
	s_mov_b32 s13, 0x3fe62e42
	v_fma_f64 v[23:24], v[9:10], s[14:15], v[23:24]
	s_mov_b32 s15, 0x3c7abc9e
	s_wait_alu 0xfffe
	s_delay_alu instid0(VALU_DEP_1)
	v_fma_f64 v[25:26], v[23:24], s[20:21], s[10:11]
	s_mov_b32 s10, 0x623fde64
	s_mov_b32 s11, 0x3ec71dee
	;; [unrolled: 1-line block ×4, first 2 shown]
	s_wait_alu 0xfffe
	s_delay_alu instid0(VALU_DEP_1) | instskip(SKIP_3) | instid1(VALU_DEP_1)
	v_fma_f64 v[25:26], v[23:24], v[25:26], s[10:11]
	s_mov_b32 s10, 0x7c89e6b0
	s_mov_b32 s11, 0x3efa0199
	s_wait_alu 0xfffe
	v_fma_f64 v[25:26], v[23:24], v[25:26], s[10:11]
	s_mov_b32 s10, 0x14761f6e
	s_mov_b32 s11, 0x3f2a01a0
	s_wait_alu 0xfffe
	s_delay_alu instid0(VALU_DEP_1) | instskip(SKIP_3) | instid1(VALU_DEP_1)
	v_fma_f64 v[25:26], v[23:24], v[25:26], s[10:11]
	s_mov_b32 s10, 0x1852b7b0
	s_mov_b32 s11, 0x3f56c16c
	s_wait_alu 0xfffe
	v_fma_f64 v[25:26], v[23:24], v[25:26], s[10:11]
	s_mov_b32 s10, 0x11122322
	s_mov_b32 s11, 0x3f811111
	;; [unrolled: 9-line block ×3, first 2 shown]
	s_wait_alu 0xfffe
	s_delay_alu instid0(VALU_DEP_1) | instskip(SKIP_3) | instid1(VALU_DEP_1)
	v_fma_f64 v[25:26], v[23:24], v[25:26], s[10:11]
	s_mov_b32 s10, 11
	s_mov_b32 s11, 0x3fe00000
	s_wait_alu 0xfffe
	v_fma_f64 v[25:26], v[23:24], v[25:26], s[10:11]
	v_cmp_ngt_f64_e64 s10, 0xc090cc00, v[5:6]
	s_mov_b32 s11, 0x3fe55555
	v_fma_f64 v[25:26], v[23:24], v[25:26], 1.0
	s_delay_alu instid0(VALU_DEP_1) | instskip(NEXT) | instid1(VALU_DEP_1)
	v_fma_f64 v[9:10], v[23:24], v[25:26], 1.0
	v_ldexp_f64 v[9:10], v[9:10], v27
	s_wait_alu 0xfffd
	s_delay_alu instid0(VALU_DEP_1) | instskip(SKIP_2) | instid1(VALU_DEP_2)
	v_cndmask_b32_e32 v10, 0x7ff00000, v10, vcc_lo
	s_and_b32 vcc_lo, s10, vcc_lo
	s_wait_alu 0xfffe
	v_cndmask_b32_e32 v5, 0, v9, vcc_lo
	s_delay_alu instid0(VALU_DEP_2) | instskip(SKIP_1) | instid1(VALU_DEP_1)
	v_cndmask_b32_e64 v6, 0, v10, s10
	s_mov_b32 s10, 0x55555555
	v_add_f64_e32 v[9:10], 1.0, v[5:6]
	s_delay_alu instid0(VALU_DEP_1) | instskip(SKIP_3) | instid1(VALU_DEP_3)
	v_frexp_mant_f64_e32 v[23:24], v[9:10]
	v_frexp_exp_i32_f64_e32 v27, v[9:10]
	v_add_f64_e32 v[25:26], -1.0, v[9:10]
	s_wait_alu 0xfffe
	v_cmp_gt_f64_e32 vcc_lo, s[10:11], v[23:24]
	s_mov_b32 s10, 0x55555780
	s_delay_alu instid0(VALU_DEP_2) | instskip(SKIP_3) | instid1(VALU_DEP_3)
	v_add_f64_e64 v[23:24], v[25:26], -v[9:10]
	v_add_f64_e64 v[25:26], v[5:6], -v[25:26]
	s_wait_alu 0xfffd
	v_subrev_co_ci_u32_e64 v75, null, 0, v27, vcc_lo
	v_add_f64_e32 v[23:24], 1.0, v[23:24]
	v_cmp_nge_f64_e32 vcc_lo, -1.0, v[5:6]
	s_delay_alu instid0(VALU_DEP_3) | instskip(NEXT) | instid1(VALU_DEP_1)
	v_sub_nc_u32_e32 v29, 0, v75
	v_ldexp_f64 v[9:10], v[9:10], v29
	s_delay_alu instid0(VALU_DEP_4) | instskip(NEXT) | instid1(VALU_DEP_2)
	v_add_f64_e32 v[23:24], v[25:26], v[23:24]
	v_add_f64_e32 v[27:28], 1.0, v[9:10]
	v_add_f64_e32 v[33:34], -1.0, v[9:10]
	s_delay_alu instid0(VALU_DEP_3) | instskip(NEXT) | instid1(VALU_DEP_3)
	v_ldexp_f64 v[23:24], v[23:24], v29
	v_add_f64_e32 v[25:26], -1.0, v[27:28]
	s_delay_alu instid0(VALU_DEP_3) | instskip(NEXT) | instid1(VALU_DEP_2)
	v_add_f64_e32 v[35:36], 1.0, v[33:34]
	v_add_f64_e64 v[25:26], v[9:10], -v[25:26]
	s_delay_alu instid0(VALU_DEP_2) | instskip(NEXT) | instid1(VALU_DEP_2)
	v_add_f64_e64 v[9:10], v[9:10], -v[35:36]
	v_add_f64_e32 v[25:26], v[23:24], v[25:26]
	s_delay_alu instid0(VALU_DEP_2) | instskip(NEXT) | instid1(VALU_DEP_2)
	v_add_f64_e32 v[9:10], v[23:24], v[9:10]
	v_add_f64_e32 v[29:30], v[27:28], v[25:26]
	s_delay_alu instid0(VALU_DEP_2) | instskip(NEXT) | instid1(VALU_DEP_2)
	v_add_f64_e32 v[35:36], v[33:34], v[9:10]
	v_rcp_f64_e32 v[31:32], v[29:30]
	v_add_f64_e64 v[27:28], v[29:30], -v[27:28]
	s_delay_alu instid0(VALU_DEP_2) | instskip(NEXT) | instid1(VALU_DEP_2)
	v_add_f64_e64 v[33:34], v[35:36], -v[33:34]
	v_add_f64_e64 v[25:26], v[25:26], -v[27:28]
	s_delay_alu instid0(TRANS32_DEP_1) | instskip(NEXT) | instid1(VALU_DEP_3)
	v_fma_f64 v[67:68], -v[29:30], v[31:32], 1.0
	v_add_f64_e64 v[9:10], v[9:10], -v[33:34]
	s_delay_alu instid0(VALU_DEP_2) | instskip(NEXT) | instid1(VALU_DEP_1)
	v_fma_f64 v[31:32], v[67:68], v[31:32], v[31:32]
	v_fma_f64 v[23:24], -v[29:30], v[31:32], 1.0
	s_delay_alu instid0(VALU_DEP_1) | instskip(NEXT) | instid1(VALU_DEP_1)
	v_fma_f64 v[23:24], v[23:24], v[31:32], v[31:32]
	v_mul_f64_e32 v[31:32], v[35:36], v[23:24]
	s_delay_alu instid0(VALU_DEP_1) | instskip(NEXT) | instid1(VALU_DEP_1)
	v_mul_f64_e32 v[67:68], v[29:30], v[31:32]
	v_fma_f64 v[27:28], v[31:32], v[29:30], -v[67:68]
	s_delay_alu instid0(VALU_DEP_1) | instskip(NEXT) | instid1(VALU_DEP_1)
	v_fma_f64 v[27:28], v[31:32], v[25:26], v[27:28]
	v_add_f64_e32 v[71:72], v[67:68], v[27:28]
	s_delay_alu instid0(VALU_DEP_1) | instskip(SKIP_1) | instid1(VALU_DEP_2)
	v_add_f64_e64 v[73:74], v[35:36], -v[71:72]
	v_add_f64_e64 v[33:34], v[71:72], -v[67:68]
	;; [unrolled: 1-line block ×3, first 2 shown]
	s_delay_alu instid0(VALU_DEP_2) | instskip(NEXT) | instid1(VALU_DEP_2)
	v_add_f64_e64 v[27:28], v[33:34], -v[27:28]
	v_add_f64_e64 v[35:36], v[35:36], -v[71:72]
	s_delay_alu instid0(VALU_DEP_1) | instskip(NEXT) | instid1(VALU_DEP_1)
	v_add_f64_e32 v[9:10], v[9:10], v[35:36]
	v_add_f64_e32 v[9:10], v[27:28], v[9:10]
	s_delay_alu instid0(VALU_DEP_1) | instskip(NEXT) | instid1(VALU_DEP_1)
	v_add_f64_e32 v[27:28], v[73:74], v[9:10]
	v_mul_f64_e32 v[33:34], v[23:24], v[27:28]
	v_add_f64_e64 v[71:72], v[73:74], -v[27:28]
	s_delay_alu instid0(VALU_DEP_2) | instskip(NEXT) | instid1(VALU_DEP_2)
	v_mul_f64_e32 v[35:36], v[29:30], v[33:34]
	v_add_f64_e32 v[9:10], v[9:10], v[71:72]
	s_delay_alu instid0(VALU_DEP_2) | instskip(NEXT) | instid1(VALU_DEP_1)
	v_fma_f64 v[29:30], v[33:34], v[29:30], -v[35:36]
	v_fma_f64 v[25:26], v[33:34], v[25:26], v[29:30]
	s_delay_alu instid0(VALU_DEP_1) | instskip(NEXT) | instid1(VALU_DEP_1)
	v_add_f64_e32 v[29:30], v[35:36], v[25:26]
	v_add_f64_e64 v[67:68], v[27:28], -v[29:30]
	v_add_f64_e64 v[35:36], v[29:30], -v[35:36]
	s_delay_alu instid0(VALU_DEP_2) | instskip(NEXT) | instid1(VALU_DEP_2)
	v_add_f64_e64 v[27:28], v[27:28], -v[67:68]
	v_add_f64_e64 v[25:26], v[35:36], -v[25:26]
	s_delay_alu instid0(VALU_DEP_2) | instskip(NEXT) | instid1(VALU_DEP_1)
	v_add_f64_e64 v[27:28], v[27:28], -v[29:30]
	v_add_f64_e32 v[9:10], v[9:10], v[27:28]
	v_add_f64_e32 v[27:28], v[31:32], v[33:34]
	s_delay_alu instid0(VALU_DEP_2) | instskip(NEXT) | instid1(VALU_DEP_2)
	v_add_f64_e32 v[9:10], v[25:26], v[9:10]
	v_add_f64_e64 v[25:26], v[27:28], -v[31:32]
	s_delay_alu instid0(VALU_DEP_2) | instskip(NEXT) | instid1(VALU_DEP_2)
	v_add_f64_e32 v[9:10], v[67:68], v[9:10]
	v_add_f64_e64 v[25:26], v[33:34], -v[25:26]
	s_delay_alu instid0(VALU_DEP_2) | instskip(NEXT) | instid1(VALU_DEP_1)
	v_mul_f64_e32 v[9:10], v[23:24], v[9:10]
	v_add_f64_e32 v[9:10], v[25:26], v[9:10]
	s_delay_alu instid0(VALU_DEP_1) | instskip(NEXT) | instid1(VALU_DEP_1)
	v_add_f64_e32 v[23:24], v[27:28], v[9:10]
	v_mul_f64_e32 v[25:26], v[23:24], v[23:24]
	s_delay_alu instid0(VALU_DEP_1) | instskip(SKIP_4) | instid1(VALU_DEP_2)
	v_fma_f64 v[29:30], v[25:26], s[42:43], s[20:21]
	s_mov_b32 s20, 0xd7f4df2e
	s_mov_b32 s21, 0x3fc7474d
	v_mul_f64_e32 v[31:32], v[23:24], v[25:26]
	s_wait_alu 0xfffe
	v_fma_f64 v[29:30], v[25:26], v[29:30], s[20:21]
	s_mov_b32 s20, 0x16291751
	s_mov_b32 s21, 0x3fcc71c0
	s_wait_alu 0xfffe
	s_delay_alu instid0(VALU_DEP_1) | instskip(SKIP_3) | instid1(VALU_DEP_1)
	v_fma_f64 v[29:30], v[25:26], v[29:30], s[20:21]
	s_mov_b32 s20, 0x9b27acf1
	s_mov_b32 s21, 0x3fd24924
	s_wait_alu 0xfffe
	v_fma_f64 v[29:30], v[25:26], v[29:30], s[20:21]
	s_mov_b32 s20, 0x998ef7b6
	s_mov_b32 s21, 0x3fd99999
	s_wait_alu 0xfffe
	s_delay_alu instid0(VALU_DEP_1) | instskip(NEXT) | instid1(VALU_DEP_1)
	v_fma_f64 v[29:30], v[25:26], v[29:30], s[20:21]
	v_fma_f64 v[25:26], v[25:26], v[29:30], s[10:11]
	v_ldexp_f64 v[29:30], v[23:24], 1
	v_add_f64_e64 v[23:24], v[23:24], -v[27:28]
	v_cmp_neq_f64_e64 s10, 0x7ff00000, v[5:6]
	v_cmp_ngt_f64_e64 s11, -1.0, v[5:6]
	v_mul_f64_e32 v[25:26], v[31:32], v[25:26]
	v_cvt_f64_i32_e32 v[31:32], v75
	v_add_f64_e64 v[9:10], v[9:10], -v[23:24]
	s_and_b32 vcc_lo, vcc_lo, s10
	s_delay_alu instid0(VALU_DEP_3) | instskip(NEXT) | instid1(VALU_DEP_3)
	v_add_f64_e32 v[27:28], v[29:30], v[25:26]
	v_mul_f64_e32 v[33:34], s[12:13], v[31:32]
	s_delay_alu instid0(VALU_DEP_3) | instskip(NEXT) | instid1(VALU_DEP_3)
	v_ldexp_f64 v[9:10], v[9:10], 1
	v_add_f64_e64 v[23:24], v[27:28], -v[29:30]
	s_delay_alu instid0(VALU_DEP_3) | instskip(NEXT) | instid1(VALU_DEP_2)
	v_fma_f64 v[29:30], v[31:32], s[12:13], -v[33:34]
	v_add_f64_e64 v[23:24], v[25:26], -v[23:24]
	s_delay_alu instid0(VALU_DEP_2) | instskip(NEXT) | instid1(VALU_DEP_2)
	v_fma_f64 v[25:26], v[31:32], s[14:15], v[29:30]
	v_add_f64_e32 v[9:10], v[9:10], v[23:24]
	s_delay_alu instid0(VALU_DEP_2) | instskip(NEXT) | instid1(VALU_DEP_2)
	v_add_f64_e32 v[23:24], v[33:34], v[25:26]
	v_add_f64_e32 v[29:30], v[27:28], v[9:10]
	s_delay_alu instid0(VALU_DEP_2) | instskip(NEXT) | instid1(VALU_DEP_2)
	v_add_f64_e64 v[33:34], v[23:24], -v[33:34]
	v_add_f64_e32 v[31:32], v[23:24], v[29:30]
	v_add_f64_e64 v[27:28], v[29:30], -v[27:28]
	s_delay_alu instid0(VALU_DEP_3) | instskip(NEXT) | instid1(VALU_DEP_3)
	v_add_f64_e64 v[25:26], v[25:26], -v[33:34]
	v_add_f64_e64 v[35:36], v[31:32], -v[23:24]
	s_delay_alu instid0(VALU_DEP_3) | instskip(NEXT) | instid1(VALU_DEP_2)
	v_add_f64_e64 v[9:10], v[9:10], -v[27:28]
	v_add_f64_e64 v[67:68], v[31:32], -v[35:36]
	;; [unrolled: 1-line block ×3, first 2 shown]
	s_delay_alu instid0(VALU_DEP_3) | instskip(NEXT) | instid1(VALU_DEP_3)
	v_add_f64_e32 v[29:30], v[25:26], v[9:10]
	v_add_f64_e64 v[23:24], v[23:24], -v[67:68]
	s_delay_alu instid0(VALU_DEP_1) | instskip(NEXT) | instid1(VALU_DEP_3)
	v_add_f64_e32 v[23:24], v[27:28], v[23:24]
	v_add_f64_e64 v[27:28], v[29:30], -v[25:26]
	s_delay_alu instid0(VALU_DEP_2) | instskip(NEXT) | instid1(VALU_DEP_2)
	v_add_f64_e32 v[23:24], v[29:30], v[23:24]
	v_add_f64_e64 v[29:30], v[29:30], -v[27:28]
	v_add_f64_e64 v[9:10], v[9:10], -v[27:28]
	s_delay_alu instid0(VALU_DEP_3) | instskip(NEXT) | instid1(VALU_DEP_3)
	v_add_f64_e32 v[33:34], v[31:32], v[23:24]
	v_add_f64_e64 v[25:26], v[25:26], -v[29:30]
	s_delay_alu instid0(VALU_DEP_2) | instskip(NEXT) | instid1(VALU_DEP_2)
	v_add_f64_e64 v[27:28], v[33:34], -v[31:32]
	v_add_f64_e32 v[9:10], v[9:10], v[25:26]
	s_delay_alu instid0(VALU_DEP_2) | instskip(NEXT) | instid1(VALU_DEP_1)
	v_add_f64_e64 v[23:24], v[23:24], -v[27:28]
	v_add_f64_e32 v[9:10], v[9:10], v[23:24]
	s_delay_alu instid0(VALU_DEP_1) | instskip(SKIP_1) | instid1(VALU_DEP_1)
	v_add_f64_e32 v[9:10], v[33:34], v[9:10]
	s_wait_alu 0xfffe
	v_cndmask_b32_e32 v9, 0, v9, vcc_lo
	v_cmp_neq_f64_e32 vcc_lo, -1.0, v[5:6]
	s_delay_alu instid0(VALU_DEP_3) | instskip(NEXT) | instid1(VALU_DEP_1)
	v_cndmask_b32_e64 v10, 0x7ff00000, v10, s10
	v_cndmask_b32_e64 v10, 0x7ff80000, v10, s11
	s_wait_alu 0xfffd
	s_delay_alu instid0(VALU_DEP_1) | instskip(NEXT) | instid1(VALU_DEP_1)
	v_cndmask_b32_e32 v10, 0xfff00000, v10, vcc_lo
	v_add_f64_e32 v[5:6], v[7:8], v[9:10]
.LBB71_40:
	s_wait_alu 0xfffe
	s_or_b32 exec_lo, exec_lo, s16
	v_max_num_f64_e32 v[23:24], v[49:50], v[49:50]
	s_delay_alu instid0(VALU_DEP_2) | instskip(SKIP_2) | instid1(VALU_DEP_3)
	v_max_num_f64_e32 v[7:8], v[5:6], v[5:6]
	v_cmp_u_f64_e32 vcc_lo, v[5:6], v[5:6]
	v_cmp_u_f64_e64 s10, v[49:50], v[49:50]
	v_min_num_f64_e32 v[9:10], v[7:8], v[23:24]
	v_max_num_f64_e32 v[7:8], v[7:8], v[23:24]
	s_wait_alu 0xfffd
	s_delay_alu instid0(VALU_DEP_2) | instskip(NEXT) | instid1(VALU_DEP_2)
	v_dual_cndmask_b32 v9, v9, v5 :: v_dual_cndmask_b32 v10, v10, v6
	v_dual_cndmask_b32 v8, v8, v6 :: v_dual_cndmask_b32 v7, v7, v5
	s_wait_alu 0xf1ff
	s_delay_alu instid0(VALU_DEP_2) | instskip(NEXT) | instid1(VALU_DEP_3)
	v_cndmask_b32_e64 v9, v9, v49, s10
	v_cndmask_b32_e64 v10, v10, v50, s10
	s_delay_alu instid0(VALU_DEP_3) | instskip(SKIP_1) | instid1(VALU_DEP_3)
	v_cndmask_b32_e64 v8, v8, v50, s10
	v_cndmask_b32_e64 v7, v7, v49, s10
	v_cmp_class_f64_e64 s11, v[9:10], 0x1f8
	s_delay_alu instid0(VALU_DEP_2)
	v_cmp_neq_f64_e32 vcc_lo, v[9:10], v[7:8]
	s_or_b32 s11, vcc_lo, s11
	s_wait_alu 0xfffe
	s_and_saveexec_b32 s19, s11
	s_cbranch_execz .LBB71_42
; %bb.41:
	v_add_f64_e64 v[5:6], v[9:10], -v[7:8]
	s_mov_b32 s12, 0x652b82fe
	s_mov_b32 s13, 0x3ff71547
	;; [unrolled: 1-line block ×10, first 2 shown]
	s_wait_alu 0xfffe
	s_delay_alu instid0(VALU_DEP_1) | instskip(SKIP_4) | instid1(VALU_DEP_3)
	v_mul_f64_e32 v[9:10], s[12:13], v[5:6]
	s_mov_b32 s13, 0xbfe62e42
	s_mov_b32 s12, 0xfefa39ef
	v_cmp_nlt_f64_e32 vcc_lo, 0x40900000, v[5:6]
	v_cmp_ngt_f64_e64 s11, 0xc090cc00, v[5:6]
	v_rndne_f64_e32 v[9:10], v[9:10]
	s_wait_alu 0xfffe
	s_delay_alu instid0(VALU_DEP_1) | instskip(SKIP_2) | instid1(VALU_DEP_2)
	v_fma_f64 v[25:26], v[9:10], s[12:13], v[5:6]
	v_cvt_i32_f64_e32 v29, v[9:10]
	s_mov_b32 s13, 0x3fe62e42
	v_fma_f64 v[25:26], v[9:10], s[14:15], v[25:26]
	s_mov_b32 s15, 0x3c7abc9e
	s_delay_alu instid0(VALU_DEP_1)
	v_fma_f64 v[27:28], v[25:26], s[20:21], s[16:17]
	s_mov_b32 s16, 0x623fde64
	s_mov_b32 s17, 0x3ec71dee
	;; [unrolled: 1-line block ×4, first 2 shown]
	s_wait_alu 0xfffe
	s_delay_alu instid0(VALU_DEP_1) | instskip(SKIP_3) | instid1(VALU_DEP_1)
	v_fma_f64 v[27:28], v[25:26], v[27:28], s[16:17]
	s_mov_b32 s16, 0x7c89e6b0
	s_mov_b32 s17, 0x3efa0199
	s_wait_alu 0xfffe
	v_fma_f64 v[27:28], v[25:26], v[27:28], s[16:17]
	s_mov_b32 s16, 0x14761f6e
	s_mov_b32 s17, 0x3f2a01a0
	s_wait_alu 0xfffe
	s_delay_alu instid0(VALU_DEP_1) | instskip(SKIP_3) | instid1(VALU_DEP_1)
	v_fma_f64 v[27:28], v[25:26], v[27:28], s[16:17]
	s_mov_b32 s16, 0x1852b7b0
	s_mov_b32 s17, 0x3f56c16c
	s_wait_alu 0xfffe
	v_fma_f64 v[27:28], v[25:26], v[27:28], s[16:17]
	s_mov_b32 s16, 0x11122322
	s_mov_b32 s17, 0x3f811111
	;; [unrolled: 9-line block ×4, first 2 shown]
	s_delay_alu instid0(VALU_DEP_1) | instskip(NEXT) | instid1(VALU_DEP_1)
	v_fma_f64 v[27:28], v[25:26], v[27:28], 1.0
	v_fma_f64 v[9:10], v[25:26], v[27:28], 1.0
	s_delay_alu instid0(VALU_DEP_1) | instskip(SKIP_1) | instid1(VALU_DEP_1)
	v_ldexp_f64 v[9:10], v[9:10], v29
	s_wait_alu 0xfffd
	v_cndmask_b32_e32 v10, 0x7ff00000, v10, vcc_lo
	s_and_b32 vcc_lo, s11, vcc_lo
	s_wait_alu 0xfffe
	s_delay_alu instid0(VALU_DEP_2) | instskip(NEXT) | instid1(VALU_DEP_2)
	v_cndmask_b32_e32 v5, 0, v9, vcc_lo
	v_cndmask_b32_e64 v6, 0, v10, s11
	s_delay_alu instid0(VALU_DEP_1) | instskip(SKIP_1) | instid1(VALU_DEP_2)
	v_add_f64_e32 v[9:10], 1.0, v[5:6]
	v_cmp_neq_f64_e64 s11, 0x7ff00000, v[5:6]
	v_frexp_mant_f64_e32 v[25:26], v[9:10]
	v_frexp_exp_i32_f64_e32 v29, v[9:10]
	v_add_f64_e32 v[27:28], -1.0, v[9:10]
	s_delay_alu instid0(VALU_DEP_3) | instskip(SKIP_1) | instid1(VALU_DEP_2)
	v_cmp_gt_f64_e32 vcc_lo, s[16:17], v[25:26]
	s_mov_b32 s16, 0x55555780
	v_add_f64_e64 v[25:26], v[27:28], -v[9:10]
	v_add_f64_e64 v[27:28], v[5:6], -v[27:28]
	s_wait_alu 0xfffd
	v_subrev_co_ci_u32_e64 v77, null, 0, v29, vcc_lo
	s_delay_alu instid0(VALU_DEP_3) | instskip(SKIP_1) | instid1(VALU_DEP_3)
	v_add_f64_e32 v[25:26], 1.0, v[25:26]
	v_cmp_nge_f64_e32 vcc_lo, -1.0, v[5:6]
	v_sub_nc_u32_e32 v31, 0, v77
	s_delay_alu instid0(VALU_DEP_1) | instskip(NEXT) | instid1(VALU_DEP_4)
	v_ldexp_f64 v[9:10], v[9:10], v31
	v_add_f64_e32 v[25:26], v[27:28], v[25:26]
	s_and_b32 vcc_lo, vcc_lo, s11
	s_delay_alu instid0(VALU_DEP_2) | instskip(SKIP_1) | instid1(VALU_DEP_3)
	v_add_f64_e32 v[29:30], 1.0, v[9:10]
	v_add_f64_e32 v[35:36], -1.0, v[9:10]
	v_ldexp_f64 v[25:26], v[25:26], v31
	s_delay_alu instid0(VALU_DEP_3) | instskip(NEXT) | instid1(VALU_DEP_3)
	v_add_f64_e32 v[27:28], -1.0, v[29:30]
	v_add_f64_e32 v[67:68], 1.0, v[35:36]
	s_delay_alu instid0(VALU_DEP_2) | instskip(NEXT) | instid1(VALU_DEP_2)
	v_add_f64_e64 v[27:28], v[9:10], -v[27:28]
	v_add_f64_e64 v[9:10], v[9:10], -v[67:68]
	s_delay_alu instid0(VALU_DEP_2) | instskip(NEXT) | instid1(VALU_DEP_2)
	v_add_f64_e32 v[27:28], v[25:26], v[27:28]
	v_add_f64_e32 v[9:10], v[25:26], v[9:10]
	s_delay_alu instid0(VALU_DEP_2) | instskip(NEXT) | instid1(VALU_DEP_2)
	v_add_f64_e32 v[31:32], v[29:30], v[27:28]
	v_add_f64_e32 v[67:68], v[35:36], v[9:10]
	s_delay_alu instid0(VALU_DEP_2) | instskip(SKIP_1) | instid1(VALU_DEP_2)
	v_rcp_f64_e32 v[33:34], v[31:32]
	v_add_f64_e64 v[29:30], v[31:32], -v[29:30]
	v_add_f64_e64 v[35:36], v[67:68], -v[35:36]
	s_delay_alu instid0(VALU_DEP_2) | instskip(NEXT) | instid1(TRANS32_DEP_1)
	v_add_f64_e64 v[27:28], v[27:28], -v[29:30]
	v_fma_f64 v[71:72], -v[31:32], v[33:34], 1.0
	s_delay_alu instid0(VALU_DEP_3) | instskip(NEXT) | instid1(VALU_DEP_2)
	v_add_f64_e64 v[9:10], v[9:10], -v[35:36]
	v_fma_f64 v[33:34], v[71:72], v[33:34], v[33:34]
	s_delay_alu instid0(VALU_DEP_1) | instskip(NEXT) | instid1(VALU_DEP_1)
	v_fma_f64 v[25:26], -v[31:32], v[33:34], 1.0
	v_fma_f64 v[25:26], v[25:26], v[33:34], v[33:34]
	s_delay_alu instid0(VALU_DEP_1) | instskip(NEXT) | instid1(VALU_DEP_1)
	v_mul_f64_e32 v[33:34], v[67:68], v[25:26]
	v_mul_f64_e32 v[71:72], v[31:32], v[33:34]
	s_delay_alu instid0(VALU_DEP_1) | instskip(NEXT) | instid1(VALU_DEP_1)
	v_fma_f64 v[29:30], v[33:34], v[31:32], -v[71:72]
	v_fma_f64 v[29:30], v[33:34], v[27:28], v[29:30]
	s_delay_alu instid0(VALU_DEP_1) | instskip(NEXT) | instid1(VALU_DEP_1)
	v_add_f64_e32 v[73:74], v[71:72], v[29:30]
	v_add_f64_e64 v[75:76], v[67:68], -v[73:74]
	v_add_f64_e64 v[35:36], v[73:74], -v[71:72]
	s_delay_alu instid0(VALU_DEP_2) | instskip(NEXT) | instid1(VALU_DEP_2)
	v_add_f64_e64 v[67:68], v[67:68], -v[75:76]
	v_add_f64_e64 v[29:30], v[35:36], -v[29:30]
	s_delay_alu instid0(VALU_DEP_2) | instskip(NEXT) | instid1(VALU_DEP_1)
	v_add_f64_e64 v[67:68], v[67:68], -v[73:74]
	v_add_f64_e32 v[9:10], v[9:10], v[67:68]
	s_delay_alu instid0(VALU_DEP_1) | instskip(NEXT) | instid1(VALU_DEP_1)
	v_add_f64_e32 v[9:10], v[29:30], v[9:10]
	v_add_f64_e32 v[29:30], v[75:76], v[9:10]
	s_delay_alu instid0(VALU_DEP_1) | instskip(SKIP_1) | instid1(VALU_DEP_2)
	v_mul_f64_e32 v[35:36], v[25:26], v[29:30]
	v_add_f64_e64 v[73:74], v[75:76], -v[29:30]
	v_mul_f64_e32 v[67:68], v[31:32], v[35:36]
	s_delay_alu instid0(VALU_DEP_2) | instskip(NEXT) | instid1(VALU_DEP_2)
	v_add_f64_e32 v[9:10], v[9:10], v[73:74]
	v_fma_f64 v[31:32], v[35:36], v[31:32], -v[67:68]
	s_delay_alu instid0(VALU_DEP_1) | instskip(NEXT) | instid1(VALU_DEP_1)
	v_fma_f64 v[27:28], v[35:36], v[27:28], v[31:32]
	v_add_f64_e32 v[31:32], v[67:68], v[27:28]
	s_delay_alu instid0(VALU_DEP_1) | instskip(SKIP_1) | instid1(VALU_DEP_2)
	v_add_f64_e64 v[71:72], v[29:30], -v[31:32]
	v_add_f64_e64 v[67:68], v[31:32], -v[67:68]
	;; [unrolled: 1-line block ×3, first 2 shown]
	s_delay_alu instid0(VALU_DEP_2) | instskip(NEXT) | instid1(VALU_DEP_2)
	v_add_f64_e64 v[27:28], v[67:68], -v[27:28]
	v_add_f64_e64 v[29:30], v[29:30], -v[31:32]
	s_delay_alu instid0(VALU_DEP_1) | instskip(SKIP_1) | instid1(VALU_DEP_2)
	v_add_f64_e32 v[9:10], v[9:10], v[29:30]
	v_add_f64_e32 v[29:30], v[33:34], v[35:36]
	;; [unrolled: 1-line block ×3, first 2 shown]
	s_delay_alu instid0(VALU_DEP_2) | instskip(NEXT) | instid1(VALU_DEP_2)
	v_add_f64_e64 v[27:28], v[29:30], -v[33:34]
	v_add_f64_e32 v[9:10], v[71:72], v[9:10]
	s_delay_alu instid0(VALU_DEP_2) | instskip(NEXT) | instid1(VALU_DEP_2)
	v_add_f64_e64 v[27:28], v[35:36], -v[27:28]
	v_mul_f64_e32 v[9:10], v[25:26], v[9:10]
	s_delay_alu instid0(VALU_DEP_1) | instskip(NEXT) | instid1(VALU_DEP_1)
	v_add_f64_e32 v[9:10], v[27:28], v[9:10]
	v_add_f64_e32 v[25:26], v[29:30], v[9:10]
	s_delay_alu instid0(VALU_DEP_1) | instskip(NEXT) | instid1(VALU_DEP_1)
	v_mul_f64_e32 v[27:28], v[25:26], v[25:26]
	v_fma_f64 v[31:32], v[27:28], s[42:43], s[20:21]
	s_mov_b32 s20, 0xd7f4df2e
	s_mov_b32 s21, 0x3fc7474d
	v_mul_f64_e32 v[33:34], v[25:26], v[27:28]
	s_wait_alu 0xfffe
	s_delay_alu instid0(VALU_DEP_2) | instskip(SKIP_3) | instid1(VALU_DEP_1)
	v_fma_f64 v[31:32], v[27:28], v[31:32], s[20:21]
	s_mov_b32 s20, 0x16291751
	s_mov_b32 s21, 0x3fcc71c0
	s_wait_alu 0xfffe
	v_fma_f64 v[31:32], v[27:28], v[31:32], s[20:21]
	s_mov_b32 s20, 0x9b27acf1
	s_mov_b32 s21, 0x3fd24924
	s_wait_alu 0xfffe
	s_delay_alu instid0(VALU_DEP_1) | instskip(SKIP_3) | instid1(VALU_DEP_1)
	v_fma_f64 v[31:32], v[27:28], v[31:32], s[20:21]
	s_mov_b32 s20, 0x998ef7b6
	s_mov_b32 s21, 0x3fd99999
	s_wait_alu 0xfffe
	v_fma_f64 v[31:32], v[27:28], v[31:32], s[20:21]
	s_delay_alu instid0(VALU_DEP_1) | instskip(SKIP_2) | instid1(VALU_DEP_3)
	v_fma_f64 v[27:28], v[27:28], v[31:32], s[16:17]
	v_ldexp_f64 v[31:32], v[25:26], 1
	v_add_f64_e64 v[25:26], v[25:26], -v[29:30]
	v_mul_f64_e32 v[27:28], v[33:34], v[27:28]
	v_cvt_f64_i32_e32 v[33:34], v77
	s_delay_alu instid0(VALU_DEP_3) | instskip(NEXT) | instid1(VALU_DEP_3)
	v_add_f64_e64 v[9:10], v[9:10], -v[25:26]
	v_add_f64_e32 v[29:30], v[31:32], v[27:28]
	s_delay_alu instid0(VALU_DEP_3) | instskip(NEXT) | instid1(VALU_DEP_3)
	v_mul_f64_e32 v[35:36], s[12:13], v[33:34]
	v_ldexp_f64 v[9:10], v[9:10], 1
	s_delay_alu instid0(VALU_DEP_3) | instskip(NEXT) | instid1(VALU_DEP_3)
	v_add_f64_e64 v[25:26], v[29:30], -v[31:32]
	v_fma_f64 v[31:32], v[33:34], s[12:13], -v[35:36]
	v_cmp_ngt_f64_e64 s12, -1.0, v[5:6]
	s_delay_alu instid0(VALU_DEP_3) | instskip(NEXT) | instid1(VALU_DEP_3)
	v_add_f64_e64 v[25:26], v[27:28], -v[25:26]
	v_fma_f64 v[27:28], v[33:34], s[14:15], v[31:32]
	s_delay_alu instid0(VALU_DEP_2) | instskip(NEXT) | instid1(VALU_DEP_2)
	v_add_f64_e32 v[9:10], v[9:10], v[25:26]
	v_add_f64_e32 v[25:26], v[35:36], v[27:28]
	s_delay_alu instid0(VALU_DEP_2) | instskip(NEXT) | instid1(VALU_DEP_2)
	v_add_f64_e32 v[31:32], v[29:30], v[9:10]
	v_add_f64_e64 v[35:36], v[25:26], -v[35:36]
	s_delay_alu instid0(VALU_DEP_2) | instskip(SKIP_1) | instid1(VALU_DEP_3)
	v_add_f64_e32 v[33:34], v[25:26], v[31:32]
	v_add_f64_e64 v[29:30], v[31:32], -v[29:30]
	v_add_f64_e64 v[27:28], v[27:28], -v[35:36]
	s_delay_alu instid0(VALU_DEP_3) | instskip(NEXT) | instid1(VALU_DEP_3)
	v_add_f64_e64 v[67:68], v[33:34], -v[25:26]
	v_add_f64_e64 v[9:10], v[9:10], -v[29:30]
	s_delay_alu instid0(VALU_DEP_2) | instskip(SKIP_1) | instid1(VALU_DEP_3)
	v_add_f64_e64 v[71:72], v[33:34], -v[67:68]
	v_add_f64_e64 v[29:30], v[31:32], -v[67:68]
	v_add_f64_e32 v[31:32], v[27:28], v[9:10]
	s_delay_alu instid0(VALU_DEP_3) | instskip(NEXT) | instid1(VALU_DEP_1)
	v_add_f64_e64 v[25:26], v[25:26], -v[71:72]
	v_add_f64_e32 v[25:26], v[29:30], v[25:26]
	s_delay_alu instid0(VALU_DEP_3) | instskip(NEXT) | instid1(VALU_DEP_2)
	v_add_f64_e64 v[29:30], v[31:32], -v[27:28]
	v_add_f64_e32 v[25:26], v[31:32], v[25:26]
	s_delay_alu instid0(VALU_DEP_2) | instskip(SKIP_1) | instid1(VALU_DEP_3)
	v_add_f64_e64 v[31:32], v[31:32], -v[29:30]
	v_add_f64_e64 v[9:10], v[9:10], -v[29:30]
	v_add_f64_e32 v[35:36], v[33:34], v[25:26]
	s_delay_alu instid0(VALU_DEP_3) | instskip(NEXT) | instid1(VALU_DEP_2)
	v_add_f64_e64 v[27:28], v[27:28], -v[31:32]
	v_add_f64_e64 v[29:30], v[35:36], -v[33:34]
	s_delay_alu instid0(VALU_DEP_2) | instskip(NEXT) | instid1(VALU_DEP_2)
	v_add_f64_e32 v[9:10], v[9:10], v[27:28]
	v_add_f64_e64 v[25:26], v[25:26], -v[29:30]
	s_delay_alu instid0(VALU_DEP_1) | instskip(NEXT) | instid1(VALU_DEP_1)
	v_add_f64_e32 v[9:10], v[9:10], v[25:26]
	v_add_f64_e32 v[9:10], v[35:36], v[9:10]
	s_delay_alu instid0(VALU_DEP_1) | instskip(SKIP_1) | instid1(VALU_DEP_3)
	v_cndmask_b32_e32 v9, 0, v9, vcc_lo
	v_cmp_neq_f64_e32 vcc_lo, -1.0, v[5:6]
	v_cndmask_b32_e64 v10, 0x7ff00000, v10, s11
	s_wait_alu 0xf1ff
	s_delay_alu instid0(VALU_DEP_1) | instskip(SKIP_1) | instid1(VALU_DEP_1)
	v_cndmask_b32_e64 v10, 0x7ff80000, v10, s12
	s_wait_alu 0xfffd
	v_cndmask_b32_e32 v10, 0xfff00000, v10, vcc_lo
	s_delay_alu instid0(VALU_DEP_1)
	v_add_f64_e32 v[5:6], v[7:8], v[9:10]
.LBB71_42:
	s_wait_alu 0xfffe
	s_or_b32 exec_lo, exec_lo, s19
	v_max_num_f64_e32 v[25:26], v[51:52], v[51:52]
	s_delay_alu instid0(VALU_DEP_2) | instskip(SKIP_2) | instid1(VALU_DEP_3)
	v_max_num_f64_e32 v[7:8], v[5:6], v[5:6]
	v_cmp_u_f64_e32 vcc_lo, v[5:6], v[5:6]
	v_cmp_u_f64_e64 s11, v[51:52], v[51:52]
	v_min_num_f64_e32 v[9:10], v[7:8], v[25:26]
	v_max_num_f64_e32 v[7:8], v[7:8], v[25:26]
	s_wait_alu 0xfffd
	s_delay_alu instid0(VALU_DEP_2) | instskip(NEXT) | instid1(VALU_DEP_2)
	v_dual_cndmask_b32 v9, v9, v5 :: v_dual_cndmask_b32 v10, v10, v6
	v_dual_cndmask_b32 v8, v8, v6 :: v_dual_cndmask_b32 v7, v7, v5
	s_wait_alu 0xf1ff
	s_delay_alu instid0(VALU_DEP_2) | instskip(NEXT) | instid1(VALU_DEP_3)
	v_cndmask_b32_e64 v9, v9, v51, s11
	v_cndmask_b32_e64 v10, v10, v52, s11
	s_delay_alu instid0(VALU_DEP_3) | instskip(SKIP_1) | instid1(VALU_DEP_3)
	v_cndmask_b32_e64 v8, v8, v52, s11
	v_cndmask_b32_e64 v7, v7, v51, s11
	v_cmp_class_f64_e64 s12, v[9:10], 0x1f8
	s_delay_alu instid0(VALU_DEP_2)
	v_cmp_neq_f64_e32 vcc_lo, v[9:10], v[7:8]
	s_or_b32 s12, vcc_lo, s12
	s_wait_alu 0xfffe
	s_and_saveexec_b32 s19, s12
	s_cbranch_execz .LBB71_44
; %bb.43:
	v_add_f64_e64 v[5:6], v[9:10], -v[7:8]
	s_mov_b32 s12, 0x652b82fe
	s_mov_b32 s13, 0x3ff71547
	;; [unrolled: 1-line block ×10, first 2 shown]
	s_wait_alu 0xfffe
	s_delay_alu instid0(VALU_DEP_1) | instskip(SKIP_3) | instid1(VALU_DEP_2)
	v_mul_f64_e32 v[9:10], s[12:13], v[5:6]
	s_mov_b32 s12, 0xfca7ab0c
	s_mov_b32 s13, 0x3e928af3
	v_cmp_nlt_f64_e32 vcc_lo, 0x40900000, v[5:6]
	v_rndne_f64_e32 v[9:10], v[9:10]
	s_delay_alu instid0(VALU_DEP_1) | instskip(SKIP_2) | instid1(VALU_DEP_2)
	v_fma_f64 v[27:28], v[9:10], s[14:15], v[5:6]
	v_cvt_i32_f64_e32 v31, v[9:10]
	s_mov_b32 s15, 0x3fe62e42
	v_fma_f64 v[27:28], v[9:10], s[16:17], v[27:28]
	s_mov_b32 s17, 0x3c7abc9e
	s_wait_alu 0xfffe
	s_delay_alu instid0(VALU_DEP_1)
	v_fma_f64 v[29:30], v[27:28], s[20:21], s[12:13]
	s_mov_b32 s12, 0x623fde64
	s_mov_b32 s13, 0x3ec71dee
	;; [unrolled: 1-line block ×4, first 2 shown]
	s_wait_alu 0xfffe
	s_delay_alu instid0(VALU_DEP_1) | instskip(SKIP_3) | instid1(VALU_DEP_1)
	v_fma_f64 v[29:30], v[27:28], v[29:30], s[12:13]
	s_mov_b32 s12, 0x7c89e6b0
	s_mov_b32 s13, 0x3efa0199
	s_wait_alu 0xfffe
	v_fma_f64 v[29:30], v[27:28], v[29:30], s[12:13]
	s_mov_b32 s12, 0x14761f6e
	s_mov_b32 s13, 0x3f2a01a0
	s_wait_alu 0xfffe
	s_delay_alu instid0(VALU_DEP_1) | instskip(SKIP_3) | instid1(VALU_DEP_1)
	v_fma_f64 v[29:30], v[27:28], v[29:30], s[12:13]
	s_mov_b32 s12, 0x1852b7b0
	s_mov_b32 s13, 0x3f56c16c
	s_wait_alu 0xfffe
	v_fma_f64 v[29:30], v[27:28], v[29:30], s[12:13]
	s_mov_b32 s12, 0x11122322
	s_mov_b32 s13, 0x3f811111
	;; [unrolled: 9-line block ×3, first 2 shown]
	s_wait_alu 0xfffe
	s_delay_alu instid0(VALU_DEP_1) | instskip(SKIP_3) | instid1(VALU_DEP_1)
	v_fma_f64 v[29:30], v[27:28], v[29:30], s[12:13]
	s_mov_b32 s12, 11
	s_mov_b32 s13, 0x3fe00000
	s_wait_alu 0xfffe
	v_fma_f64 v[29:30], v[27:28], v[29:30], s[12:13]
	v_cmp_ngt_f64_e64 s12, 0xc090cc00, v[5:6]
	s_mov_b32 s13, 0x3fe55555
	v_fma_f64 v[29:30], v[27:28], v[29:30], 1.0
	s_delay_alu instid0(VALU_DEP_1) | instskip(NEXT) | instid1(VALU_DEP_1)
	v_fma_f64 v[9:10], v[27:28], v[29:30], 1.0
	v_ldexp_f64 v[9:10], v[9:10], v31
	s_wait_alu 0xfffd
	s_delay_alu instid0(VALU_DEP_1) | instskip(SKIP_2) | instid1(VALU_DEP_2)
	v_cndmask_b32_e32 v10, 0x7ff00000, v10, vcc_lo
	s_and_b32 vcc_lo, s12, vcc_lo
	s_wait_alu 0xfffe
	v_cndmask_b32_e32 v5, 0, v9, vcc_lo
	s_delay_alu instid0(VALU_DEP_2) | instskip(SKIP_1) | instid1(VALU_DEP_1)
	v_cndmask_b32_e64 v6, 0, v10, s12
	s_mov_b32 s12, 0x55555555
	v_add_f64_e32 v[9:10], 1.0, v[5:6]
	s_delay_alu instid0(VALU_DEP_1) | instskip(SKIP_3) | instid1(VALU_DEP_3)
	v_frexp_mant_f64_e32 v[27:28], v[9:10]
	v_frexp_exp_i32_f64_e32 v31, v[9:10]
	v_add_f64_e32 v[29:30], -1.0, v[9:10]
	s_wait_alu 0xfffe
	v_cmp_gt_f64_e32 vcc_lo, s[12:13], v[27:28]
	s_mov_b32 s12, 0x55555780
	s_delay_alu instid0(VALU_DEP_2) | instskip(SKIP_3) | instid1(VALU_DEP_3)
	v_add_f64_e64 v[27:28], v[29:30], -v[9:10]
	v_add_f64_e64 v[29:30], v[5:6], -v[29:30]
	s_wait_alu 0xfffd
	v_subrev_co_ci_u32_e64 v79, null, 0, v31, vcc_lo
	v_add_f64_e32 v[27:28], 1.0, v[27:28]
	v_cmp_nge_f64_e32 vcc_lo, -1.0, v[5:6]
	s_delay_alu instid0(VALU_DEP_3) | instskip(NEXT) | instid1(VALU_DEP_1)
	v_sub_nc_u32_e32 v33, 0, v79
	v_ldexp_f64 v[9:10], v[9:10], v33
	s_delay_alu instid0(VALU_DEP_4) | instskip(NEXT) | instid1(VALU_DEP_2)
	v_add_f64_e32 v[27:28], v[29:30], v[27:28]
	v_add_f64_e32 v[31:32], 1.0, v[9:10]
	v_add_f64_e32 v[67:68], -1.0, v[9:10]
	s_delay_alu instid0(VALU_DEP_3) | instskip(NEXT) | instid1(VALU_DEP_3)
	v_ldexp_f64 v[27:28], v[27:28], v33
	v_add_f64_e32 v[29:30], -1.0, v[31:32]
	s_delay_alu instid0(VALU_DEP_3) | instskip(NEXT) | instid1(VALU_DEP_2)
	v_add_f64_e32 v[71:72], 1.0, v[67:68]
	v_add_f64_e64 v[29:30], v[9:10], -v[29:30]
	s_delay_alu instid0(VALU_DEP_2) | instskip(NEXT) | instid1(VALU_DEP_2)
	v_add_f64_e64 v[9:10], v[9:10], -v[71:72]
	v_add_f64_e32 v[29:30], v[27:28], v[29:30]
	s_delay_alu instid0(VALU_DEP_2) | instskip(NEXT) | instid1(VALU_DEP_2)
	v_add_f64_e32 v[9:10], v[27:28], v[9:10]
	v_add_f64_e32 v[33:34], v[31:32], v[29:30]
	s_delay_alu instid0(VALU_DEP_2) | instskip(NEXT) | instid1(VALU_DEP_2)
	v_add_f64_e32 v[71:72], v[67:68], v[9:10]
	v_rcp_f64_e32 v[35:36], v[33:34]
	v_add_f64_e64 v[31:32], v[33:34], -v[31:32]
	s_delay_alu instid0(VALU_DEP_2) | instskip(NEXT) | instid1(VALU_DEP_2)
	v_add_f64_e64 v[67:68], v[71:72], -v[67:68]
	v_add_f64_e64 v[29:30], v[29:30], -v[31:32]
	s_delay_alu instid0(TRANS32_DEP_1) | instskip(NEXT) | instid1(VALU_DEP_3)
	v_fma_f64 v[73:74], -v[33:34], v[35:36], 1.0
	v_add_f64_e64 v[9:10], v[9:10], -v[67:68]
	s_delay_alu instid0(VALU_DEP_2) | instskip(NEXT) | instid1(VALU_DEP_1)
	v_fma_f64 v[35:36], v[73:74], v[35:36], v[35:36]
	v_fma_f64 v[27:28], -v[33:34], v[35:36], 1.0
	s_delay_alu instid0(VALU_DEP_1) | instskip(NEXT) | instid1(VALU_DEP_1)
	v_fma_f64 v[27:28], v[27:28], v[35:36], v[35:36]
	v_mul_f64_e32 v[35:36], v[71:72], v[27:28]
	s_delay_alu instid0(VALU_DEP_1) | instskip(NEXT) | instid1(VALU_DEP_1)
	v_mul_f64_e32 v[73:74], v[33:34], v[35:36]
	v_fma_f64 v[31:32], v[35:36], v[33:34], -v[73:74]
	s_delay_alu instid0(VALU_DEP_1) | instskip(NEXT) | instid1(VALU_DEP_1)
	v_fma_f64 v[31:32], v[35:36], v[29:30], v[31:32]
	v_add_f64_e32 v[75:76], v[73:74], v[31:32]
	s_delay_alu instid0(VALU_DEP_1) | instskip(SKIP_1) | instid1(VALU_DEP_2)
	v_add_f64_e64 v[77:78], v[71:72], -v[75:76]
	v_add_f64_e64 v[67:68], v[75:76], -v[73:74]
	;; [unrolled: 1-line block ×3, first 2 shown]
	s_delay_alu instid0(VALU_DEP_2) | instskip(NEXT) | instid1(VALU_DEP_2)
	v_add_f64_e64 v[31:32], v[67:68], -v[31:32]
	v_add_f64_e64 v[71:72], v[71:72], -v[75:76]
	s_delay_alu instid0(VALU_DEP_1) | instskip(NEXT) | instid1(VALU_DEP_1)
	v_add_f64_e32 v[9:10], v[9:10], v[71:72]
	v_add_f64_e32 v[9:10], v[31:32], v[9:10]
	s_delay_alu instid0(VALU_DEP_1) | instskip(NEXT) | instid1(VALU_DEP_1)
	v_add_f64_e32 v[31:32], v[77:78], v[9:10]
	v_mul_f64_e32 v[67:68], v[27:28], v[31:32]
	v_add_f64_e64 v[75:76], v[77:78], -v[31:32]
	s_delay_alu instid0(VALU_DEP_2) | instskip(NEXT) | instid1(VALU_DEP_2)
	v_mul_f64_e32 v[71:72], v[33:34], v[67:68]
	v_add_f64_e32 v[9:10], v[9:10], v[75:76]
	s_delay_alu instid0(VALU_DEP_2) | instskip(NEXT) | instid1(VALU_DEP_1)
	v_fma_f64 v[33:34], v[67:68], v[33:34], -v[71:72]
	v_fma_f64 v[29:30], v[67:68], v[29:30], v[33:34]
	s_delay_alu instid0(VALU_DEP_1) | instskip(NEXT) | instid1(VALU_DEP_1)
	v_add_f64_e32 v[33:34], v[71:72], v[29:30]
	v_add_f64_e64 v[73:74], v[31:32], -v[33:34]
	v_add_f64_e64 v[71:72], v[33:34], -v[71:72]
	s_delay_alu instid0(VALU_DEP_2) | instskip(NEXT) | instid1(VALU_DEP_2)
	v_add_f64_e64 v[31:32], v[31:32], -v[73:74]
	v_add_f64_e64 v[29:30], v[71:72], -v[29:30]
	s_delay_alu instid0(VALU_DEP_2) | instskip(NEXT) | instid1(VALU_DEP_1)
	v_add_f64_e64 v[31:32], v[31:32], -v[33:34]
	v_add_f64_e32 v[9:10], v[9:10], v[31:32]
	v_add_f64_e32 v[31:32], v[35:36], v[67:68]
	s_delay_alu instid0(VALU_DEP_2) | instskip(NEXT) | instid1(VALU_DEP_2)
	v_add_f64_e32 v[9:10], v[29:30], v[9:10]
	v_add_f64_e64 v[29:30], v[31:32], -v[35:36]
	s_delay_alu instid0(VALU_DEP_2) | instskip(NEXT) | instid1(VALU_DEP_2)
	v_add_f64_e32 v[9:10], v[73:74], v[9:10]
	v_add_f64_e64 v[29:30], v[67:68], -v[29:30]
	s_delay_alu instid0(VALU_DEP_2) | instskip(NEXT) | instid1(VALU_DEP_1)
	v_mul_f64_e32 v[9:10], v[27:28], v[9:10]
	v_add_f64_e32 v[9:10], v[29:30], v[9:10]
	s_delay_alu instid0(VALU_DEP_1) | instskip(NEXT) | instid1(VALU_DEP_1)
	v_add_f64_e32 v[27:28], v[31:32], v[9:10]
	v_mul_f64_e32 v[29:30], v[27:28], v[27:28]
	s_delay_alu instid0(VALU_DEP_1) | instskip(SKIP_4) | instid1(VALU_DEP_2)
	v_fma_f64 v[33:34], v[29:30], s[42:43], s[20:21]
	s_mov_b32 s20, 0xd7f4df2e
	s_mov_b32 s21, 0x3fc7474d
	v_mul_f64_e32 v[35:36], v[27:28], v[29:30]
	s_wait_alu 0xfffe
	v_fma_f64 v[33:34], v[29:30], v[33:34], s[20:21]
	s_mov_b32 s20, 0x16291751
	s_mov_b32 s21, 0x3fcc71c0
	s_wait_alu 0xfffe
	s_delay_alu instid0(VALU_DEP_1) | instskip(SKIP_3) | instid1(VALU_DEP_1)
	v_fma_f64 v[33:34], v[29:30], v[33:34], s[20:21]
	s_mov_b32 s20, 0x9b27acf1
	s_mov_b32 s21, 0x3fd24924
	s_wait_alu 0xfffe
	v_fma_f64 v[33:34], v[29:30], v[33:34], s[20:21]
	s_mov_b32 s20, 0x998ef7b6
	s_mov_b32 s21, 0x3fd99999
	s_wait_alu 0xfffe
	s_delay_alu instid0(VALU_DEP_1) | instskip(NEXT) | instid1(VALU_DEP_1)
	v_fma_f64 v[33:34], v[29:30], v[33:34], s[20:21]
	v_fma_f64 v[29:30], v[29:30], v[33:34], s[12:13]
	v_ldexp_f64 v[33:34], v[27:28], 1
	v_add_f64_e64 v[27:28], v[27:28], -v[31:32]
	v_cmp_neq_f64_e64 s12, 0x7ff00000, v[5:6]
	v_cmp_ngt_f64_e64 s13, -1.0, v[5:6]
	v_mul_f64_e32 v[29:30], v[35:36], v[29:30]
	v_cvt_f64_i32_e32 v[35:36], v79
	v_add_f64_e64 v[9:10], v[9:10], -v[27:28]
	s_and_b32 vcc_lo, vcc_lo, s12
	s_delay_alu instid0(VALU_DEP_3) | instskip(NEXT) | instid1(VALU_DEP_3)
	v_add_f64_e32 v[31:32], v[33:34], v[29:30]
	v_mul_f64_e32 v[67:68], s[14:15], v[35:36]
	s_delay_alu instid0(VALU_DEP_3) | instskip(NEXT) | instid1(VALU_DEP_3)
	v_ldexp_f64 v[9:10], v[9:10], 1
	v_add_f64_e64 v[27:28], v[31:32], -v[33:34]
	s_delay_alu instid0(VALU_DEP_3) | instskip(NEXT) | instid1(VALU_DEP_2)
	v_fma_f64 v[33:34], v[35:36], s[14:15], -v[67:68]
	v_add_f64_e64 v[27:28], v[29:30], -v[27:28]
	s_delay_alu instid0(VALU_DEP_2) | instskip(NEXT) | instid1(VALU_DEP_2)
	v_fma_f64 v[29:30], v[35:36], s[16:17], v[33:34]
	v_add_f64_e32 v[9:10], v[9:10], v[27:28]
	s_delay_alu instid0(VALU_DEP_2) | instskip(NEXT) | instid1(VALU_DEP_2)
	v_add_f64_e32 v[27:28], v[67:68], v[29:30]
	v_add_f64_e32 v[33:34], v[31:32], v[9:10]
	s_delay_alu instid0(VALU_DEP_2) | instskip(NEXT) | instid1(VALU_DEP_2)
	v_add_f64_e64 v[67:68], v[27:28], -v[67:68]
	v_add_f64_e32 v[35:36], v[27:28], v[33:34]
	v_add_f64_e64 v[31:32], v[33:34], -v[31:32]
	s_delay_alu instid0(VALU_DEP_3) | instskip(NEXT) | instid1(VALU_DEP_3)
	v_add_f64_e64 v[29:30], v[29:30], -v[67:68]
	v_add_f64_e64 v[71:72], v[35:36], -v[27:28]
	s_delay_alu instid0(VALU_DEP_3) | instskip(NEXT) | instid1(VALU_DEP_2)
	v_add_f64_e64 v[9:10], v[9:10], -v[31:32]
	v_add_f64_e64 v[73:74], v[35:36], -v[71:72]
	;; [unrolled: 1-line block ×3, first 2 shown]
	s_delay_alu instid0(VALU_DEP_3) | instskip(NEXT) | instid1(VALU_DEP_3)
	v_add_f64_e32 v[33:34], v[29:30], v[9:10]
	v_add_f64_e64 v[27:28], v[27:28], -v[73:74]
	s_delay_alu instid0(VALU_DEP_1) | instskip(NEXT) | instid1(VALU_DEP_3)
	v_add_f64_e32 v[27:28], v[31:32], v[27:28]
	v_add_f64_e64 v[31:32], v[33:34], -v[29:30]
	s_delay_alu instid0(VALU_DEP_2) | instskip(NEXT) | instid1(VALU_DEP_2)
	v_add_f64_e32 v[27:28], v[33:34], v[27:28]
	v_add_f64_e64 v[33:34], v[33:34], -v[31:32]
	v_add_f64_e64 v[9:10], v[9:10], -v[31:32]
	s_delay_alu instid0(VALU_DEP_3) | instskip(NEXT) | instid1(VALU_DEP_3)
	v_add_f64_e32 v[67:68], v[35:36], v[27:28]
	v_add_f64_e64 v[29:30], v[29:30], -v[33:34]
	s_delay_alu instid0(VALU_DEP_2) | instskip(NEXT) | instid1(VALU_DEP_2)
	v_add_f64_e64 v[31:32], v[67:68], -v[35:36]
	v_add_f64_e32 v[9:10], v[9:10], v[29:30]
	s_delay_alu instid0(VALU_DEP_2) | instskip(NEXT) | instid1(VALU_DEP_1)
	v_add_f64_e64 v[27:28], v[27:28], -v[31:32]
	v_add_f64_e32 v[9:10], v[9:10], v[27:28]
	s_delay_alu instid0(VALU_DEP_1) | instskip(SKIP_1) | instid1(VALU_DEP_1)
	v_add_f64_e32 v[9:10], v[67:68], v[9:10]
	s_wait_alu 0xfffe
	v_cndmask_b32_e32 v9, 0, v9, vcc_lo
	v_cmp_neq_f64_e32 vcc_lo, -1.0, v[5:6]
	s_delay_alu instid0(VALU_DEP_3) | instskip(NEXT) | instid1(VALU_DEP_1)
	v_cndmask_b32_e64 v10, 0x7ff00000, v10, s12
	v_cndmask_b32_e64 v10, 0x7ff80000, v10, s13
	s_wait_alu 0xfffd
	s_delay_alu instid0(VALU_DEP_1) | instskip(NEXT) | instid1(VALU_DEP_1)
	v_cndmask_b32_e32 v10, 0xfff00000, v10, vcc_lo
	v_add_f64_e32 v[5:6], v[7:8], v[9:10]
.LBB71_44:
	s_wait_alu 0xfffe
	s_or_b32 exec_lo, exec_lo, s19
	v_max_num_f64_e32 v[27:28], v[45:46], v[45:46]
	s_delay_alu instid0(VALU_DEP_2) | instskip(SKIP_2) | instid1(VALU_DEP_3)
	v_max_num_f64_e32 v[7:8], v[5:6], v[5:6]
	v_cmp_u_f64_e32 vcc_lo, v[5:6], v[5:6]
	v_cmp_u_f64_e64 s12, v[45:46], v[45:46]
	v_min_num_f64_e32 v[9:10], v[7:8], v[27:28]
	v_max_num_f64_e32 v[7:8], v[7:8], v[27:28]
	s_wait_alu 0xfffd
	s_delay_alu instid0(VALU_DEP_2) | instskip(NEXT) | instid1(VALU_DEP_2)
	v_dual_cndmask_b32 v9, v9, v5 :: v_dual_cndmask_b32 v10, v10, v6
	v_dual_cndmask_b32 v8, v8, v6 :: v_dual_cndmask_b32 v7, v7, v5
	s_wait_alu 0xf1ff
	s_delay_alu instid0(VALU_DEP_2) | instskip(NEXT) | instid1(VALU_DEP_3)
	v_cndmask_b32_e64 v9, v9, v45, s12
	v_cndmask_b32_e64 v10, v10, v46, s12
	s_delay_alu instid0(VALU_DEP_3) | instskip(SKIP_1) | instid1(VALU_DEP_3)
	v_cndmask_b32_e64 v8, v8, v46, s12
	v_cndmask_b32_e64 v7, v7, v45, s12
	v_cmp_class_f64_e64 s13, v[9:10], 0x1f8
	s_delay_alu instid0(VALU_DEP_2)
	v_cmp_neq_f64_e32 vcc_lo, v[9:10], v[7:8]
	s_or_b32 s13, vcc_lo, s13
	s_wait_alu 0xfffe
	s_and_saveexec_b32 s19, s13
	s_cbranch_execz .LBB71_46
; %bb.45:
	v_add_f64_e64 v[5:6], v[9:10], -v[7:8]
	s_mov_b32 s14, 0x652b82fe
	s_mov_b32 s15, 0x3ff71547
	;; [unrolled: 1-line block ×10, first 2 shown]
	s_wait_alu 0xfffe
	s_delay_alu instid0(VALU_DEP_1) | instskip(SKIP_4) | instid1(VALU_DEP_3)
	v_mul_f64_e32 v[9:10], s[14:15], v[5:6]
	s_mov_b32 s15, 0xbfe62e42
	s_mov_b32 s14, 0xfefa39ef
	v_cmp_nlt_f64_e32 vcc_lo, 0x40900000, v[5:6]
	v_cmp_ngt_f64_e64 s13, 0xc090cc00, v[5:6]
	v_rndne_f64_e32 v[9:10], v[9:10]
	s_wait_alu 0xfffe
	s_delay_alu instid0(VALU_DEP_1) | instskip(SKIP_2) | instid1(VALU_DEP_2)
	v_fma_f64 v[29:30], v[9:10], s[14:15], v[5:6]
	v_cvt_i32_f64_e32 v33, v[9:10]
	s_mov_b32 s15, 0x3fe62e42
	v_fma_f64 v[29:30], v[9:10], s[16:17], v[29:30]
	s_mov_b32 s17, 0x3c7abc9e
	s_delay_alu instid0(VALU_DEP_1)
	v_fma_f64 v[31:32], v[29:30], s[42:43], s[20:21]
	s_mov_b32 s20, 0x623fde64
	s_mov_b32 s21, 0x3ec71dee
	s_mov_b32 s42, 0x6b47b09a
	s_mov_b32 s43, 0x3fc38538
	s_wait_alu 0xfffe
	s_delay_alu instid0(VALU_DEP_1) | instskip(SKIP_3) | instid1(VALU_DEP_1)
	v_fma_f64 v[31:32], v[29:30], v[31:32], s[20:21]
	s_mov_b32 s20, 0x7c89e6b0
	s_mov_b32 s21, 0x3efa0199
	s_wait_alu 0xfffe
	v_fma_f64 v[31:32], v[29:30], v[31:32], s[20:21]
	s_mov_b32 s20, 0x14761f6e
	s_mov_b32 s21, 0x3f2a01a0
	s_wait_alu 0xfffe
	s_delay_alu instid0(VALU_DEP_1) | instskip(SKIP_3) | instid1(VALU_DEP_1)
	v_fma_f64 v[31:32], v[29:30], v[31:32], s[20:21]
	s_mov_b32 s20, 0x1852b7b0
	s_mov_b32 s21, 0x3f56c16c
	s_wait_alu 0xfffe
	v_fma_f64 v[31:32], v[29:30], v[31:32], s[20:21]
	s_mov_b32 s20, 0x11122322
	s_mov_b32 s21, 0x3f811111
	;; [unrolled: 9-line block ×4, first 2 shown]
	s_delay_alu instid0(VALU_DEP_1) | instskip(NEXT) | instid1(VALU_DEP_1)
	v_fma_f64 v[31:32], v[29:30], v[31:32], 1.0
	v_fma_f64 v[9:10], v[29:30], v[31:32], 1.0
	s_delay_alu instid0(VALU_DEP_1) | instskip(SKIP_1) | instid1(VALU_DEP_1)
	v_ldexp_f64 v[9:10], v[9:10], v33
	s_wait_alu 0xfffd
	v_cndmask_b32_e32 v10, 0x7ff00000, v10, vcc_lo
	s_and_b32 vcc_lo, s13, vcc_lo
	s_wait_alu 0xfffe
	s_delay_alu instid0(VALU_DEP_2) | instskip(NEXT) | instid1(VALU_DEP_2)
	v_cndmask_b32_e32 v5, 0, v9, vcc_lo
	v_cndmask_b32_e64 v6, 0, v10, s13
	s_delay_alu instid0(VALU_DEP_1) | instskip(SKIP_1) | instid1(VALU_DEP_2)
	v_add_f64_e32 v[9:10], 1.0, v[5:6]
	v_cmp_neq_f64_e64 s13, 0x7ff00000, v[5:6]
	v_frexp_mant_f64_e32 v[29:30], v[9:10]
	v_frexp_exp_i32_f64_e32 v33, v[9:10]
	v_add_f64_e32 v[31:32], -1.0, v[9:10]
	s_delay_alu instid0(VALU_DEP_3) | instskip(SKIP_1) | instid1(VALU_DEP_2)
	v_cmp_gt_f64_e32 vcc_lo, s[20:21], v[29:30]
	s_mov_b32 s20, 0x55555780
	v_add_f64_e64 v[29:30], v[31:32], -v[9:10]
	v_add_f64_e64 v[31:32], v[5:6], -v[31:32]
	s_wait_alu 0xfffd
	v_subrev_co_ci_u32_e64 v81, null, 0, v33, vcc_lo
	s_delay_alu instid0(VALU_DEP_3) | instskip(SKIP_1) | instid1(VALU_DEP_3)
	v_add_f64_e32 v[29:30], 1.0, v[29:30]
	v_cmp_nge_f64_e32 vcc_lo, -1.0, v[5:6]
	v_sub_nc_u32_e32 v35, 0, v81
	s_delay_alu instid0(VALU_DEP_1) | instskip(NEXT) | instid1(VALU_DEP_4)
	v_ldexp_f64 v[9:10], v[9:10], v35
	v_add_f64_e32 v[29:30], v[31:32], v[29:30]
	s_and_b32 vcc_lo, vcc_lo, s13
	s_delay_alu instid0(VALU_DEP_2) | instskip(SKIP_1) | instid1(VALU_DEP_3)
	v_add_f64_e32 v[33:34], 1.0, v[9:10]
	v_add_f64_e32 v[71:72], -1.0, v[9:10]
	v_ldexp_f64 v[29:30], v[29:30], v35
	s_delay_alu instid0(VALU_DEP_3) | instskip(NEXT) | instid1(VALU_DEP_3)
	v_add_f64_e32 v[31:32], -1.0, v[33:34]
	v_add_f64_e32 v[73:74], 1.0, v[71:72]
	s_delay_alu instid0(VALU_DEP_2) | instskip(NEXT) | instid1(VALU_DEP_2)
	v_add_f64_e64 v[31:32], v[9:10], -v[31:32]
	v_add_f64_e64 v[9:10], v[9:10], -v[73:74]
	s_delay_alu instid0(VALU_DEP_2) | instskip(NEXT) | instid1(VALU_DEP_2)
	v_add_f64_e32 v[31:32], v[29:30], v[31:32]
	v_add_f64_e32 v[9:10], v[29:30], v[9:10]
	s_delay_alu instid0(VALU_DEP_2) | instskip(NEXT) | instid1(VALU_DEP_2)
	v_add_f64_e32 v[35:36], v[33:34], v[31:32]
	v_add_f64_e32 v[73:74], v[71:72], v[9:10]
	s_delay_alu instid0(VALU_DEP_2) | instskip(SKIP_1) | instid1(VALU_DEP_2)
	v_rcp_f64_e32 v[67:68], v[35:36]
	v_add_f64_e64 v[33:34], v[35:36], -v[33:34]
	v_add_f64_e64 v[71:72], v[73:74], -v[71:72]
	s_delay_alu instid0(VALU_DEP_2) | instskip(NEXT) | instid1(TRANS32_DEP_1)
	v_add_f64_e64 v[31:32], v[31:32], -v[33:34]
	v_fma_f64 v[75:76], -v[35:36], v[67:68], 1.0
	s_delay_alu instid0(VALU_DEP_3) | instskip(NEXT) | instid1(VALU_DEP_2)
	v_add_f64_e64 v[9:10], v[9:10], -v[71:72]
	v_fma_f64 v[67:68], v[75:76], v[67:68], v[67:68]
	s_delay_alu instid0(VALU_DEP_1) | instskip(NEXT) | instid1(VALU_DEP_1)
	v_fma_f64 v[29:30], -v[35:36], v[67:68], 1.0
	v_fma_f64 v[29:30], v[29:30], v[67:68], v[67:68]
	s_delay_alu instid0(VALU_DEP_1) | instskip(NEXT) | instid1(VALU_DEP_1)
	v_mul_f64_e32 v[67:68], v[73:74], v[29:30]
	v_mul_f64_e32 v[75:76], v[35:36], v[67:68]
	s_delay_alu instid0(VALU_DEP_1) | instskip(NEXT) | instid1(VALU_DEP_1)
	v_fma_f64 v[33:34], v[67:68], v[35:36], -v[75:76]
	v_fma_f64 v[33:34], v[67:68], v[31:32], v[33:34]
	s_delay_alu instid0(VALU_DEP_1) | instskip(NEXT) | instid1(VALU_DEP_1)
	v_add_f64_e32 v[77:78], v[75:76], v[33:34]
	v_add_f64_e64 v[79:80], v[73:74], -v[77:78]
	v_add_f64_e64 v[71:72], v[77:78], -v[75:76]
	s_delay_alu instid0(VALU_DEP_2) | instskip(NEXT) | instid1(VALU_DEP_2)
	v_add_f64_e64 v[73:74], v[73:74], -v[79:80]
	v_add_f64_e64 v[33:34], v[71:72], -v[33:34]
	s_delay_alu instid0(VALU_DEP_2) | instskip(NEXT) | instid1(VALU_DEP_1)
	v_add_f64_e64 v[73:74], v[73:74], -v[77:78]
	v_add_f64_e32 v[9:10], v[9:10], v[73:74]
	s_delay_alu instid0(VALU_DEP_1) | instskip(NEXT) | instid1(VALU_DEP_1)
	v_add_f64_e32 v[9:10], v[33:34], v[9:10]
	v_add_f64_e32 v[33:34], v[79:80], v[9:10]
	s_delay_alu instid0(VALU_DEP_1) | instskip(SKIP_1) | instid1(VALU_DEP_2)
	v_mul_f64_e32 v[71:72], v[29:30], v[33:34]
	v_add_f64_e64 v[77:78], v[79:80], -v[33:34]
	v_mul_f64_e32 v[73:74], v[35:36], v[71:72]
	s_delay_alu instid0(VALU_DEP_2) | instskip(NEXT) | instid1(VALU_DEP_2)
	v_add_f64_e32 v[9:10], v[9:10], v[77:78]
	v_fma_f64 v[35:36], v[71:72], v[35:36], -v[73:74]
	s_delay_alu instid0(VALU_DEP_1) | instskip(NEXT) | instid1(VALU_DEP_1)
	v_fma_f64 v[31:32], v[71:72], v[31:32], v[35:36]
	v_add_f64_e32 v[35:36], v[73:74], v[31:32]
	s_delay_alu instid0(VALU_DEP_1) | instskip(SKIP_1) | instid1(VALU_DEP_2)
	v_add_f64_e64 v[75:76], v[33:34], -v[35:36]
	v_add_f64_e64 v[73:74], v[35:36], -v[73:74]
	;; [unrolled: 1-line block ×3, first 2 shown]
	s_delay_alu instid0(VALU_DEP_2) | instskip(NEXT) | instid1(VALU_DEP_2)
	v_add_f64_e64 v[31:32], v[73:74], -v[31:32]
	v_add_f64_e64 v[33:34], v[33:34], -v[35:36]
	s_delay_alu instid0(VALU_DEP_1) | instskip(SKIP_1) | instid1(VALU_DEP_2)
	v_add_f64_e32 v[9:10], v[9:10], v[33:34]
	v_add_f64_e32 v[33:34], v[67:68], v[71:72]
	;; [unrolled: 1-line block ×3, first 2 shown]
	s_delay_alu instid0(VALU_DEP_2) | instskip(NEXT) | instid1(VALU_DEP_2)
	v_add_f64_e64 v[31:32], v[33:34], -v[67:68]
	v_add_f64_e32 v[9:10], v[75:76], v[9:10]
	s_delay_alu instid0(VALU_DEP_2) | instskip(NEXT) | instid1(VALU_DEP_2)
	v_add_f64_e64 v[31:32], v[71:72], -v[31:32]
	v_mul_f64_e32 v[9:10], v[29:30], v[9:10]
	s_delay_alu instid0(VALU_DEP_1) | instskip(NEXT) | instid1(VALU_DEP_1)
	v_add_f64_e32 v[9:10], v[31:32], v[9:10]
	v_add_f64_e32 v[29:30], v[33:34], v[9:10]
	s_delay_alu instid0(VALU_DEP_1) | instskip(NEXT) | instid1(VALU_DEP_1)
	v_mul_f64_e32 v[31:32], v[29:30], v[29:30]
	v_fma_f64 v[35:36], v[31:32], s[44:45], s[42:43]
	s_mov_b32 s42, 0xd7f4df2e
	s_mov_b32 s43, 0x3fc7474d
	v_mul_f64_e32 v[67:68], v[29:30], v[31:32]
	s_wait_alu 0xfffe
	s_delay_alu instid0(VALU_DEP_2) | instskip(SKIP_3) | instid1(VALU_DEP_1)
	v_fma_f64 v[35:36], v[31:32], v[35:36], s[42:43]
	s_mov_b32 s42, 0x16291751
	s_mov_b32 s43, 0x3fcc71c0
	s_wait_alu 0xfffe
	v_fma_f64 v[35:36], v[31:32], v[35:36], s[42:43]
	s_mov_b32 s42, 0x9b27acf1
	s_mov_b32 s43, 0x3fd24924
	s_wait_alu 0xfffe
	s_delay_alu instid0(VALU_DEP_1) | instskip(SKIP_3) | instid1(VALU_DEP_1)
	v_fma_f64 v[35:36], v[31:32], v[35:36], s[42:43]
	s_mov_b32 s42, 0x998ef7b6
	s_mov_b32 s43, 0x3fd99999
	s_wait_alu 0xfffe
	v_fma_f64 v[35:36], v[31:32], v[35:36], s[42:43]
	s_delay_alu instid0(VALU_DEP_1) | instskip(SKIP_2) | instid1(VALU_DEP_3)
	v_fma_f64 v[31:32], v[31:32], v[35:36], s[20:21]
	v_ldexp_f64 v[35:36], v[29:30], 1
	v_add_f64_e64 v[29:30], v[29:30], -v[33:34]
	v_mul_f64_e32 v[31:32], v[67:68], v[31:32]
	v_cvt_f64_i32_e32 v[67:68], v81
	s_delay_alu instid0(VALU_DEP_3) | instskip(NEXT) | instid1(VALU_DEP_3)
	v_add_f64_e64 v[9:10], v[9:10], -v[29:30]
	v_add_f64_e32 v[33:34], v[35:36], v[31:32]
	s_delay_alu instid0(VALU_DEP_3) | instskip(NEXT) | instid1(VALU_DEP_3)
	v_mul_f64_e32 v[71:72], s[14:15], v[67:68]
	v_ldexp_f64 v[9:10], v[9:10], 1
	s_delay_alu instid0(VALU_DEP_3) | instskip(NEXT) | instid1(VALU_DEP_3)
	v_add_f64_e64 v[29:30], v[33:34], -v[35:36]
	v_fma_f64 v[35:36], v[67:68], s[14:15], -v[71:72]
	v_cmp_ngt_f64_e64 s14, -1.0, v[5:6]
	s_delay_alu instid0(VALU_DEP_3) | instskip(NEXT) | instid1(VALU_DEP_3)
	v_add_f64_e64 v[29:30], v[31:32], -v[29:30]
	v_fma_f64 v[31:32], v[67:68], s[16:17], v[35:36]
	s_delay_alu instid0(VALU_DEP_2) | instskip(NEXT) | instid1(VALU_DEP_2)
	v_add_f64_e32 v[9:10], v[9:10], v[29:30]
	v_add_f64_e32 v[29:30], v[71:72], v[31:32]
	s_delay_alu instid0(VALU_DEP_2) | instskip(NEXT) | instid1(VALU_DEP_2)
	v_add_f64_e32 v[35:36], v[33:34], v[9:10]
	v_add_f64_e64 v[71:72], v[29:30], -v[71:72]
	s_delay_alu instid0(VALU_DEP_2) | instskip(SKIP_1) | instid1(VALU_DEP_3)
	v_add_f64_e32 v[67:68], v[29:30], v[35:36]
	v_add_f64_e64 v[33:34], v[35:36], -v[33:34]
	v_add_f64_e64 v[31:32], v[31:32], -v[71:72]
	s_delay_alu instid0(VALU_DEP_3) | instskip(NEXT) | instid1(VALU_DEP_3)
	v_add_f64_e64 v[73:74], v[67:68], -v[29:30]
	v_add_f64_e64 v[9:10], v[9:10], -v[33:34]
	s_delay_alu instid0(VALU_DEP_2) | instskip(SKIP_1) | instid1(VALU_DEP_3)
	v_add_f64_e64 v[75:76], v[67:68], -v[73:74]
	v_add_f64_e64 v[33:34], v[35:36], -v[73:74]
	v_add_f64_e32 v[35:36], v[31:32], v[9:10]
	s_delay_alu instid0(VALU_DEP_3) | instskip(NEXT) | instid1(VALU_DEP_1)
	v_add_f64_e64 v[29:30], v[29:30], -v[75:76]
	v_add_f64_e32 v[29:30], v[33:34], v[29:30]
	s_delay_alu instid0(VALU_DEP_3) | instskip(NEXT) | instid1(VALU_DEP_2)
	v_add_f64_e64 v[33:34], v[35:36], -v[31:32]
	v_add_f64_e32 v[29:30], v[35:36], v[29:30]
	s_delay_alu instid0(VALU_DEP_2) | instskip(SKIP_1) | instid1(VALU_DEP_3)
	v_add_f64_e64 v[35:36], v[35:36], -v[33:34]
	v_add_f64_e64 v[9:10], v[9:10], -v[33:34]
	v_add_f64_e32 v[71:72], v[67:68], v[29:30]
	s_delay_alu instid0(VALU_DEP_3) | instskip(NEXT) | instid1(VALU_DEP_2)
	v_add_f64_e64 v[31:32], v[31:32], -v[35:36]
	v_add_f64_e64 v[33:34], v[71:72], -v[67:68]
	s_delay_alu instid0(VALU_DEP_2) | instskip(NEXT) | instid1(VALU_DEP_2)
	v_add_f64_e32 v[9:10], v[9:10], v[31:32]
	v_add_f64_e64 v[29:30], v[29:30], -v[33:34]
	s_delay_alu instid0(VALU_DEP_1) | instskip(NEXT) | instid1(VALU_DEP_1)
	v_add_f64_e32 v[9:10], v[9:10], v[29:30]
	v_add_f64_e32 v[9:10], v[71:72], v[9:10]
	s_delay_alu instid0(VALU_DEP_1) | instskip(SKIP_1) | instid1(VALU_DEP_3)
	v_cndmask_b32_e32 v9, 0, v9, vcc_lo
	v_cmp_neq_f64_e32 vcc_lo, -1.0, v[5:6]
	v_cndmask_b32_e64 v10, 0x7ff00000, v10, s13
	s_wait_alu 0xf1ff
	s_delay_alu instid0(VALU_DEP_1) | instskip(SKIP_1) | instid1(VALU_DEP_1)
	v_cndmask_b32_e64 v10, 0x7ff80000, v10, s14
	s_wait_alu 0xfffd
	v_cndmask_b32_e32 v10, 0xfff00000, v10, vcc_lo
	s_delay_alu instid0(VALU_DEP_1)
	v_add_f64_e32 v[5:6], v[7:8], v[9:10]
.LBB71_46:
	s_wait_alu 0xfffe
	s_or_b32 exec_lo, exec_lo, s19
	v_max_num_f64_e32 v[29:30], v[47:48], v[47:48]
	s_delay_alu instid0(VALU_DEP_2) | instskip(SKIP_2) | instid1(VALU_DEP_3)
	v_max_num_f64_e32 v[7:8], v[5:6], v[5:6]
	v_cmp_u_f64_e32 vcc_lo, v[5:6], v[5:6]
	v_cmp_u_f64_e64 s13, v[47:48], v[47:48]
	v_min_num_f64_e32 v[9:10], v[7:8], v[29:30]
	v_max_num_f64_e32 v[7:8], v[7:8], v[29:30]
	s_wait_alu 0xfffd
	s_delay_alu instid0(VALU_DEP_2) | instskip(NEXT) | instid1(VALU_DEP_2)
	v_dual_cndmask_b32 v9, v9, v5 :: v_dual_cndmask_b32 v10, v10, v6
	v_dual_cndmask_b32 v8, v8, v6 :: v_dual_cndmask_b32 v7, v7, v5
	s_wait_alu 0xf1ff
	s_delay_alu instid0(VALU_DEP_2) | instskip(NEXT) | instid1(VALU_DEP_3)
	v_cndmask_b32_e64 v9, v9, v47, s13
	v_cndmask_b32_e64 v10, v10, v48, s13
	s_delay_alu instid0(VALU_DEP_3) | instskip(SKIP_1) | instid1(VALU_DEP_3)
	v_cndmask_b32_e64 v8, v8, v48, s13
	v_cndmask_b32_e64 v7, v7, v47, s13
	v_cmp_class_f64_e64 s14, v[9:10], 0x1f8
	s_delay_alu instid0(VALU_DEP_2)
	v_cmp_neq_f64_e32 vcc_lo, v[9:10], v[7:8]
	s_or_b32 s14, vcc_lo, s14
	s_wait_alu 0xfffe
	s_and_saveexec_b32 s19, s14
	s_cbranch_execz .LBB71_48
; %bb.47:
	v_add_f64_e64 v[5:6], v[9:10], -v[7:8]
	s_mov_b32 s14, 0x652b82fe
	s_mov_b32 s15, 0x3ff71547
	;; [unrolled: 1-line block ×10, first 2 shown]
	s_wait_alu 0xfffe
	s_delay_alu instid0(VALU_DEP_1) | instskip(SKIP_3) | instid1(VALU_DEP_2)
	v_mul_f64_e32 v[9:10], s[14:15], v[5:6]
	s_mov_b32 s14, 0xfca7ab0c
	s_mov_b32 s15, 0x3e928af3
	v_cmp_nlt_f64_e32 vcc_lo, 0x40900000, v[5:6]
	v_rndne_f64_e32 v[9:10], v[9:10]
	s_delay_alu instid0(VALU_DEP_1) | instskip(SKIP_2) | instid1(VALU_DEP_2)
	v_fma_f64 v[31:32], v[9:10], s[16:17], v[5:6]
	v_cvt_i32_f64_e32 v35, v[9:10]
	s_mov_b32 s17, 0x3fe62e42
	v_fma_f64 v[31:32], v[9:10], s[20:21], v[31:32]
	s_mov_b32 s21, 0x3c7abc9e
	s_wait_alu 0xfffe
	s_delay_alu instid0(VALU_DEP_1)
	v_fma_f64 v[33:34], v[31:32], s[42:43], s[14:15]
	s_mov_b32 s14, 0x623fde64
	s_mov_b32 s15, 0x3ec71dee
	;; [unrolled: 1-line block ×4, first 2 shown]
	s_wait_alu 0xfffe
	s_delay_alu instid0(VALU_DEP_1) | instskip(SKIP_3) | instid1(VALU_DEP_1)
	v_fma_f64 v[33:34], v[31:32], v[33:34], s[14:15]
	s_mov_b32 s14, 0x7c89e6b0
	s_mov_b32 s15, 0x3efa0199
	s_wait_alu 0xfffe
	v_fma_f64 v[33:34], v[31:32], v[33:34], s[14:15]
	s_mov_b32 s14, 0x14761f6e
	s_mov_b32 s15, 0x3f2a01a0
	s_wait_alu 0xfffe
	s_delay_alu instid0(VALU_DEP_1) | instskip(SKIP_3) | instid1(VALU_DEP_1)
	v_fma_f64 v[33:34], v[31:32], v[33:34], s[14:15]
	s_mov_b32 s14, 0x1852b7b0
	s_mov_b32 s15, 0x3f56c16c
	s_wait_alu 0xfffe
	v_fma_f64 v[33:34], v[31:32], v[33:34], s[14:15]
	s_mov_b32 s14, 0x11122322
	s_mov_b32 s15, 0x3f811111
	;; [unrolled: 9-line block ×3, first 2 shown]
	s_wait_alu 0xfffe
	s_delay_alu instid0(VALU_DEP_1) | instskip(SKIP_3) | instid1(VALU_DEP_1)
	v_fma_f64 v[33:34], v[31:32], v[33:34], s[14:15]
	s_mov_b32 s14, 11
	s_mov_b32 s15, 0x3fe00000
	s_wait_alu 0xfffe
	v_fma_f64 v[33:34], v[31:32], v[33:34], s[14:15]
	v_cmp_ngt_f64_e64 s14, 0xc090cc00, v[5:6]
	s_mov_b32 s15, 0x3fe55555
	v_fma_f64 v[33:34], v[31:32], v[33:34], 1.0
	s_delay_alu instid0(VALU_DEP_1) | instskip(NEXT) | instid1(VALU_DEP_1)
	v_fma_f64 v[9:10], v[31:32], v[33:34], 1.0
	v_ldexp_f64 v[9:10], v[9:10], v35
	s_wait_alu 0xfffd
	s_delay_alu instid0(VALU_DEP_1) | instskip(SKIP_2) | instid1(VALU_DEP_2)
	v_cndmask_b32_e32 v10, 0x7ff00000, v10, vcc_lo
	s_and_b32 vcc_lo, s14, vcc_lo
	s_wait_alu 0xfffe
	v_cndmask_b32_e32 v5, 0, v9, vcc_lo
	s_delay_alu instid0(VALU_DEP_2) | instskip(SKIP_1) | instid1(VALU_DEP_1)
	v_cndmask_b32_e64 v6, 0, v10, s14
	s_mov_b32 s14, 0x55555555
	v_add_f64_e32 v[9:10], 1.0, v[5:6]
	s_delay_alu instid0(VALU_DEP_1) | instskip(SKIP_3) | instid1(VALU_DEP_3)
	v_frexp_mant_f64_e32 v[31:32], v[9:10]
	v_frexp_exp_i32_f64_e32 v35, v[9:10]
	v_add_f64_e32 v[33:34], -1.0, v[9:10]
	s_wait_alu 0xfffe
	v_cmp_gt_f64_e32 vcc_lo, s[14:15], v[31:32]
	s_mov_b32 s14, 0x55555780
	s_delay_alu instid0(VALU_DEP_2) | instskip(SKIP_3) | instid1(VALU_DEP_3)
	v_add_f64_e64 v[31:32], v[33:34], -v[9:10]
	v_add_f64_e64 v[33:34], v[5:6], -v[33:34]
	s_wait_alu 0xfffd
	v_subrev_co_ci_u32_e64 v101, null, 0, v35, vcc_lo
	v_add_f64_e32 v[31:32], 1.0, v[31:32]
	v_cmp_nge_f64_e32 vcc_lo, -1.0, v[5:6]
	s_delay_alu instid0(VALU_DEP_3) | instskip(NEXT) | instid1(VALU_DEP_1)
	v_sub_nc_u32_e32 v67, 0, v101
	v_ldexp_f64 v[9:10], v[9:10], v67
	s_delay_alu instid0(VALU_DEP_4) | instskip(NEXT) | instid1(VALU_DEP_2)
	v_add_f64_e32 v[31:32], v[33:34], v[31:32]
	v_add_f64_e32 v[35:36], 1.0, v[9:10]
	v_add_f64_e32 v[73:74], -1.0, v[9:10]
	s_delay_alu instid0(VALU_DEP_3) | instskip(NEXT) | instid1(VALU_DEP_3)
	v_ldexp_f64 v[31:32], v[31:32], v67
	v_add_f64_e32 v[33:34], -1.0, v[35:36]
	s_delay_alu instid0(VALU_DEP_3) | instskip(NEXT) | instid1(VALU_DEP_2)
	v_add_f64_e32 v[75:76], 1.0, v[73:74]
	v_add_f64_e64 v[33:34], v[9:10], -v[33:34]
	s_delay_alu instid0(VALU_DEP_2) | instskip(NEXT) | instid1(VALU_DEP_2)
	v_add_f64_e64 v[9:10], v[9:10], -v[75:76]
	v_add_f64_e32 v[33:34], v[31:32], v[33:34]
	s_delay_alu instid0(VALU_DEP_2) | instskip(NEXT) | instid1(VALU_DEP_2)
	v_add_f64_e32 v[9:10], v[31:32], v[9:10]
	v_add_f64_e32 v[67:68], v[35:36], v[33:34]
	s_delay_alu instid0(VALU_DEP_2) | instskip(NEXT) | instid1(VALU_DEP_2)
	v_add_f64_e32 v[75:76], v[73:74], v[9:10]
	v_rcp_f64_e32 v[71:72], v[67:68]
	v_add_f64_e64 v[35:36], v[67:68], -v[35:36]
	s_delay_alu instid0(VALU_DEP_2) | instskip(NEXT) | instid1(VALU_DEP_2)
	v_add_f64_e64 v[73:74], v[75:76], -v[73:74]
	v_add_f64_e64 v[33:34], v[33:34], -v[35:36]
	s_delay_alu instid0(TRANS32_DEP_1) | instskip(NEXT) | instid1(VALU_DEP_3)
	v_fma_f64 v[77:78], -v[67:68], v[71:72], 1.0
	v_add_f64_e64 v[9:10], v[9:10], -v[73:74]
	s_delay_alu instid0(VALU_DEP_2) | instskip(NEXT) | instid1(VALU_DEP_1)
	v_fma_f64 v[71:72], v[77:78], v[71:72], v[71:72]
	v_fma_f64 v[31:32], -v[67:68], v[71:72], 1.0
	s_delay_alu instid0(VALU_DEP_1) | instskip(NEXT) | instid1(VALU_DEP_1)
	v_fma_f64 v[31:32], v[31:32], v[71:72], v[71:72]
	v_mul_f64_e32 v[71:72], v[75:76], v[31:32]
	s_delay_alu instid0(VALU_DEP_1) | instskip(NEXT) | instid1(VALU_DEP_1)
	v_mul_f64_e32 v[77:78], v[67:68], v[71:72]
	v_fma_f64 v[35:36], v[71:72], v[67:68], -v[77:78]
	s_delay_alu instid0(VALU_DEP_1) | instskip(NEXT) | instid1(VALU_DEP_1)
	v_fma_f64 v[35:36], v[71:72], v[33:34], v[35:36]
	v_add_f64_e32 v[79:80], v[77:78], v[35:36]
	s_delay_alu instid0(VALU_DEP_1) | instskip(SKIP_1) | instid1(VALU_DEP_2)
	v_add_f64_e64 v[81:82], v[75:76], -v[79:80]
	v_add_f64_e64 v[73:74], v[79:80], -v[77:78]
	;; [unrolled: 1-line block ×3, first 2 shown]
	s_delay_alu instid0(VALU_DEP_2) | instskip(NEXT) | instid1(VALU_DEP_2)
	v_add_f64_e64 v[35:36], v[73:74], -v[35:36]
	v_add_f64_e64 v[75:76], v[75:76], -v[79:80]
	s_delay_alu instid0(VALU_DEP_1) | instskip(NEXT) | instid1(VALU_DEP_1)
	v_add_f64_e32 v[9:10], v[9:10], v[75:76]
	v_add_f64_e32 v[9:10], v[35:36], v[9:10]
	s_delay_alu instid0(VALU_DEP_1) | instskip(NEXT) | instid1(VALU_DEP_1)
	v_add_f64_e32 v[35:36], v[81:82], v[9:10]
	v_mul_f64_e32 v[73:74], v[31:32], v[35:36]
	v_add_f64_e64 v[79:80], v[81:82], -v[35:36]
	s_delay_alu instid0(VALU_DEP_2) | instskip(NEXT) | instid1(VALU_DEP_2)
	v_mul_f64_e32 v[75:76], v[67:68], v[73:74]
	v_add_f64_e32 v[9:10], v[9:10], v[79:80]
	s_delay_alu instid0(VALU_DEP_2) | instskip(NEXT) | instid1(VALU_DEP_1)
	v_fma_f64 v[67:68], v[73:74], v[67:68], -v[75:76]
	v_fma_f64 v[33:34], v[73:74], v[33:34], v[67:68]
	s_delay_alu instid0(VALU_DEP_1) | instskip(NEXT) | instid1(VALU_DEP_1)
	v_add_f64_e32 v[67:68], v[75:76], v[33:34]
	v_add_f64_e64 v[77:78], v[35:36], -v[67:68]
	v_add_f64_e64 v[75:76], v[67:68], -v[75:76]
	s_delay_alu instid0(VALU_DEP_2) | instskip(NEXT) | instid1(VALU_DEP_2)
	v_add_f64_e64 v[35:36], v[35:36], -v[77:78]
	v_add_f64_e64 v[33:34], v[75:76], -v[33:34]
	s_delay_alu instid0(VALU_DEP_2) | instskip(NEXT) | instid1(VALU_DEP_1)
	v_add_f64_e64 v[35:36], v[35:36], -v[67:68]
	v_add_f64_e32 v[9:10], v[9:10], v[35:36]
	v_add_f64_e32 v[35:36], v[71:72], v[73:74]
	s_delay_alu instid0(VALU_DEP_2) | instskip(NEXT) | instid1(VALU_DEP_2)
	v_add_f64_e32 v[9:10], v[33:34], v[9:10]
	v_add_f64_e64 v[33:34], v[35:36], -v[71:72]
	s_delay_alu instid0(VALU_DEP_2) | instskip(NEXT) | instid1(VALU_DEP_2)
	v_add_f64_e32 v[9:10], v[77:78], v[9:10]
	v_add_f64_e64 v[33:34], v[73:74], -v[33:34]
	s_delay_alu instid0(VALU_DEP_2) | instskip(NEXT) | instid1(VALU_DEP_1)
	v_mul_f64_e32 v[9:10], v[31:32], v[9:10]
	v_add_f64_e32 v[9:10], v[33:34], v[9:10]
	s_delay_alu instid0(VALU_DEP_1) | instskip(NEXT) | instid1(VALU_DEP_1)
	v_add_f64_e32 v[31:32], v[35:36], v[9:10]
	v_mul_f64_e32 v[33:34], v[31:32], v[31:32]
	s_delay_alu instid0(VALU_DEP_1) | instskip(SKIP_4) | instid1(VALU_DEP_2)
	v_fma_f64 v[67:68], v[33:34], s[44:45], s[42:43]
	s_mov_b32 s42, 0xd7f4df2e
	s_mov_b32 s43, 0x3fc7474d
	v_mul_f64_e32 v[71:72], v[31:32], v[33:34]
	s_wait_alu 0xfffe
	v_fma_f64 v[67:68], v[33:34], v[67:68], s[42:43]
	s_mov_b32 s42, 0x16291751
	s_mov_b32 s43, 0x3fcc71c0
	s_wait_alu 0xfffe
	s_delay_alu instid0(VALU_DEP_1) | instskip(SKIP_3) | instid1(VALU_DEP_1)
	v_fma_f64 v[67:68], v[33:34], v[67:68], s[42:43]
	s_mov_b32 s42, 0x9b27acf1
	s_mov_b32 s43, 0x3fd24924
	s_wait_alu 0xfffe
	v_fma_f64 v[67:68], v[33:34], v[67:68], s[42:43]
	s_mov_b32 s42, 0x998ef7b6
	s_mov_b32 s43, 0x3fd99999
	s_wait_alu 0xfffe
	s_delay_alu instid0(VALU_DEP_1) | instskip(NEXT) | instid1(VALU_DEP_1)
	v_fma_f64 v[67:68], v[33:34], v[67:68], s[42:43]
	v_fma_f64 v[33:34], v[33:34], v[67:68], s[14:15]
	v_ldexp_f64 v[67:68], v[31:32], 1
	v_add_f64_e64 v[31:32], v[31:32], -v[35:36]
	v_cmp_neq_f64_e64 s14, 0x7ff00000, v[5:6]
	v_cmp_ngt_f64_e64 s15, -1.0, v[5:6]
	v_mul_f64_e32 v[33:34], v[71:72], v[33:34]
	v_cvt_f64_i32_e32 v[71:72], v101
	v_add_f64_e64 v[9:10], v[9:10], -v[31:32]
	s_and_b32 vcc_lo, vcc_lo, s14
	s_delay_alu instid0(VALU_DEP_3) | instskip(NEXT) | instid1(VALU_DEP_3)
	v_add_f64_e32 v[35:36], v[67:68], v[33:34]
	v_mul_f64_e32 v[73:74], s[16:17], v[71:72]
	s_delay_alu instid0(VALU_DEP_3) | instskip(NEXT) | instid1(VALU_DEP_3)
	v_ldexp_f64 v[9:10], v[9:10], 1
	v_add_f64_e64 v[31:32], v[35:36], -v[67:68]
	s_delay_alu instid0(VALU_DEP_3) | instskip(NEXT) | instid1(VALU_DEP_2)
	v_fma_f64 v[67:68], v[71:72], s[16:17], -v[73:74]
	v_add_f64_e64 v[31:32], v[33:34], -v[31:32]
	s_delay_alu instid0(VALU_DEP_2) | instskip(NEXT) | instid1(VALU_DEP_2)
	v_fma_f64 v[33:34], v[71:72], s[20:21], v[67:68]
	v_add_f64_e32 v[9:10], v[9:10], v[31:32]
	s_delay_alu instid0(VALU_DEP_2) | instskip(NEXT) | instid1(VALU_DEP_2)
	v_add_f64_e32 v[31:32], v[73:74], v[33:34]
	v_add_f64_e32 v[67:68], v[35:36], v[9:10]
	s_delay_alu instid0(VALU_DEP_2) | instskip(NEXT) | instid1(VALU_DEP_2)
	v_add_f64_e64 v[73:74], v[31:32], -v[73:74]
	v_add_f64_e32 v[71:72], v[31:32], v[67:68]
	v_add_f64_e64 v[35:36], v[67:68], -v[35:36]
	s_delay_alu instid0(VALU_DEP_3) | instskip(NEXT) | instid1(VALU_DEP_3)
	v_add_f64_e64 v[33:34], v[33:34], -v[73:74]
	v_add_f64_e64 v[75:76], v[71:72], -v[31:32]
	s_delay_alu instid0(VALU_DEP_3) | instskip(NEXT) | instid1(VALU_DEP_2)
	v_add_f64_e64 v[9:10], v[9:10], -v[35:36]
	v_add_f64_e64 v[77:78], v[71:72], -v[75:76]
	;; [unrolled: 1-line block ×3, first 2 shown]
	s_delay_alu instid0(VALU_DEP_3) | instskip(NEXT) | instid1(VALU_DEP_3)
	v_add_f64_e32 v[67:68], v[33:34], v[9:10]
	v_add_f64_e64 v[31:32], v[31:32], -v[77:78]
	s_delay_alu instid0(VALU_DEP_1) | instskip(NEXT) | instid1(VALU_DEP_3)
	v_add_f64_e32 v[31:32], v[35:36], v[31:32]
	v_add_f64_e64 v[35:36], v[67:68], -v[33:34]
	s_delay_alu instid0(VALU_DEP_2) | instskip(NEXT) | instid1(VALU_DEP_2)
	v_add_f64_e32 v[31:32], v[67:68], v[31:32]
	v_add_f64_e64 v[67:68], v[67:68], -v[35:36]
	v_add_f64_e64 v[9:10], v[9:10], -v[35:36]
	s_delay_alu instid0(VALU_DEP_3) | instskip(NEXT) | instid1(VALU_DEP_3)
	v_add_f64_e32 v[73:74], v[71:72], v[31:32]
	v_add_f64_e64 v[33:34], v[33:34], -v[67:68]
	s_delay_alu instid0(VALU_DEP_2) | instskip(NEXT) | instid1(VALU_DEP_2)
	v_add_f64_e64 v[35:36], v[73:74], -v[71:72]
	v_add_f64_e32 v[9:10], v[9:10], v[33:34]
	s_delay_alu instid0(VALU_DEP_2) | instskip(NEXT) | instid1(VALU_DEP_1)
	v_add_f64_e64 v[31:32], v[31:32], -v[35:36]
	v_add_f64_e32 v[9:10], v[9:10], v[31:32]
	s_delay_alu instid0(VALU_DEP_1) | instskip(SKIP_1) | instid1(VALU_DEP_1)
	v_add_f64_e32 v[9:10], v[73:74], v[9:10]
	s_wait_alu 0xfffe
	v_cndmask_b32_e32 v9, 0, v9, vcc_lo
	v_cmp_neq_f64_e32 vcc_lo, -1.0, v[5:6]
	s_delay_alu instid0(VALU_DEP_3) | instskip(NEXT) | instid1(VALU_DEP_1)
	v_cndmask_b32_e64 v10, 0x7ff00000, v10, s14
	v_cndmask_b32_e64 v10, 0x7ff80000, v10, s15
	s_wait_alu 0xfffd
	s_delay_alu instid0(VALU_DEP_1) | instskip(NEXT) | instid1(VALU_DEP_1)
	v_cndmask_b32_e32 v10, 0xfff00000, v10, vcc_lo
	v_add_f64_e32 v[5:6], v[7:8], v[9:10]
.LBB71_48:
	s_wait_alu 0xfffe
	s_or_b32 exec_lo, exec_lo, s19
	v_max_num_f64_e32 v[31:32], v[41:42], v[41:42]
	s_delay_alu instid0(VALU_DEP_2) | instskip(SKIP_2) | instid1(VALU_DEP_3)
	v_max_num_f64_e32 v[7:8], v[5:6], v[5:6]
	v_cmp_u_f64_e32 vcc_lo, v[5:6], v[5:6]
	v_cmp_u_f64_e64 s14, v[41:42], v[41:42]
	v_min_num_f64_e32 v[9:10], v[7:8], v[31:32]
	v_max_num_f64_e32 v[7:8], v[7:8], v[31:32]
	s_wait_alu 0xfffd
	s_delay_alu instid0(VALU_DEP_2) | instskip(NEXT) | instid1(VALU_DEP_2)
	v_dual_cndmask_b32 v9, v9, v5 :: v_dual_cndmask_b32 v10, v10, v6
	v_dual_cndmask_b32 v8, v8, v6 :: v_dual_cndmask_b32 v7, v7, v5
	s_wait_alu 0xf1ff
	s_delay_alu instid0(VALU_DEP_2) | instskip(NEXT) | instid1(VALU_DEP_3)
	v_cndmask_b32_e64 v9, v9, v41, s14
	v_cndmask_b32_e64 v10, v10, v42, s14
	s_delay_alu instid0(VALU_DEP_3) | instskip(SKIP_1) | instid1(VALU_DEP_3)
	v_cndmask_b32_e64 v8, v8, v42, s14
	v_cndmask_b32_e64 v7, v7, v41, s14
	v_cmp_class_f64_e64 s15, v[9:10], 0x1f8
	s_delay_alu instid0(VALU_DEP_2)
	v_cmp_neq_f64_e32 vcc_lo, v[9:10], v[7:8]
	s_or_b32 s15, vcc_lo, s15
	s_wait_alu 0xfffe
	s_and_saveexec_b32 s19, s15
	s_cbranch_execz .LBB71_50
; %bb.49:
	v_add_f64_e64 v[5:6], v[9:10], -v[7:8]
	s_mov_b32 s16, 0x652b82fe
	s_mov_b32 s17, 0x3ff71547
	;; [unrolled: 1-line block ×10, first 2 shown]
	s_wait_alu 0xfffe
	s_delay_alu instid0(VALU_DEP_1) | instskip(SKIP_4) | instid1(VALU_DEP_3)
	v_mul_f64_e32 v[9:10], s[16:17], v[5:6]
	s_mov_b32 s17, 0xbfe62e42
	s_mov_b32 s16, 0xfefa39ef
	v_cmp_nlt_f64_e32 vcc_lo, 0x40900000, v[5:6]
	v_cmp_ngt_f64_e64 s15, 0xc090cc00, v[5:6]
	v_rndne_f64_e32 v[9:10], v[9:10]
	s_wait_alu 0xfffe
	s_delay_alu instid0(VALU_DEP_1) | instskip(SKIP_2) | instid1(VALU_DEP_2)
	v_fma_f64 v[33:34], v[9:10], s[16:17], v[5:6]
	v_cvt_i32_f64_e32 v67, v[9:10]
	s_mov_b32 s17, 0x3fe62e42
	v_fma_f64 v[33:34], v[9:10], s[20:21], v[33:34]
	s_mov_b32 s21, 0x3c7abc9e
	s_delay_alu instid0(VALU_DEP_1)
	v_fma_f64 v[35:36], v[33:34], s[44:45], s[42:43]
	s_mov_b32 s42, 0x623fde64
	s_mov_b32 s43, 0x3ec71dee
	s_mov_b32 s44, 0x6b47b09a
	s_mov_b32 s45, 0x3fc38538
	s_wait_alu 0xfffe
	s_delay_alu instid0(VALU_DEP_1) | instskip(SKIP_3) | instid1(VALU_DEP_1)
	v_fma_f64 v[35:36], v[33:34], v[35:36], s[42:43]
	s_mov_b32 s42, 0x7c89e6b0
	s_mov_b32 s43, 0x3efa0199
	s_wait_alu 0xfffe
	v_fma_f64 v[35:36], v[33:34], v[35:36], s[42:43]
	s_mov_b32 s42, 0x14761f6e
	s_mov_b32 s43, 0x3f2a01a0
	s_wait_alu 0xfffe
	s_delay_alu instid0(VALU_DEP_1) | instskip(SKIP_3) | instid1(VALU_DEP_1)
	v_fma_f64 v[35:36], v[33:34], v[35:36], s[42:43]
	s_mov_b32 s42, 0x1852b7b0
	s_mov_b32 s43, 0x3f56c16c
	s_wait_alu 0xfffe
	v_fma_f64 v[35:36], v[33:34], v[35:36], s[42:43]
	s_mov_b32 s42, 0x11122322
	s_mov_b32 s43, 0x3f811111
	;; [unrolled: 9-line block ×4, first 2 shown]
	s_delay_alu instid0(VALU_DEP_1) | instskip(NEXT) | instid1(VALU_DEP_1)
	v_fma_f64 v[35:36], v[33:34], v[35:36], 1.0
	v_fma_f64 v[9:10], v[33:34], v[35:36], 1.0
	s_delay_alu instid0(VALU_DEP_1) | instskip(SKIP_1) | instid1(VALU_DEP_1)
	v_ldexp_f64 v[9:10], v[9:10], v67
	s_wait_alu 0xfffd
	v_cndmask_b32_e32 v10, 0x7ff00000, v10, vcc_lo
	s_and_b32 vcc_lo, s15, vcc_lo
	s_wait_alu 0xfffe
	s_delay_alu instid0(VALU_DEP_2) | instskip(NEXT) | instid1(VALU_DEP_2)
	v_cndmask_b32_e32 v5, 0, v9, vcc_lo
	v_cndmask_b32_e64 v6, 0, v10, s15
	s_delay_alu instid0(VALU_DEP_1) | instskip(SKIP_1) | instid1(VALU_DEP_2)
	v_add_f64_e32 v[9:10], 1.0, v[5:6]
	v_cmp_neq_f64_e64 s15, 0x7ff00000, v[5:6]
	v_frexp_mant_f64_e32 v[33:34], v[9:10]
	v_frexp_exp_i32_f64_e32 v67, v[9:10]
	v_add_f64_e32 v[35:36], -1.0, v[9:10]
	s_delay_alu instid0(VALU_DEP_3) | instskip(SKIP_1) | instid1(VALU_DEP_2)
	v_cmp_gt_f64_e32 vcc_lo, s[42:43], v[33:34]
	s_mov_b32 s42, 0x55555780
	v_add_f64_e64 v[33:34], v[35:36], -v[9:10]
	v_add_f64_e64 v[35:36], v[5:6], -v[35:36]
	s_wait_alu 0xfffd
	v_subrev_co_ci_u32_e64 v103, null, 0, v67, vcc_lo
	s_delay_alu instid0(VALU_DEP_3) | instskip(SKIP_1) | instid1(VALU_DEP_3)
	v_add_f64_e32 v[33:34], 1.0, v[33:34]
	v_cmp_nge_f64_e32 vcc_lo, -1.0, v[5:6]
	v_sub_nc_u32_e32 v71, 0, v103
	s_delay_alu instid0(VALU_DEP_1) | instskip(NEXT) | instid1(VALU_DEP_4)
	v_ldexp_f64 v[9:10], v[9:10], v71
	v_add_f64_e32 v[33:34], v[35:36], v[33:34]
	s_and_b32 vcc_lo, vcc_lo, s15
	s_delay_alu instid0(VALU_DEP_2) | instskip(SKIP_1) | instid1(VALU_DEP_3)
	v_add_f64_e32 v[67:68], 1.0, v[9:10]
	v_add_f64_e32 v[75:76], -1.0, v[9:10]
	v_ldexp_f64 v[33:34], v[33:34], v71
	s_delay_alu instid0(VALU_DEP_3) | instskip(NEXT) | instid1(VALU_DEP_3)
	v_add_f64_e32 v[35:36], -1.0, v[67:68]
	v_add_f64_e32 v[77:78], 1.0, v[75:76]
	s_delay_alu instid0(VALU_DEP_2) | instskip(NEXT) | instid1(VALU_DEP_2)
	v_add_f64_e64 v[35:36], v[9:10], -v[35:36]
	v_add_f64_e64 v[9:10], v[9:10], -v[77:78]
	s_delay_alu instid0(VALU_DEP_2) | instskip(NEXT) | instid1(VALU_DEP_2)
	v_add_f64_e32 v[35:36], v[33:34], v[35:36]
	v_add_f64_e32 v[9:10], v[33:34], v[9:10]
	s_delay_alu instid0(VALU_DEP_2) | instskip(NEXT) | instid1(VALU_DEP_2)
	v_add_f64_e32 v[71:72], v[67:68], v[35:36]
	v_add_f64_e32 v[77:78], v[75:76], v[9:10]
	s_delay_alu instid0(VALU_DEP_2) | instskip(SKIP_1) | instid1(VALU_DEP_2)
	v_rcp_f64_e32 v[73:74], v[71:72]
	v_add_f64_e64 v[67:68], v[71:72], -v[67:68]
	v_add_f64_e64 v[75:76], v[77:78], -v[75:76]
	s_delay_alu instid0(VALU_DEP_2) | instskip(NEXT) | instid1(TRANS32_DEP_1)
	v_add_f64_e64 v[35:36], v[35:36], -v[67:68]
	v_fma_f64 v[79:80], -v[71:72], v[73:74], 1.0
	s_delay_alu instid0(VALU_DEP_3) | instskip(NEXT) | instid1(VALU_DEP_2)
	v_add_f64_e64 v[9:10], v[9:10], -v[75:76]
	v_fma_f64 v[73:74], v[79:80], v[73:74], v[73:74]
	s_delay_alu instid0(VALU_DEP_1) | instskip(NEXT) | instid1(VALU_DEP_1)
	v_fma_f64 v[33:34], -v[71:72], v[73:74], 1.0
	v_fma_f64 v[33:34], v[33:34], v[73:74], v[73:74]
	s_delay_alu instid0(VALU_DEP_1) | instskip(NEXT) | instid1(VALU_DEP_1)
	v_mul_f64_e32 v[73:74], v[77:78], v[33:34]
	v_mul_f64_e32 v[79:80], v[71:72], v[73:74]
	s_delay_alu instid0(VALU_DEP_1) | instskip(NEXT) | instid1(VALU_DEP_1)
	v_fma_f64 v[67:68], v[73:74], v[71:72], -v[79:80]
	v_fma_f64 v[67:68], v[73:74], v[35:36], v[67:68]
	s_delay_alu instid0(VALU_DEP_1) | instskip(NEXT) | instid1(VALU_DEP_1)
	v_add_f64_e32 v[81:82], v[79:80], v[67:68]
	v_add_f64_e64 v[101:102], v[77:78], -v[81:82]
	v_add_f64_e64 v[75:76], v[81:82], -v[79:80]
	s_delay_alu instid0(VALU_DEP_2) | instskip(NEXT) | instid1(VALU_DEP_2)
	v_add_f64_e64 v[77:78], v[77:78], -v[101:102]
	v_add_f64_e64 v[67:68], v[75:76], -v[67:68]
	s_delay_alu instid0(VALU_DEP_2) | instskip(NEXT) | instid1(VALU_DEP_1)
	v_add_f64_e64 v[77:78], v[77:78], -v[81:82]
	v_add_f64_e32 v[9:10], v[9:10], v[77:78]
	s_delay_alu instid0(VALU_DEP_1) | instskip(NEXT) | instid1(VALU_DEP_1)
	v_add_f64_e32 v[9:10], v[67:68], v[9:10]
	v_add_f64_e32 v[67:68], v[101:102], v[9:10]
	s_delay_alu instid0(VALU_DEP_1) | instskip(SKIP_1) | instid1(VALU_DEP_2)
	v_mul_f64_e32 v[75:76], v[33:34], v[67:68]
	v_add_f64_e64 v[81:82], v[101:102], -v[67:68]
	v_mul_f64_e32 v[77:78], v[71:72], v[75:76]
	s_delay_alu instid0(VALU_DEP_2) | instskip(NEXT) | instid1(VALU_DEP_2)
	v_add_f64_e32 v[9:10], v[9:10], v[81:82]
	v_fma_f64 v[71:72], v[75:76], v[71:72], -v[77:78]
	s_delay_alu instid0(VALU_DEP_1) | instskip(NEXT) | instid1(VALU_DEP_1)
	v_fma_f64 v[35:36], v[75:76], v[35:36], v[71:72]
	v_add_f64_e32 v[71:72], v[77:78], v[35:36]
	s_delay_alu instid0(VALU_DEP_1) | instskip(SKIP_1) | instid1(VALU_DEP_2)
	v_add_f64_e64 v[79:80], v[67:68], -v[71:72]
	v_add_f64_e64 v[77:78], v[71:72], -v[77:78]
	;; [unrolled: 1-line block ×3, first 2 shown]
	s_delay_alu instid0(VALU_DEP_2) | instskip(NEXT) | instid1(VALU_DEP_2)
	v_add_f64_e64 v[35:36], v[77:78], -v[35:36]
	v_add_f64_e64 v[67:68], v[67:68], -v[71:72]
	s_delay_alu instid0(VALU_DEP_1) | instskip(SKIP_1) | instid1(VALU_DEP_2)
	v_add_f64_e32 v[9:10], v[9:10], v[67:68]
	v_add_f64_e32 v[67:68], v[73:74], v[75:76]
	;; [unrolled: 1-line block ×3, first 2 shown]
	s_delay_alu instid0(VALU_DEP_2) | instskip(NEXT) | instid1(VALU_DEP_2)
	v_add_f64_e64 v[35:36], v[67:68], -v[73:74]
	v_add_f64_e32 v[9:10], v[79:80], v[9:10]
	s_delay_alu instid0(VALU_DEP_2) | instskip(NEXT) | instid1(VALU_DEP_2)
	v_add_f64_e64 v[35:36], v[75:76], -v[35:36]
	v_mul_f64_e32 v[9:10], v[33:34], v[9:10]
	s_delay_alu instid0(VALU_DEP_1) | instskip(NEXT) | instid1(VALU_DEP_1)
	v_add_f64_e32 v[9:10], v[35:36], v[9:10]
	v_add_f64_e32 v[33:34], v[67:68], v[9:10]
	s_delay_alu instid0(VALU_DEP_1) | instskip(NEXT) | instid1(VALU_DEP_1)
	v_mul_f64_e32 v[35:36], v[33:34], v[33:34]
	v_fma_f64 v[71:72], v[35:36], s[46:47], s[44:45]
	s_mov_b32 s44, 0xd7f4df2e
	s_mov_b32 s45, 0x3fc7474d
	v_mul_f64_e32 v[73:74], v[33:34], v[35:36]
	s_wait_alu 0xfffe
	s_delay_alu instid0(VALU_DEP_2) | instskip(SKIP_3) | instid1(VALU_DEP_1)
	v_fma_f64 v[71:72], v[35:36], v[71:72], s[44:45]
	s_mov_b32 s44, 0x16291751
	s_mov_b32 s45, 0x3fcc71c0
	s_wait_alu 0xfffe
	v_fma_f64 v[71:72], v[35:36], v[71:72], s[44:45]
	s_mov_b32 s44, 0x9b27acf1
	s_mov_b32 s45, 0x3fd24924
	s_wait_alu 0xfffe
	s_delay_alu instid0(VALU_DEP_1) | instskip(SKIP_3) | instid1(VALU_DEP_1)
	v_fma_f64 v[71:72], v[35:36], v[71:72], s[44:45]
	s_mov_b32 s44, 0x998ef7b6
	s_mov_b32 s45, 0x3fd99999
	s_wait_alu 0xfffe
	v_fma_f64 v[71:72], v[35:36], v[71:72], s[44:45]
	s_delay_alu instid0(VALU_DEP_1) | instskip(SKIP_2) | instid1(VALU_DEP_3)
	v_fma_f64 v[35:36], v[35:36], v[71:72], s[42:43]
	v_ldexp_f64 v[71:72], v[33:34], 1
	v_add_f64_e64 v[33:34], v[33:34], -v[67:68]
	v_mul_f64_e32 v[35:36], v[73:74], v[35:36]
	v_cvt_f64_i32_e32 v[73:74], v103
	s_delay_alu instid0(VALU_DEP_3) | instskip(NEXT) | instid1(VALU_DEP_3)
	v_add_f64_e64 v[9:10], v[9:10], -v[33:34]
	v_add_f64_e32 v[67:68], v[71:72], v[35:36]
	s_delay_alu instid0(VALU_DEP_3) | instskip(NEXT) | instid1(VALU_DEP_3)
	v_mul_f64_e32 v[75:76], s[16:17], v[73:74]
	v_ldexp_f64 v[9:10], v[9:10], 1
	s_delay_alu instid0(VALU_DEP_3) | instskip(NEXT) | instid1(VALU_DEP_3)
	v_add_f64_e64 v[33:34], v[67:68], -v[71:72]
	v_fma_f64 v[71:72], v[73:74], s[16:17], -v[75:76]
	v_cmp_ngt_f64_e64 s16, -1.0, v[5:6]
	s_delay_alu instid0(VALU_DEP_3) | instskip(NEXT) | instid1(VALU_DEP_3)
	v_add_f64_e64 v[33:34], v[35:36], -v[33:34]
	v_fma_f64 v[35:36], v[73:74], s[20:21], v[71:72]
	s_delay_alu instid0(VALU_DEP_2) | instskip(NEXT) | instid1(VALU_DEP_2)
	v_add_f64_e32 v[9:10], v[9:10], v[33:34]
	v_add_f64_e32 v[33:34], v[75:76], v[35:36]
	s_delay_alu instid0(VALU_DEP_2) | instskip(NEXT) | instid1(VALU_DEP_2)
	v_add_f64_e32 v[71:72], v[67:68], v[9:10]
	v_add_f64_e64 v[75:76], v[33:34], -v[75:76]
	s_delay_alu instid0(VALU_DEP_2) | instskip(SKIP_1) | instid1(VALU_DEP_3)
	v_add_f64_e32 v[73:74], v[33:34], v[71:72]
	v_add_f64_e64 v[67:68], v[71:72], -v[67:68]
	v_add_f64_e64 v[35:36], v[35:36], -v[75:76]
	s_delay_alu instid0(VALU_DEP_3) | instskip(NEXT) | instid1(VALU_DEP_3)
	v_add_f64_e64 v[77:78], v[73:74], -v[33:34]
	v_add_f64_e64 v[9:10], v[9:10], -v[67:68]
	s_delay_alu instid0(VALU_DEP_2) | instskip(SKIP_1) | instid1(VALU_DEP_3)
	v_add_f64_e64 v[79:80], v[73:74], -v[77:78]
	v_add_f64_e64 v[67:68], v[71:72], -v[77:78]
	v_add_f64_e32 v[71:72], v[35:36], v[9:10]
	s_delay_alu instid0(VALU_DEP_3) | instskip(NEXT) | instid1(VALU_DEP_1)
	v_add_f64_e64 v[33:34], v[33:34], -v[79:80]
	v_add_f64_e32 v[33:34], v[67:68], v[33:34]
	s_delay_alu instid0(VALU_DEP_3) | instskip(NEXT) | instid1(VALU_DEP_2)
	v_add_f64_e64 v[67:68], v[71:72], -v[35:36]
	v_add_f64_e32 v[33:34], v[71:72], v[33:34]
	s_delay_alu instid0(VALU_DEP_2) | instskip(SKIP_1) | instid1(VALU_DEP_3)
	v_add_f64_e64 v[71:72], v[71:72], -v[67:68]
	v_add_f64_e64 v[9:10], v[9:10], -v[67:68]
	v_add_f64_e32 v[75:76], v[73:74], v[33:34]
	s_delay_alu instid0(VALU_DEP_3) | instskip(NEXT) | instid1(VALU_DEP_2)
	v_add_f64_e64 v[35:36], v[35:36], -v[71:72]
	v_add_f64_e64 v[67:68], v[75:76], -v[73:74]
	s_delay_alu instid0(VALU_DEP_2) | instskip(NEXT) | instid1(VALU_DEP_2)
	v_add_f64_e32 v[9:10], v[9:10], v[35:36]
	v_add_f64_e64 v[33:34], v[33:34], -v[67:68]
	s_delay_alu instid0(VALU_DEP_1) | instskip(NEXT) | instid1(VALU_DEP_1)
	v_add_f64_e32 v[9:10], v[9:10], v[33:34]
	v_add_f64_e32 v[9:10], v[75:76], v[9:10]
	s_delay_alu instid0(VALU_DEP_1) | instskip(SKIP_1) | instid1(VALU_DEP_3)
	v_cndmask_b32_e32 v9, 0, v9, vcc_lo
	v_cmp_neq_f64_e32 vcc_lo, -1.0, v[5:6]
	v_cndmask_b32_e64 v10, 0x7ff00000, v10, s15
	s_wait_alu 0xf1ff
	s_delay_alu instid0(VALU_DEP_1) | instskip(SKIP_1) | instid1(VALU_DEP_1)
	v_cndmask_b32_e64 v10, 0x7ff80000, v10, s16
	s_wait_alu 0xfffd
	v_cndmask_b32_e32 v10, 0xfff00000, v10, vcc_lo
	s_delay_alu instid0(VALU_DEP_1)
	v_add_f64_e32 v[5:6], v[7:8], v[9:10]
.LBB71_50:
	s_wait_alu 0xfffe
	s_or_b32 exec_lo, exec_lo, s19
	v_max_num_f64_e32 v[33:34], v[43:44], v[43:44]
	s_delay_alu instid0(VALU_DEP_2) | instskip(SKIP_2) | instid1(VALU_DEP_3)
	v_max_num_f64_e32 v[7:8], v[5:6], v[5:6]
	v_cmp_u_f64_e32 vcc_lo, v[5:6], v[5:6]
	v_cmp_u_f64_e64 s15, v[43:44], v[43:44]
	v_min_num_f64_e32 v[9:10], v[7:8], v[33:34]
	v_max_num_f64_e32 v[7:8], v[7:8], v[33:34]
	s_wait_alu 0xfffd
	s_delay_alu instid0(VALU_DEP_2) | instskip(NEXT) | instid1(VALU_DEP_2)
	v_dual_cndmask_b32 v9, v9, v5 :: v_dual_cndmask_b32 v10, v10, v6
	v_dual_cndmask_b32 v8, v8, v6 :: v_dual_cndmask_b32 v7, v7, v5
	s_wait_alu 0xf1ff
	s_delay_alu instid0(VALU_DEP_2) | instskip(NEXT) | instid1(VALU_DEP_3)
	v_cndmask_b32_e64 v9, v9, v43, s15
	v_cndmask_b32_e64 v10, v10, v44, s15
	s_delay_alu instid0(VALU_DEP_3) | instskip(SKIP_1) | instid1(VALU_DEP_3)
	v_cndmask_b32_e64 v8, v8, v44, s15
	v_cndmask_b32_e64 v7, v7, v43, s15
	v_cmp_class_f64_e64 s16, v[9:10], 0x1f8
	s_delay_alu instid0(VALU_DEP_2)
	v_cmp_neq_f64_e32 vcc_lo, v[9:10], v[7:8]
	s_or_b32 s16, vcc_lo, s16
	s_wait_alu 0xfffe
	s_and_saveexec_b32 s19, s16
	s_cbranch_execz .LBB71_52
; %bb.51:
	v_add_f64_e64 v[5:6], v[9:10], -v[7:8]
	s_mov_b32 s16, 0x652b82fe
	s_mov_b32 s17, 0x3ff71547
	s_mov_b32 s21, 0xbfe62e42
	s_mov_b32 s20, 0xfefa39ef
	s_mov_b32 s43, 0xbc7abc9e
	s_mov_b32 s42, 0x3b39803f
	s_mov_b32 s44, 0x6a5dcb37
	s_mov_b32 s45, 0x3e5ade15
	s_mov_b32 s46, 0xbf559e2b
	s_mov_b32 s47, 0x3fc3ab76
	s_wait_alu 0xfffe
	s_delay_alu instid0(VALU_DEP_1) | instskip(SKIP_3) | instid1(VALU_DEP_2)
	v_mul_f64_e32 v[9:10], s[16:17], v[5:6]
	s_mov_b32 s16, 0xfca7ab0c
	s_mov_b32 s17, 0x3e928af3
	v_cmp_nlt_f64_e32 vcc_lo, 0x40900000, v[5:6]
	v_rndne_f64_e32 v[9:10], v[9:10]
	s_delay_alu instid0(VALU_DEP_1) | instskip(SKIP_2) | instid1(VALU_DEP_2)
	v_fma_f64 v[35:36], v[9:10], s[20:21], v[5:6]
	v_cvt_i32_f64_e32 v71, v[9:10]
	s_mov_b32 s21, 0x3fe62e42
	v_fma_f64 v[35:36], v[9:10], s[42:43], v[35:36]
	s_mov_b32 s43, 0x3c7abc9e
	s_wait_alu 0xfffe
	s_delay_alu instid0(VALU_DEP_1)
	v_fma_f64 v[67:68], v[35:36], s[44:45], s[16:17]
	s_mov_b32 s16, 0x623fde64
	s_mov_b32 s17, 0x3ec71dee
	;; [unrolled: 1-line block ×4, first 2 shown]
	s_wait_alu 0xfffe
	s_delay_alu instid0(VALU_DEP_1) | instskip(SKIP_3) | instid1(VALU_DEP_1)
	v_fma_f64 v[67:68], v[35:36], v[67:68], s[16:17]
	s_mov_b32 s16, 0x7c89e6b0
	s_mov_b32 s17, 0x3efa0199
	s_wait_alu 0xfffe
	v_fma_f64 v[67:68], v[35:36], v[67:68], s[16:17]
	s_mov_b32 s16, 0x14761f6e
	s_mov_b32 s17, 0x3f2a01a0
	s_wait_alu 0xfffe
	s_delay_alu instid0(VALU_DEP_1) | instskip(SKIP_3) | instid1(VALU_DEP_1)
	v_fma_f64 v[67:68], v[35:36], v[67:68], s[16:17]
	s_mov_b32 s16, 0x1852b7b0
	s_mov_b32 s17, 0x3f56c16c
	s_wait_alu 0xfffe
	v_fma_f64 v[67:68], v[35:36], v[67:68], s[16:17]
	s_mov_b32 s16, 0x11122322
	s_mov_b32 s17, 0x3f811111
	;; [unrolled: 9-line block ×3, first 2 shown]
	s_wait_alu 0xfffe
	s_delay_alu instid0(VALU_DEP_1) | instskip(SKIP_3) | instid1(VALU_DEP_1)
	v_fma_f64 v[67:68], v[35:36], v[67:68], s[16:17]
	s_mov_b32 s16, 11
	s_mov_b32 s17, 0x3fe00000
	s_wait_alu 0xfffe
	v_fma_f64 v[67:68], v[35:36], v[67:68], s[16:17]
	v_cmp_ngt_f64_e64 s16, 0xc090cc00, v[5:6]
	s_mov_b32 s17, 0x3fe55555
	v_fma_f64 v[67:68], v[35:36], v[67:68], 1.0
	s_delay_alu instid0(VALU_DEP_1) | instskip(NEXT) | instid1(VALU_DEP_1)
	v_fma_f64 v[9:10], v[35:36], v[67:68], 1.0
	v_ldexp_f64 v[9:10], v[9:10], v71
	s_wait_alu 0xfffd
	s_delay_alu instid0(VALU_DEP_1) | instskip(SKIP_2) | instid1(VALU_DEP_2)
	v_cndmask_b32_e32 v10, 0x7ff00000, v10, vcc_lo
	s_and_b32 vcc_lo, s16, vcc_lo
	s_wait_alu 0xfffe
	v_cndmask_b32_e32 v5, 0, v9, vcc_lo
	s_delay_alu instid0(VALU_DEP_2) | instskip(SKIP_1) | instid1(VALU_DEP_1)
	v_cndmask_b32_e64 v6, 0, v10, s16
	s_mov_b32 s16, 0x55555555
	v_add_f64_e32 v[9:10], 1.0, v[5:6]
	s_delay_alu instid0(VALU_DEP_1) | instskip(SKIP_3) | instid1(VALU_DEP_3)
	v_frexp_mant_f64_e32 v[35:36], v[9:10]
	v_frexp_exp_i32_f64_e32 v71, v[9:10]
	v_add_f64_e32 v[67:68], -1.0, v[9:10]
	s_wait_alu 0xfffe
	v_cmp_gt_f64_e32 vcc_lo, s[16:17], v[35:36]
	s_mov_b32 s16, 0x55555780
	s_delay_alu instid0(VALU_DEP_2) | instskip(SKIP_3) | instid1(VALU_DEP_3)
	v_add_f64_e64 v[35:36], v[67:68], -v[9:10]
	v_add_f64_e64 v[67:68], v[5:6], -v[67:68]
	s_wait_alu 0xfffd
	v_subrev_co_ci_u32_e64 v105, null, 0, v71, vcc_lo
	v_add_f64_e32 v[35:36], 1.0, v[35:36]
	v_cmp_nge_f64_e32 vcc_lo, -1.0, v[5:6]
	s_delay_alu instid0(VALU_DEP_3) | instskip(NEXT) | instid1(VALU_DEP_1)
	v_sub_nc_u32_e32 v73, 0, v105
	v_ldexp_f64 v[9:10], v[9:10], v73
	s_delay_alu instid0(VALU_DEP_4) | instskip(NEXT) | instid1(VALU_DEP_2)
	v_add_f64_e32 v[35:36], v[67:68], v[35:36]
	v_add_f64_e32 v[71:72], 1.0, v[9:10]
	v_add_f64_e32 v[77:78], -1.0, v[9:10]
	s_delay_alu instid0(VALU_DEP_3) | instskip(NEXT) | instid1(VALU_DEP_3)
	v_ldexp_f64 v[35:36], v[35:36], v73
	v_add_f64_e32 v[67:68], -1.0, v[71:72]
	s_delay_alu instid0(VALU_DEP_3) | instskip(NEXT) | instid1(VALU_DEP_2)
	v_add_f64_e32 v[79:80], 1.0, v[77:78]
	v_add_f64_e64 v[67:68], v[9:10], -v[67:68]
	s_delay_alu instid0(VALU_DEP_2) | instskip(NEXT) | instid1(VALU_DEP_2)
	v_add_f64_e64 v[9:10], v[9:10], -v[79:80]
	v_add_f64_e32 v[67:68], v[35:36], v[67:68]
	s_delay_alu instid0(VALU_DEP_2) | instskip(NEXT) | instid1(VALU_DEP_2)
	v_add_f64_e32 v[9:10], v[35:36], v[9:10]
	v_add_f64_e32 v[73:74], v[71:72], v[67:68]
	s_delay_alu instid0(VALU_DEP_2) | instskip(NEXT) | instid1(VALU_DEP_2)
	v_add_f64_e32 v[79:80], v[77:78], v[9:10]
	v_rcp_f64_e32 v[75:76], v[73:74]
	v_add_f64_e64 v[71:72], v[73:74], -v[71:72]
	s_delay_alu instid0(VALU_DEP_2) | instskip(NEXT) | instid1(VALU_DEP_2)
	v_add_f64_e64 v[77:78], v[79:80], -v[77:78]
	v_add_f64_e64 v[67:68], v[67:68], -v[71:72]
	s_delay_alu instid0(TRANS32_DEP_1) | instskip(NEXT) | instid1(VALU_DEP_3)
	v_fma_f64 v[81:82], -v[73:74], v[75:76], 1.0
	v_add_f64_e64 v[9:10], v[9:10], -v[77:78]
	s_delay_alu instid0(VALU_DEP_2) | instskip(NEXT) | instid1(VALU_DEP_1)
	v_fma_f64 v[75:76], v[81:82], v[75:76], v[75:76]
	v_fma_f64 v[35:36], -v[73:74], v[75:76], 1.0
	s_delay_alu instid0(VALU_DEP_1) | instskip(NEXT) | instid1(VALU_DEP_1)
	v_fma_f64 v[35:36], v[35:36], v[75:76], v[75:76]
	v_mul_f64_e32 v[75:76], v[79:80], v[35:36]
	s_delay_alu instid0(VALU_DEP_1) | instskip(NEXT) | instid1(VALU_DEP_1)
	v_mul_f64_e32 v[81:82], v[73:74], v[75:76]
	v_fma_f64 v[71:72], v[75:76], v[73:74], -v[81:82]
	s_delay_alu instid0(VALU_DEP_1) | instskip(NEXT) | instid1(VALU_DEP_1)
	v_fma_f64 v[71:72], v[75:76], v[67:68], v[71:72]
	v_add_f64_e32 v[101:102], v[81:82], v[71:72]
	s_delay_alu instid0(VALU_DEP_1) | instskip(SKIP_1) | instid1(VALU_DEP_2)
	v_add_f64_e64 v[103:104], v[79:80], -v[101:102]
	v_add_f64_e64 v[77:78], v[101:102], -v[81:82]
	;; [unrolled: 1-line block ×3, first 2 shown]
	s_delay_alu instid0(VALU_DEP_2) | instskip(NEXT) | instid1(VALU_DEP_2)
	v_add_f64_e64 v[71:72], v[77:78], -v[71:72]
	v_add_f64_e64 v[79:80], v[79:80], -v[101:102]
	s_delay_alu instid0(VALU_DEP_1) | instskip(NEXT) | instid1(VALU_DEP_1)
	v_add_f64_e32 v[9:10], v[9:10], v[79:80]
	v_add_f64_e32 v[9:10], v[71:72], v[9:10]
	s_delay_alu instid0(VALU_DEP_1) | instskip(NEXT) | instid1(VALU_DEP_1)
	v_add_f64_e32 v[71:72], v[103:104], v[9:10]
	v_mul_f64_e32 v[77:78], v[35:36], v[71:72]
	v_add_f64_e64 v[101:102], v[103:104], -v[71:72]
	s_delay_alu instid0(VALU_DEP_2) | instskip(NEXT) | instid1(VALU_DEP_2)
	v_mul_f64_e32 v[79:80], v[73:74], v[77:78]
	v_add_f64_e32 v[9:10], v[9:10], v[101:102]
	s_delay_alu instid0(VALU_DEP_2) | instskip(NEXT) | instid1(VALU_DEP_1)
	v_fma_f64 v[73:74], v[77:78], v[73:74], -v[79:80]
	v_fma_f64 v[67:68], v[77:78], v[67:68], v[73:74]
	s_delay_alu instid0(VALU_DEP_1) | instskip(NEXT) | instid1(VALU_DEP_1)
	v_add_f64_e32 v[73:74], v[79:80], v[67:68]
	v_add_f64_e64 v[81:82], v[71:72], -v[73:74]
	v_add_f64_e64 v[79:80], v[73:74], -v[79:80]
	s_delay_alu instid0(VALU_DEP_2) | instskip(NEXT) | instid1(VALU_DEP_2)
	v_add_f64_e64 v[71:72], v[71:72], -v[81:82]
	v_add_f64_e64 v[67:68], v[79:80], -v[67:68]
	s_delay_alu instid0(VALU_DEP_2) | instskip(NEXT) | instid1(VALU_DEP_1)
	v_add_f64_e64 v[71:72], v[71:72], -v[73:74]
	v_add_f64_e32 v[9:10], v[9:10], v[71:72]
	v_add_f64_e32 v[71:72], v[75:76], v[77:78]
	s_delay_alu instid0(VALU_DEP_2) | instskip(NEXT) | instid1(VALU_DEP_2)
	v_add_f64_e32 v[9:10], v[67:68], v[9:10]
	v_add_f64_e64 v[67:68], v[71:72], -v[75:76]
	s_delay_alu instid0(VALU_DEP_2) | instskip(NEXT) | instid1(VALU_DEP_2)
	v_add_f64_e32 v[9:10], v[81:82], v[9:10]
	v_add_f64_e64 v[67:68], v[77:78], -v[67:68]
	s_delay_alu instid0(VALU_DEP_2) | instskip(NEXT) | instid1(VALU_DEP_1)
	v_mul_f64_e32 v[9:10], v[35:36], v[9:10]
	v_add_f64_e32 v[9:10], v[67:68], v[9:10]
	s_delay_alu instid0(VALU_DEP_1) | instskip(NEXT) | instid1(VALU_DEP_1)
	v_add_f64_e32 v[35:36], v[71:72], v[9:10]
	v_mul_f64_e32 v[67:68], v[35:36], v[35:36]
	s_delay_alu instid0(VALU_DEP_1) | instskip(SKIP_4) | instid1(VALU_DEP_2)
	v_fma_f64 v[73:74], v[67:68], s[46:47], s[44:45]
	s_mov_b32 s44, 0xd7f4df2e
	s_mov_b32 s45, 0x3fc7474d
	v_mul_f64_e32 v[75:76], v[35:36], v[67:68]
	s_wait_alu 0xfffe
	v_fma_f64 v[73:74], v[67:68], v[73:74], s[44:45]
	s_mov_b32 s44, 0x16291751
	s_mov_b32 s45, 0x3fcc71c0
	s_wait_alu 0xfffe
	s_delay_alu instid0(VALU_DEP_1) | instskip(SKIP_3) | instid1(VALU_DEP_1)
	v_fma_f64 v[73:74], v[67:68], v[73:74], s[44:45]
	s_mov_b32 s44, 0x9b27acf1
	s_mov_b32 s45, 0x3fd24924
	s_wait_alu 0xfffe
	v_fma_f64 v[73:74], v[67:68], v[73:74], s[44:45]
	s_mov_b32 s44, 0x998ef7b6
	s_mov_b32 s45, 0x3fd99999
	s_wait_alu 0xfffe
	s_delay_alu instid0(VALU_DEP_1) | instskip(NEXT) | instid1(VALU_DEP_1)
	v_fma_f64 v[73:74], v[67:68], v[73:74], s[44:45]
	v_fma_f64 v[67:68], v[67:68], v[73:74], s[16:17]
	v_ldexp_f64 v[73:74], v[35:36], 1
	v_add_f64_e64 v[35:36], v[35:36], -v[71:72]
	v_cmp_neq_f64_e64 s16, 0x7ff00000, v[5:6]
	v_cmp_ngt_f64_e64 s17, -1.0, v[5:6]
	v_mul_f64_e32 v[67:68], v[75:76], v[67:68]
	v_cvt_f64_i32_e32 v[75:76], v105
	v_add_f64_e64 v[9:10], v[9:10], -v[35:36]
	s_and_b32 vcc_lo, vcc_lo, s16
	s_delay_alu instid0(VALU_DEP_3) | instskip(NEXT) | instid1(VALU_DEP_3)
	v_add_f64_e32 v[71:72], v[73:74], v[67:68]
	v_mul_f64_e32 v[77:78], s[20:21], v[75:76]
	s_delay_alu instid0(VALU_DEP_3) | instskip(NEXT) | instid1(VALU_DEP_3)
	v_ldexp_f64 v[9:10], v[9:10], 1
	v_add_f64_e64 v[35:36], v[71:72], -v[73:74]
	s_delay_alu instid0(VALU_DEP_3) | instskip(NEXT) | instid1(VALU_DEP_2)
	v_fma_f64 v[73:74], v[75:76], s[20:21], -v[77:78]
	v_add_f64_e64 v[35:36], v[67:68], -v[35:36]
	s_delay_alu instid0(VALU_DEP_2) | instskip(NEXT) | instid1(VALU_DEP_2)
	v_fma_f64 v[67:68], v[75:76], s[42:43], v[73:74]
	v_add_f64_e32 v[9:10], v[9:10], v[35:36]
	s_delay_alu instid0(VALU_DEP_2) | instskip(NEXT) | instid1(VALU_DEP_2)
	v_add_f64_e32 v[35:36], v[77:78], v[67:68]
	v_add_f64_e32 v[73:74], v[71:72], v[9:10]
	s_delay_alu instid0(VALU_DEP_2) | instskip(NEXT) | instid1(VALU_DEP_2)
	v_add_f64_e64 v[77:78], v[35:36], -v[77:78]
	v_add_f64_e32 v[75:76], v[35:36], v[73:74]
	v_add_f64_e64 v[71:72], v[73:74], -v[71:72]
	s_delay_alu instid0(VALU_DEP_3) | instskip(NEXT) | instid1(VALU_DEP_3)
	v_add_f64_e64 v[67:68], v[67:68], -v[77:78]
	v_add_f64_e64 v[79:80], v[75:76], -v[35:36]
	s_delay_alu instid0(VALU_DEP_3) | instskip(NEXT) | instid1(VALU_DEP_2)
	v_add_f64_e64 v[9:10], v[9:10], -v[71:72]
	v_add_f64_e64 v[81:82], v[75:76], -v[79:80]
	v_add_f64_e64 v[71:72], v[73:74], -v[79:80]
	s_delay_alu instid0(VALU_DEP_3) | instskip(NEXT) | instid1(VALU_DEP_3)
	v_add_f64_e32 v[73:74], v[67:68], v[9:10]
	v_add_f64_e64 v[35:36], v[35:36], -v[81:82]
	s_delay_alu instid0(VALU_DEP_1) | instskip(NEXT) | instid1(VALU_DEP_3)
	v_add_f64_e32 v[35:36], v[71:72], v[35:36]
	v_add_f64_e64 v[71:72], v[73:74], -v[67:68]
	s_delay_alu instid0(VALU_DEP_2) | instskip(NEXT) | instid1(VALU_DEP_2)
	v_add_f64_e32 v[35:36], v[73:74], v[35:36]
	v_add_f64_e64 v[73:74], v[73:74], -v[71:72]
	v_add_f64_e64 v[9:10], v[9:10], -v[71:72]
	s_delay_alu instid0(VALU_DEP_3) | instskip(NEXT) | instid1(VALU_DEP_3)
	v_add_f64_e32 v[77:78], v[75:76], v[35:36]
	v_add_f64_e64 v[67:68], v[67:68], -v[73:74]
	s_delay_alu instid0(VALU_DEP_2) | instskip(NEXT) | instid1(VALU_DEP_2)
	v_add_f64_e64 v[71:72], v[77:78], -v[75:76]
	v_add_f64_e32 v[9:10], v[9:10], v[67:68]
	s_delay_alu instid0(VALU_DEP_2) | instskip(NEXT) | instid1(VALU_DEP_1)
	v_add_f64_e64 v[35:36], v[35:36], -v[71:72]
	v_add_f64_e32 v[9:10], v[9:10], v[35:36]
	s_delay_alu instid0(VALU_DEP_1) | instskip(SKIP_1) | instid1(VALU_DEP_1)
	v_add_f64_e32 v[9:10], v[77:78], v[9:10]
	s_wait_alu 0xfffe
	v_cndmask_b32_e32 v9, 0, v9, vcc_lo
	v_cmp_neq_f64_e32 vcc_lo, -1.0, v[5:6]
	s_delay_alu instid0(VALU_DEP_3) | instskip(NEXT) | instid1(VALU_DEP_1)
	v_cndmask_b32_e64 v10, 0x7ff00000, v10, s16
	v_cndmask_b32_e64 v10, 0x7ff80000, v10, s17
	s_wait_alu 0xfffd
	s_delay_alu instid0(VALU_DEP_1) | instskip(NEXT) | instid1(VALU_DEP_1)
	v_cndmask_b32_e32 v10, 0xfff00000, v10, vcc_lo
	v_add_f64_e32 v[5:6], v[7:8], v[9:10]
.LBB71_52:
	s_wait_alu 0xfffe
	s_or_b32 exec_lo, exec_lo, s19
	v_max_num_f64_e32 v[35:36], v[37:38], v[37:38]
	s_delay_alu instid0(VALU_DEP_2) | instskip(SKIP_2) | instid1(VALU_DEP_3)
	v_max_num_f64_e32 v[7:8], v[5:6], v[5:6]
	v_cmp_u_f64_e32 vcc_lo, v[5:6], v[5:6]
	v_cmp_u_f64_e64 s16, v[37:38], v[37:38]
	v_min_num_f64_e32 v[9:10], v[7:8], v[35:36]
	v_max_num_f64_e32 v[7:8], v[7:8], v[35:36]
	s_wait_alu 0xfffd
	s_delay_alu instid0(VALU_DEP_2) | instskip(NEXT) | instid1(VALU_DEP_2)
	v_dual_cndmask_b32 v9, v9, v5 :: v_dual_cndmask_b32 v10, v10, v6
	v_dual_cndmask_b32 v8, v8, v6 :: v_dual_cndmask_b32 v7, v7, v5
	s_wait_alu 0xf1ff
	s_delay_alu instid0(VALU_DEP_2) | instskip(NEXT) | instid1(VALU_DEP_3)
	v_cndmask_b32_e64 v9, v9, v37, s16
	v_cndmask_b32_e64 v10, v10, v38, s16
	s_delay_alu instid0(VALU_DEP_3) | instskip(SKIP_1) | instid1(VALU_DEP_3)
	v_cndmask_b32_e64 v8, v8, v38, s16
	v_cndmask_b32_e64 v7, v7, v37, s16
	v_cmp_class_f64_e64 s17, v[9:10], 0x1f8
	s_delay_alu instid0(VALU_DEP_2)
	v_cmp_neq_f64_e32 vcc_lo, v[9:10], v[7:8]
	s_or_b32 s17, vcc_lo, s17
	s_wait_alu 0xfffe
	s_and_saveexec_b32 s46, s17
	s_cbranch_execz .LBB71_54
; %bb.53:
	v_add_f64_e64 v[5:6], v[9:10], -v[7:8]
	s_mov_b32 s20, 0x652b82fe
	s_mov_b32 s21, 0x3ff71547
	;; [unrolled: 1-line block ×10, first 2 shown]
	s_wait_alu 0xfffe
	s_delay_alu instid0(VALU_DEP_1) | instskip(SKIP_4) | instid1(VALU_DEP_3)
	v_mul_f64_e32 v[9:10], s[20:21], v[5:6]
	s_mov_b32 s21, 0xbfe62e42
	s_mov_b32 s20, 0xfefa39ef
	v_cmp_nlt_f64_e32 vcc_lo, 0x40900000, v[5:6]
	v_cmp_ngt_f64_e64 s17, 0xc090cc00, v[5:6]
	v_rndne_f64_e32 v[9:10], v[9:10]
	s_wait_alu 0xfffe
	s_delay_alu instid0(VALU_DEP_1) | instskip(SKIP_2) | instid1(VALU_DEP_2)
	v_fma_f64 v[67:68], v[9:10], s[20:21], v[5:6]
	v_cvt_i32_f64_e32 v73, v[9:10]
	s_mov_b32 s21, 0x3fe62e42
	v_fma_f64 v[67:68], v[9:10], s[42:43], v[67:68]
	s_mov_b32 s43, 0x3c7abc9e
	s_delay_alu instid0(VALU_DEP_1)
	v_fma_f64 v[71:72], v[67:68], s[48:49], s[44:45]
	s_mov_b32 s44, 0x623fde64
	s_mov_b32 s45, 0x3ec71dee
	;; [unrolled: 1-line block ×4, first 2 shown]
	s_wait_alu 0xfffe
	s_delay_alu instid0(VALU_DEP_1) | instskip(SKIP_3) | instid1(VALU_DEP_1)
	v_fma_f64 v[71:72], v[67:68], v[71:72], s[44:45]
	s_mov_b32 s44, 0x7c89e6b0
	s_mov_b32 s45, 0x3efa0199
	s_wait_alu 0xfffe
	v_fma_f64 v[71:72], v[67:68], v[71:72], s[44:45]
	s_mov_b32 s44, 0x14761f6e
	s_mov_b32 s45, 0x3f2a01a0
	s_wait_alu 0xfffe
	s_delay_alu instid0(VALU_DEP_1) | instskip(SKIP_3) | instid1(VALU_DEP_1)
	v_fma_f64 v[71:72], v[67:68], v[71:72], s[44:45]
	s_mov_b32 s44, 0x1852b7b0
	s_mov_b32 s45, 0x3f56c16c
	s_wait_alu 0xfffe
	v_fma_f64 v[71:72], v[67:68], v[71:72], s[44:45]
	s_mov_b32 s44, 0x11122322
	s_mov_b32 s45, 0x3f811111
	;; [unrolled: 9-line block ×4, first 2 shown]
	s_delay_alu instid0(VALU_DEP_1) | instskip(NEXT) | instid1(VALU_DEP_1)
	v_fma_f64 v[71:72], v[67:68], v[71:72], 1.0
	v_fma_f64 v[9:10], v[67:68], v[71:72], 1.0
	s_delay_alu instid0(VALU_DEP_1) | instskip(SKIP_1) | instid1(VALU_DEP_1)
	v_ldexp_f64 v[9:10], v[9:10], v73
	s_wait_alu 0xfffd
	v_cndmask_b32_e32 v10, 0x7ff00000, v10, vcc_lo
	s_and_b32 vcc_lo, s17, vcc_lo
	s_wait_alu 0xfffe
	s_delay_alu instid0(VALU_DEP_2) | instskip(NEXT) | instid1(VALU_DEP_2)
	v_cndmask_b32_e32 v5, 0, v9, vcc_lo
	v_cndmask_b32_e64 v6, 0, v10, s17
	s_delay_alu instid0(VALU_DEP_1) | instskip(SKIP_2) | instid1(VALU_DEP_3)
	v_add_f64_e32 v[9:10], 1.0, v[5:6]
	v_cmp_neq_f64_e64 s17, 0x7ff00000, v[5:6]
	v_cmp_ngt_f64_e64 s19, -1.0, v[5:6]
	v_frexp_mant_f64_e32 v[67:68], v[9:10]
	v_frexp_exp_i32_f64_e32 v73, v[9:10]
	v_add_f64_e32 v[71:72], -1.0, v[9:10]
	s_delay_alu instid0(VALU_DEP_3) | instskip(SKIP_1) | instid1(VALU_DEP_2)
	v_cmp_gt_f64_e32 vcc_lo, s[44:45], v[67:68]
	s_mov_b32 s44, 0x55555780
	v_add_f64_e64 v[67:68], v[71:72], -v[9:10]
	v_add_f64_e64 v[71:72], v[5:6], -v[71:72]
	s_wait_alu 0xfffd
	v_subrev_co_ci_u32_e64 v107, null, 0, v73, vcc_lo
	s_delay_alu instid0(VALU_DEP_3) | instskip(SKIP_1) | instid1(VALU_DEP_3)
	v_add_f64_e32 v[67:68], 1.0, v[67:68]
	v_cmp_nge_f64_e32 vcc_lo, -1.0, v[5:6]
	v_sub_nc_u32_e32 v75, 0, v107
	s_delay_alu instid0(VALU_DEP_1) | instskip(NEXT) | instid1(VALU_DEP_4)
	v_ldexp_f64 v[9:10], v[9:10], v75
	v_add_f64_e32 v[67:68], v[71:72], v[67:68]
	s_and_b32 vcc_lo, vcc_lo, s17
	s_delay_alu instid0(VALU_DEP_2) | instskip(SKIP_1) | instid1(VALU_DEP_3)
	v_add_f64_e32 v[73:74], 1.0, v[9:10]
	v_add_f64_e32 v[79:80], -1.0, v[9:10]
	v_ldexp_f64 v[67:68], v[67:68], v75
	s_delay_alu instid0(VALU_DEP_3) | instskip(NEXT) | instid1(VALU_DEP_3)
	v_add_f64_e32 v[71:72], -1.0, v[73:74]
	v_add_f64_e32 v[81:82], 1.0, v[79:80]
	s_delay_alu instid0(VALU_DEP_2) | instskip(NEXT) | instid1(VALU_DEP_2)
	v_add_f64_e64 v[71:72], v[9:10], -v[71:72]
	v_add_f64_e64 v[9:10], v[9:10], -v[81:82]
	s_delay_alu instid0(VALU_DEP_2) | instskip(NEXT) | instid1(VALU_DEP_2)
	v_add_f64_e32 v[71:72], v[67:68], v[71:72]
	v_add_f64_e32 v[9:10], v[67:68], v[9:10]
	s_delay_alu instid0(VALU_DEP_2) | instskip(NEXT) | instid1(VALU_DEP_2)
	v_add_f64_e32 v[75:76], v[73:74], v[71:72]
	v_add_f64_e32 v[81:82], v[79:80], v[9:10]
	s_delay_alu instid0(VALU_DEP_2) | instskip(SKIP_1) | instid1(VALU_DEP_2)
	v_rcp_f64_e32 v[77:78], v[75:76]
	v_add_f64_e64 v[73:74], v[75:76], -v[73:74]
	v_add_f64_e64 v[79:80], v[81:82], -v[79:80]
	s_delay_alu instid0(VALU_DEP_2) | instskip(NEXT) | instid1(TRANS32_DEP_1)
	v_add_f64_e64 v[71:72], v[71:72], -v[73:74]
	v_fma_f64 v[101:102], -v[75:76], v[77:78], 1.0
	s_delay_alu instid0(VALU_DEP_3) | instskip(NEXT) | instid1(VALU_DEP_2)
	v_add_f64_e64 v[9:10], v[9:10], -v[79:80]
	v_fma_f64 v[77:78], v[101:102], v[77:78], v[77:78]
	s_delay_alu instid0(VALU_DEP_1) | instskip(NEXT) | instid1(VALU_DEP_1)
	v_fma_f64 v[67:68], -v[75:76], v[77:78], 1.0
	v_fma_f64 v[67:68], v[67:68], v[77:78], v[77:78]
	s_delay_alu instid0(VALU_DEP_1) | instskip(NEXT) | instid1(VALU_DEP_1)
	v_mul_f64_e32 v[77:78], v[81:82], v[67:68]
	v_mul_f64_e32 v[101:102], v[75:76], v[77:78]
	s_delay_alu instid0(VALU_DEP_1) | instskip(NEXT) | instid1(VALU_DEP_1)
	v_fma_f64 v[73:74], v[77:78], v[75:76], -v[101:102]
	v_fma_f64 v[73:74], v[77:78], v[71:72], v[73:74]
	s_delay_alu instid0(VALU_DEP_1) | instskip(NEXT) | instid1(VALU_DEP_1)
	v_add_f64_e32 v[103:104], v[101:102], v[73:74]
	v_add_f64_e64 v[105:106], v[81:82], -v[103:104]
	v_add_f64_e64 v[79:80], v[103:104], -v[101:102]
	s_delay_alu instid0(VALU_DEP_2) | instskip(NEXT) | instid1(VALU_DEP_2)
	v_add_f64_e64 v[81:82], v[81:82], -v[105:106]
	v_add_f64_e64 v[73:74], v[79:80], -v[73:74]
	s_delay_alu instid0(VALU_DEP_2) | instskip(NEXT) | instid1(VALU_DEP_1)
	v_add_f64_e64 v[81:82], v[81:82], -v[103:104]
	v_add_f64_e32 v[9:10], v[9:10], v[81:82]
	s_delay_alu instid0(VALU_DEP_1) | instskip(NEXT) | instid1(VALU_DEP_1)
	v_add_f64_e32 v[9:10], v[73:74], v[9:10]
	v_add_f64_e32 v[73:74], v[105:106], v[9:10]
	s_delay_alu instid0(VALU_DEP_1) | instskip(SKIP_1) | instid1(VALU_DEP_2)
	v_mul_f64_e32 v[79:80], v[67:68], v[73:74]
	v_add_f64_e64 v[103:104], v[105:106], -v[73:74]
	v_mul_f64_e32 v[81:82], v[75:76], v[79:80]
	s_delay_alu instid0(VALU_DEP_2) | instskip(NEXT) | instid1(VALU_DEP_2)
	v_add_f64_e32 v[9:10], v[9:10], v[103:104]
	v_fma_f64 v[75:76], v[79:80], v[75:76], -v[81:82]
	s_delay_alu instid0(VALU_DEP_1) | instskip(NEXT) | instid1(VALU_DEP_1)
	v_fma_f64 v[71:72], v[79:80], v[71:72], v[75:76]
	v_add_f64_e32 v[75:76], v[81:82], v[71:72]
	s_delay_alu instid0(VALU_DEP_1) | instskip(SKIP_1) | instid1(VALU_DEP_2)
	v_add_f64_e64 v[101:102], v[73:74], -v[75:76]
	v_add_f64_e64 v[81:82], v[75:76], -v[81:82]
	;; [unrolled: 1-line block ×3, first 2 shown]
	s_delay_alu instid0(VALU_DEP_2) | instskip(NEXT) | instid1(VALU_DEP_2)
	v_add_f64_e64 v[71:72], v[81:82], -v[71:72]
	v_add_f64_e64 v[73:74], v[73:74], -v[75:76]
	s_delay_alu instid0(VALU_DEP_1) | instskip(SKIP_1) | instid1(VALU_DEP_2)
	v_add_f64_e32 v[9:10], v[9:10], v[73:74]
	v_add_f64_e32 v[73:74], v[77:78], v[79:80]
	;; [unrolled: 1-line block ×3, first 2 shown]
	s_delay_alu instid0(VALU_DEP_2) | instskip(NEXT) | instid1(VALU_DEP_2)
	v_add_f64_e64 v[71:72], v[73:74], -v[77:78]
	v_add_f64_e32 v[9:10], v[101:102], v[9:10]
	s_delay_alu instid0(VALU_DEP_2) | instskip(NEXT) | instid1(VALU_DEP_2)
	v_add_f64_e64 v[71:72], v[79:80], -v[71:72]
	v_mul_f64_e32 v[9:10], v[67:68], v[9:10]
	s_delay_alu instid0(VALU_DEP_1) | instskip(NEXT) | instid1(VALU_DEP_1)
	v_add_f64_e32 v[9:10], v[71:72], v[9:10]
	v_add_f64_e32 v[67:68], v[73:74], v[9:10]
	s_delay_alu instid0(VALU_DEP_1) | instskip(NEXT) | instid1(VALU_DEP_1)
	v_mul_f64_e32 v[71:72], v[67:68], v[67:68]
	v_fma_f64 v[75:76], v[71:72], s[50:51], s[48:49]
	s_mov_b32 s48, 0xd7f4df2e
	s_mov_b32 s49, 0x3fc7474d
	v_mul_f64_e32 v[77:78], v[67:68], v[71:72]
	s_wait_alu 0xfffe
	s_delay_alu instid0(VALU_DEP_2) | instskip(SKIP_3) | instid1(VALU_DEP_1)
	v_fma_f64 v[75:76], v[71:72], v[75:76], s[48:49]
	s_mov_b32 s48, 0x16291751
	s_mov_b32 s49, 0x3fcc71c0
	s_wait_alu 0xfffe
	v_fma_f64 v[75:76], v[71:72], v[75:76], s[48:49]
	s_mov_b32 s48, 0x9b27acf1
	s_mov_b32 s49, 0x3fd24924
	s_wait_alu 0xfffe
	s_delay_alu instid0(VALU_DEP_1) | instskip(SKIP_3) | instid1(VALU_DEP_1)
	v_fma_f64 v[75:76], v[71:72], v[75:76], s[48:49]
	s_mov_b32 s48, 0x998ef7b6
	s_mov_b32 s49, 0x3fd99999
	s_wait_alu 0xfffe
	v_fma_f64 v[75:76], v[71:72], v[75:76], s[48:49]
	s_delay_alu instid0(VALU_DEP_1) | instskip(SKIP_2) | instid1(VALU_DEP_3)
	v_fma_f64 v[71:72], v[71:72], v[75:76], s[44:45]
	v_ldexp_f64 v[75:76], v[67:68], 1
	v_add_f64_e64 v[67:68], v[67:68], -v[73:74]
	v_mul_f64_e32 v[71:72], v[77:78], v[71:72]
	v_cvt_f64_i32_e32 v[77:78], v107
	s_delay_alu instid0(VALU_DEP_3) | instskip(NEXT) | instid1(VALU_DEP_3)
	v_add_f64_e64 v[9:10], v[9:10], -v[67:68]
	v_add_f64_e32 v[73:74], v[75:76], v[71:72]
	s_delay_alu instid0(VALU_DEP_3) | instskip(NEXT) | instid1(VALU_DEP_3)
	v_mul_f64_e32 v[79:80], s[20:21], v[77:78]
	v_ldexp_f64 v[9:10], v[9:10], 1
	s_delay_alu instid0(VALU_DEP_3) | instskip(NEXT) | instid1(VALU_DEP_3)
	v_add_f64_e64 v[67:68], v[73:74], -v[75:76]
	v_fma_f64 v[75:76], v[77:78], s[20:21], -v[79:80]
	s_delay_alu instid0(VALU_DEP_2) | instskip(NEXT) | instid1(VALU_DEP_2)
	v_add_f64_e64 v[67:68], v[71:72], -v[67:68]
	v_fma_f64 v[71:72], v[77:78], s[42:43], v[75:76]
	s_delay_alu instid0(VALU_DEP_2) | instskip(NEXT) | instid1(VALU_DEP_2)
	v_add_f64_e32 v[9:10], v[9:10], v[67:68]
	v_add_f64_e32 v[67:68], v[79:80], v[71:72]
	s_delay_alu instid0(VALU_DEP_2) | instskip(NEXT) | instid1(VALU_DEP_2)
	v_add_f64_e32 v[75:76], v[73:74], v[9:10]
	v_add_f64_e64 v[79:80], v[67:68], -v[79:80]
	s_delay_alu instid0(VALU_DEP_2) | instskip(SKIP_1) | instid1(VALU_DEP_3)
	v_add_f64_e32 v[77:78], v[67:68], v[75:76]
	v_add_f64_e64 v[73:74], v[75:76], -v[73:74]
	v_add_f64_e64 v[71:72], v[71:72], -v[79:80]
	s_delay_alu instid0(VALU_DEP_3) | instskip(NEXT) | instid1(VALU_DEP_3)
	v_add_f64_e64 v[81:82], v[77:78], -v[67:68]
	v_add_f64_e64 v[9:10], v[9:10], -v[73:74]
	s_delay_alu instid0(VALU_DEP_2) | instskip(SKIP_1) | instid1(VALU_DEP_3)
	v_add_f64_e64 v[101:102], v[77:78], -v[81:82]
	v_add_f64_e64 v[73:74], v[75:76], -v[81:82]
	v_add_f64_e32 v[75:76], v[71:72], v[9:10]
	s_delay_alu instid0(VALU_DEP_3) | instskip(NEXT) | instid1(VALU_DEP_1)
	v_add_f64_e64 v[67:68], v[67:68], -v[101:102]
	v_add_f64_e32 v[67:68], v[73:74], v[67:68]
	s_delay_alu instid0(VALU_DEP_3) | instskip(NEXT) | instid1(VALU_DEP_2)
	v_add_f64_e64 v[73:74], v[75:76], -v[71:72]
	v_add_f64_e32 v[67:68], v[75:76], v[67:68]
	s_delay_alu instid0(VALU_DEP_2) | instskip(SKIP_1) | instid1(VALU_DEP_3)
	v_add_f64_e64 v[75:76], v[75:76], -v[73:74]
	v_add_f64_e64 v[9:10], v[9:10], -v[73:74]
	v_add_f64_e32 v[79:80], v[77:78], v[67:68]
	s_delay_alu instid0(VALU_DEP_3) | instskip(NEXT) | instid1(VALU_DEP_2)
	v_add_f64_e64 v[71:72], v[71:72], -v[75:76]
	v_add_f64_e64 v[73:74], v[79:80], -v[77:78]
	s_delay_alu instid0(VALU_DEP_2) | instskip(NEXT) | instid1(VALU_DEP_2)
	v_add_f64_e32 v[9:10], v[9:10], v[71:72]
	v_add_f64_e64 v[67:68], v[67:68], -v[73:74]
	s_delay_alu instid0(VALU_DEP_1) | instskip(NEXT) | instid1(VALU_DEP_1)
	v_add_f64_e32 v[9:10], v[9:10], v[67:68]
	v_add_f64_e32 v[9:10], v[79:80], v[9:10]
	s_delay_alu instid0(VALU_DEP_1) | instskip(SKIP_1) | instid1(VALU_DEP_3)
	v_cndmask_b32_e32 v9, 0, v9, vcc_lo
	v_cmp_neq_f64_e32 vcc_lo, -1.0, v[5:6]
	v_cndmask_b32_e64 v10, 0x7ff00000, v10, s17
	s_delay_alu instid0(VALU_DEP_1) | instskip(SKIP_1) | instid1(VALU_DEP_1)
	v_cndmask_b32_e64 v10, 0x7ff80000, v10, s19
	s_wait_alu 0xfffd
	v_cndmask_b32_e32 v10, 0xfff00000, v10, vcc_lo
	s_delay_alu instid0(VALU_DEP_1)
	v_add_f64_e32 v[5:6], v[7:8], v[9:10]
.LBB71_54:
	s_wait_alu 0xfffe
	s_or_b32 exec_lo, exec_lo, s46
	v_max_num_f64_e32 v[67:68], v[39:40], v[39:40]
	s_delay_alu instid0(VALU_DEP_2) | instskip(SKIP_2) | instid1(VALU_DEP_3)
	v_max_num_f64_e32 v[7:8], v[5:6], v[5:6]
	v_cmp_u_f64_e32 vcc_lo, v[5:6], v[5:6]
	v_cmp_u_f64_e64 s17, v[39:40], v[39:40]
	v_min_num_f64_e32 v[9:10], v[7:8], v[67:68]
	v_max_num_f64_e32 v[7:8], v[7:8], v[67:68]
	s_wait_alu 0xfffd
	s_delay_alu instid0(VALU_DEP_2) | instskip(NEXT) | instid1(VALU_DEP_2)
	v_dual_cndmask_b32 v9, v9, v5 :: v_dual_cndmask_b32 v10, v10, v6
	v_dual_cndmask_b32 v8, v8, v6 :: v_dual_cndmask_b32 v7, v7, v5
	s_wait_alu 0xf1ff
	s_delay_alu instid0(VALU_DEP_2) | instskip(NEXT) | instid1(VALU_DEP_3)
	v_cndmask_b32_e64 v9, v9, v39, s17
	v_cndmask_b32_e64 v10, v10, v40, s17
	s_delay_alu instid0(VALU_DEP_3) | instskip(SKIP_1) | instid1(VALU_DEP_3)
	v_cndmask_b32_e64 v8, v8, v40, s17
	v_cndmask_b32_e64 v7, v7, v39, s17
	v_cmp_class_f64_e64 s19, v[9:10], 0x1f8
	s_delay_alu instid0(VALU_DEP_2)
	v_cmp_neq_f64_e32 vcc_lo, v[9:10], v[7:8]
	s_or_b32 s19, vcc_lo, s19
	s_wait_alu 0xfffe
	s_and_saveexec_b32 s46, s19
	s_cbranch_execz .LBB71_56
; %bb.55:
	v_add_f64_e64 v[5:6], v[9:10], -v[7:8]
	s_mov_b32 s20, 0x652b82fe
	s_mov_b32 s21, 0x3ff71547
	s_mov_b32 s43, 0xbc7abc9e
	s_mov_b32 s42, 0x3b39803f
	s_mov_b32 s44, 0xfca7ab0c
	s_mov_b32 s48, 0x6a5dcb37
	s_mov_b32 s45, 0x3e928af3
	s_mov_b32 s49, 0x3e5ade15
	s_mov_b32 s50, 0xbf559e2b
	s_mov_b32 s51, 0x3fc3ab76
	s_wait_alu 0xfffe
	s_delay_alu instid0(VALU_DEP_1) | instskip(SKIP_4) | instid1(VALU_DEP_3)
	v_mul_f64_e32 v[9:10], s[20:21], v[5:6]
	s_mov_b32 s21, 0xbfe62e42
	s_mov_b32 s20, 0xfefa39ef
	v_cmp_nlt_f64_e32 vcc_lo, 0x40900000, v[5:6]
	v_cmp_ngt_f64_e64 s19, 0xc090cc00, v[5:6]
	v_rndne_f64_e32 v[9:10], v[9:10]
	s_wait_alu 0xfffe
	s_delay_alu instid0(VALU_DEP_1) | instskip(SKIP_2) | instid1(VALU_DEP_2)
	v_fma_f64 v[71:72], v[9:10], s[20:21], v[5:6]
	v_cvt_i32_f64_e32 v75, v[9:10]
	s_mov_b32 s21, 0x3fe62e42
	v_fma_f64 v[71:72], v[9:10], s[42:43], v[71:72]
	s_mov_b32 s43, 0x3c7abc9e
	s_delay_alu instid0(VALU_DEP_1)
	v_fma_f64 v[73:74], v[71:72], s[48:49], s[44:45]
	s_mov_b32 s44, 0x623fde64
	s_mov_b32 s45, 0x3ec71dee
	;; [unrolled: 1-line block ×4, first 2 shown]
	s_wait_alu 0xfffe
	s_delay_alu instid0(VALU_DEP_1) | instskip(SKIP_3) | instid1(VALU_DEP_1)
	v_fma_f64 v[73:74], v[71:72], v[73:74], s[44:45]
	s_mov_b32 s44, 0x7c89e6b0
	s_mov_b32 s45, 0x3efa0199
	s_wait_alu 0xfffe
	v_fma_f64 v[73:74], v[71:72], v[73:74], s[44:45]
	s_mov_b32 s44, 0x14761f6e
	s_mov_b32 s45, 0x3f2a01a0
	s_wait_alu 0xfffe
	s_delay_alu instid0(VALU_DEP_1) | instskip(SKIP_3) | instid1(VALU_DEP_1)
	v_fma_f64 v[73:74], v[71:72], v[73:74], s[44:45]
	s_mov_b32 s44, 0x1852b7b0
	s_mov_b32 s45, 0x3f56c16c
	s_wait_alu 0xfffe
	v_fma_f64 v[73:74], v[71:72], v[73:74], s[44:45]
	s_mov_b32 s44, 0x11122322
	s_mov_b32 s45, 0x3f811111
	;; [unrolled: 9-line block ×4, first 2 shown]
	s_delay_alu instid0(VALU_DEP_1) | instskip(NEXT) | instid1(VALU_DEP_1)
	v_fma_f64 v[73:74], v[71:72], v[73:74], 1.0
	v_fma_f64 v[9:10], v[71:72], v[73:74], 1.0
	s_delay_alu instid0(VALU_DEP_1) | instskip(SKIP_1) | instid1(VALU_DEP_1)
	v_ldexp_f64 v[9:10], v[9:10], v75
	s_wait_alu 0xfffd
	v_cndmask_b32_e32 v10, 0x7ff00000, v10, vcc_lo
	s_and_b32 vcc_lo, s19, vcc_lo
	s_wait_alu 0xfffe
	s_delay_alu instid0(VALU_DEP_2) | instskip(NEXT) | instid1(VALU_DEP_2)
	v_cndmask_b32_e32 v5, 0, v9, vcc_lo
	v_cndmask_b32_e64 v6, 0, v10, s19
	s_delay_alu instid0(VALU_DEP_1) | instskip(SKIP_1) | instid1(VALU_DEP_2)
	v_add_f64_e32 v[9:10], 1.0, v[5:6]
	v_cmp_neq_f64_e64 s19, 0x7ff00000, v[5:6]
	v_frexp_mant_f64_e32 v[71:72], v[9:10]
	v_frexp_exp_i32_f64_e32 v75, v[9:10]
	v_add_f64_e32 v[73:74], -1.0, v[9:10]
	s_delay_alu instid0(VALU_DEP_3) | instskip(SKIP_1) | instid1(VALU_DEP_2)
	v_cmp_gt_f64_e32 vcc_lo, s[44:45], v[71:72]
	s_mov_b32 s44, 0x55555780
	v_add_f64_e64 v[71:72], v[73:74], -v[9:10]
	v_add_f64_e64 v[73:74], v[5:6], -v[73:74]
	s_wait_alu 0xfffd
	v_subrev_co_ci_u32_e64 v109, null, 0, v75, vcc_lo
	s_delay_alu instid0(VALU_DEP_3) | instskip(SKIP_1) | instid1(VALU_DEP_3)
	v_add_f64_e32 v[71:72], 1.0, v[71:72]
	v_cmp_nge_f64_e32 vcc_lo, -1.0, v[5:6]
	v_sub_nc_u32_e32 v77, 0, v109
	s_delay_alu instid0(VALU_DEP_1) | instskip(NEXT) | instid1(VALU_DEP_4)
	v_ldexp_f64 v[9:10], v[9:10], v77
	v_add_f64_e32 v[71:72], v[73:74], v[71:72]
	s_and_b32 vcc_lo, vcc_lo, s19
	s_delay_alu instid0(VALU_DEP_2) | instskip(SKIP_1) | instid1(VALU_DEP_3)
	v_add_f64_e32 v[75:76], 1.0, v[9:10]
	v_add_f64_e32 v[81:82], -1.0, v[9:10]
	v_ldexp_f64 v[71:72], v[71:72], v77
	s_delay_alu instid0(VALU_DEP_3) | instskip(NEXT) | instid1(VALU_DEP_3)
	v_add_f64_e32 v[73:74], -1.0, v[75:76]
	v_add_f64_e32 v[101:102], 1.0, v[81:82]
	s_delay_alu instid0(VALU_DEP_2) | instskip(NEXT) | instid1(VALU_DEP_2)
	v_add_f64_e64 v[73:74], v[9:10], -v[73:74]
	v_add_f64_e64 v[9:10], v[9:10], -v[101:102]
	s_delay_alu instid0(VALU_DEP_2) | instskip(NEXT) | instid1(VALU_DEP_2)
	v_add_f64_e32 v[73:74], v[71:72], v[73:74]
	v_add_f64_e32 v[9:10], v[71:72], v[9:10]
	s_delay_alu instid0(VALU_DEP_2) | instskip(NEXT) | instid1(VALU_DEP_2)
	v_add_f64_e32 v[77:78], v[75:76], v[73:74]
	v_add_f64_e32 v[101:102], v[81:82], v[9:10]
	s_delay_alu instid0(VALU_DEP_2) | instskip(SKIP_1) | instid1(VALU_DEP_2)
	v_rcp_f64_e32 v[79:80], v[77:78]
	v_add_f64_e64 v[75:76], v[77:78], -v[75:76]
	v_add_f64_e64 v[81:82], v[101:102], -v[81:82]
	s_delay_alu instid0(VALU_DEP_2) | instskip(NEXT) | instid1(TRANS32_DEP_1)
	v_add_f64_e64 v[73:74], v[73:74], -v[75:76]
	v_fma_f64 v[103:104], -v[77:78], v[79:80], 1.0
	s_delay_alu instid0(VALU_DEP_3) | instskip(NEXT) | instid1(VALU_DEP_2)
	v_add_f64_e64 v[9:10], v[9:10], -v[81:82]
	v_fma_f64 v[79:80], v[103:104], v[79:80], v[79:80]
	s_delay_alu instid0(VALU_DEP_1) | instskip(NEXT) | instid1(VALU_DEP_1)
	v_fma_f64 v[71:72], -v[77:78], v[79:80], 1.0
	v_fma_f64 v[71:72], v[71:72], v[79:80], v[79:80]
	s_delay_alu instid0(VALU_DEP_1) | instskip(NEXT) | instid1(VALU_DEP_1)
	v_mul_f64_e32 v[79:80], v[101:102], v[71:72]
	v_mul_f64_e32 v[103:104], v[77:78], v[79:80]
	s_delay_alu instid0(VALU_DEP_1) | instskip(NEXT) | instid1(VALU_DEP_1)
	v_fma_f64 v[75:76], v[79:80], v[77:78], -v[103:104]
	v_fma_f64 v[75:76], v[79:80], v[73:74], v[75:76]
	s_delay_alu instid0(VALU_DEP_1) | instskip(NEXT) | instid1(VALU_DEP_1)
	v_add_f64_e32 v[105:106], v[103:104], v[75:76]
	v_add_f64_e64 v[107:108], v[101:102], -v[105:106]
	v_add_f64_e64 v[81:82], v[105:106], -v[103:104]
	s_delay_alu instid0(VALU_DEP_2) | instskip(NEXT) | instid1(VALU_DEP_2)
	v_add_f64_e64 v[101:102], v[101:102], -v[107:108]
	v_add_f64_e64 v[75:76], v[81:82], -v[75:76]
	s_delay_alu instid0(VALU_DEP_2) | instskip(NEXT) | instid1(VALU_DEP_1)
	v_add_f64_e64 v[101:102], v[101:102], -v[105:106]
	v_add_f64_e32 v[9:10], v[9:10], v[101:102]
	s_delay_alu instid0(VALU_DEP_1) | instskip(NEXT) | instid1(VALU_DEP_1)
	v_add_f64_e32 v[9:10], v[75:76], v[9:10]
	v_add_f64_e32 v[75:76], v[107:108], v[9:10]
	s_delay_alu instid0(VALU_DEP_1) | instskip(SKIP_1) | instid1(VALU_DEP_2)
	v_mul_f64_e32 v[81:82], v[71:72], v[75:76]
	v_add_f64_e64 v[105:106], v[107:108], -v[75:76]
	v_mul_f64_e32 v[101:102], v[77:78], v[81:82]
	s_delay_alu instid0(VALU_DEP_2) | instskip(NEXT) | instid1(VALU_DEP_2)
	v_add_f64_e32 v[9:10], v[9:10], v[105:106]
	v_fma_f64 v[77:78], v[81:82], v[77:78], -v[101:102]
	s_delay_alu instid0(VALU_DEP_1) | instskip(NEXT) | instid1(VALU_DEP_1)
	v_fma_f64 v[73:74], v[81:82], v[73:74], v[77:78]
	v_add_f64_e32 v[77:78], v[101:102], v[73:74]
	s_delay_alu instid0(VALU_DEP_1) | instskip(SKIP_1) | instid1(VALU_DEP_2)
	v_add_f64_e64 v[103:104], v[75:76], -v[77:78]
	v_add_f64_e64 v[101:102], v[77:78], -v[101:102]
	;; [unrolled: 1-line block ×3, first 2 shown]
	s_delay_alu instid0(VALU_DEP_2) | instskip(NEXT) | instid1(VALU_DEP_2)
	v_add_f64_e64 v[73:74], v[101:102], -v[73:74]
	v_add_f64_e64 v[75:76], v[75:76], -v[77:78]
	s_delay_alu instid0(VALU_DEP_1) | instskip(SKIP_1) | instid1(VALU_DEP_2)
	v_add_f64_e32 v[9:10], v[9:10], v[75:76]
	v_add_f64_e32 v[75:76], v[79:80], v[81:82]
	;; [unrolled: 1-line block ×3, first 2 shown]
	s_delay_alu instid0(VALU_DEP_2) | instskip(NEXT) | instid1(VALU_DEP_2)
	v_add_f64_e64 v[73:74], v[75:76], -v[79:80]
	v_add_f64_e32 v[9:10], v[103:104], v[9:10]
	s_delay_alu instid0(VALU_DEP_2) | instskip(NEXT) | instid1(VALU_DEP_2)
	v_add_f64_e64 v[73:74], v[81:82], -v[73:74]
	v_mul_f64_e32 v[9:10], v[71:72], v[9:10]
	s_delay_alu instid0(VALU_DEP_1) | instskip(NEXT) | instid1(VALU_DEP_1)
	v_add_f64_e32 v[9:10], v[73:74], v[9:10]
	v_add_f64_e32 v[71:72], v[75:76], v[9:10]
	s_delay_alu instid0(VALU_DEP_1) | instskip(NEXT) | instid1(VALU_DEP_1)
	v_mul_f64_e32 v[73:74], v[71:72], v[71:72]
	v_fma_f64 v[77:78], v[73:74], s[50:51], s[48:49]
	s_mov_b32 s48, 0xd7f4df2e
	s_mov_b32 s49, 0x3fc7474d
	v_mul_f64_e32 v[79:80], v[71:72], v[73:74]
	s_wait_alu 0xfffe
	s_delay_alu instid0(VALU_DEP_2) | instskip(SKIP_3) | instid1(VALU_DEP_1)
	v_fma_f64 v[77:78], v[73:74], v[77:78], s[48:49]
	s_mov_b32 s48, 0x16291751
	s_mov_b32 s49, 0x3fcc71c0
	s_wait_alu 0xfffe
	v_fma_f64 v[77:78], v[73:74], v[77:78], s[48:49]
	s_mov_b32 s48, 0x9b27acf1
	s_mov_b32 s49, 0x3fd24924
	s_wait_alu 0xfffe
	s_delay_alu instid0(VALU_DEP_1) | instskip(SKIP_3) | instid1(VALU_DEP_1)
	v_fma_f64 v[77:78], v[73:74], v[77:78], s[48:49]
	s_mov_b32 s48, 0x998ef7b6
	s_mov_b32 s49, 0x3fd99999
	s_wait_alu 0xfffe
	v_fma_f64 v[77:78], v[73:74], v[77:78], s[48:49]
	s_delay_alu instid0(VALU_DEP_1) | instskip(SKIP_2) | instid1(VALU_DEP_3)
	v_fma_f64 v[73:74], v[73:74], v[77:78], s[44:45]
	v_ldexp_f64 v[77:78], v[71:72], 1
	v_add_f64_e64 v[71:72], v[71:72], -v[75:76]
	v_mul_f64_e32 v[73:74], v[79:80], v[73:74]
	v_cvt_f64_i32_e32 v[79:80], v109
	s_delay_alu instid0(VALU_DEP_3) | instskip(NEXT) | instid1(VALU_DEP_3)
	v_add_f64_e64 v[9:10], v[9:10], -v[71:72]
	v_add_f64_e32 v[75:76], v[77:78], v[73:74]
	s_delay_alu instid0(VALU_DEP_3) | instskip(NEXT) | instid1(VALU_DEP_3)
	v_mul_f64_e32 v[81:82], s[20:21], v[79:80]
	v_ldexp_f64 v[9:10], v[9:10], 1
	s_delay_alu instid0(VALU_DEP_3) | instskip(NEXT) | instid1(VALU_DEP_3)
	v_add_f64_e64 v[71:72], v[75:76], -v[77:78]
	v_fma_f64 v[77:78], v[79:80], s[20:21], -v[81:82]
	v_cmp_ngt_f64_e64 s20, -1.0, v[5:6]
	s_delay_alu instid0(VALU_DEP_3) | instskip(NEXT) | instid1(VALU_DEP_3)
	v_add_f64_e64 v[71:72], v[73:74], -v[71:72]
	v_fma_f64 v[73:74], v[79:80], s[42:43], v[77:78]
	s_delay_alu instid0(VALU_DEP_2) | instskip(NEXT) | instid1(VALU_DEP_2)
	v_add_f64_e32 v[9:10], v[9:10], v[71:72]
	v_add_f64_e32 v[71:72], v[81:82], v[73:74]
	s_delay_alu instid0(VALU_DEP_2) | instskip(NEXT) | instid1(VALU_DEP_2)
	v_add_f64_e32 v[77:78], v[75:76], v[9:10]
	v_add_f64_e64 v[81:82], v[71:72], -v[81:82]
	s_delay_alu instid0(VALU_DEP_2) | instskip(SKIP_1) | instid1(VALU_DEP_3)
	v_add_f64_e32 v[79:80], v[71:72], v[77:78]
	v_add_f64_e64 v[75:76], v[77:78], -v[75:76]
	v_add_f64_e64 v[73:74], v[73:74], -v[81:82]
	s_delay_alu instid0(VALU_DEP_3) | instskip(NEXT) | instid1(VALU_DEP_3)
	v_add_f64_e64 v[101:102], v[79:80], -v[71:72]
	v_add_f64_e64 v[9:10], v[9:10], -v[75:76]
	s_delay_alu instid0(VALU_DEP_2) | instskip(SKIP_1) | instid1(VALU_DEP_3)
	v_add_f64_e64 v[103:104], v[79:80], -v[101:102]
	v_add_f64_e64 v[75:76], v[77:78], -v[101:102]
	v_add_f64_e32 v[77:78], v[73:74], v[9:10]
	s_delay_alu instid0(VALU_DEP_3) | instskip(NEXT) | instid1(VALU_DEP_1)
	v_add_f64_e64 v[71:72], v[71:72], -v[103:104]
	v_add_f64_e32 v[71:72], v[75:76], v[71:72]
	s_delay_alu instid0(VALU_DEP_3) | instskip(NEXT) | instid1(VALU_DEP_2)
	v_add_f64_e64 v[75:76], v[77:78], -v[73:74]
	v_add_f64_e32 v[71:72], v[77:78], v[71:72]
	s_delay_alu instid0(VALU_DEP_2) | instskip(SKIP_1) | instid1(VALU_DEP_3)
	v_add_f64_e64 v[77:78], v[77:78], -v[75:76]
	v_add_f64_e64 v[9:10], v[9:10], -v[75:76]
	v_add_f64_e32 v[81:82], v[79:80], v[71:72]
	s_delay_alu instid0(VALU_DEP_3) | instskip(NEXT) | instid1(VALU_DEP_2)
	v_add_f64_e64 v[73:74], v[73:74], -v[77:78]
	v_add_f64_e64 v[75:76], v[81:82], -v[79:80]
	s_delay_alu instid0(VALU_DEP_2) | instskip(NEXT) | instid1(VALU_DEP_2)
	v_add_f64_e32 v[9:10], v[9:10], v[73:74]
	v_add_f64_e64 v[71:72], v[71:72], -v[75:76]
	s_delay_alu instid0(VALU_DEP_1) | instskip(NEXT) | instid1(VALU_DEP_1)
	v_add_f64_e32 v[9:10], v[9:10], v[71:72]
	v_add_f64_e32 v[9:10], v[81:82], v[9:10]
	s_delay_alu instid0(VALU_DEP_1) | instskip(SKIP_1) | instid1(VALU_DEP_3)
	v_cndmask_b32_e32 v9, 0, v9, vcc_lo
	v_cmp_neq_f64_e32 vcc_lo, -1.0, v[5:6]
	v_cndmask_b32_e64 v10, 0x7ff00000, v10, s19
	s_wait_alu 0xf1ff
	s_delay_alu instid0(VALU_DEP_1) | instskip(SKIP_1) | instid1(VALU_DEP_1)
	v_cndmask_b32_e64 v10, 0x7ff80000, v10, s20
	s_wait_alu 0xfffd
	v_cndmask_b32_e32 v10, 0xfff00000, v10, vcc_lo
	s_delay_alu instid0(VALU_DEP_1)
	v_add_f64_e32 v[5:6], v[7:8], v[9:10]
.LBB71_56:
	s_wait_alu 0xfffe
	s_or_b32 exec_lo, exec_lo, s46
	v_mbcnt_lo_u32_b32 v101, -1, 0
	s_delay_alu instid0(VALU_DEP_2) | instskip(NEXT) | instid1(VALU_DEP_3)
	v_mov_b32_dpp v7, v5 row_shr:1 row_mask:0xf bank_mask:0xf
	v_mov_b32_dpp v8, v6 row_shr:1 row_mask:0xf bank_mask:0xf
	v_mov_b32_e32 v9, v5
	s_mov_b32 s46, exec_lo
	v_dual_mov_b32 v10, v6 :: v_dual_and_b32 v71, 15, v101
	s_delay_alu instid0(VALU_DEP_1)
	v_cmpx_ne_u32_e32 0, v71
	s_cbranch_execz .LBB71_60
; %bb.57:
	v_max_num_f64_e32 v[9:10], v[7:8], v[7:8]
	v_max_num_f64_e32 v[72:73], v[5:6], v[5:6]
	v_cmp_u_f64_e32 vcc_lo, v[7:8], v[7:8]
	v_cmp_u_f64_e64 s19, v[5:6], v[5:6]
	s_delay_alu instid0(VALU_DEP_3) | instskip(SKIP_2) | instid1(VALU_DEP_2)
	v_min_num_f64_e32 v[74:75], v[9:10], v[72:73]
	v_max_num_f64_e32 v[9:10], v[9:10], v[72:73]
	s_wait_alu 0xfffd
	v_dual_cndmask_b32 v72, v75, v8 :: v_dual_cndmask_b32 v73, v74, v7
	s_delay_alu instid0(VALU_DEP_2) | instskip(SKIP_1) | instid1(VALU_DEP_2)
	v_dual_cndmask_b32 v74, v10, v8 :: v_dual_cndmask_b32 v75, v9, v7
	s_wait_alu 0xf1ff
	v_cndmask_b32_e64 v10, v72, v6, s19
	s_delay_alu instid0(VALU_DEP_3) | instskip(NEXT) | instid1(VALU_DEP_3)
	v_cndmask_b32_e64 v9, v73, v5, s19
	v_cndmask_b32_e64 v6, v74, v6, s19
	;; [unrolled: 1-line block ×3, first 2 shown]
	s_delay_alu instid0(VALU_DEP_3) | instskip(NEXT) | instid1(VALU_DEP_2)
	v_cmp_class_f64_e64 s19, v[9:10], 0x1f8
	v_cmp_neq_f64_e32 vcc_lo, v[9:10], v[5:6]
	s_or_b32 s19, vcc_lo, s19
	s_wait_alu 0xfffe
	s_and_saveexec_b32 s47, s19
	s_cbranch_execz .LBB71_59
; %bb.58:
	v_add_f64_e64 v[7:8], v[9:10], -v[5:6]
	s_mov_b32 s20, 0x652b82fe
	s_mov_b32 s21, 0x3ff71547
	;; [unrolled: 1-line block ×10, first 2 shown]
	s_wait_alu 0xfffe
	s_delay_alu instid0(VALU_DEP_1) | instskip(SKIP_4) | instid1(VALU_DEP_3)
	v_mul_f64_e32 v[9:10], s[20:21], v[7:8]
	s_mov_b32 s21, 0xbfe62e42
	s_mov_b32 s20, 0xfefa39ef
	v_cmp_nlt_f64_e32 vcc_lo, 0x40900000, v[7:8]
	v_cmp_ngt_f64_e64 s19, 0xc090cc00, v[7:8]
	v_rndne_f64_e32 v[9:10], v[9:10]
	s_wait_alu 0xfffe
	s_delay_alu instid0(VALU_DEP_1) | instskip(SKIP_2) | instid1(VALU_DEP_2)
	v_fma_f64 v[72:73], v[9:10], s[20:21], v[7:8]
	v_cvt_i32_f64_e32 v76, v[9:10]
	s_mov_b32 s21, 0x3fe62e42
	v_fma_f64 v[72:73], v[9:10], s[42:43], v[72:73]
	s_mov_b32 s43, 0x3c7abc9e
	s_delay_alu instid0(VALU_DEP_1)
	v_fma_f64 v[74:75], v[72:73], s[48:49], s[44:45]
	s_mov_b32 s44, 0x623fde64
	s_mov_b32 s45, 0x3ec71dee
	s_mov_b32 s48, 0x6b47b09a
	s_mov_b32 s49, 0x3fc38538
	s_wait_alu 0xfffe
	s_delay_alu instid0(VALU_DEP_1) | instskip(SKIP_3) | instid1(VALU_DEP_1)
	v_fma_f64 v[74:75], v[72:73], v[74:75], s[44:45]
	s_mov_b32 s44, 0x7c89e6b0
	s_mov_b32 s45, 0x3efa0199
	s_wait_alu 0xfffe
	v_fma_f64 v[74:75], v[72:73], v[74:75], s[44:45]
	s_mov_b32 s44, 0x14761f6e
	s_mov_b32 s45, 0x3f2a01a0
	s_wait_alu 0xfffe
	s_delay_alu instid0(VALU_DEP_1) | instskip(SKIP_3) | instid1(VALU_DEP_1)
	v_fma_f64 v[74:75], v[72:73], v[74:75], s[44:45]
	s_mov_b32 s44, 0x1852b7b0
	s_mov_b32 s45, 0x3f56c16c
	s_wait_alu 0xfffe
	v_fma_f64 v[74:75], v[72:73], v[74:75], s[44:45]
	s_mov_b32 s44, 0x11122322
	s_mov_b32 s45, 0x3f811111
	;; [unrolled: 9-line block ×4, first 2 shown]
	s_delay_alu instid0(VALU_DEP_1) | instskip(NEXT) | instid1(VALU_DEP_1)
	v_fma_f64 v[74:75], v[72:73], v[74:75], 1.0
	v_fma_f64 v[9:10], v[72:73], v[74:75], 1.0
	s_delay_alu instid0(VALU_DEP_1) | instskip(SKIP_1) | instid1(VALU_DEP_1)
	v_ldexp_f64 v[9:10], v[9:10], v76
	s_wait_alu 0xfffd
	v_cndmask_b32_e32 v10, 0x7ff00000, v10, vcc_lo
	s_and_b32 vcc_lo, s19, vcc_lo
	s_wait_alu 0xfffe
	s_delay_alu instid0(VALU_DEP_2) | instskip(NEXT) | instid1(VALU_DEP_2)
	v_cndmask_b32_e32 v7, 0, v9, vcc_lo
	v_cndmask_b32_e64 v8, 0, v10, s19
	s_delay_alu instid0(VALU_DEP_1) | instskip(SKIP_1) | instid1(VALU_DEP_2)
	v_add_f64_e32 v[9:10], 1.0, v[7:8]
	v_cmp_neq_f64_e64 s19, 0x7ff00000, v[7:8]
	v_frexp_mant_f64_e32 v[72:73], v[9:10]
	v_frexp_exp_i32_f64_e32 v76, v[9:10]
	v_add_f64_e32 v[74:75], -1.0, v[9:10]
	s_delay_alu instid0(VALU_DEP_3) | instskip(SKIP_1) | instid1(VALU_DEP_2)
	v_cmp_gt_f64_e32 vcc_lo, s[44:45], v[72:73]
	s_mov_b32 s44, 0x55555780
	v_add_f64_e64 v[72:73], v[74:75], -v[9:10]
	v_add_f64_e64 v[74:75], v[7:8], -v[74:75]
	s_wait_alu 0xfffd
	v_subrev_co_ci_u32_e64 v82, null, 0, v76, vcc_lo
	s_delay_alu instid0(VALU_DEP_3) | instskip(SKIP_1) | instid1(VALU_DEP_3)
	v_add_f64_e32 v[72:73], 1.0, v[72:73]
	v_cmp_nge_f64_e32 vcc_lo, -1.0, v[7:8]
	v_sub_nc_u32_e32 v78, 0, v82
	s_delay_alu instid0(VALU_DEP_1) | instskip(NEXT) | instid1(VALU_DEP_4)
	v_ldexp_f64 v[9:10], v[9:10], v78
	v_add_f64_e32 v[72:73], v[74:75], v[72:73]
	s_and_b32 vcc_lo, vcc_lo, s19
	s_delay_alu instid0(VALU_DEP_2) | instskip(SKIP_1) | instid1(VALU_DEP_3)
	v_add_f64_e32 v[76:77], 1.0, v[9:10]
	v_add_f64_e32 v[102:103], -1.0, v[9:10]
	v_ldexp_f64 v[72:73], v[72:73], v78
	s_delay_alu instid0(VALU_DEP_3) | instskip(NEXT) | instid1(VALU_DEP_3)
	v_add_f64_e32 v[74:75], -1.0, v[76:77]
	v_add_f64_e32 v[104:105], 1.0, v[102:103]
	s_delay_alu instid0(VALU_DEP_2) | instskip(NEXT) | instid1(VALU_DEP_2)
	v_add_f64_e64 v[74:75], v[9:10], -v[74:75]
	v_add_f64_e64 v[9:10], v[9:10], -v[104:105]
	s_delay_alu instid0(VALU_DEP_2) | instskip(NEXT) | instid1(VALU_DEP_2)
	v_add_f64_e32 v[74:75], v[72:73], v[74:75]
	v_add_f64_e32 v[9:10], v[72:73], v[9:10]
	s_delay_alu instid0(VALU_DEP_2) | instskip(NEXT) | instid1(VALU_DEP_2)
	v_add_f64_e32 v[78:79], v[76:77], v[74:75]
	v_add_f64_e32 v[104:105], v[102:103], v[9:10]
	s_delay_alu instid0(VALU_DEP_2) | instskip(SKIP_1) | instid1(VALU_DEP_2)
	v_rcp_f64_e32 v[80:81], v[78:79]
	v_add_f64_e64 v[76:77], v[78:79], -v[76:77]
	v_add_f64_e64 v[102:103], v[104:105], -v[102:103]
	s_delay_alu instid0(VALU_DEP_2) | instskip(NEXT) | instid1(TRANS32_DEP_1)
	v_add_f64_e64 v[74:75], v[74:75], -v[76:77]
	v_fma_f64 v[106:107], -v[78:79], v[80:81], 1.0
	s_delay_alu instid0(VALU_DEP_3) | instskip(NEXT) | instid1(VALU_DEP_2)
	v_add_f64_e64 v[9:10], v[9:10], -v[102:103]
	v_fma_f64 v[80:81], v[106:107], v[80:81], v[80:81]
	s_delay_alu instid0(VALU_DEP_1) | instskip(NEXT) | instid1(VALU_DEP_1)
	v_fma_f64 v[72:73], -v[78:79], v[80:81], 1.0
	v_fma_f64 v[72:73], v[72:73], v[80:81], v[80:81]
	s_delay_alu instid0(VALU_DEP_1) | instskip(NEXT) | instid1(VALU_DEP_1)
	v_mul_f64_e32 v[80:81], v[104:105], v[72:73]
	v_mul_f64_e32 v[106:107], v[78:79], v[80:81]
	s_delay_alu instid0(VALU_DEP_1) | instskip(NEXT) | instid1(VALU_DEP_1)
	v_fma_f64 v[76:77], v[80:81], v[78:79], -v[106:107]
	v_fma_f64 v[76:77], v[80:81], v[74:75], v[76:77]
	s_delay_alu instid0(VALU_DEP_1) | instskip(NEXT) | instid1(VALU_DEP_1)
	v_add_f64_e32 v[108:109], v[106:107], v[76:77]
	v_add_f64_e64 v[110:111], v[104:105], -v[108:109]
	v_add_f64_e64 v[102:103], v[108:109], -v[106:107]
	s_delay_alu instid0(VALU_DEP_2) | instskip(NEXT) | instid1(VALU_DEP_2)
	v_add_f64_e64 v[104:105], v[104:105], -v[110:111]
	v_add_f64_e64 v[76:77], v[102:103], -v[76:77]
	s_delay_alu instid0(VALU_DEP_2) | instskip(NEXT) | instid1(VALU_DEP_1)
	v_add_f64_e64 v[104:105], v[104:105], -v[108:109]
	v_add_f64_e32 v[9:10], v[9:10], v[104:105]
	s_delay_alu instid0(VALU_DEP_1) | instskip(NEXT) | instid1(VALU_DEP_1)
	v_add_f64_e32 v[9:10], v[76:77], v[9:10]
	v_add_f64_e32 v[76:77], v[110:111], v[9:10]
	s_delay_alu instid0(VALU_DEP_1) | instskip(SKIP_1) | instid1(VALU_DEP_2)
	v_mul_f64_e32 v[102:103], v[72:73], v[76:77]
	v_add_f64_e64 v[108:109], v[110:111], -v[76:77]
	v_mul_f64_e32 v[104:105], v[78:79], v[102:103]
	s_delay_alu instid0(VALU_DEP_2) | instskip(NEXT) | instid1(VALU_DEP_2)
	v_add_f64_e32 v[9:10], v[9:10], v[108:109]
	v_fma_f64 v[78:79], v[102:103], v[78:79], -v[104:105]
	s_delay_alu instid0(VALU_DEP_1) | instskip(NEXT) | instid1(VALU_DEP_1)
	v_fma_f64 v[74:75], v[102:103], v[74:75], v[78:79]
	v_add_f64_e32 v[78:79], v[104:105], v[74:75]
	s_delay_alu instid0(VALU_DEP_1) | instskip(SKIP_1) | instid1(VALU_DEP_2)
	v_add_f64_e64 v[106:107], v[76:77], -v[78:79]
	v_add_f64_e64 v[104:105], v[78:79], -v[104:105]
	;; [unrolled: 1-line block ×3, first 2 shown]
	s_delay_alu instid0(VALU_DEP_2) | instskip(NEXT) | instid1(VALU_DEP_2)
	v_add_f64_e64 v[74:75], v[104:105], -v[74:75]
	v_add_f64_e64 v[76:77], v[76:77], -v[78:79]
	s_delay_alu instid0(VALU_DEP_1) | instskip(SKIP_1) | instid1(VALU_DEP_2)
	v_add_f64_e32 v[9:10], v[9:10], v[76:77]
	v_add_f64_e32 v[76:77], v[80:81], v[102:103]
	;; [unrolled: 1-line block ×3, first 2 shown]
	s_delay_alu instid0(VALU_DEP_2) | instskip(NEXT) | instid1(VALU_DEP_2)
	v_add_f64_e64 v[74:75], v[76:77], -v[80:81]
	v_add_f64_e32 v[9:10], v[106:107], v[9:10]
	s_delay_alu instid0(VALU_DEP_2) | instskip(NEXT) | instid1(VALU_DEP_2)
	v_add_f64_e64 v[74:75], v[102:103], -v[74:75]
	v_mul_f64_e32 v[9:10], v[72:73], v[9:10]
	s_delay_alu instid0(VALU_DEP_1) | instskip(NEXT) | instid1(VALU_DEP_1)
	v_add_f64_e32 v[9:10], v[74:75], v[9:10]
	v_add_f64_e32 v[72:73], v[76:77], v[9:10]
	s_delay_alu instid0(VALU_DEP_1) | instskip(NEXT) | instid1(VALU_DEP_1)
	v_mul_f64_e32 v[74:75], v[72:73], v[72:73]
	v_fma_f64 v[78:79], v[74:75], s[50:51], s[48:49]
	s_mov_b32 s48, 0xd7f4df2e
	s_mov_b32 s49, 0x3fc7474d
	v_mul_f64_e32 v[80:81], v[72:73], v[74:75]
	s_wait_alu 0xfffe
	s_delay_alu instid0(VALU_DEP_2) | instskip(SKIP_3) | instid1(VALU_DEP_1)
	v_fma_f64 v[78:79], v[74:75], v[78:79], s[48:49]
	s_mov_b32 s48, 0x16291751
	s_mov_b32 s49, 0x3fcc71c0
	s_wait_alu 0xfffe
	v_fma_f64 v[78:79], v[74:75], v[78:79], s[48:49]
	s_mov_b32 s48, 0x9b27acf1
	s_mov_b32 s49, 0x3fd24924
	s_wait_alu 0xfffe
	s_delay_alu instid0(VALU_DEP_1) | instskip(SKIP_3) | instid1(VALU_DEP_1)
	v_fma_f64 v[78:79], v[74:75], v[78:79], s[48:49]
	s_mov_b32 s48, 0x998ef7b6
	s_mov_b32 s49, 0x3fd99999
	s_wait_alu 0xfffe
	v_fma_f64 v[78:79], v[74:75], v[78:79], s[48:49]
	s_delay_alu instid0(VALU_DEP_1) | instskip(SKIP_2) | instid1(VALU_DEP_3)
	v_fma_f64 v[74:75], v[74:75], v[78:79], s[44:45]
	v_ldexp_f64 v[78:79], v[72:73], 1
	v_add_f64_e64 v[72:73], v[72:73], -v[76:77]
	v_mul_f64_e32 v[74:75], v[80:81], v[74:75]
	v_cvt_f64_i32_e32 v[80:81], v82
	s_delay_alu instid0(VALU_DEP_3) | instskip(NEXT) | instid1(VALU_DEP_3)
	v_add_f64_e64 v[9:10], v[9:10], -v[72:73]
	v_add_f64_e32 v[76:77], v[78:79], v[74:75]
	s_delay_alu instid0(VALU_DEP_3) | instskip(NEXT) | instid1(VALU_DEP_3)
	v_mul_f64_e32 v[102:103], s[20:21], v[80:81]
	v_ldexp_f64 v[9:10], v[9:10], 1
	s_delay_alu instid0(VALU_DEP_3) | instskip(NEXT) | instid1(VALU_DEP_3)
	v_add_f64_e64 v[72:73], v[76:77], -v[78:79]
	v_fma_f64 v[78:79], v[80:81], s[20:21], -v[102:103]
	v_cmp_ngt_f64_e64 s20, -1.0, v[7:8]
	s_delay_alu instid0(VALU_DEP_3) | instskip(NEXT) | instid1(VALU_DEP_3)
	v_add_f64_e64 v[72:73], v[74:75], -v[72:73]
	v_fma_f64 v[74:75], v[80:81], s[42:43], v[78:79]
	s_delay_alu instid0(VALU_DEP_2) | instskip(NEXT) | instid1(VALU_DEP_2)
	v_add_f64_e32 v[9:10], v[9:10], v[72:73]
	v_add_f64_e32 v[72:73], v[102:103], v[74:75]
	s_delay_alu instid0(VALU_DEP_2) | instskip(NEXT) | instid1(VALU_DEP_2)
	v_add_f64_e32 v[78:79], v[76:77], v[9:10]
	v_add_f64_e64 v[102:103], v[72:73], -v[102:103]
	s_delay_alu instid0(VALU_DEP_2) | instskip(SKIP_1) | instid1(VALU_DEP_3)
	v_add_f64_e32 v[80:81], v[72:73], v[78:79]
	v_add_f64_e64 v[76:77], v[78:79], -v[76:77]
	v_add_f64_e64 v[74:75], v[74:75], -v[102:103]
	s_delay_alu instid0(VALU_DEP_3) | instskip(NEXT) | instid1(VALU_DEP_3)
	v_add_f64_e64 v[104:105], v[80:81], -v[72:73]
	v_add_f64_e64 v[9:10], v[9:10], -v[76:77]
	s_delay_alu instid0(VALU_DEP_2) | instskip(SKIP_1) | instid1(VALU_DEP_3)
	v_add_f64_e64 v[106:107], v[80:81], -v[104:105]
	v_add_f64_e64 v[76:77], v[78:79], -v[104:105]
	v_add_f64_e32 v[78:79], v[74:75], v[9:10]
	s_delay_alu instid0(VALU_DEP_3) | instskip(NEXT) | instid1(VALU_DEP_1)
	v_add_f64_e64 v[72:73], v[72:73], -v[106:107]
	v_add_f64_e32 v[72:73], v[76:77], v[72:73]
	s_delay_alu instid0(VALU_DEP_3) | instskip(NEXT) | instid1(VALU_DEP_2)
	v_add_f64_e64 v[76:77], v[78:79], -v[74:75]
	v_add_f64_e32 v[72:73], v[78:79], v[72:73]
	s_delay_alu instid0(VALU_DEP_2) | instskip(SKIP_1) | instid1(VALU_DEP_3)
	v_add_f64_e64 v[78:79], v[78:79], -v[76:77]
	v_add_f64_e64 v[9:10], v[9:10], -v[76:77]
	v_add_f64_e32 v[102:103], v[80:81], v[72:73]
	s_delay_alu instid0(VALU_DEP_3) | instskip(NEXT) | instid1(VALU_DEP_2)
	v_add_f64_e64 v[74:75], v[74:75], -v[78:79]
	v_add_f64_e64 v[76:77], v[102:103], -v[80:81]
	s_delay_alu instid0(VALU_DEP_2) | instskip(NEXT) | instid1(VALU_DEP_2)
	v_add_f64_e32 v[9:10], v[9:10], v[74:75]
	v_add_f64_e64 v[72:73], v[72:73], -v[76:77]
	s_delay_alu instid0(VALU_DEP_1) | instskip(NEXT) | instid1(VALU_DEP_1)
	v_add_f64_e32 v[9:10], v[9:10], v[72:73]
	v_add_f64_e32 v[9:10], v[102:103], v[9:10]
	s_delay_alu instid0(VALU_DEP_1) | instskip(SKIP_1) | instid1(VALU_DEP_3)
	v_cndmask_b32_e32 v9, 0, v9, vcc_lo
	v_cmp_neq_f64_e32 vcc_lo, -1.0, v[7:8]
	v_cndmask_b32_e64 v10, 0x7ff00000, v10, s19
	s_wait_alu 0xf1ff
	s_delay_alu instid0(VALU_DEP_1) | instskip(SKIP_1) | instid1(VALU_DEP_1)
	v_cndmask_b32_e64 v10, 0x7ff80000, v10, s20
	s_wait_alu 0xfffd
	v_cndmask_b32_e32 v10, 0xfff00000, v10, vcc_lo
	s_delay_alu instid0(VALU_DEP_1)
	v_add_f64_e32 v[7:8], v[5:6], v[9:10]
.LBB71_59:
	s_wait_alu 0xfffe
	s_or_b32 exec_lo, exec_lo, s47
	s_delay_alu instid0(VALU_DEP_1)
	v_dual_mov_b32 v9, v7 :: v_dual_mov_b32 v10, v8
	v_dual_mov_b32 v5, v7 :: v_dual_mov_b32 v6, v8
.LBB71_60:
	s_wait_alu 0xfffe
	s_or_b32 exec_lo, exec_lo, s46
	s_delay_alu instid0(VALU_DEP_2)
	v_mov_b32_dpp v7, v9 row_shr:2 row_mask:0xf bank_mask:0xf
	v_mov_b32_dpp v8, v10 row_shr:2 row_mask:0xf bank_mask:0xf
	s_mov_b32 s46, exec_lo
	v_cmpx_lt_u32_e32 1, v71
	s_cbranch_execz .LBB71_64
; %bb.61:
	s_delay_alu instid0(VALU_DEP_2) | instskip(SKIP_3) | instid1(VALU_DEP_3)
	v_max_num_f64_e32 v[9:10], v[7:8], v[7:8]
	v_max_num_f64_e32 v[72:73], v[5:6], v[5:6]
	v_cmp_u_f64_e32 vcc_lo, v[7:8], v[7:8]
	v_cmp_u_f64_e64 s19, v[5:6], v[5:6]
	v_min_num_f64_e32 v[74:75], v[9:10], v[72:73]
	v_max_num_f64_e32 v[9:10], v[9:10], v[72:73]
	s_wait_alu 0xfffd
	s_delay_alu instid0(VALU_DEP_2) | instskip(NEXT) | instid1(VALU_DEP_2)
	v_dual_cndmask_b32 v72, v75, v8 :: v_dual_cndmask_b32 v73, v74, v7
	v_dual_cndmask_b32 v74, v10, v8 :: v_dual_cndmask_b32 v75, v9, v7
	s_wait_alu 0xf1ff
	s_delay_alu instid0(VALU_DEP_2) | instskip(NEXT) | instid1(VALU_DEP_3)
	v_cndmask_b32_e64 v10, v72, v6, s19
	v_cndmask_b32_e64 v9, v73, v5, s19
	s_delay_alu instid0(VALU_DEP_3) | instskip(SKIP_1) | instid1(VALU_DEP_3)
	v_cndmask_b32_e64 v6, v74, v6, s19
	v_cndmask_b32_e64 v5, v75, v5, s19
	v_cmp_class_f64_e64 s19, v[9:10], 0x1f8
	s_delay_alu instid0(VALU_DEP_2)
	v_cmp_neq_f64_e32 vcc_lo, v[9:10], v[5:6]
	s_or_b32 s19, vcc_lo, s19
	s_wait_alu 0xfffe
	s_and_saveexec_b32 s47, s19
	s_cbranch_execz .LBB71_63
; %bb.62:
	v_add_f64_e64 v[7:8], v[9:10], -v[5:6]
	s_mov_b32 s20, 0x652b82fe
	s_mov_b32 s21, 0x3ff71547
	;; [unrolled: 1-line block ×10, first 2 shown]
	s_wait_alu 0xfffe
	s_delay_alu instid0(VALU_DEP_1) | instskip(SKIP_4) | instid1(VALU_DEP_3)
	v_mul_f64_e32 v[9:10], s[20:21], v[7:8]
	s_mov_b32 s21, 0xbfe62e42
	s_mov_b32 s20, 0xfefa39ef
	v_cmp_nlt_f64_e32 vcc_lo, 0x40900000, v[7:8]
	v_cmp_ngt_f64_e64 s19, 0xc090cc00, v[7:8]
	v_rndne_f64_e32 v[9:10], v[9:10]
	s_wait_alu 0xfffe
	s_delay_alu instid0(VALU_DEP_1) | instskip(SKIP_2) | instid1(VALU_DEP_2)
	v_fma_f64 v[72:73], v[9:10], s[20:21], v[7:8]
	v_cvt_i32_f64_e32 v76, v[9:10]
	s_mov_b32 s21, 0x3fe62e42
	v_fma_f64 v[72:73], v[9:10], s[42:43], v[72:73]
	s_mov_b32 s43, 0x3c7abc9e
	s_delay_alu instid0(VALU_DEP_1)
	v_fma_f64 v[74:75], v[72:73], s[48:49], s[44:45]
	s_mov_b32 s44, 0x623fde64
	s_mov_b32 s45, 0x3ec71dee
	;; [unrolled: 1-line block ×4, first 2 shown]
	s_wait_alu 0xfffe
	s_delay_alu instid0(VALU_DEP_1) | instskip(SKIP_3) | instid1(VALU_DEP_1)
	v_fma_f64 v[74:75], v[72:73], v[74:75], s[44:45]
	s_mov_b32 s44, 0x7c89e6b0
	s_mov_b32 s45, 0x3efa0199
	s_wait_alu 0xfffe
	v_fma_f64 v[74:75], v[72:73], v[74:75], s[44:45]
	s_mov_b32 s44, 0x14761f6e
	s_mov_b32 s45, 0x3f2a01a0
	s_wait_alu 0xfffe
	s_delay_alu instid0(VALU_DEP_1) | instskip(SKIP_3) | instid1(VALU_DEP_1)
	v_fma_f64 v[74:75], v[72:73], v[74:75], s[44:45]
	s_mov_b32 s44, 0x1852b7b0
	s_mov_b32 s45, 0x3f56c16c
	s_wait_alu 0xfffe
	v_fma_f64 v[74:75], v[72:73], v[74:75], s[44:45]
	s_mov_b32 s44, 0x11122322
	s_mov_b32 s45, 0x3f811111
	s_wait_alu 0xfffe
	s_delay_alu instid0(VALU_DEP_1) | instskip(SKIP_3) | instid1(VALU_DEP_1)
	v_fma_f64 v[74:75], v[72:73], v[74:75], s[44:45]
	s_mov_b32 s44, 0x555502a1
	s_mov_b32 s45, 0x3fa55555
	s_wait_alu 0xfffe
	v_fma_f64 v[74:75], v[72:73], v[74:75], s[44:45]
	s_mov_b32 s44, 0x55555511
	s_mov_b32 s45, 0x3fc55555
	s_wait_alu 0xfffe
	s_delay_alu instid0(VALU_DEP_1) | instskip(SKIP_3) | instid1(VALU_DEP_1)
	v_fma_f64 v[74:75], v[72:73], v[74:75], s[44:45]
	s_mov_b32 s44, 11
	s_mov_b32 s45, 0x3fe00000
	s_wait_alu 0xfffe
	v_fma_f64 v[74:75], v[72:73], v[74:75], s[44:45]
	s_mov_b32 s45, 0x3fe55555
	s_mov_b32 s44, 0x55555555
	s_delay_alu instid0(VALU_DEP_1) | instskip(NEXT) | instid1(VALU_DEP_1)
	v_fma_f64 v[74:75], v[72:73], v[74:75], 1.0
	v_fma_f64 v[9:10], v[72:73], v[74:75], 1.0
	s_delay_alu instid0(VALU_DEP_1) | instskip(SKIP_1) | instid1(VALU_DEP_1)
	v_ldexp_f64 v[9:10], v[9:10], v76
	s_wait_alu 0xfffd
	v_cndmask_b32_e32 v10, 0x7ff00000, v10, vcc_lo
	s_and_b32 vcc_lo, s19, vcc_lo
	s_wait_alu 0xfffe
	s_delay_alu instid0(VALU_DEP_2) | instskip(NEXT) | instid1(VALU_DEP_2)
	v_cndmask_b32_e32 v7, 0, v9, vcc_lo
	v_cndmask_b32_e64 v8, 0, v10, s19
	s_delay_alu instid0(VALU_DEP_1) | instskip(SKIP_1) | instid1(VALU_DEP_2)
	v_add_f64_e32 v[9:10], 1.0, v[7:8]
	v_cmp_neq_f64_e64 s19, 0x7ff00000, v[7:8]
	v_frexp_mant_f64_e32 v[72:73], v[9:10]
	v_frexp_exp_i32_f64_e32 v76, v[9:10]
	v_add_f64_e32 v[74:75], -1.0, v[9:10]
	s_delay_alu instid0(VALU_DEP_3) | instskip(SKIP_1) | instid1(VALU_DEP_2)
	v_cmp_gt_f64_e32 vcc_lo, s[44:45], v[72:73]
	s_mov_b32 s44, 0x55555780
	v_add_f64_e64 v[72:73], v[74:75], -v[9:10]
	v_add_f64_e64 v[74:75], v[7:8], -v[74:75]
	s_wait_alu 0xfffd
	v_subrev_co_ci_u32_e64 v82, null, 0, v76, vcc_lo
	s_delay_alu instid0(VALU_DEP_3) | instskip(SKIP_1) | instid1(VALU_DEP_3)
	v_add_f64_e32 v[72:73], 1.0, v[72:73]
	v_cmp_nge_f64_e32 vcc_lo, -1.0, v[7:8]
	v_sub_nc_u32_e32 v78, 0, v82
	s_delay_alu instid0(VALU_DEP_1) | instskip(NEXT) | instid1(VALU_DEP_4)
	v_ldexp_f64 v[9:10], v[9:10], v78
	v_add_f64_e32 v[72:73], v[74:75], v[72:73]
	s_and_b32 vcc_lo, vcc_lo, s19
	s_delay_alu instid0(VALU_DEP_2) | instskip(SKIP_1) | instid1(VALU_DEP_3)
	v_add_f64_e32 v[76:77], 1.0, v[9:10]
	v_add_f64_e32 v[102:103], -1.0, v[9:10]
	v_ldexp_f64 v[72:73], v[72:73], v78
	s_delay_alu instid0(VALU_DEP_3) | instskip(NEXT) | instid1(VALU_DEP_3)
	v_add_f64_e32 v[74:75], -1.0, v[76:77]
	v_add_f64_e32 v[104:105], 1.0, v[102:103]
	s_delay_alu instid0(VALU_DEP_2) | instskip(NEXT) | instid1(VALU_DEP_2)
	v_add_f64_e64 v[74:75], v[9:10], -v[74:75]
	v_add_f64_e64 v[9:10], v[9:10], -v[104:105]
	s_delay_alu instid0(VALU_DEP_2) | instskip(NEXT) | instid1(VALU_DEP_2)
	v_add_f64_e32 v[74:75], v[72:73], v[74:75]
	v_add_f64_e32 v[9:10], v[72:73], v[9:10]
	s_delay_alu instid0(VALU_DEP_2) | instskip(NEXT) | instid1(VALU_DEP_2)
	v_add_f64_e32 v[78:79], v[76:77], v[74:75]
	v_add_f64_e32 v[104:105], v[102:103], v[9:10]
	s_delay_alu instid0(VALU_DEP_2) | instskip(SKIP_1) | instid1(VALU_DEP_2)
	v_rcp_f64_e32 v[80:81], v[78:79]
	v_add_f64_e64 v[76:77], v[78:79], -v[76:77]
	v_add_f64_e64 v[102:103], v[104:105], -v[102:103]
	s_delay_alu instid0(VALU_DEP_2) | instskip(NEXT) | instid1(TRANS32_DEP_1)
	v_add_f64_e64 v[74:75], v[74:75], -v[76:77]
	v_fma_f64 v[106:107], -v[78:79], v[80:81], 1.0
	s_delay_alu instid0(VALU_DEP_3) | instskip(NEXT) | instid1(VALU_DEP_2)
	v_add_f64_e64 v[9:10], v[9:10], -v[102:103]
	v_fma_f64 v[80:81], v[106:107], v[80:81], v[80:81]
	s_delay_alu instid0(VALU_DEP_1) | instskip(NEXT) | instid1(VALU_DEP_1)
	v_fma_f64 v[72:73], -v[78:79], v[80:81], 1.0
	v_fma_f64 v[72:73], v[72:73], v[80:81], v[80:81]
	s_delay_alu instid0(VALU_DEP_1) | instskip(NEXT) | instid1(VALU_DEP_1)
	v_mul_f64_e32 v[80:81], v[104:105], v[72:73]
	v_mul_f64_e32 v[106:107], v[78:79], v[80:81]
	s_delay_alu instid0(VALU_DEP_1) | instskip(NEXT) | instid1(VALU_DEP_1)
	v_fma_f64 v[76:77], v[80:81], v[78:79], -v[106:107]
	v_fma_f64 v[76:77], v[80:81], v[74:75], v[76:77]
	s_delay_alu instid0(VALU_DEP_1) | instskip(NEXT) | instid1(VALU_DEP_1)
	v_add_f64_e32 v[108:109], v[106:107], v[76:77]
	v_add_f64_e64 v[110:111], v[104:105], -v[108:109]
	v_add_f64_e64 v[102:103], v[108:109], -v[106:107]
	s_delay_alu instid0(VALU_DEP_2) | instskip(NEXT) | instid1(VALU_DEP_2)
	v_add_f64_e64 v[104:105], v[104:105], -v[110:111]
	v_add_f64_e64 v[76:77], v[102:103], -v[76:77]
	s_delay_alu instid0(VALU_DEP_2) | instskip(NEXT) | instid1(VALU_DEP_1)
	v_add_f64_e64 v[104:105], v[104:105], -v[108:109]
	v_add_f64_e32 v[9:10], v[9:10], v[104:105]
	s_delay_alu instid0(VALU_DEP_1) | instskip(NEXT) | instid1(VALU_DEP_1)
	v_add_f64_e32 v[9:10], v[76:77], v[9:10]
	v_add_f64_e32 v[76:77], v[110:111], v[9:10]
	s_delay_alu instid0(VALU_DEP_1) | instskip(SKIP_1) | instid1(VALU_DEP_2)
	v_mul_f64_e32 v[102:103], v[72:73], v[76:77]
	v_add_f64_e64 v[108:109], v[110:111], -v[76:77]
	v_mul_f64_e32 v[104:105], v[78:79], v[102:103]
	s_delay_alu instid0(VALU_DEP_2) | instskip(NEXT) | instid1(VALU_DEP_2)
	v_add_f64_e32 v[9:10], v[9:10], v[108:109]
	v_fma_f64 v[78:79], v[102:103], v[78:79], -v[104:105]
	s_delay_alu instid0(VALU_DEP_1) | instskip(NEXT) | instid1(VALU_DEP_1)
	v_fma_f64 v[74:75], v[102:103], v[74:75], v[78:79]
	v_add_f64_e32 v[78:79], v[104:105], v[74:75]
	s_delay_alu instid0(VALU_DEP_1) | instskip(SKIP_1) | instid1(VALU_DEP_2)
	v_add_f64_e64 v[106:107], v[76:77], -v[78:79]
	v_add_f64_e64 v[104:105], v[78:79], -v[104:105]
	;; [unrolled: 1-line block ×3, first 2 shown]
	s_delay_alu instid0(VALU_DEP_2) | instskip(NEXT) | instid1(VALU_DEP_2)
	v_add_f64_e64 v[74:75], v[104:105], -v[74:75]
	v_add_f64_e64 v[76:77], v[76:77], -v[78:79]
	s_delay_alu instid0(VALU_DEP_1) | instskip(SKIP_1) | instid1(VALU_DEP_2)
	v_add_f64_e32 v[9:10], v[9:10], v[76:77]
	v_add_f64_e32 v[76:77], v[80:81], v[102:103]
	;; [unrolled: 1-line block ×3, first 2 shown]
	s_delay_alu instid0(VALU_DEP_2) | instskip(NEXT) | instid1(VALU_DEP_2)
	v_add_f64_e64 v[74:75], v[76:77], -v[80:81]
	v_add_f64_e32 v[9:10], v[106:107], v[9:10]
	s_delay_alu instid0(VALU_DEP_2) | instskip(NEXT) | instid1(VALU_DEP_2)
	v_add_f64_e64 v[74:75], v[102:103], -v[74:75]
	v_mul_f64_e32 v[9:10], v[72:73], v[9:10]
	s_delay_alu instid0(VALU_DEP_1) | instskip(NEXT) | instid1(VALU_DEP_1)
	v_add_f64_e32 v[9:10], v[74:75], v[9:10]
	v_add_f64_e32 v[72:73], v[76:77], v[9:10]
	s_delay_alu instid0(VALU_DEP_1) | instskip(NEXT) | instid1(VALU_DEP_1)
	v_mul_f64_e32 v[74:75], v[72:73], v[72:73]
	v_fma_f64 v[78:79], v[74:75], s[50:51], s[48:49]
	s_mov_b32 s48, 0xd7f4df2e
	s_mov_b32 s49, 0x3fc7474d
	v_mul_f64_e32 v[80:81], v[72:73], v[74:75]
	s_wait_alu 0xfffe
	s_delay_alu instid0(VALU_DEP_2) | instskip(SKIP_3) | instid1(VALU_DEP_1)
	v_fma_f64 v[78:79], v[74:75], v[78:79], s[48:49]
	s_mov_b32 s48, 0x16291751
	s_mov_b32 s49, 0x3fcc71c0
	s_wait_alu 0xfffe
	v_fma_f64 v[78:79], v[74:75], v[78:79], s[48:49]
	s_mov_b32 s48, 0x9b27acf1
	s_mov_b32 s49, 0x3fd24924
	s_wait_alu 0xfffe
	s_delay_alu instid0(VALU_DEP_1) | instskip(SKIP_3) | instid1(VALU_DEP_1)
	v_fma_f64 v[78:79], v[74:75], v[78:79], s[48:49]
	s_mov_b32 s48, 0x998ef7b6
	s_mov_b32 s49, 0x3fd99999
	s_wait_alu 0xfffe
	v_fma_f64 v[78:79], v[74:75], v[78:79], s[48:49]
	s_delay_alu instid0(VALU_DEP_1) | instskip(SKIP_2) | instid1(VALU_DEP_3)
	v_fma_f64 v[74:75], v[74:75], v[78:79], s[44:45]
	v_ldexp_f64 v[78:79], v[72:73], 1
	v_add_f64_e64 v[72:73], v[72:73], -v[76:77]
	v_mul_f64_e32 v[74:75], v[80:81], v[74:75]
	v_cvt_f64_i32_e32 v[80:81], v82
	s_delay_alu instid0(VALU_DEP_3) | instskip(NEXT) | instid1(VALU_DEP_3)
	v_add_f64_e64 v[9:10], v[9:10], -v[72:73]
	v_add_f64_e32 v[76:77], v[78:79], v[74:75]
	s_delay_alu instid0(VALU_DEP_3) | instskip(NEXT) | instid1(VALU_DEP_3)
	v_mul_f64_e32 v[102:103], s[20:21], v[80:81]
	v_ldexp_f64 v[9:10], v[9:10], 1
	s_delay_alu instid0(VALU_DEP_3) | instskip(NEXT) | instid1(VALU_DEP_3)
	v_add_f64_e64 v[72:73], v[76:77], -v[78:79]
	v_fma_f64 v[78:79], v[80:81], s[20:21], -v[102:103]
	v_cmp_ngt_f64_e64 s20, -1.0, v[7:8]
	s_delay_alu instid0(VALU_DEP_3) | instskip(NEXT) | instid1(VALU_DEP_3)
	v_add_f64_e64 v[72:73], v[74:75], -v[72:73]
	v_fma_f64 v[74:75], v[80:81], s[42:43], v[78:79]
	s_delay_alu instid0(VALU_DEP_2) | instskip(NEXT) | instid1(VALU_DEP_2)
	v_add_f64_e32 v[9:10], v[9:10], v[72:73]
	v_add_f64_e32 v[72:73], v[102:103], v[74:75]
	s_delay_alu instid0(VALU_DEP_2) | instskip(NEXT) | instid1(VALU_DEP_2)
	v_add_f64_e32 v[78:79], v[76:77], v[9:10]
	v_add_f64_e64 v[102:103], v[72:73], -v[102:103]
	s_delay_alu instid0(VALU_DEP_2) | instskip(SKIP_1) | instid1(VALU_DEP_3)
	v_add_f64_e32 v[80:81], v[72:73], v[78:79]
	v_add_f64_e64 v[76:77], v[78:79], -v[76:77]
	v_add_f64_e64 v[74:75], v[74:75], -v[102:103]
	s_delay_alu instid0(VALU_DEP_3) | instskip(NEXT) | instid1(VALU_DEP_3)
	v_add_f64_e64 v[104:105], v[80:81], -v[72:73]
	v_add_f64_e64 v[9:10], v[9:10], -v[76:77]
	s_delay_alu instid0(VALU_DEP_2) | instskip(SKIP_1) | instid1(VALU_DEP_3)
	v_add_f64_e64 v[106:107], v[80:81], -v[104:105]
	v_add_f64_e64 v[76:77], v[78:79], -v[104:105]
	v_add_f64_e32 v[78:79], v[74:75], v[9:10]
	s_delay_alu instid0(VALU_DEP_3) | instskip(NEXT) | instid1(VALU_DEP_1)
	v_add_f64_e64 v[72:73], v[72:73], -v[106:107]
	v_add_f64_e32 v[72:73], v[76:77], v[72:73]
	s_delay_alu instid0(VALU_DEP_3) | instskip(NEXT) | instid1(VALU_DEP_2)
	v_add_f64_e64 v[76:77], v[78:79], -v[74:75]
	v_add_f64_e32 v[72:73], v[78:79], v[72:73]
	s_delay_alu instid0(VALU_DEP_2) | instskip(SKIP_1) | instid1(VALU_DEP_3)
	v_add_f64_e64 v[78:79], v[78:79], -v[76:77]
	v_add_f64_e64 v[9:10], v[9:10], -v[76:77]
	v_add_f64_e32 v[102:103], v[80:81], v[72:73]
	s_delay_alu instid0(VALU_DEP_3) | instskip(NEXT) | instid1(VALU_DEP_2)
	v_add_f64_e64 v[74:75], v[74:75], -v[78:79]
	v_add_f64_e64 v[76:77], v[102:103], -v[80:81]
	s_delay_alu instid0(VALU_DEP_2) | instskip(NEXT) | instid1(VALU_DEP_2)
	v_add_f64_e32 v[9:10], v[9:10], v[74:75]
	v_add_f64_e64 v[72:73], v[72:73], -v[76:77]
	s_delay_alu instid0(VALU_DEP_1) | instskip(NEXT) | instid1(VALU_DEP_1)
	v_add_f64_e32 v[9:10], v[9:10], v[72:73]
	v_add_f64_e32 v[9:10], v[102:103], v[9:10]
	s_delay_alu instid0(VALU_DEP_1) | instskip(SKIP_1) | instid1(VALU_DEP_3)
	v_cndmask_b32_e32 v9, 0, v9, vcc_lo
	v_cmp_neq_f64_e32 vcc_lo, -1.0, v[7:8]
	v_cndmask_b32_e64 v10, 0x7ff00000, v10, s19
	s_wait_alu 0xf1ff
	s_delay_alu instid0(VALU_DEP_1) | instskip(SKIP_1) | instid1(VALU_DEP_1)
	v_cndmask_b32_e64 v10, 0x7ff80000, v10, s20
	s_wait_alu 0xfffd
	v_cndmask_b32_e32 v10, 0xfff00000, v10, vcc_lo
	s_delay_alu instid0(VALU_DEP_1)
	v_add_f64_e32 v[7:8], v[5:6], v[9:10]
.LBB71_63:
	s_wait_alu 0xfffe
	s_or_b32 exec_lo, exec_lo, s47
	s_delay_alu instid0(VALU_DEP_1)
	v_dual_mov_b32 v5, v7 :: v_dual_mov_b32 v6, v8
	v_dual_mov_b32 v9, v7 :: v_dual_mov_b32 v10, v8
.LBB71_64:
	s_wait_alu 0xfffe
	s_or_b32 exec_lo, exec_lo, s46
	s_delay_alu instid0(VALU_DEP_1) | instskip(NEXT) | instid1(VALU_DEP_2)
	v_mov_b32_dpp v7, v9 row_shr:4 row_mask:0xf bank_mask:0xf
	v_mov_b32_dpp v8, v10 row_shr:4 row_mask:0xf bank_mask:0xf
	s_mov_b32 s46, exec_lo
	v_cmpx_lt_u32_e32 3, v71
	s_cbranch_execz .LBB71_68
; %bb.65:
	s_delay_alu instid0(VALU_DEP_2) | instskip(SKIP_3) | instid1(VALU_DEP_3)
	v_max_num_f64_e32 v[9:10], v[7:8], v[7:8]
	v_max_num_f64_e32 v[72:73], v[5:6], v[5:6]
	v_cmp_u_f64_e32 vcc_lo, v[7:8], v[7:8]
	v_cmp_u_f64_e64 s19, v[5:6], v[5:6]
	v_min_num_f64_e32 v[74:75], v[9:10], v[72:73]
	v_max_num_f64_e32 v[9:10], v[9:10], v[72:73]
	s_wait_alu 0xfffd
	s_delay_alu instid0(VALU_DEP_2) | instskip(NEXT) | instid1(VALU_DEP_2)
	v_dual_cndmask_b32 v72, v75, v8 :: v_dual_cndmask_b32 v73, v74, v7
	v_dual_cndmask_b32 v74, v10, v8 :: v_dual_cndmask_b32 v75, v9, v7
	s_wait_alu 0xf1ff
	s_delay_alu instid0(VALU_DEP_2) | instskip(NEXT) | instid1(VALU_DEP_3)
	v_cndmask_b32_e64 v10, v72, v6, s19
	v_cndmask_b32_e64 v9, v73, v5, s19
	s_delay_alu instid0(VALU_DEP_3) | instskip(SKIP_1) | instid1(VALU_DEP_3)
	v_cndmask_b32_e64 v6, v74, v6, s19
	v_cndmask_b32_e64 v5, v75, v5, s19
	v_cmp_class_f64_e64 s19, v[9:10], 0x1f8
	s_delay_alu instid0(VALU_DEP_2)
	v_cmp_neq_f64_e32 vcc_lo, v[9:10], v[5:6]
	s_or_b32 s19, vcc_lo, s19
	s_wait_alu 0xfffe
	s_and_saveexec_b32 s47, s19
	s_cbranch_execz .LBB71_67
; %bb.66:
	v_add_f64_e64 v[7:8], v[9:10], -v[5:6]
	s_mov_b32 s20, 0x652b82fe
	s_mov_b32 s21, 0x3ff71547
	;; [unrolled: 1-line block ×10, first 2 shown]
	s_wait_alu 0xfffe
	s_delay_alu instid0(VALU_DEP_1) | instskip(SKIP_4) | instid1(VALU_DEP_3)
	v_mul_f64_e32 v[9:10], s[20:21], v[7:8]
	s_mov_b32 s21, 0xbfe62e42
	s_mov_b32 s20, 0xfefa39ef
	v_cmp_nlt_f64_e32 vcc_lo, 0x40900000, v[7:8]
	v_cmp_ngt_f64_e64 s19, 0xc090cc00, v[7:8]
	v_rndne_f64_e32 v[9:10], v[9:10]
	s_wait_alu 0xfffe
	s_delay_alu instid0(VALU_DEP_1) | instskip(SKIP_2) | instid1(VALU_DEP_2)
	v_fma_f64 v[72:73], v[9:10], s[20:21], v[7:8]
	v_cvt_i32_f64_e32 v76, v[9:10]
	s_mov_b32 s21, 0x3fe62e42
	v_fma_f64 v[72:73], v[9:10], s[42:43], v[72:73]
	s_mov_b32 s43, 0x3c7abc9e
	s_delay_alu instid0(VALU_DEP_1)
	v_fma_f64 v[74:75], v[72:73], s[48:49], s[44:45]
	s_mov_b32 s44, 0x623fde64
	s_mov_b32 s45, 0x3ec71dee
	;; [unrolled: 1-line block ×4, first 2 shown]
	s_wait_alu 0xfffe
	s_delay_alu instid0(VALU_DEP_1) | instskip(SKIP_3) | instid1(VALU_DEP_1)
	v_fma_f64 v[74:75], v[72:73], v[74:75], s[44:45]
	s_mov_b32 s44, 0x7c89e6b0
	s_mov_b32 s45, 0x3efa0199
	s_wait_alu 0xfffe
	v_fma_f64 v[74:75], v[72:73], v[74:75], s[44:45]
	s_mov_b32 s44, 0x14761f6e
	s_mov_b32 s45, 0x3f2a01a0
	s_wait_alu 0xfffe
	s_delay_alu instid0(VALU_DEP_1) | instskip(SKIP_3) | instid1(VALU_DEP_1)
	v_fma_f64 v[74:75], v[72:73], v[74:75], s[44:45]
	s_mov_b32 s44, 0x1852b7b0
	s_mov_b32 s45, 0x3f56c16c
	s_wait_alu 0xfffe
	v_fma_f64 v[74:75], v[72:73], v[74:75], s[44:45]
	s_mov_b32 s44, 0x11122322
	s_mov_b32 s45, 0x3f811111
	;; [unrolled: 9-line block ×4, first 2 shown]
	s_delay_alu instid0(VALU_DEP_1) | instskip(NEXT) | instid1(VALU_DEP_1)
	v_fma_f64 v[74:75], v[72:73], v[74:75], 1.0
	v_fma_f64 v[9:10], v[72:73], v[74:75], 1.0
	s_delay_alu instid0(VALU_DEP_1) | instskip(SKIP_1) | instid1(VALU_DEP_1)
	v_ldexp_f64 v[9:10], v[9:10], v76
	s_wait_alu 0xfffd
	v_cndmask_b32_e32 v10, 0x7ff00000, v10, vcc_lo
	s_and_b32 vcc_lo, s19, vcc_lo
	s_wait_alu 0xfffe
	s_delay_alu instid0(VALU_DEP_2) | instskip(NEXT) | instid1(VALU_DEP_2)
	v_cndmask_b32_e32 v7, 0, v9, vcc_lo
	v_cndmask_b32_e64 v8, 0, v10, s19
	s_delay_alu instid0(VALU_DEP_1) | instskip(SKIP_1) | instid1(VALU_DEP_2)
	v_add_f64_e32 v[9:10], 1.0, v[7:8]
	v_cmp_neq_f64_e64 s19, 0x7ff00000, v[7:8]
	v_frexp_mant_f64_e32 v[72:73], v[9:10]
	v_frexp_exp_i32_f64_e32 v76, v[9:10]
	v_add_f64_e32 v[74:75], -1.0, v[9:10]
	s_delay_alu instid0(VALU_DEP_3) | instskip(SKIP_1) | instid1(VALU_DEP_2)
	v_cmp_gt_f64_e32 vcc_lo, s[44:45], v[72:73]
	s_mov_b32 s44, 0x55555780
	v_add_f64_e64 v[72:73], v[74:75], -v[9:10]
	v_add_f64_e64 v[74:75], v[7:8], -v[74:75]
	s_wait_alu 0xfffd
	v_subrev_co_ci_u32_e64 v82, null, 0, v76, vcc_lo
	s_delay_alu instid0(VALU_DEP_3) | instskip(SKIP_1) | instid1(VALU_DEP_3)
	v_add_f64_e32 v[72:73], 1.0, v[72:73]
	v_cmp_nge_f64_e32 vcc_lo, -1.0, v[7:8]
	v_sub_nc_u32_e32 v78, 0, v82
	s_delay_alu instid0(VALU_DEP_1) | instskip(NEXT) | instid1(VALU_DEP_4)
	v_ldexp_f64 v[9:10], v[9:10], v78
	v_add_f64_e32 v[72:73], v[74:75], v[72:73]
	s_and_b32 vcc_lo, vcc_lo, s19
	s_delay_alu instid0(VALU_DEP_2) | instskip(SKIP_1) | instid1(VALU_DEP_3)
	v_add_f64_e32 v[76:77], 1.0, v[9:10]
	v_add_f64_e32 v[102:103], -1.0, v[9:10]
	v_ldexp_f64 v[72:73], v[72:73], v78
	s_delay_alu instid0(VALU_DEP_3) | instskip(NEXT) | instid1(VALU_DEP_3)
	v_add_f64_e32 v[74:75], -1.0, v[76:77]
	v_add_f64_e32 v[104:105], 1.0, v[102:103]
	s_delay_alu instid0(VALU_DEP_2) | instskip(NEXT) | instid1(VALU_DEP_2)
	v_add_f64_e64 v[74:75], v[9:10], -v[74:75]
	v_add_f64_e64 v[9:10], v[9:10], -v[104:105]
	s_delay_alu instid0(VALU_DEP_2) | instskip(NEXT) | instid1(VALU_DEP_2)
	v_add_f64_e32 v[74:75], v[72:73], v[74:75]
	v_add_f64_e32 v[9:10], v[72:73], v[9:10]
	s_delay_alu instid0(VALU_DEP_2) | instskip(NEXT) | instid1(VALU_DEP_2)
	v_add_f64_e32 v[78:79], v[76:77], v[74:75]
	v_add_f64_e32 v[104:105], v[102:103], v[9:10]
	s_delay_alu instid0(VALU_DEP_2) | instskip(SKIP_1) | instid1(VALU_DEP_2)
	v_rcp_f64_e32 v[80:81], v[78:79]
	v_add_f64_e64 v[76:77], v[78:79], -v[76:77]
	v_add_f64_e64 v[102:103], v[104:105], -v[102:103]
	s_delay_alu instid0(VALU_DEP_2) | instskip(NEXT) | instid1(TRANS32_DEP_1)
	v_add_f64_e64 v[74:75], v[74:75], -v[76:77]
	v_fma_f64 v[106:107], -v[78:79], v[80:81], 1.0
	s_delay_alu instid0(VALU_DEP_3) | instskip(NEXT) | instid1(VALU_DEP_2)
	v_add_f64_e64 v[9:10], v[9:10], -v[102:103]
	v_fma_f64 v[80:81], v[106:107], v[80:81], v[80:81]
	s_delay_alu instid0(VALU_DEP_1) | instskip(NEXT) | instid1(VALU_DEP_1)
	v_fma_f64 v[72:73], -v[78:79], v[80:81], 1.0
	v_fma_f64 v[72:73], v[72:73], v[80:81], v[80:81]
	s_delay_alu instid0(VALU_DEP_1) | instskip(NEXT) | instid1(VALU_DEP_1)
	v_mul_f64_e32 v[80:81], v[104:105], v[72:73]
	v_mul_f64_e32 v[106:107], v[78:79], v[80:81]
	s_delay_alu instid0(VALU_DEP_1) | instskip(NEXT) | instid1(VALU_DEP_1)
	v_fma_f64 v[76:77], v[80:81], v[78:79], -v[106:107]
	v_fma_f64 v[76:77], v[80:81], v[74:75], v[76:77]
	s_delay_alu instid0(VALU_DEP_1) | instskip(NEXT) | instid1(VALU_DEP_1)
	v_add_f64_e32 v[108:109], v[106:107], v[76:77]
	v_add_f64_e64 v[110:111], v[104:105], -v[108:109]
	v_add_f64_e64 v[102:103], v[108:109], -v[106:107]
	s_delay_alu instid0(VALU_DEP_2) | instskip(NEXT) | instid1(VALU_DEP_2)
	v_add_f64_e64 v[104:105], v[104:105], -v[110:111]
	v_add_f64_e64 v[76:77], v[102:103], -v[76:77]
	s_delay_alu instid0(VALU_DEP_2) | instskip(NEXT) | instid1(VALU_DEP_1)
	v_add_f64_e64 v[104:105], v[104:105], -v[108:109]
	v_add_f64_e32 v[9:10], v[9:10], v[104:105]
	s_delay_alu instid0(VALU_DEP_1) | instskip(NEXT) | instid1(VALU_DEP_1)
	v_add_f64_e32 v[9:10], v[76:77], v[9:10]
	v_add_f64_e32 v[76:77], v[110:111], v[9:10]
	s_delay_alu instid0(VALU_DEP_1) | instskip(SKIP_1) | instid1(VALU_DEP_2)
	v_mul_f64_e32 v[102:103], v[72:73], v[76:77]
	v_add_f64_e64 v[108:109], v[110:111], -v[76:77]
	v_mul_f64_e32 v[104:105], v[78:79], v[102:103]
	s_delay_alu instid0(VALU_DEP_2) | instskip(NEXT) | instid1(VALU_DEP_2)
	v_add_f64_e32 v[9:10], v[9:10], v[108:109]
	v_fma_f64 v[78:79], v[102:103], v[78:79], -v[104:105]
	s_delay_alu instid0(VALU_DEP_1) | instskip(NEXT) | instid1(VALU_DEP_1)
	v_fma_f64 v[74:75], v[102:103], v[74:75], v[78:79]
	v_add_f64_e32 v[78:79], v[104:105], v[74:75]
	s_delay_alu instid0(VALU_DEP_1) | instskip(SKIP_1) | instid1(VALU_DEP_2)
	v_add_f64_e64 v[106:107], v[76:77], -v[78:79]
	v_add_f64_e64 v[104:105], v[78:79], -v[104:105]
	;; [unrolled: 1-line block ×3, first 2 shown]
	s_delay_alu instid0(VALU_DEP_2) | instskip(NEXT) | instid1(VALU_DEP_2)
	v_add_f64_e64 v[74:75], v[104:105], -v[74:75]
	v_add_f64_e64 v[76:77], v[76:77], -v[78:79]
	s_delay_alu instid0(VALU_DEP_1) | instskip(SKIP_1) | instid1(VALU_DEP_2)
	v_add_f64_e32 v[9:10], v[9:10], v[76:77]
	v_add_f64_e32 v[76:77], v[80:81], v[102:103]
	;; [unrolled: 1-line block ×3, first 2 shown]
	s_delay_alu instid0(VALU_DEP_2) | instskip(NEXT) | instid1(VALU_DEP_2)
	v_add_f64_e64 v[74:75], v[76:77], -v[80:81]
	v_add_f64_e32 v[9:10], v[106:107], v[9:10]
	s_delay_alu instid0(VALU_DEP_2) | instskip(NEXT) | instid1(VALU_DEP_2)
	v_add_f64_e64 v[74:75], v[102:103], -v[74:75]
	v_mul_f64_e32 v[9:10], v[72:73], v[9:10]
	s_delay_alu instid0(VALU_DEP_1) | instskip(NEXT) | instid1(VALU_DEP_1)
	v_add_f64_e32 v[9:10], v[74:75], v[9:10]
	v_add_f64_e32 v[72:73], v[76:77], v[9:10]
	s_delay_alu instid0(VALU_DEP_1) | instskip(NEXT) | instid1(VALU_DEP_1)
	v_mul_f64_e32 v[74:75], v[72:73], v[72:73]
	v_fma_f64 v[78:79], v[74:75], s[50:51], s[48:49]
	s_mov_b32 s48, 0xd7f4df2e
	s_mov_b32 s49, 0x3fc7474d
	v_mul_f64_e32 v[80:81], v[72:73], v[74:75]
	s_wait_alu 0xfffe
	s_delay_alu instid0(VALU_DEP_2) | instskip(SKIP_3) | instid1(VALU_DEP_1)
	v_fma_f64 v[78:79], v[74:75], v[78:79], s[48:49]
	s_mov_b32 s48, 0x16291751
	s_mov_b32 s49, 0x3fcc71c0
	s_wait_alu 0xfffe
	v_fma_f64 v[78:79], v[74:75], v[78:79], s[48:49]
	s_mov_b32 s48, 0x9b27acf1
	s_mov_b32 s49, 0x3fd24924
	s_wait_alu 0xfffe
	s_delay_alu instid0(VALU_DEP_1) | instskip(SKIP_3) | instid1(VALU_DEP_1)
	v_fma_f64 v[78:79], v[74:75], v[78:79], s[48:49]
	s_mov_b32 s48, 0x998ef7b6
	s_mov_b32 s49, 0x3fd99999
	s_wait_alu 0xfffe
	v_fma_f64 v[78:79], v[74:75], v[78:79], s[48:49]
	s_delay_alu instid0(VALU_DEP_1) | instskip(SKIP_2) | instid1(VALU_DEP_3)
	v_fma_f64 v[74:75], v[74:75], v[78:79], s[44:45]
	v_ldexp_f64 v[78:79], v[72:73], 1
	v_add_f64_e64 v[72:73], v[72:73], -v[76:77]
	v_mul_f64_e32 v[74:75], v[80:81], v[74:75]
	v_cvt_f64_i32_e32 v[80:81], v82
	s_delay_alu instid0(VALU_DEP_3) | instskip(NEXT) | instid1(VALU_DEP_3)
	v_add_f64_e64 v[9:10], v[9:10], -v[72:73]
	v_add_f64_e32 v[76:77], v[78:79], v[74:75]
	s_delay_alu instid0(VALU_DEP_3) | instskip(NEXT) | instid1(VALU_DEP_3)
	v_mul_f64_e32 v[102:103], s[20:21], v[80:81]
	v_ldexp_f64 v[9:10], v[9:10], 1
	s_delay_alu instid0(VALU_DEP_3) | instskip(NEXT) | instid1(VALU_DEP_3)
	v_add_f64_e64 v[72:73], v[76:77], -v[78:79]
	v_fma_f64 v[78:79], v[80:81], s[20:21], -v[102:103]
	v_cmp_ngt_f64_e64 s20, -1.0, v[7:8]
	s_delay_alu instid0(VALU_DEP_3) | instskip(NEXT) | instid1(VALU_DEP_3)
	v_add_f64_e64 v[72:73], v[74:75], -v[72:73]
	v_fma_f64 v[74:75], v[80:81], s[42:43], v[78:79]
	s_delay_alu instid0(VALU_DEP_2) | instskip(NEXT) | instid1(VALU_DEP_2)
	v_add_f64_e32 v[9:10], v[9:10], v[72:73]
	v_add_f64_e32 v[72:73], v[102:103], v[74:75]
	s_delay_alu instid0(VALU_DEP_2) | instskip(NEXT) | instid1(VALU_DEP_2)
	v_add_f64_e32 v[78:79], v[76:77], v[9:10]
	v_add_f64_e64 v[102:103], v[72:73], -v[102:103]
	s_delay_alu instid0(VALU_DEP_2) | instskip(SKIP_1) | instid1(VALU_DEP_3)
	v_add_f64_e32 v[80:81], v[72:73], v[78:79]
	v_add_f64_e64 v[76:77], v[78:79], -v[76:77]
	v_add_f64_e64 v[74:75], v[74:75], -v[102:103]
	s_delay_alu instid0(VALU_DEP_3) | instskip(NEXT) | instid1(VALU_DEP_3)
	v_add_f64_e64 v[104:105], v[80:81], -v[72:73]
	v_add_f64_e64 v[9:10], v[9:10], -v[76:77]
	s_delay_alu instid0(VALU_DEP_2) | instskip(SKIP_1) | instid1(VALU_DEP_3)
	v_add_f64_e64 v[106:107], v[80:81], -v[104:105]
	v_add_f64_e64 v[76:77], v[78:79], -v[104:105]
	v_add_f64_e32 v[78:79], v[74:75], v[9:10]
	s_delay_alu instid0(VALU_DEP_3) | instskip(NEXT) | instid1(VALU_DEP_1)
	v_add_f64_e64 v[72:73], v[72:73], -v[106:107]
	v_add_f64_e32 v[72:73], v[76:77], v[72:73]
	s_delay_alu instid0(VALU_DEP_3) | instskip(NEXT) | instid1(VALU_DEP_2)
	v_add_f64_e64 v[76:77], v[78:79], -v[74:75]
	v_add_f64_e32 v[72:73], v[78:79], v[72:73]
	s_delay_alu instid0(VALU_DEP_2) | instskip(SKIP_1) | instid1(VALU_DEP_3)
	v_add_f64_e64 v[78:79], v[78:79], -v[76:77]
	v_add_f64_e64 v[9:10], v[9:10], -v[76:77]
	v_add_f64_e32 v[102:103], v[80:81], v[72:73]
	s_delay_alu instid0(VALU_DEP_3) | instskip(NEXT) | instid1(VALU_DEP_2)
	v_add_f64_e64 v[74:75], v[74:75], -v[78:79]
	v_add_f64_e64 v[76:77], v[102:103], -v[80:81]
	s_delay_alu instid0(VALU_DEP_2) | instskip(NEXT) | instid1(VALU_DEP_2)
	v_add_f64_e32 v[9:10], v[9:10], v[74:75]
	v_add_f64_e64 v[72:73], v[72:73], -v[76:77]
	s_delay_alu instid0(VALU_DEP_1) | instskip(NEXT) | instid1(VALU_DEP_1)
	v_add_f64_e32 v[9:10], v[9:10], v[72:73]
	v_add_f64_e32 v[9:10], v[102:103], v[9:10]
	s_delay_alu instid0(VALU_DEP_1) | instskip(SKIP_1) | instid1(VALU_DEP_3)
	v_cndmask_b32_e32 v9, 0, v9, vcc_lo
	v_cmp_neq_f64_e32 vcc_lo, -1.0, v[7:8]
	v_cndmask_b32_e64 v10, 0x7ff00000, v10, s19
	s_wait_alu 0xf1ff
	s_delay_alu instid0(VALU_DEP_1) | instskip(SKIP_1) | instid1(VALU_DEP_1)
	v_cndmask_b32_e64 v10, 0x7ff80000, v10, s20
	s_wait_alu 0xfffd
	v_cndmask_b32_e32 v10, 0xfff00000, v10, vcc_lo
	s_delay_alu instid0(VALU_DEP_1)
	v_add_f64_e32 v[7:8], v[5:6], v[9:10]
.LBB71_67:
	s_wait_alu 0xfffe
	s_or_b32 exec_lo, exec_lo, s47
	s_delay_alu instid0(VALU_DEP_1)
	v_dual_mov_b32 v5, v7 :: v_dual_mov_b32 v6, v8
	v_dual_mov_b32 v9, v7 :: v_dual_mov_b32 v10, v8
.LBB71_68:
	s_wait_alu 0xfffe
	s_or_b32 exec_lo, exec_lo, s46
	s_delay_alu instid0(VALU_DEP_1) | instskip(NEXT) | instid1(VALU_DEP_2)
	v_mov_b32_dpp v7, v9 row_shr:8 row_mask:0xf bank_mask:0xf
	v_mov_b32_dpp v8, v10 row_shr:8 row_mask:0xf bank_mask:0xf
	s_mov_b32 s46, exec_lo
	v_cmpx_lt_u32_e32 7, v71
	s_cbranch_execz .LBB71_72
; %bb.69:
	s_delay_alu instid0(VALU_DEP_2) | instskip(SKIP_3) | instid1(VALU_DEP_3)
	v_max_num_f64_e32 v[9:10], v[7:8], v[7:8]
	v_max_num_f64_e32 v[71:72], v[5:6], v[5:6]
	v_cmp_u_f64_e32 vcc_lo, v[7:8], v[7:8]
	v_cmp_u_f64_e64 s19, v[5:6], v[5:6]
	v_min_num_f64_e32 v[73:74], v[9:10], v[71:72]
	v_max_num_f64_e32 v[9:10], v[9:10], v[71:72]
	s_wait_alu 0xfffd
	s_delay_alu instid0(VALU_DEP_2) | instskip(NEXT) | instid1(VALU_DEP_2)
	v_dual_cndmask_b32 v71, v74, v8 :: v_dual_cndmask_b32 v72, v73, v7
	v_dual_cndmask_b32 v73, v10, v8 :: v_dual_cndmask_b32 v74, v9, v7
	s_wait_alu 0xf1ff
	s_delay_alu instid0(VALU_DEP_2) | instskip(NEXT) | instid1(VALU_DEP_3)
	v_cndmask_b32_e64 v10, v71, v6, s19
	v_cndmask_b32_e64 v9, v72, v5, s19
	s_delay_alu instid0(VALU_DEP_3) | instskip(SKIP_1) | instid1(VALU_DEP_3)
	v_cndmask_b32_e64 v6, v73, v6, s19
	v_cndmask_b32_e64 v5, v74, v5, s19
	v_cmp_class_f64_e64 s19, v[9:10], 0x1f8
	s_delay_alu instid0(VALU_DEP_2)
	v_cmp_neq_f64_e32 vcc_lo, v[9:10], v[5:6]
	s_or_b32 s19, vcc_lo, s19
	s_wait_alu 0xfffe
	s_and_saveexec_b32 s47, s19
	s_cbranch_execz .LBB71_71
; %bb.70:
	v_add_f64_e64 v[7:8], v[9:10], -v[5:6]
	s_mov_b32 s20, 0x652b82fe
	s_mov_b32 s21, 0x3ff71547
	;; [unrolled: 1-line block ×10, first 2 shown]
	s_wait_alu 0xfffe
	s_delay_alu instid0(VALU_DEP_1) | instskip(SKIP_4) | instid1(VALU_DEP_3)
	v_mul_f64_e32 v[9:10], s[20:21], v[7:8]
	s_mov_b32 s21, 0xbfe62e42
	s_mov_b32 s20, 0xfefa39ef
	v_cmp_nlt_f64_e32 vcc_lo, 0x40900000, v[7:8]
	v_cmp_ngt_f64_e64 s19, 0xc090cc00, v[7:8]
	v_rndne_f64_e32 v[9:10], v[9:10]
	s_wait_alu 0xfffe
	s_delay_alu instid0(VALU_DEP_1) | instskip(SKIP_2) | instid1(VALU_DEP_2)
	v_fma_f64 v[71:72], v[9:10], s[20:21], v[7:8]
	v_cvt_i32_f64_e32 v75, v[9:10]
	s_mov_b32 s21, 0x3fe62e42
	v_fma_f64 v[71:72], v[9:10], s[42:43], v[71:72]
	s_mov_b32 s43, 0x3c7abc9e
	s_delay_alu instid0(VALU_DEP_1)
	v_fma_f64 v[73:74], v[71:72], s[48:49], s[44:45]
	s_mov_b32 s44, 0x623fde64
	s_mov_b32 s45, 0x3ec71dee
	s_mov_b32 s48, 0x6b47b09a
	s_mov_b32 s49, 0x3fc38538
	s_wait_alu 0xfffe
	s_delay_alu instid0(VALU_DEP_1) | instskip(SKIP_3) | instid1(VALU_DEP_1)
	v_fma_f64 v[73:74], v[71:72], v[73:74], s[44:45]
	s_mov_b32 s44, 0x7c89e6b0
	s_mov_b32 s45, 0x3efa0199
	s_wait_alu 0xfffe
	v_fma_f64 v[73:74], v[71:72], v[73:74], s[44:45]
	s_mov_b32 s44, 0x14761f6e
	s_mov_b32 s45, 0x3f2a01a0
	s_wait_alu 0xfffe
	s_delay_alu instid0(VALU_DEP_1) | instskip(SKIP_3) | instid1(VALU_DEP_1)
	v_fma_f64 v[73:74], v[71:72], v[73:74], s[44:45]
	s_mov_b32 s44, 0x1852b7b0
	s_mov_b32 s45, 0x3f56c16c
	s_wait_alu 0xfffe
	v_fma_f64 v[73:74], v[71:72], v[73:74], s[44:45]
	s_mov_b32 s44, 0x11122322
	s_mov_b32 s45, 0x3f811111
	s_wait_alu 0xfffe
	s_delay_alu instid0(VALU_DEP_1) | instskip(SKIP_3) | instid1(VALU_DEP_1)
	v_fma_f64 v[73:74], v[71:72], v[73:74], s[44:45]
	s_mov_b32 s44, 0x555502a1
	s_mov_b32 s45, 0x3fa55555
	s_wait_alu 0xfffe
	v_fma_f64 v[73:74], v[71:72], v[73:74], s[44:45]
	s_mov_b32 s44, 0x55555511
	s_mov_b32 s45, 0x3fc55555
	s_wait_alu 0xfffe
	s_delay_alu instid0(VALU_DEP_1) | instskip(SKIP_3) | instid1(VALU_DEP_1)
	v_fma_f64 v[73:74], v[71:72], v[73:74], s[44:45]
	s_mov_b32 s44, 11
	s_mov_b32 s45, 0x3fe00000
	s_wait_alu 0xfffe
	v_fma_f64 v[73:74], v[71:72], v[73:74], s[44:45]
	s_mov_b32 s45, 0x3fe55555
	s_mov_b32 s44, 0x55555555
	s_delay_alu instid0(VALU_DEP_1) | instskip(NEXT) | instid1(VALU_DEP_1)
	v_fma_f64 v[73:74], v[71:72], v[73:74], 1.0
	v_fma_f64 v[9:10], v[71:72], v[73:74], 1.0
	s_delay_alu instid0(VALU_DEP_1) | instskip(SKIP_1) | instid1(VALU_DEP_1)
	v_ldexp_f64 v[9:10], v[9:10], v75
	s_wait_alu 0xfffd
	v_cndmask_b32_e32 v10, 0x7ff00000, v10, vcc_lo
	s_and_b32 vcc_lo, s19, vcc_lo
	s_wait_alu 0xfffe
	s_delay_alu instid0(VALU_DEP_2) | instskip(NEXT) | instid1(VALU_DEP_2)
	v_cndmask_b32_e32 v7, 0, v9, vcc_lo
	v_cndmask_b32_e64 v8, 0, v10, s19
	s_delay_alu instid0(VALU_DEP_1) | instskip(SKIP_1) | instid1(VALU_DEP_2)
	v_add_f64_e32 v[9:10], 1.0, v[7:8]
	v_cmp_neq_f64_e64 s19, 0x7ff00000, v[7:8]
	v_frexp_mant_f64_e32 v[71:72], v[9:10]
	v_frexp_exp_i32_f64_e32 v75, v[9:10]
	v_add_f64_e32 v[73:74], -1.0, v[9:10]
	s_delay_alu instid0(VALU_DEP_3) | instskip(SKIP_1) | instid1(VALU_DEP_2)
	v_cmp_gt_f64_e32 vcc_lo, s[44:45], v[71:72]
	s_mov_b32 s44, 0x55555780
	v_add_f64_e64 v[71:72], v[73:74], -v[9:10]
	v_add_f64_e64 v[73:74], v[7:8], -v[73:74]
	s_wait_alu 0xfffd
	v_subrev_co_ci_u32_e64 v110, null, 0, v75, vcc_lo
	s_delay_alu instid0(VALU_DEP_3) | instskip(SKIP_1) | instid1(VALU_DEP_3)
	v_add_f64_e32 v[71:72], 1.0, v[71:72]
	v_cmp_nge_f64_e32 vcc_lo, -1.0, v[7:8]
	v_sub_nc_u32_e32 v77, 0, v110
	s_delay_alu instid0(VALU_DEP_1) | instskip(NEXT) | instid1(VALU_DEP_4)
	v_ldexp_f64 v[9:10], v[9:10], v77
	v_add_f64_e32 v[71:72], v[73:74], v[71:72]
	s_and_b32 vcc_lo, vcc_lo, s19
	s_delay_alu instid0(VALU_DEP_2) | instskip(SKIP_1) | instid1(VALU_DEP_3)
	v_add_f64_e32 v[75:76], 1.0, v[9:10]
	v_add_f64_e32 v[81:82], -1.0, v[9:10]
	v_ldexp_f64 v[71:72], v[71:72], v77
	s_delay_alu instid0(VALU_DEP_3) | instskip(NEXT) | instid1(VALU_DEP_3)
	v_add_f64_e32 v[73:74], -1.0, v[75:76]
	v_add_f64_e32 v[102:103], 1.0, v[81:82]
	s_delay_alu instid0(VALU_DEP_2) | instskip(NEXT) | instid1(VALU_DEP_2)
	v_add_f64_e64 v[73:74], v[9:10], -v[73:74]
	v_add_f64_e64 v[9:10], v[9:10], -v[102:103]
	s_delay_alu instid0(VALU_DEP_2) | instskip(NEXT) | instid1(VALU_DEP_2)
	v_add_f64_e32 v[73:74], v[71:72], v[73:74]
	v_add_f64_e32 v[9:10], v[71:72], v[9:10]
	s_delay_alu instid0(VALU_DEP_2) | instskip(NEXT) | instid1(VALU_DEP_2)
	v_add_f64_e32 v[77:78], v[75:76], v[73:74]
	v_add_f64_e32 v[102:103], v[81:82], v[9:10]
	s_delay_alu instid0(VALU_DEP_2) | instskip(SKIP_1) | instid1(VALU_DEP_2)
	v_rcp_f64_e32 v[79:80], v[77:78]
	v_add_f64_e64 v[75:76], v[77:78], -v[75:76]
	v_add_f64_e64 v[81:82], v[102:103], -v[81:82]
	s_delay_alu instid0(VALU_DEP_2) | instskip(NEXT) | instid1(TRANS32_DEP_1)
	v_add_f64_e64 v[73:74], v[73:74], -v[75:76]
	v_fma_f64 v[104:105], -v[77:78], v[79:80], 1.0
	s_delay_alu instid0(VALU_DEP_3) | instskip(NEXT) | instid1(VALU_DEP_2)
	v_add_f64_e64 v[9:10], v[9:10], -v[81:82]
	v_fma_f64 v[79:80], v[104:105], v[79:80], v[79:80]
	s_delay_alu instid0(VALU_DEP_1) | instskip(NEXT) | instid1(VALU_DEP_1)
	v_fma_f64 v[71:72], -v[77:78], v[79:80], 1.0
	v_fma_f64 v[71:72], v[71:72], v[79:80], v[79:80]
	s_delay_alu instid0(VALU_DEP_1) | instskip(NEXT) | instid1(VALU_DEP_1)
	v_mul_f64_e32 v[79:80], v[102:103], v[71:72]
	v_mul_f64_e32 v[104:105], v[77:78], v[79:80]
	s_delay_alu instid0(VALU_DEP_1) | instskip(NEXT) | instid1(VALU_DEP_1)
	v_fma_f64 v[75:76], v[79:80], v[77:78], -v[104:105]
	v_fma_f64 v[75:76], v[79:80], v[73:74], v[75:76]
	s_delay_alu instid0(VALU_DEP_1) | instskip(NEXT) | instid1(VALU_DEP_1)
	v_add_f64_e32 v[106:107], v[104:105], v[75:76]
	v_add_f64_e64 v[108:109], v[102:103], -v[106:107]
	v_add_f64_e64 v[81:82], v[106:107], -v[104:105]
	s_delay_alu instid0(VALU_DEP_2) | instskip(NEXT) | instid1(VALU_DEP_2)
	v_add_f64_e64 v[102:103], v[102:103], -v[108:109]
	v_add_f64_e64 v[75:76], v[81:82], -v[75:76]
	s_delay_alu instid0(VALU_DEP_2) | instskip(NEXT) | instid1(VALU_DEP_1)
	v_add_f64_e64 v[102:103], v[102:103], -v[106:107]
	v_add_f64_e32 v[9:10], v[9:10], v[102:103]
	s_delay_alu instid0(VALU_DEP_1) | instskip(NEXT) | instid1(VALU_DEP_1)
	v_add_f64_e32 v[9:10], v[75:76], v[9:10]
	v_add_f64_e32 v[75:76], v[108:109], v[9:10]
	s_delay_alu instid0(VALU_DEP_1) | instskip(SKIP_1) | instid1(VALU_DEP_2)
	v_mul_f64_e32 v[81:82], v[71:72], v[75:76]
	v_add_f64_e64 v[106:107], v[108:109], -v[75:76]
	v_mul_f64_e32 v[102:103], v[77:78], v[81:82]
	s_delay_alu instid0(VALU_DEP_2) | instskip(NEXT) | instid1(VALU_DEP_2)
	v_add_f64_e32 v[9:10], v[9:10], v[106:107]
	v_fma_f64 v[77:78], v[81:82], v[77:78], -v[102:103]
	s_delay_alu instid0(VALU_DEP_1) | instskip(NEXT) | instid1(VALU_DEP_1)
	v_fma_f64 v[73:74], v[81:82], v[73:74], v[77:78]
	v_add_f64_e32 v[77:78], v[102:103], v[73:74]
	s_delay_alu instid0(VALU_DEP_1) | instskip(SKIP_1) | instid1(VALU_DEP_2)
	v_add_f64_e64 v[104:105], v[75:76], -v[77:78]
	v_add_f64_e64 v[102:103], v[77:78], -v[102:103]
	;; [unrolled: 1-line block ×3, first 2 shown]
	s_delay_alu instid0(VALU_DEP_2) | instskip(NEXT) | instid1(VALU_DEP_2)
	v_add_f64_e64 v[73:74], v[102:103], -v[73:74]
	v_add_f64_e64 v[75:76], v[75:76], -v[77:78]
	s_delay_alu instid0(VALU_DEP_1) | instskip(SKIP_1) | instid1(VALU_DEP_2)
	v_add_f64_e32 v[9:10], v[9:10], v[75:76]
	v_add_f64_e32 v[75:76], v[79:80], v[81:82]
	;; [unrolled: 1-line block ×3, first 2 shown]
	s_delay_alu instid0(VALU_DEP_2) | instskip(NEXT) | instid1(VALU_DEP_2)
	v_add_f64_e64 v[73:74], v[75:76], -v[79:80]
	v_add_f64_e32 v[9:10], v[104:105], v[9:10]
	s_delay_alu instid0(VALU_DEP_2) | instskip(NEXT) | instid1(VALU_DEP_2)
	v_add_f64_e64 v[73:74], v[81:82], -v[73:74]
	v_mul_f64_e32 v[9:10], v[71:72], v[9:10]
	s_delay_alu instid0(VALU_DEP_1) | instskip(NEXT) | instid1(VALU_DEP_1)
	v_add_f64_e32 v[9:10], v[73:74], v[9:10]
	v_add_f64_e32 v[71:72], v[75:76], v[9:10]
	s_delay_alu instid0(VALU_DEP_1) | instskip(NEXT) | instid1(VALU_DEP_1)
	v_mul_f64_e32 v[73:74], v[71:72], v[71:72]
	v_fma_f64 v[77:78], v[73:74], s[50:51], s[48:49]
	s_mov_b32 s48, 0xd7f4df2e
	s_mov_b32 s49, 0x3fc7474d
	v_mul_f64_e32 v[79:80], v[71:72], v[73:74]
	s_wait_alu 0xfffe
	s_delay_alu instid0(VALU_DEP_2) | instskip(SKIP_3) | instid1(VALU_DEP_1)
	v_fma_f64 v[77:78], v[73:74], v[77:78], s[48:49]
	s_mov_b32 s48, 0x16291751
	s_mov_b32 s49, 0x3fcc71c0
	s_wait_alu 0xfffe
	v_fma_f64 v[77:78], v[73:74], v[77:78], s[48:49]
	s_mov_b32 s48, 0x9b27acf1
	s_mov_b32 s49, 0x3fd24924
	s_wait_alu 0xfffe
	s_delay_alu instid0(VALU_DEP_1) | instskip(SKIP_3) | instid1(VALU_DEP_1)
	v_fma_f64 v[77:78], v[73:74], v[77:78], s[48:49]
	s_mov_b32 s48, 0x998ef7b6
	s_mov_b32 s49, 0x3fd99999
	s_wait_alu 0xfffe
	v_fma_f64 v[77:78], v[73:74], v[77:78], s[48:49]
	s_delay_alu instid0(VALU_DEP_1) | instskip(SKIP_2) | instid1(VALU_DEP_3)
	v_fma_f64 v[73:74], v[73:74], v[77:78], s[44:45]
	v_ldexp_f64 v[77:78], v[71:72], 1
	v_add_f64_e64 v[71:72], v[71:72], -v[75:76]
	v_mul_f64_e32 v[73:74], v[79:80], v[73:74]
	v_cvt_f64_i32_e32 v[79:80], v110
	s_delay_alu instid0(VALU_DEP_3) | instskip(NEXT) | instid1(VALU_DEP_3)
	v_add_f64_e64 v[9:10], v[9:10], -v[71:72]
	v_add_f64_e32 v[75:76], v[77:78], v[73:74]
	s_delay_alu instid0(VALU_DEP_3) | instskip(NEXT) | instid1(VALU_DEP_3)
	v_mul_f64_e32 v[81:82], s[20:21], v[79:80]
	v_ldexp_f64 v[9:10], v[9:10], 1
	s_delay_alu instid0(VALU_DEP_3) | instskip(NEXT) | instid1(VALU_DEP_3)
	v_add_f64_e64 v[71:72], v[75:76], -v[77:78]
	v_fma_f64 v[77:78], v[79:80], s[20:21], -v[81:82]
	v_cmp_ngt_f64_e64 s20, -1.0, v[7:8]
	s_delay_alu instid0(VALU_DEP_3) | instskip(NEXT) | instid1(VALU_DEP_3)
	v_add_f64_e64 v[71:72], v[73:74], -v[71:72]
	v_fma_f64 v[73:74], v[79:80], s[42:43], v[77:78]
	s_delay_alu instid0(VALU_DEP_2) | instskip(NEXT) | instid1(VALU_DEP_2)
	v_add_f64_e32 v[9:10], v[9:10], v[71:72]
	v_add_f64_e32 v[71:72], v[81:82], v[73:74]
	s_delay_alu instid0(VALU_DEP_2) | instskip(NEXT) | instid1(VALU_DEP_2)
	v_add_f64_e32 v[77:78], v[75:76], v[9:10]
	v_add_f64_e64 v[81:82], v[71:72], -v[81:82]
	s_delay_alu instid0(VALU_DEP_2) | instskip(SKIP_1) | instid1(VALU_DEP_3)
	v_add_f64_e32 v[79:80], v[71:72], v[77:78]
	v_add_f64_e64 v[75:76], v[77:78], -v[75:76]
	v_add_f64_e64 v[73:74], v[73:74], -v[81:82]
	s_delay_alu instid0(VALU_DEP_3) | instskip(NEXT) | instid1(VALU_DEP_3)
	v_add_f64_e64 v[102:103], v[79:80], -v[71:72]
	v_add_f64_e64 v[9:10], v[9:10], -v[75:76]
	s_delay_alu instid0(VALU_DEP_2) | instskip(SKIP_1) | instid1(VALU_DEP_3)
	v_add_f64_e64 v[104:105], v[79:80], -v[102:103]
	v_add_f64_e64 v[75:76], v[77:78], -v[102:103]
	v_add_f64_e32 v[77:78], v[73:74], v[9:10]
	s_delay_alu instid0(VALU_DEP_3) | instskip(NEXT) | instid1(VALU_DEP_1)
	v_add_f64_e64 v[71:72], v[71:72], -v[104:105]
	v_add_f64_e32 v[71:72], v[75:76], v[71:72]
	s_delay_alu instid0(VALU_DEP_3) | instskip(NEXT) | instid1(VALU_DEP_2)
	v_add_f64_e64 v[75:76], v[77:78], -v[73:74]
	v_add_f64_e32 v[71:72], v[77:78], v[71:72]
	s_delay_alu instid0(VALU_DEP_2) | instskip(SKIP_1) | instid1(VALU_DEP_3)
	v_add_f64_e64 v[77:78], v[77:78], -v[75:76]
	v_add_f64_e64 v[9:10], v[9:10], -v[75:76]
	v_add_f64_e32 v[81:82], v[79:80], v[71:72]
	s_delay_alu instid0(VALU_DEP_3) | instskip(NEXT) | instid1(VALU_DEP_2)
	v_add_f64_e64 v[73:74], v[73:74], -v[77:78]
	v_add_f64_e64 v[75:76], v[81:82], -v[79:80]
	s_delay_alu instid0(VALU_DEP_2) | instskip(NEXT) | instid1(VALU_DEP_2)
	v_add_f64_e32 v[9:10], v[9:10], v[73:74]
	v_add_f64_e64 v[71:72], v[71:72], -v[75:76]
	s_delay_alu instid0(VALU_DEP_1) | instskip(NEXT) | instid1(VALU_DEP_1)
	v_add_f64_e32 v[9:10], v[9:10], v[71:72]
	v_add_f64_e32 v[9:10], v[81:82], v[9:10]
	s_delay_alu instid0(VALU_DEP_1) | instskip(SKIP_1) | instid1(VALU_DEP_3)
	v_cndmask_b32_e32 v9, 0, v9, vcc_lo
	v_cmp_neq_f64_e32 vcc_lo, -1.0, v[7:8]
	v_cndmask_b32_e64 v10, 0x7ff00000, v10, s19
	s_wait_alu 0xf1ff
	s_delay_alu instid0(VALU_DEP_1) | instskip(SKIP_1) | instid1(VALU_DEP_1)
	v_cndmask_b32_e64 v10, 0x7ff80000, v10, s20
	s_wait_alu 0xfffd
	v_cndmask_b32_e32 v10, 0xfff00000, v10, vcc_lo
	s_delay_alu instid0(VALU_DEP_1)
	v_add_f64_e32 v[7:8], v[5:6], v[9:10]
.LBB71_71:
	s_wait_alu 0xfffe
	s_or_b32 exec_lo, exec_lo, s47
	s_delay_alu instid0(VALU_DEP_1)
	v_dual_mov_b32 v9, v7 :: v_dual_mov_b32 v10, v8
	v_dual_mov_b32 v5, v7 :: v_dual_mov_b32 v6, v8
.LBB71_72:
	s_wait_alu 0xfffe
	s_or_b32 exec_lo, exec_lo, s46
	ds_swizzle_b32 v7, v9 offset:swizzle(BROADCAST,32,15)
	ds_swizzle_b32 v8, v10 offset:swizzle(BROADCAST,32,15)
	v_and_b32_e32 v9, 16, v101
	s_mov_b32 s46, exec_lo
	s_delay_alu instid0(VALU_DEP_1)
	v_cmpx_ne_u32_e32 0, v9
	s_cbranch_execz .LBB71_76
; %bb.73:
	s_wait_dscnt 0x0
	v_max_num_f64_e32 v[9:10], v[7:8], v[7:8]
	v_max_num_f64_e32 v[71:72], v[5:6], v[5:6]
	v_cmp_u_f64_e32 vcc_lo, v[7:8], v[7:8]
	v_cmp_u_f64_e64 s19, v[5:6], v[5:6]
	s_delay_alu instid0(VALU_DEP_3) | instskip(SKIP_2) | instid1(VALU_DEP_2)
	v_min_num_f64_e32 v[73:74], v[9:10], v[71:72]
	v_max_num_f64_e32 v[9:10], v[9:10], v[71:72]
	s_wait_alu 0xfffd
	v_dual_cndmask_b32 v71, v74, v8 :: v_dual_cndmask_b32 v72, v73, v7
	s_delay_alu instid0(VALU_DEP_2) | instskip(SKIP_1) | instid1(VALU_DEP_2)
	v_dual_cndmask_b32 v73, v10, v8 :: v_dual_cndmask_b32 v74, v9, v7
	s_wait_alu 0xf1ff
	v_cndmask_b32_e64 v10, v71, v6, s19
	s_delay_alu instid0(VALU_DEP_3) | instskip(NEXT) | instid1(VALU_DEP_3)
	v_cndmask_b32_e64 v9, v72, v5, s19
	v_cndmask_b32_e64 v6, v73, v6, s19
	;; [unrolled: 1-line block ×3, first 2 shown]
	s_delay_alu instid0(VALU_DEP_3) | instskip(NEXT) | instid1(VALU_DEP_2)
	v_cmp_class_f64_e64 s19, v[9:10], 0x1f8
	v_cmp_neq_f64_e32 vcc_lo, v[9:10], v[5:6]
	s_or_b32 s19, vcc_lo, s19
	s_wait_alu 0xfffe
	s_and_saveexec_b32 s47, s19
	s_cbranch_execz .LBB71_75
; %bb.74:
	v_add_f64_e64 v[7:8], v[9:10], -v[5:6]
	s_mov_b32 s20, 0x652b82fe
	s_mov_b32 s21, 0x3ff71547
	;; [unrolled: 1-line block ×10, first 2 shown]
	s_wait_alu 0xfffe
	s_delay_alu instid0(VALU_DEP_1) | instskip(SKIP_4) | instid1(VALU_DEP_3)
	v_mul_f64_e32 v[9:10], s[20:21], v[7:8]
	s_mov_b32 s21, 0xbfe62e42
	s_mov_b32 s20, 0xfefa39ef
	v_cmp_nlt_f64_e32 vcc_lo, 0x40900000, v[7:8]
	v_cmp_ngt_f64_e64 s19, 0xc090cc00, v[7:8]
	v_rndne_f64_e32 v[9:10], v[9:10]
	s_wait_alu 0xfffe
	s_delay_alu instid0(VALU_DEP_1) | instskip(SKIP_2) | instid1(VALU_DEP_2)
	v_fma_f64 v[71:72], v[9:10], s[20:21], v[7:8]
	v_cvt_i32_f64_e32 v75, v[9:10]
	s_mov_b32 s21, 0x3fe62e42
	v_fma_f64 v[71:72], v[9:10], s[42:43], v[71:72]
	s_mov_b32 s43, 0x3c7abc9e
	s_delay_alu instid0(VALU_DEP_1)
	v_fma_f64 v[73:74], v[71:72], s[48:49], s[44:45]
	s_mov_b32 s44, 0x623fde64
	s_mov_b32 s45, 0x3ec71dee
	;; [unrolled: 1-line block ×4, first 2 shown]
	s_wait_alu 0xfffe
	s_delay_alu instid0(VALU_DEP_1) | instskip(SKIP_3) | instid1(VALU_DEP_1)
	v_fma_f64 v[73:74], v[71:72], v[73:74], s[44:45]
	s_mov_b32 s44, 0x7c89e6b0
	s_mov_b32 s45, 0x3efa0199
	s_wait_alu 0xfffe
	v_fma_f64 v[73:74], v[71:72], v[73:74], s[44:45]
	s_mov_b32 s44, 0x14761f6e
	s_mov_b32 s45, 0x3f2a01a0
	s_wait_alu 0xfffe
	s_delay_alu instid0(VALU_DEP_1) | instskip(SKIP_3) | instid1(VALU_DEP_1)
	v_fma_f64 v[73:74], v[71:72], v[73:74], s[44:45]
	s_mov_b32 s44, 0x1852b7b0
	s_mov_b32 s45, 0x3f56c16c
	s_wait_alu 0xfffe
	v_fma_f64 v[73:74], v[71:72], v[73:74], s[44:45]
	s_mov_b32 s44, 0x11122322
	s_mov_b32 s45, 0x3f811111
	;; [unrolled: 9-line block ×4, first 2 shown]
	s_delay_alu instid0(VALU_DEP_1) | instskip(NEXT) | instid1(VALU_DEP_1)
	v_fma_f64 v[73:74], v[71:72], v[73:74], 1.0
	v_fma_f64 v[9:10], v[71:72], v[73:74], 1.0
	s_delay_alu instid0(VALU_DEP_1) | instskip(SKIP_1) | instid1(VALU_DEP_1)
	v_ldexp_f64 v[9:10], v[9:10], v75
	s_wait_alu 0xfffd
	v_cndmask_b32_e32 v10, 0x7ff00000, v10, vcc_lo
	s_and_b32 vcc_lo, s19, vcc_lo
	s_wait_alu 0xfffe
	s_delay_alu instid0(VALU_DEP_2) | instskip(NEXT) | instid1(VALU_DEP_2)
	v_cndmask_b32_e32 v7, 0, v9, vcc_lo
	v_cndmask_b32_e64 v8, 0, v10, s19
	s_delay_alu instid0(VALU_DEP_1) | instskip(SKIP_1) | instid1(VALU_DEP_2)
	v_add_f64_e32 v[9:10], 1.0, v[7:8]
	v_cmp_neq_f64_e64 s19, 0x7ff00000, v[7:8]
	v_frexp_mant_f64_e32 v[71:72], v[9:10]
	v_frexp_exp_i32_f64_e32 v75, v[9:10]
	v_add_f64_e32 v[73:74], -1.0, v[9:10]
	s_delay_alu instid0(VALU_DEP_3) | instskip(SKIP_1) | instid1(VALU_DEP_2)
	v_cmp_gt_f64_e32 vcc_lo, s[44:45], v[71:72]
	s_mov_b32 s44, 0x55555780
	v_add_f64_e64 v[71:72], v[73:74], -v[9:10]
	v_add_f64_e64 v[73:74], v[7:8], -v[73:74]
	s_wait_alu 0xfffd
	v_subrev_co_ci_u32_e64 v110, null, 0, v75, vcc_lo
	s_delay_alu instid0(VALU_DEP_3) | instskip(SKIP_1) | instid1(VALU_DEP_3)
	v_add_f64_e32 v[71:72], 1.0, v[71:72]
	v_cmp_nge_f64_e32 vcc_lo, -1.0, v[7:8]
	v_sub_nc_u32_e32 v77, 0, v110
	s_delay_alu instid0(VALU_DEP_1) | instskip(NEXT) | instid1(VALU_DEP_4)
	v_ldexp_f64 v[9:10], v[9:10], v77
	v_add_f64_e32 v[71:72], v[73:74], v[71:72]
	s_and_b32 vcc_lo, vcc_lo, s19
	s_delay_alu instid0(VALU_DEP_2) | instskip(SKIP_1) | instid1(VALU_DEP_3)
	v_add_f64_e32 v[75:76], 1.0, v[9:10]
	v_add_f64_e32 v[81:82], -1.0, v[9:10]
	v_ldexp_f64 v[71:72], v[71:72], v77
	s_delay_alu instid0(VALU_DEP_3) | instskip(NEXT) | instid1(VALU_DEP_3)
	v_add_f64_e32 v[73:74], -1.0, v[75:76]
	v_add_f64_e32 v[102:103], 1.0, v[81:82]
	s_delay_alu instid0(VALU_DEP_2) | instskip(NEXT) | instid1(VALU_DEP_2)
	v_add_f64_e64 v[73:74], v[9:10], -v[73:74]
	v_add_f64_e64 v[9:10], v[9:10], -v[102:103]
	s_delay_alu instid0(VALU_DEP_2) | instskip(NEXT) | instid1(VALU_DEP_2)
	v_add_f64_e32 v[73:74], v[71:72], v[73:74]
	v_add_f64_e32 v[9:10], v[71:72], v[9:10]
	s_delay_alu instid0(VALU_DEP_2) | instskip(NEXT) | instid1(VALU_DEP_2)
	v_add_f64_e32 v[77:78], v[75:76], v[73:74]
	v_add_f64_e32 v[102:103], v[81:82], v[9:10]
	s_delay_alu instid0(VALU_DEP_2) | instskip(SKIP_1) | instid1(VALU_DEP_2)
	v_rcp_f64_e32 v[79:80], v[77:78]
	v_add_f64_e64 v[75:76], v[77:78], -v[75:76]
	v_add_f64_e64 v[81:82], v[102:103], -v[81:82]
	s_delay_alu instid0(VALU_DEP_2) | instskip(NEXT) | instid1(TRANS32_DEP_1)
	v_add_f64_e64 v[73:74], v[73:74], -v[75:76]
	v_fma_f64 v[104:105], -v[77:78], v[79:80], 1.0
	s_delay_alu instid0(VALU_DEP_3) | instskip(NEXT) | instid1(VALU_DEP_2)
	v_add_f64_e64 v[9:10], v[9:10], -v[81:82]
	v_fma_f64 v[79:80], v[104:105], v[79:80], v[79:80]
	s_delay_alu instid0(VALU_DEP_1) | instskip(NEXT) | instid1(VALU_DEP_1)
	v_fma_f64 v[71:72], -v[77:78], v[79:80], 1.0
	v_fma_f64 v[71:72], v[71:72], v[79:80], v[79:80]
	s_delay_alu instid0(VALU_DEP_1) | instskip(NEXT) | instid1(VALU_DEP_1)
	v_mul_f64_e32 v[79:80], v[102:103], v[71:72]
	v_mul_f64_e32 v[104:105], v[77:78], v[79:80]
	s_delay_alu instid0(VALU_DEP_1) | instskip(NEXT) | instid1(VALU_DEP_1)
	v_fma_f64 v[75:76], v[79:80], v[77:78], -v[104:105]
	v_fma_f64 v[75:76], v[79:80], v[73:74], v[75:76]
	s_delay_alu instid0(VALU_DEP_1) | instskip(NEXT) | instid1(VALU_DEP_1)
	v_add_f64_e32 v[106:107], v[104:105], v[75:76]
	v_add_f64_e64 v[108:109], v[102:103], -v[106:107]
	v_add_f64_e64 v[81:82], v[106:107], -v[104:105]
	s_delay_alu instid0(VALU_DEP_2) | instskip(NEXT) | instid1(VALU_DEP_2)
	v_add_f64_e64 v[102:103], v[102:103], -v[108:109]
	v_add_f64_e64 v[75:76], v[81:82], -v[75:76]
	s_delay_alu instid0(VALU_DEP_2) | instskip(NEXT) | instid1(VALU_DEP_1)
	v_add_f64_e64 v[102:103], v[102:103], -v[106:107]
	v_add_f64_e32 v[9:10], v[9:10], v[102:103]
	s_delay_alu instid0(VALU_DEP_1) | instskip(NEXT) | instid1(VALU_DEP_1)
	v_add_f64_e32 v[9:10], v[75:76], v[9:10]
	v_add_f64_e32 v[75:76], v[108:109], v[9:10]
	s_delay_alu instid0(VALU_DEP_1) | instskip(SKIP_1) | instid1(VALU_DEP_2)
	v_mul_f64_e32 v[81:82], v[71:72], v[75:76]
	v_add_f64_e64 v[106:107], v[108:109], -v[75:76]
	v_mul_f64_e32 v[102:103], v[77:78], v[81:82]
	s_delay_alu instid0(VALU_DEP_2) | instskip(NEXT) | instid1(VALU_DEP_2)
	v_add_f64_e32 v[9:10], v[9:10], v[106:107]
	v_fma_f64 v[77:78], v[81:82], v[77:78], -v[102:103]
	s_delay_alu instid0(VALU_DEP_1) | instskip(NEXT) | instid1(VALU_DEP_1)
	v_fma_f64 v[73:74], v[81:82], v[73:74], v[77:78]
	v_add_f64_e32 v[77:78], v[102:103], v[73:74]
	s_delay_alu instid0(VALU_DEP_1) | instskip(SKIP_1) | instid1(VALU_DEP_2)
	v_add_f64_e64 v[104:105], v[75:76], -v[77:78]
	v_add_f64_e64 v[102:103], v[77:78], -v[102:103]
	;; [unrolled: 1-line block ×3, first 2 shown]
	s_delay_alu instid0(VALU_DEP_2) | instskip(NEXT) | instid1(VALU_DEP_2)
	v_add_f64_e64 v[73:74], v[102:103], -v[73:74]
	v_add_f64_e64 v[75:76], v[75:76], -v[77:78]
	s_delay_alu instid0(VALU_DEP_1) | instskip(SKIP_1) | instid1(VALU_DEP_2)
	v_add_f64_e32 v[9:10], v[9:10], v[75:76]
	v_add_f64_e32 v[75:76], v[79:80], v[81:82]
	;; [unrolled: 1-line block ×3, first 2 shown]
	s_delay_alu instid0(VALU_DEP_2) | instskip(NEXT) | instid1(VALU_DEP_2)
	v_add_f64_e64 v[73:74], v[75:76], -v[79:80]
	v_add_f64_e32 v[9:10], v[104:105], v[9:10]
	s_delay_alu instid0(VALU_DEP_2) | instskip(NEXT) | instid1(VALU_DEP_2)
	v_add_f64_e64 v[73:74], v[81:82], -v[73:74]
	v_mul_f64_e32 v[9:10], v[71:72], v[9:10]
	s_delay_alu instid0(VALU_DEP_1) | instskip(NEXT) | instid1(VALU_DEP_1)
	v_add_f64_e32 v[9:10], v[73:74], v[9:10]
	v_add_f64_e32 v[71:72], v[75:76], v[9:10]
	s_delay_alu instid0(VALU_DEP_1) | instskip(NEXT) | instid1(VALU_DEP_1)
	v_mul_f64_e32 v[73:74], v[71:72], v[71:72]
	v_fma_f64 v[77:78], v[73:74], s[50:51], s[48:49]
	s_mov_b32 s48, 0xd7f4df2e
	s_mov_b32 s49, 0x3fc7474d
	v_mul_f64_e32 v[79:80], v[71:72], v[73:74]
	s_wait_alu 0xfffe
	s_delay_alu instid0(VALU_DEP_2) | instskip(SKIP_3) | instid1(VALU_DEP_1)
	v_fma_f64 v[77:78], v[73:74], v[77:78], s[48:49]
	s_mov_b32 s48, 0x16291751
	s_mov_b32 s49, 0x3fcc71c0
	s_wait_alu 0xfffe
	v_fma_f64 v[77:78], v[73:74], v[77:78], s[48:49]
	s_mov_b32 s48, 0x9b27acf1
	s_mov_b32 s49, 0x3fd24924
	s_wait_alu 0xfffe
	s_delay_alu instid0(VALU_DEP_1) | instskip(SKIP_3) | instid1(VALU_DEP_1)
	v_fma_f64 v[77:78], v[73:74], v[77:78], s[48:49]
	s_mov_b32 s48, 0x998ef7b6
	s_mov_b32 s49, 0x3fd99999
	s_wait_alu 0xfffe
	v_fma_f64 v[77:78], v[73:74], v[77:78], s[48:49]
	s_delay_alu instid0(VALU_DEP_1) | instskip(SKIP_2) | instid1(VALU_DEP_3)
	v_fma_f64 v[73:74], v[73:74], v[77:78], s[44:45]
	v_ldexp_f64 v[77:78], v[71:72], 1
	v_add_f64_e64 v[71:72], v[71:72], -v[75:76]
	v_mul_f64_e32 v[73:74], v[79:80], v[73:74]
	v_cvt_f64_i32_e32 v[79:80], v110
	s_delay_alu instid0(VALU_DEP_3) | instskip(NEXT) | instid1(VALU_DEP_3)
	v_add_f64_e64 v[9:10], v[9:10], -v[71:72]
	v_add_f64_e32 v[75:76], v[77:78], v[73:74]
	s_delay_alu instid0(VALU_DEP_3) | instskip(NEXT) | instid1(VALU_DEP_3)
	v_mul_f64_e32 v[81:82], s[20:21], v[79:80]
	v_ldexp_f64 v[9:10], v[9:10], 1
	s_delay_alu instid0(VALU_DEP_3) | instskip(NEXT) | instid1(VALU_DEP_3)
	v_add_f64_e64 v[71:72], v[75:76], -v[77:78]
	v_fma_f64 v[77:78], v[79:80], s[20:21], -v[81:82]
	v_cmp_ngt_f64_e64 s20, -1.0, v[7:8]
	s_delay_alu instid0(VALU_DEP_3) | instskip(NEXT) | instid1(VALU_DEP_3)
	v_add_f64_e64 v[71:72], v[73:74], -v[71:72]
	v_fma_f64 v[73:74], v[79:80], s[42:43], v[77:78]
	s_delay_alu instid0(VALU_DEP_2) | instskip(NEXT) | instid1(VALU_DEP_2)
	v_add_f64_e32 v[9:10], v[9:10], v[71:72]
	v_add_f64_e32 v[71:72], v[81:82], v[73:74]
	s_delay_alu instid0(VALU_DEP_2) | instskip(NEXT) | instid1(VALU_DEP_2)
	v_add_f64_e32 v[77:78], v[75:76], v[9:10]
	v_add_f64_e64 v[81:82], v[71:72], -v[81:82]
	s_delay_alu instid0(VALU_DEP_2) | instskip(SKIP_1) | instid1(VALU_DEP_3)
	v_add_f64_e32 v[79:80], v[71:72], v[77:78]
	v_add_f64_e64 v[75:76], v[77:78], -v[75:76]
	v_add_f64_e64 v[73:74], v[73:74], -v[81:82]
	s_delay_alu instid0(VALU_DEP_3) | instskip(NEXT) | instid1(VALU_DEP_3)
	v_add_f64_e64 v[102:103], v[79:80], -v[71:72]
	v_add_f64_e64 v[9:10], v[9:10], -v[75:76]
	s_delay_alu instid0(VALU_DEP_2) | instskip(SKIP_1) | instid1(VALU_DEP_3)
	v_add_f64_e64 v[104:105], v[79:80], -v[102:103]
	v_add_f64_e64 v[75:76], v[77:78], -v[102:103]
	v_add_f64_e32 v[77:78], v[73:74], v[9:10]
	s_delay_alu instid0(VALU_DEP_3) | instskip(NEXT) | instid1(VALU_DEP_1)
	v_add_f64_e64 v[71:72], v[71:72], -v[104:105]
	v_add_f64_e32 v[71:72], v[75:76], v[71:72]
	s_delay_alu instid0(VALU_DEP_3) | instskip(NEXT) | instid1(VALU_DEP_2)
	v_add_f64_e64 v[75:76], v[77:78], -v[73:74]
	v_add_f64_e32 v[71:72], v[77:78], v[71:72]
	s_delay_alu instid0(VALU_DEP_2) | instskip(SKIP_1) | instid1(VALU_DEP_3)
	v_add_f64_e64 v[77:78], v[77:78], -v[75:76]
	v_add_f64_e64 v[9:10], v[9:10], -v[75:76]
	v_add_f64_e32 v[81:82], v[79:80], v[71:72]
	s_delay_alu instid0(VALU_DEP_3) | instskip(NEXT) | instid1(VALU_DEP_2)
	v_add_f64_e64 v[73:74], v[73:74], -v[77:78]
	v_add_f64_e64 v[75:76], v[81:82], -v[79:80]
	s_delay_alu instid0(VALU_DEP_2) | instskip(NEXT) | instid1(VALU_DEP_2)
	v_add_f64_e32 v[9:10], v[9:10], v[73:74]
	v_add_f64_e64 v[71:72], v[71:72], -v[75:76]
	s_delay_alu instid0(VALU_DEP_1) | instskip(NEXT) | instid1(VALU_DEP_1)
	v_add_f64_e32 v[9:10], v[9:10], v[71:72]
	v_add_f64_e32 v[9:10], v[81:82], v[9:10]
	s_delay_alu instid0(VALU_DEP_1) | instskip(SKIP_1) | instid1(VALU_DEP_3)
	v_cndmask_b32_e32 v9, 0, v9, vcc_lo
	v_cmp_neq_f64_e32 vcc_lo, -1.0, v[7:8]
	v_cndmask_b32_e64 v10, 0x7ff00000, v10, s19
	s_wait_alu 0xf1ff
	s_delay_alu instid0(VALU_DEP_1) | instskip(SKIP_1) | instid1(VALU_DEP_1)
	v_cndmask_b32_e64 v10, 0x7ff80000, v10, s20
	s_wait_alu 0xfffd
	v_cndmask_b32_e32 v10, 0xfff00000, v10, vcc_lo
	s_delay_alu instid0(VALU_DEP_1)
	v_add_f64_e32 v[7:8], v[5:6], v[9:10]
.LBB71_75:
	s_wait_alu 0xfffe
	s_or_b32 exec_lo, exec_lo, s47
	s_delay_alu instid0(VALU_DEP_1)
	v_dual_mov_b32 v5, v7 :: v_dual_mov_b32 v6, v8
.LBB71_76:
	s_wait_alu 0xfffe
	s_or_b32 exec_lo, exec_lo, s46
	s_wait_dscnt 0x1
	v_or_b32_e32 v7, 31, v0
	v_lshrrev_b32_e32 v73, 5, v0
	s_mov_b32 s19, exec_lo
	s_delay_alu instid0(VALU_DEP_2)
	v_cmpx_eq_u32_e64 v0, v7
; %bb.77:
	s_delay_alu instid0(VALU_DEP_2)
	v_lshlrev_b32_e32 v7, 3, v73
	ds_store_b64 v7, v[5:6]
; %bb.78:
	s_wait_alu 0xfffe
	s_or_b32 exec_lo, exec_lo, s19
	s_delay_alu instid0(SALU_CYCLE_1)
	s_mov_b32 s46, exec_lo
	s_wait_loadcnt_dscnt 0x0
	s_barrier_signal -1
	s_barrier_wait -1
	global_inv scope:SCOPE_SE
	v_cmpx_gt_u32_e32 8, v0
	s_cbranch_execz .LBB71_92
; %bb.79:
	ds_load_b64 v[7:8], v98
	v_and_b32_e32 v74, 7, v101
	s_mov_b32 s47, exec_lo
	s_wait_dscnt 0x0
	v_mov_b32_dpp v9, v7 row_shr:1 row_mask:0xf bank_mask:0xf
	v_mov_b32_dpp v10, v8 row_shr:1 row_mask:0xf bank_mask:0xf
	v_dual_mov_b32 v71, v7 :: v_dual_mov_b32 v72, v8
	v_cmpx_ne_u32_e32 0, v74
	s_cbranch_execz .LBB71_83
; %bb.80:
	s_delay_alu instid0(VALU_DEP_3) | instskip(SKIP_3) | instid1(VALU_DEP_3)
	v_max_num_f64_e32 v[71:72], v[9:10], v[9:10]
	v_max_num_f64_e32 v[75:76], v[7:8], v[7:8]
	v_cmp_u_f64_e32 vcc_lo, v[9:10], v[9:10]
	v_cmp_u_f64_e64 s19, v[7:8], v[7:8]
	v_min_num_f64_e32 v[77:78], v[71:72], v[75:76]
	v_max_num_f64_e32 v[71:72], v[71:72], v[75:76]
	s_wait_alu 0xfffd
	s_delay_alu instid0(VALU_DEP_2) | instskip(NEXT) | instid1(VALU_DEP_2)
	v_dual_cndmask_b32 v75, v78, v10 :: v_dual_cndmask_b32 v76, v77, v9
	v_dual_cndmask_b32 v77, v72, v10 :: v_dual_cndmask_b32 v78, v71, v9
	s_wait_alu 0xf1ff
	s_delay_alu instid0(VALU_DEP_2) | instskip(NEXT) | instid1(VALU_DEP_3)
	v_cndmask_b32_e64 v72, v75, v8, s19
	v_cndmask_b32_e64 v71, v76, v7, s19
	s_delay_alu instid0(VALU_DEP_3) | instskip(SKIP_1) | instid1(VALU_DEP_3)
	v_cndmask_b32_e64 v8, v77, v8, s19
	v_cndmask_b32_e64 v7, v78, v7, s19
	v_cmp_class_f64_e64 s19, v[71:72], 0x1f8
	s_delay_alu instid0(VALU_DEP_2)
	v_cmp_neq_f64_e32 vcc_lo, v[71:72], v[7:8]
	s_or_b32 s19, vcc_lo, s19
	s_wait_alu 0xfffe
	s_and_saveexec_b32 s48, s19
	s_cbranch_execz .LBB71_82
; %bb.81:
	v_add_f64_e64 v[9:10], v[71:72], -v[7:8]
	s_mov_b32 s20, 0x652b82fe
	s_mov_b32 s21, 0x3ff71547
	;; [unrolled: 1-line block ×10, first 2 shown]
	s_wait_alu 0xfffe
	s_delay_alu instid0(VALU_DEP_1) | instskip(SKIP_4) | instid1(VALU_DEP_3)
	v_mul_f64_e32 v[71:72], s[20:21], v[9:10]
	s_mov_b32 s21, 0xbfe62e42
	s_mov_b32 s20, 0xfefa39ef
	v_cmp_nlt_f64_e32 vcc_lo, 0x40900000, v[9:10]
	v_cmp_ngt_f64_e64 s19, 0xc090cc00, v[9:10]
	v_rndne_f64_e32 v[71:72], v[71:72]
	s_wait_alu 0xfffe
	s_delay_alu instid0(VALU_DEP_1) | instskip(SKIP_2) | instid1(VALU_DEP_2)
	v_fma_f64 v[75:76], v[71:72], s[20:21], v[9:10]
	v_cvt_i32_f64_e32 v79, v[71:72]
	s_mov_b32 s21, 0x3fe62e42
	v_fma_f64 v[75:76], v[71:72], s[42:43], v[75:76]
	s_mov_b32 s43, 0x3c7abc9e
	s_delay_alu instid0(VALU_DEP_1)
	v_fma_f64 v[77:78], v[75:76], s[50:51], s[44:45]
	s_mov_b32 s44, 0x623fde64
	s_mov_b32 s45, 0x3ec71dee
	;; [unrolled: 1-line block ×4, first 2 shown]
	s_wait_alu 0xfffe
	s_delay_alu instid0(VALU_DEP_1) | instskip(SKIP_3) | instid1(VALU_DEP_1)
	v_fma_f64 v[77:78], v[75:76], v[77:78], s[44:45]
	s_mov_b32 s44, 0x7c89e6b0
	s_mov_b32 s45, 0x3efa0199
	s_wait_alu 0xfffe
	v_fma_f64 v[77:78], v[75:76], v[77:78], s[44:45]
	s_mov_b32 s44, 0x14761f6e
	s_mov_b32 s45, 0x3f2a01a0
	s_wait_alu 0xfffe
	s_delay_alu instid0(VALU_DEP_1) | instskip(SKIP_3) | instid1(VALU_DEP_1)
	v_fma_f64 v[77:78], v[75:76], v[77:78], s[44:45]
	s_mov_b32 s44, 0x1852b7b0
	s_mov_b32 s45, 0x3f56c16c
	s_wait_alu 0xfffe
	v_fma_f64 v[77:78], v[75:76], v[77:78], s[44:45]
	s_mov_b32 s44, 0x11122322
	s_mov_b32 s45, 0x3f811111
	;; [unrolled: 9-line block ×4, first 2 shown]
	s_delay_alu instid0(VALU_DEP_1) | instskip(NEXT) | instid1(VALU_DEP_1)
	v_fma_f64 v[77:78], v[75:76], v[77:78], 1.0
	v_fma_f64 v[71:72], v[75:76], v[77:78], 1.0
	s_delay_alu instid0(VALU_DEP_1) | instskip(SKIP_1) | instid1(VALU_DEP_1)
	v_ldexp_f64 v[71:72], v[71:72], v79
	s_wait_alu 0xfffd
	v_cndmask_b32_e32 v72, 0x7ff00000, v72, vcc_lo
	s_and_b32 vcc_lo, s19, vcc_lo
	s_wait_alu 0xfffe
	s_delay_alu instid0(VALU_DEP_2) | instskip(NEXT) | instid1(VALU_DEP_2)
	v_cndmask_b32_e32 v9, 0, v71, vcc_lo
	v_cndmask_b32_e64 v10, 0, v72, s19
	s_delay_alu instid0(VALU_DEP_1) | instskip(SKIP_1) | instid1(VALU_DEP_2)
	v_add_f64_e32 v[71:72], 1.0, v[9:10]
	v_cmp_neq_f64_e64 s19, 0x7ff00000, v[9:10]
	v_frexp_mant_f64_e32 v[75:76], v[71:72]
	v_frexp_exp_i32_f64_e32 v79, v[71:72]
	v_add_f64_e32 v[77:78], -1.0, v[71:72]
	s_delay_alu instid0(VALU_DEP_3) | instskip(SKIP_1) | instid1(VALU_DEP_2)
	v_cmp_gt_f64_e32 vcc_lo, s[44:45], v[75:76]
	s_mov_b32 s44, 0x55555780
	v_add_f64_e64 v[75:76], v[77:78], -v[71:72]
	v_add_f64_e64 v[77:78], v[9:10], -v[77:78]
	s_wait_alu 0xfffd
	v_subrev_co_ci_u32_e64 v114, null, 0, v79, vcc_lo
	s_delay_alu instid0(VALU_DEP_3) | instskip(SKIP_1) | instid1(VALU_DEP_3)
	v_add_f64_e32 v[75:76], 1.0, v[75:76]
	v_cmp_nge_f64_e32 vcc_lo, -1.0, v[9:10]
	v_sub_nc_u32_e32 v81, 0, v114
	s_delay_alu instid0(VALU_DEP_1) | instskip(NEXT) | instid1(VALU_DEP_4)
	v_ldexp_f64 v[71:72], v[71:72], v81
	v_add_f64_e32 v[75:76], v[77:78], v[75:76]
	s_and_b32 vcc_lo, vcc_lo, s19
	s_delay_alu instid0(VALU_DEP_2) | instskip(SKIP_1) | instid1(VALU_DEP_3)
	v_add_f64_e32 v[79:80], 1.0, v[71:72]
	v_add_f64_e32 v[104:105], -1.0, v[71:72]
	v_ldexp_f64 v[75:76], v[75:76], v81
	s_delay_alu instid0(VALU_DEP_3) | instskip(NEXT) | instid1(VALU_DEP_3)
	v_add_f64_e32 v[77:78], -1.0, v[79:80]
	v_add_f64_e32 v[106:107], 1.0, v[104:105]
	s_delay_alu instid0(VALU_DEP_2) | instskip(NEXT) | instid1(VALU_DEP_2)
	v_add_f64_e64 v[77:78], v[71:72], -v[77:78]
	v_add_f64_e64 v[71:72], v[71:72], -v[106:107]
	s_delay_alu instid0(VALU_DEP_2) | instskip(NEXT) | instid1(VALU_DEP_2)
	v_add_f64_e32 v[77:78], v[75:76], v[77:78]
	v_add_f64_e32 v[71:72], v[75:76], v[71:72]
	s_delay_alu instid0(VALU_DEP_2) | instskip(NEXT) | instid1(VALU_DEP_2)
	v_add_f64_e32 v[81:82], v[79:80], v[77:78]
	v_add_f64_e32 v[106:107], v[104:105], v[71:72]
	s_delay_alu instid0(VALU_DEP_2) | instskip(SKIP_1) | instid1(VALU_DEP_2)
	v_rcp_f64_e32 v[102:103], v[81:82]
	v_add_f64_e64 v[79:80], v[81:82], -v[79:80]
	v_add_f64_e64 v[104:105], v[106:107], -v[104:105]
	s_delay_alu instid0(VALU_DEP_2) | instskip(NEXT) | instid1(TRANS32_DEP_1)
	v_add_f64_e64 v[77:78], v[77:78], -v[79:80]
	v_fma_f64 v[108:109], -v[81:82], v[102:103], 1.0
	s_delay_alu instid0(VALU_DEP_3) | instskip(NEXT) | instid1(VALU_DEP_2)
	v_add_f64_e64 v[71:72], v[71:72], -v[104:105]
	v_fma_f64 v[102:103], v[108:109], v[102:103], v[102:103]
	s_delay_alu instid0(VALU_DEP_1) | instskip(NEXT) | instid1(VALU_DEP_1)
	v_fma_f64 v[75:76], -v[81:82], v[102:103], 1.0
	v_fma_f64 v[75:76], v[75:76], v[102:103], v[102:103]
	s_delay_alu instid0(VALU_DEP_1) | instskip(NEXT) | instid1(VALU_DEP_1)
	v_mul_f64_e32 v[102:103], v[106:107], v[75:76]
	v_mul_f64_e32 v[108:109], v[81:82], v[102:103]
	s_delay_alu instid0(VALU_DEP_1) | instskip(NEXT) | instid1(VALU_DEP_1)
	v_fma_f64 v[79:80], v[102:103], v[81:82], -v[108:109]
	v_fma_f64 v[79:80], v[102:103], v[77:78], v[79:80]
	s_delay_alu instid0(VALU_DEP_1) | instskip(NEXT) | instid1(VALU_DEP_1)
	v_add_f64_e32 v[110:111], v[108:109], v[79:80]
	v_add_f64_e64 v[112:113], v[106:107], -v[110:111]
	v_add_f64_e64 v[104:105], v[110:111], -v[108:109]
	s_delay_alu instid0(VALU_DEP_2) | instskip(NEXT) | instid1(VALU_DEP_2)
	v_add_f64_e64 v[106:107], v[106:107], -v[112:113]
	v_add_f64_e64 v[79:80], v[104:105], -v[79:80]
	s_delay_alu instid0(VALU_DEP_2) | instskip(NEXT) | instid1(VALU_DEP_1)
	v_add_f64_e64 v[106:107], v[106:107], -v[110:111]
	v_add_f64_e32 v[71:72], v[71:72], v[106:107]
	s_delay_alu instid0(VALU_DEP_1) | instskip(NEXT) | instid1(VALU_DEP_1)
	v_add_f64_e32 v[71:72], v[79:80], v[71:72]
	v_add_f64_e32 v[79:80], v[112:113], v[71:72]
	s_delay_alu instid0(VALU_DEP_1) | instskip(SKIP_1) | instid1(VALU_DEP_2)
	v_mul_f64_e32 v[104:105], v[75:76], v[79:80]
	v_add_f64_e64 v[110:111], v[112:113], -v[79:80]
	v_mul_f64_e32 v[106:107], v[81:82], v[104:105]
	s_delay_alu instid0(VALU_DEP_2) | instskip(NEXT) | instid1(VALU_DEP_2)
	v_add_f64_e32 v[71:72], v[71:72], v[110:111]
	v_fma_f64 v[81:82], v[104:105], v[81:82], -v[106:107]
	s_delay_alu instid0(VALU_DEP_1) | instskip(NEXT) | instid1(VALU_DEP_1)
	v_fma_f64 v[77:78], v[104:105], v[77:78], v[81:82]
	v_add_f64_e32 v[81:82], v[106:107], v[77:78]
	s_delay_alu instid0(VALU_DEP_1) | instskip(SKIP_1) | instid1(VALU_DEP_2)
	v_add_f64_e64 v[108:109], v[79:80], -v[81:82]
	v_add_f64_e64 v[106:107], v[81:82], -v[106:107]
	;; [unrolled: 1-line block ×3, first 2 shown]
	s_delay_alu instid0(VALU_DEP_2) | instskip(NEXT) | instid1(VALU_DEP_2)
	v_add_f64_e64 v[77:78], v[106:107], -v[77:78]
	v_add_f64_e64 v[79:80], v[79:80], -v[81:82]
	s_delay_alu instid0(VALU_DEP_1) | instskip(SKIP_1) | instid1(VALU_DEP_2)
	v_add_f64_e32 v[71:72], v[71:72], v[79:80]
	v_add_f64_e32 v[79:80], v[102:103], v[104:105]
	;; [unrolled: 1-line block ×3, first 2 shown]
	s_delay_alu instid0(VALU_DEP_2) | instskip(NEXT) | instid1(VALU_DEP_2)
	v_add_f64_e64 v[77:78], v[79:80], -v[102:103]
	v_add_f64_e32 v[71:72], v[108:109], v[71:72]
	s_delay_alu instid0(VALU_DEP_2) | instskip(NEXT) | instid1(VALU_DEP_2)
	v_add_f64_e64 v[77:78], v[104:105], -v[77:78]
	v_mul_f64_e32 v[71:72], v[75:76], v[71:72]
	s_delay_alu instid0(VALU_DEP_1) | instskip(NEXT) | instid1(VALU_DEP_1)
	v_add_f64_e32 v[71:72], v[77:78], v[71:72]
	v_add_f64_e32 v[75:76], v[79:80], v[71:72]
	s_delay_alu instid0(VALU_DEP_1) | instskip(NEXT) | instid1(VALU_DEP_1)
	v_mul_f64_e32 v[77:78], v[75:76], v[75:76]
	v_fma_f64 v[81:82], v[77:78], s[52:53], s[50:51]
	s_mov_b32 s50, 0xd7f4df2e
	s_mov_b32 s51, 0x3fc7474d
	v_mul_f64_e32 v[102:103], v[75:76], v[77:78]
	s_wait_alu 0xfffe
	s_delay_alu instid0(VALU_DEP_2) | instskip(SKIP_3) | instid1(VALU_DEP_1)
	v_fma_f64 v[81:82], v[77:78], v[81:82], s[50:51]
	s_mov_b32 s50, 0x16291751
	s_mov_b32 s51, 0x3fcc71c0
	s_wait_alu 0xfffe
	v_fma_f64 v[81:82], v[77:78], v[81:82], s[50:51]
	s_mov_b32 s50, 0x9b27acf1
	s_mov_b32 s51, 0x3fd24924
	s_wait_alu 0xfffe
	s_delay_alu instid0(VALU_DEP_1) | instskip(SKIP_3) | instid1(VALU_DEP_1)
	v_fma_f64 v[81:82], v[77:78], v[81:82], s[50:51]
	s_mov_b32 s50, 0x998ef7b6
	s_mov_b32 s51, 0x3fd99999
	s_wait_alu 0xfffe
	v_fma_f64 v[81:82], v[77:78], v[81:82], s[50:51]
	s_delay_alu instid0(VALU_DEP_1) | instskip(SKIP_2) | instid1(VALU_DEP_3)
	v_fma_f64 v[77:78], v[77:78], v[81:82], s[44:45]
	v_ldexp_f64 v[81:82], v[75:76], 1
	v_add_f64_e64 v[75:76], v[75:76], -v[79:80]
	v_mul_f64_e32 v[77:78], v[102:103], v[77:78]
	v_cvt_f64_i32_e32 v[102:103], v114
	s_delay_alu instid0(VALU_DEP_3) | instskip(NEXT) | instid1(VALU_DEP_3)
	v_add_f64_e64 v[71:72], v[71:72], -v[75:76]
	v_add_f64_e32 v[79:80], v[81:82], v[77:78]
	s_delay_alu instid0(VALU_DEP_3) | instskip(NEXT) | instid1(VALU_DEP_3)
	v_mul_f64_e32 v[104:105], s[20:21], v[102:103]
	v_ldexp_f64 v[71:72], v[71:72], 1
	s_delay_alu instid0(VALU_DEP_3) | instskip(NEXT) | instid1(VALU_DEP_3)
	v_add_f64_e64 v[75:76], v[79:80], -v[81:82]
	v_fma_f64 v[81:82], v[102:103], s[20:21], -v[104:105]
	v_cmp_ngt_f64_e64 s20, -1.0, v[9:10]
	s_delay_alu instid0(VALU_DEP_3) | instskip(NEXT) | instid1(VALU_DEP_3)
	v_add_f64_e64 v[75:76], v[77:78], -v[75:76]
	v_fma_f64 v[77:78], v[102:103], s[42:43], v[81:82]
	s_delay_alu instid0(VALU_DEP_2) | instskip(NEXT) | instid1(VALU_DEP_2)
	v_add_f64_e32 v[71:72], v[71:72], v[75:76]
	v_add_f64_e32 v[75:76], v[104:105], v[77:78]
	s_delay_alu instid0(VALU_DEP_2) | instskip(NEXT) | instid1(VALU_DEP_2)
	v_add_f64_e32 v[81:82], v[79:80], v[71:72]
	v_add_f64_e64 v[104:105], v[75:76], -v[104:105]
	s_delay_alu instid0(VALU_DEP_2) | instskip(SKIP_1) | instid1(VALU_DEP_3)
	v_add_f64_e32 v[102:103], v[75:76], v[81:82]
	v_add_f64_e64 v[79:80], v[81:82], -v[79:80]
	v_add_f64_e64 v[77:78], v[77:78], -v[104:105]
	s_delay_alu instid0(VALU_DEP_3) | instskip(NEXT) | instid1(VALU_DEP_3)
	v_add_f64_e64 v[106:107], v[102:103], -v[75:76]
	v_add_f64_e64 v[71:72], v[71:72], -v[79:80]
	s_delay_alu instid0(VALU_DEP_2) | instskip(SKIP_1) | instid1(VALU_DEP_3)
	v_add_f64_e64 v[108:109], v[102:103], -v[106:107]
	v_add_f64_e64 v[79:80], v[81:82], -v[106:107]
	v_add_f64_e32 v[81:82], v[77:78], v[71:72]
	s_delay_alu instid0(VALU_DEP_3) | instskip(NEXT) | instid1(VALU_DEP_1)
	v_add_f64_e64 v[75:76], v[75:76], -v[108:109]
	v_add_f64_e32 v[75:76], v[79:80], v[75:76]
	s_delay_alu instid0(VALU_DEP_3) | instskip(NEXT) | instid1(VALU_DEP_2)
	v_add_f64_e64 v[79:80], v[81:82], -v[77:78]
	v_add_f64_e32 v[75:76], v[81:82], v[75:76]
	s_delay_alu instid0(VALU_DEP_2) | instskip(SKIP_1) | instid1(VALU_DEP_3)
	v_add_f64_e64 v[81:82], v[81:82], -v[79:80]
	v_add_f64_e64 v[71:72], v[71:72], -v[79:80]
	v_add_f64_e32 v[104:105], v[102:103], v[75:76]
	s_delay_alu instid0(VALU_DEP_3) | instskip(NEXT) | instid1(VALU_DEP_2)
	v_add_f64_e64 v[77:78], v[77:78], -v[81:82]
	v_add_f64_e64 v[79:80], v[104:105], -v[102:103]
	s_delay_alu instid0(VALU_DEP_2) | instskip(NEXT) | instid1(VALU_DEP_2)
	v_add_f64_e32 v[71:72], v[71:72], v[77:78]
	v_add_f64_e64 v[75:76], v[75:76], -v[79:80]
	s_delay_alu instid0(VALU_DEP_1) | instskip(NEXT) | instid1(VALU_DEP_1)
	v_add_f64_e32 v[71:72], v[71:72], v[75:76]
	v_add_f64_e32 v[71:72], v[104:105], v[71:72]
	s_delay_alu instid0(VALU_DEP_1) | instskip(SKIP_1) | instid1(VALU_DEP_3)
	v_cndmask_b32_e32 v71, 0, v71, vcc_lo
	v_cmp_neq_f64_e32 vcc_lo, -1.0, v[9:10]
	v_cndmask_b32_e64 v72, 0x7ff00000, v72, s19
	s_wait_alu 0xf1ff
	s_delay_alu instid0(VALU_DEP_1) | instskip(SKIP_1) | instid1(VALU_DEP_1)
	v_cndmask_b32_e64 v72, 0x7ff80000, v72, s20
	s_wait_alu 0xfffd
	v_cndmask_b32_e32 v72, 0xfff00000, v72, vcc_lo
	s_delay_alu instid0(VALU_DEP_1)
	v_add_f64_e32 v[9:10], v[7:8], v[71:72]
.LBB71_82:
	s_wait_alu 0xfffe
	s_or_b32 exec_lo, exec_lo, s48
	s_delay_alu instid0(VALU_DEP_1)
	v_dual_mov_b32 v71, v9 :: v_dual_mov_b32 v72, v10
	v_dual_mov_b32 v7, v9 :: v_dual_mov_b32 v8, v10
.LBB71_83:
	s_wait_alu 0xfffe
	s_or_b32 exec_lo, exec_lo, s47
	s_delay_alu instid0(VALU_DEP_2)
	v_mov_b32_dpp v9, v71 row_shr:2 row_mask:0xf bank_mask:0xf
	v_mov_b32_dpp v10, v72 row_shr:2 row_mask:0xf bank_mask:0xf
	s_mov_b32 s47, exec_lo
	v_cmpx_lt_u32_e32 1, v74
	s_cbranch_execz .LBB71_87
; %bb.84:
	s_delay_alu instid0(VALU_DEP_2) | instskip(SKIP_3) | instid1(VALU_DEP_3)
	v_max_num_f64_e32 v[71:72], v[9:10], v[9:10]
	v_max_num_f64_e32 v[75:76], v[7:8], v[7:8]
	v_cmp_u_f64_e32 vcc_lo, v[9:10], v[9:10]
	v_cmp_u_f64_e64 s19, v[7:8], v[7:8]
	v_min_num_f64_e32 v[77:78], v[71:72], v[75:76]
	v_max_num_f64_e32 v[71:72], v[71:72], v[75:76]
	s_wait_alu 0xfffd
	s_delay_alu instid0(VALU_DEP_2) | instskip(NEXT) | instid1(VALU_DEP_2)
	v_dual_cndmask_b32 v75, v78, v10 :: v_dual_cndmask_b32 v76, v77, v9
	v_dual_cndmask_b32 v77, v72, v10 :: v_dual_cndmask_b32 v78, v71, v9
	s_wait_alu 0xf1ff
	s_delay_alu instid0(VALU_DEP_2) | instskip(NEXT) | instid1(VALU_DEP_3)
	v_cndmask_b32_e64 v72, v75, v8, s19
	v_cndmask_b32_e64 v71, v76, v7, s19
	s_delay_alu instid0(VALU_DEP_3) | instskip(SKIP_1) | instid1(VALU_DEP_3)
	v_cndmask_b32_e64 v8, v77, v8, s19
	v_cndmask_b32_e64 v7, v78, v7, s19
	v_cmp_class_f64_e64 s19, v[71:72], 0x1f8
	s_delay_alu instid0(VALU_DEP_2)
	v_cmp_neq_f64_e32 vcc_lo, v[71:72], v[7:8]
	s_or_b32 s19, vcc_lo, s19
	s_wait_alu 0xfffe
	s_and_saveexec_b32 s48, s19
	s_cbranch_execz .LBB71_86
; %bb.85:
	v_add_f64_e64 v[9:10], v[71:72], -v[7:8]
	s_mov_b32 s20, 0x652b82fe
	s_mov_b32 s21, 0x3ff71547
	s_mov_b32 s43, 0xbc7abc9e
	s_mov_b32 s42, 0x3b39803f
	s_mov_b32 s44, 0xfca7ab0c
	s_mov_b32 s50, 0x6a5dcb37
	s_mov_b32 s45, 0x3e928af3
	s_mov_b32 s51, 0x3e5ade15
	s_mov_b32 s52, 0xbf559e2b
	s_mov_b32 s53, 0x3fc3ab76
	s_wait_alu 0xfffe
	s_delay_alu instid0(VALU_DEP_1) | instskip(SKIP_4) | instid1(VALU_DEP_3)
	v_mul_f64_e32 v[71:72], s[20:21], v[9:10]
	s_mov_b32 s21, 0xbfe62e42
	s_mov_b32 s20, 0xfefa39ef
	v_cmp_nlt_f64_e32 vcc_lo, 0x40900000, v[9:10]
	v_cmp_ngt_f64_e64 s19, 0xc090cc00, v[9:10]
	v_rndne_f64_e32 v[71:72], v[71:72]
	s_wait_alu 0xfffe
	s_delay_alu instid0(VALU_DEP_1) | instskip(SKIP_2) | instid1(VALU_DEP_2)
	v_fma_f64 v[75:76], v[71:72], s[20:21], v[9:10]
	v_cvt_i32_f64_e32 v79, v[71:72]
	s_mov_b32 s21, 0x3fe62e42
	v_fma_f64 v[75:76], v[71:72], s[42:43], v[75:76]
	s_mov_b32 s43, 0x3c7abc9e
	s_delay_alu instid0(VALU_DEP_1)
	v_fma_f64 v[77:78], v[75:76], s[50:51], s[44:45]
	s_mov_b32 s44, 0x623fde64
	s_mov_b32 s45, 0x3ec71dee
	;; [unrolled: 1-line block ×4, first 2 shown]
	s_wait_alu 0xfffe
	s_delay_alu instid0(VALU_DEP_1) | instskip(SKIP_3) | instid1(VALU_DEP_1)
	v_fma_f64 v[77:78], v[75:76], v[77:78], s[44:45]
	s_mov_b32 s44, 0x7c89e6b0
	s_mov_b32 s45, 0x3efa0199
	s_wait_alu 0xfffe
	v_fma_f64 v[77:78], v[75:76], v[77:78], s[44:45]
	s_mov_b32 s44, 0x14761f6e
	s_mov_b32 s45, 0x3f2a01a0
	s_wait_alu 0xfffe
	s_delay_alu instid0(VALU_DEP_1) | instskip(SKIP_3) | instid1(VALU_DEP_1)
	v_fma_f64 v[77:78], v[75:76], v[77:78], s[44:45]
	s_mov_b32 s44, 0x1852b7b0
	s_mov_b32 s45, 0x3f56c16c
	s_wait_alu 0xfffe
	v_fma_f64 v[77:78], v[75:76], v[77:78], s[44:45]
	s_mov_b32 s44, 0x11122322
	s_mov_b32 s45, 0x3f811111
	;; [unrolled: 9-line block ×4, first 2 shown]
	s_delay_alu instid0(VALU_DEP_1) | instskip(NEXT) | instid1(VALU_DEP_1)
	v_fma_f64 v[77:78], v[75:76], v[77:78], 1.0
	v_fma_f64 v[71:72], v[75:76], v[77:78], 1.0
	s_delay_alu instid0(VALU_DEP_1) | instskip(SKIP_1) | instid1(VALU_DEP_1)
	v_ldexp_f64 v[71:72], v[71:72], v79
	s_wait_alu 0xfffd
	v_cndmask_b32_e32 v72, 0x7ff00000, v72, vcc_lo
	s_and_b32 vcc_lo, s19, vcc_lo
	s_wait_alu 0xfffe
	s_delay_alu instid0(VALU_DEP_2) | instskip(NEXT) | instid1(VALU_DEP_2)
	v_cndmask_b32_e32 v9, 0, v71, vcc_lo
	v_cndmask_b32_e64 v10, 0, v72, s19
	s_delay_alu instid0(VALU_DEP_1) | instskip(SKIP_1) | instid1(VALU_DEP_2)
	v_add_f64_e32 v[71:72], 1.0, v[9:10]
	v_cmp_neq_f64_e64 s19, 0x7ff00000, v[9:10]
	v_frexp_mant_f64_e32 v[75:76], v[71:72]
	v_frexp_exp_i32_f64_e32 v79, v[71:72]
	v_add_f64_e32 v[77:78], -1.0, v[71:72]
	s_delay_alu instid0(VALU_DEP_3) | instskip(SKIP_1) | instid1(VALU_DEP_2)
	v_cmp_gt_f64_e32 vcc_lo, s[44:45], v[75:76]
	s_mov_b32 s44, 0x55555780
	v_add_f64_e64 v[75:76], v[77:78], -v[71:72]
	v_add_f64_e64 v[77:78], v[9:10], -v[77:78]
	s_wait_alu 0xfffd
	v_subrev_co_ci_u32_e64 v114, null, 0, v79, vcc_lo
	s_delay_alu instid0(VALU_DEP_3) | instskip(SKIP_1) | instid1(VALU_DEP_3)
	v_add_f64_e32 v[75:76], 1.0, v[75:76]
	v_cmp_nge_f64_e32 vcc_lo, -1.0, v[9:10]
	v_sub_nc_u32_e32 v81, 0, v114
	s_delay_alu instid0(VALU_DEP_1) | instskip(NEXT) | instid1(VALU_DEP_4)
	v_ldexp_f64 v[71:72], v[71:72], v81
	v_add_f64_e32 v[75:76], v[77:78], v[75:76]
	s_and_b32 vcc_lo, vcc_lo, s19
	s_delay_alu instid0(VALU_DEP_2) | instskip(SKIP_1) | instid1(VALU_DEP_3)
	v_add_f64_e32 v[79:80], 1.0, v[71:72]
	v_add_f64_e32 v[104:105], -1.0, v[71:72]
	v_ldexp_f64 v[75:76], v[75:76], v81
	s_delay_alu instid0(VALU_DEP_3) | instskip(NEXT) | instid1(VALU_DEP_3)
	v_add_f64_e32 v[77:78], -1.0, v[79:80]
	v_add_f64_e32 v[106:107], 1.0, v[104:105]
	s_delay_alu instid0(VALU_DEP_2) | instskip(NEXT) | instid1(VALU_DEP_2)
	v_add_f64_e64 v[77:78], v[71:72], -v[77:78]
	v_add_f64_e64 v[71:72], v[71:72], -v[106:107]
	s_delay_alu instid0(VALU_DEP_2) | instskip(NEXT) | instid1(VALU_DEP_2)
	v_add_f64_e32 v[77:78], v[75:76], v[77:78]
	v_add_f64_e32 v[71:72], v[75:76], v[71:72]
	s_delay_alu instid0(VALU_DEP_2) | instskip(NEXT) | instid1(VALU_DEP_2)
	v_add_f64_e32 v[81:82], v[79:80], v[77:78]
	v_add_f64_e32 v[106:107], v[104:105], v[71:72]
	s_delay_alu instid0(VALU_DEP_2) | instskip(SKIP_1) | instid1(VALU_DEP_2)
	v_rcp_f64_e32 v[102:103], v[81:82]
	v_add_f64_e64 v[79:80], v[81:82], -v[79:80]
	v_add_f64_e64 v[104:105], v[106:107], -v[104:105]
	s_delay_alu instid0(VALU_DEP_2) | instskip(NEXT) | instid1(TRANS32_DEP_1)
	v_add_f64_e64 v[77:78], v[77:78], -v[79:80]
	v_fma_f64 v[108:109], -v[81:82], v[102:103], 1.0
	s_delay_alu instid0(VALU_DEP_3) | instskip(NEXT) | instid1(VALU_DEP_2)
	v_add_f64_e64 v[71:72], v[71:72], -v[104:105]
	v_fma_f64 v[102:103], v[108:109], v[102:103], v[102:103]
	s_delay_alu instid0(VALU_DEP_1) | instskip(NEXT) | instid1(VALU_DEP_1)
	v_fma_f64 v[75:76], -v[81:82], v[102:103], 1.0
	v_fma_f64 v[75:76], v[75:76], v[102:103], v[102:103]
	s_delay_alu instid0(VALU_DEP_1) | instskip(NEXT) | instid1(VALU_DEP_1)
	v_mul_f64_e32 v[102:103], v[106:107], v[75:76]
	v_mul_f64_e32 v[108:109], v[81:82], v[102:103]
	s_delay_alu instid0(VALU_DEP_1) | instskip(NEXT) | instid1(VALU_DEP_1)
	v_fma_f64 v[79:80], v[102:103], v[81:82], -v[108:109]
	v_fma_f64 v[79:80], v[102:103], v[77:78], v[79:80]
	s_delay_alu instid0(VALU_DEP_1) | instskip(NEXT) | instid1(VALU_DEP_1)
	v_add_f64_e32 v[110:111], v[108:109], v[79:80]
	v_add_f64_e64 v[112:113], v[106:107], -v[110:111]
	v_add_f64_e64 v[104:105], v[110:111], -v[108:109]
	s_delay_alu instid0(VALU_DEP_2) | instskip(NEXT) | instid1(VALU_DEP_2)
	v_add_f64_e64 v[106:107], v[106:107], -v[112:113]
	v_add_f64_e64 v[79:80], v[104:105], -v[79:80]
	s_delay_alu instid0(VALU_DEP_2) | instskip(NEXT) | instid1(VALU_DEP_1)
	v_add_f64_e64 v[106:107], v[106:107], -v[110:111]
	v_add_f64_e32 v[71:72], v[71:72], v[106:107]
	s_delay_alu instid0(VALU_DEP_1) | instskip(NEXT) | instid1(VALU_DEP_1)
	v_add_f64_e32 v[71:72], v[79:80], v[71:72]
	v_add_f64_e32 v[79:80], v[112:113], v[71:72]
	s_delay_alu instid0(VALU_DEP_1) | instskip(SKIP_1) | instid1(VALU_DEP_2)
	v_mul_f64_e32 v[104:105], v[75:76], v[79:80]
	v_add_f64_e64 v[110:111], v[112:113], -v[79:80]
	v_mul_f64_e32 v[106:107], v[81:82], v[104:105]
	s_delay_alu instid0(VALU_DEP_2) | instskip(NEXT) | instid1(VALU_DEP_2)
	v_add_f64_e32 v[71:72], v[71:72], v[110:111]
	v_fma_f64 v[81:82], v[104:105], v[81:82], -v[106:107]
	s_delay_alu instid0(VALU_DEP_1) | instskip(NEXT) | instid1(VALU_DEP_1)
	v_fma_f64 v[77:78], v[104:105], v[77:78], v[81:82]
	v_add_f64_e32 v[81:82], v[106:107], v[77:78]
	s_delay_alu instid0(VALU_DEP_1) | instskip(SKIP_1) | instid1(VALU_DEP_2)
	v_add_f64_e64 v[108:109], v[79:80], -v[81:82]
	v_add_f64_e64 v[106:107], v[81:82], -v[106:107]
	;; [unrolled: 1-line block ×3, first 2 shown]
	s_delay_alu instid0(VALU_DEP_2) | instskip(NEXT) | instid1(VALU_DEP_2)
	v_add_f64_e64 v[77:78], v[106:107], -v[77:78]
	v_add_f64_e64 v[79:80], v[79:80], -v[81:82]
	s_delay_alu instid0(VALU_DEP_1) | instskip(SKIP_1) | instid1(VALU_DEP_2)
	v_add_f64_e32 v[71:72], v[71:72], v[79:80]
	v_add_f64_e32 v[79:80], v[102:103], v[104:105]
	;; [unrolled: 1-line block ×3, first 2 shown]
	s_delay_alu instid0(VALU_DEP_2) | instskip(NEXT) | instid1(VALU_DEP_2)
	v_add_f64_e64 v[77:78], v[79:80], -v[102:103]
	v_add_f64_e32 v[71:72], v[108:109], v[71:72]
	s_delay_alu instid0(VALU_DEP_2) | instskip(NEXT) | instid1(VALU_DEP_2)
	v_add_f64_e64 v[77:78], v[104:105], -v[77:78]
	v_mul_f64_e32 v[71:72], v[75:76], v[71:72]
	s_delay_alu instid0(VALU_DEP_1) | instskip(NEXT) | instid1(VALU_DEP_1)
	v_add_f64_e32 v[71:72], v[77:78], v[71:72]
	v_add_f64_e32 v[75:76], v[79:80], v[71:72]
	s_delay_alu instid0(VALU_DEP_1) | instskip(NEXT) | instid1(VALU_DEP_1)
	v_mul_f64_e32 v[77:78], v[75:76], v[75:76]
	v_fma_f64 v[81:82], v[77:78], s[52:53], s[50:51]
	s_mov_b32 s50, 0xd7f4df2e
	s_mov_b32 s51, 0x3fc7474d
	v_mul_f64_e32 v[102:103], v[75:76], v[77:78]
	s_wait_alu 0xfffe
	s_delay_alu instid0(VALU_DEP_2) | instskip(SKIP_3) | instid1(VALU_DEP_1)
	v_fma_f64 v[81:82], v[77:78], v[81:82], s[50:51]
	s_mov_b32 s50, 0x16291751
	s_mov_b32 s51, 0x3fcc71c0
	s_wait_alu 0xfffe
	v_fma_f64 v[81:82], v[77:78], v[81:82], s[50:51]
	s_mov_b32 s50, 0x9b27acf1
	s_mov_b32 s51, 0x3fd24924
	s_wait_alu 0xfffe
	s_delay_alu instid0(VALU_DEP_1) | instskip(SKIP_3) | instid1(VALU_DEP_1)
	v_fma_f64 v[81:82], v[77:78], v[81:82], s[50:51]
	s_mov_b32 s50, 0x998ef7b6
	s_mov_b32 s51, 0x3fd99999
	s_wait_alu 0xfffe
	v_fma_f64 v[81:82], v[77:78], v[81:82], s[50:51]
	s_delay_alu instid0(VALU_DEP_1) | instskip(SKIP_2) | instid1(VALU_DEP_3)
	v_fma_f64 v[77:78], v[77:78], v[81:82], s[44:45]
	v_ldexp_f64 v[81:82], v[75:76], 1
	v_add_f64_e64 v[75:76], v[75:76], -v[79:80]
	v_mul_f64_e32 v[77:78], v[102:103], v[77:78]
	v_cvt_f64_i32_e32 v[102:103], v114
	s_delay_alu instid0(VALU_DEP_3) | instskip(NEXT) | instid1(VALU_DEP_3)
	v_add_f64_e64 v[71:72], v[71:72], -v[75:76]
	v_add_f64_e32 v[79:80], v[81:82], v[77:78]
	s_delay_alu instid0(VALU_DEP_3) | instskip(NEXT) | instid1(VALU_DEP_3)
	v_mul_f64_e32 v[104:105], s[20:21], v[102:103]
	v_ldexp_f64 v[71:72], v[71:72], 1
	s_delay_alu instid0(VALU_DEP_3) | instskip(NEXT) | instid1(VALU_DEP_3)
	v_add_f64_e64 v[75:76], v[79:80], -v[81:82]
	v_fma_f64 v[81:82], v[102:103], s[20:21], -v[104:105]
	v_cmp_ngt_f64_e64 s20, -1.0, v[9:10]
	s_delay_alu instid0(VALU_DEP_3) | instskip(NEXT) | instid1(VALU_DEP_3)
	v_add_f64_e64 v[75:76], v[77:78], -v[75:76]
	v_fma_f64 v[77:78], v[102:103], s[42:43], v[81:82]
	s_delay_alu instid0(VALU_DEP_2) | instskip(NEXT) | instid1(VALU_DEP_2)
	v_add_f64_e32 v[71:72], v[71:72], v[75:76]
	v_add_f64_e32 v[75:76], v[104:105], v[77:78]
	s_delay_alu instid0(VALU_DEP_2) | instskip(NEXT) | instid1(VALU_DEP_2)
	v_add_f64_e32 v[81:82], v[79:80], v[71:72]
	v_add_f64_e64 v[104:105], v[75:76], -v[104:105]
	s_delay_alu instid0(VALU_DEP_2) | instskip(SKIP_1) | instid1(VALU_DEP_3)
	v_add_f64_e32 v[102:103], v[75:76], v[81:82]
	v_add_f64_e64 v[79:80], v[81:82], -v[79:80]
	v_add_f64_e64 v[77:78], v[77:78], -v[104:105]
	s_delay_alu instid0(VALU_DEP_3) | instskip(NEXT) | instid1(VALU_DEP_3)
	v_add_f64_e64 v[106:107], v[102:103], -v[75:76]
	v_add_f64_e64 v[71:72], v[71:72], -v[79:80]
	s_delay_alu instid0(VALU_DEP_2) | instskip(SKIP_1) | instid1(VALU_DEP_3)
	v_add_f64_e64 v[108:109], v[102:103], -v[106:107]
	v_add_f64_e64 v[79:80], v[81:82], -v[106:107]
	v_add_f64_e32 v[81:82], v[77:78], v[71:72]
	s_delay_alu instid0(VALU_DEP_3) | instskip(NEXT) | instid1(VALU_DEP_1)
	v_add_f64_e64 v[75:76], v[75:76], -v[108:109]
	v_add_f64_e32 v[75:76], v[79:80], v[75:76]
	s_delay_alu instid0(VALU_DEP_3) | instskip(NEXT) | instid1(VALU_DEP_2)
	v_add_f64_e64 v[79:80], v[81:82], -v[77:78]
	v_add_f64_e32 v[75:76], v[81:82], v[75:76]
	s_delay_alu instid0(VALU_DEP_2) | instskip(SKIP_1) | instid1(VALU_DEP_3)
	v_add_f64_e64 v[81:82], v[81:82], -v[79:80]
	v_add_f64_e64 v[71:72], v[71:72], -v[79:80]
	v_add_f64_e32 v[104:105], v[102:103], v[75:76]
	s_delay_alu instid0(VALU_DEP_3) | instskip(NEXT) | instid1(VALU_DEP_2)
	v_add_f64_e64 v[77:78], v[77:78], -v[81:82]
	v_add_f64_e64 v[79:80], v[104:105], -v[102:103]
	s_delay_alu instid0(VALU_DEP_2) | instskip(NEXT) | instid1(VALU_DEP_2)
	v_add_f64_e32 v[71:72], v[71:72], v[77:78]
	v_add_f64_e64 v[75:76], v[75:76], -v[79:80]
	s_delay_alu instid0(VALU_DEP_1) | instskip(NEXT) | instid1(VALU_DEP_1)
	v_add_f64_e32 v[71:72], v[71:72], v[75:76]
	v_add_f64_e32 v[71:72], v[104:105], v[71:72]
	s_delay_alu instid0(VALU_DEP_1) | instskip(SKIP_1) | instid1(VALU_DEP_3)
	v_cndmask_b32_e32 v71, 0, v71, vcc_lo
	v_cmp_neq_f64_e32 vcc_lo, -1.0, v[9:10]
	v_cndmask_b32_e64 v72, 0x7ff00000, v72, s19
	s_wait_alu 0xf1ff
	s_delay_alu instid0(VALU_DEP_1) | instskip(SKIP_1) | instid1(VALU_DEP_1)
	v_cndmask_b32_e64 v72, 0x7ff80000, v72, s20
	s_wait_alu 0xfffd
	v_cndmask_b32_e32 v72, 0xfff00000, v72, vcc_lo
	s_delay_alu instid0(VALU_DEP_1)
	v_add_f64_e32 v[9:10], v[7:8], v[71:72]
.LBB71_86:
	s_wait_alu 0xfffe
	s_or_b32 exec_lo, exec_lo, s48
	s_delay_alu instid0(VALU_DEP_1)
	v_dual_mov_b32 v71, v9 :: v_dual_mov_b32 v72, v10
	v_dual_mov_b32 v7, v9 :: v_dual_mov_b32 v8, v10
.LBB71_87:
	s_wait_alu 0xfffe
	s_or_b32 exec_lo, exec_lo, s47
	s_delay_alu instid0(VALU_DEP_2)
	v_mov_b32_dpp v9, v71 row_shr:4 row_mask:0xf bank_mask:0xf
	v_mov_b32_dpp v10, v72 row_shr:4 row_mask:0xf bank_mask:0xf
	s_mov_b32 s47, exec_lo
	v_cmpx_lt_u32_e32 3, v74
	s_cbranch_execz .LBB71_91
; %bb.88:
	s_delay_alu instid0(VALU_DEP_2) | instskip(SKIP_3) | instid1(VALU_DEP_3)
	v_max_num_f64_e32 v[71:72], v[9:10], v[9:10]
	v_max_num_f64_e32 v[74:75], v[7:8], v[7:8]
	v_cmp_u_f64_e32 vcc_lo, v[9:10], v[9:10]
	v_cmp_u_f64_e64 s19, v[7:8], v[7:8]
	v_min_num_f64_e32 v[76:77], v[71:72], v[74:75]
	v_max_num_f64_e32 v[71:72], v[71:72], v[74:75]
	s_wait_alu 0xfffd
	s_delay_alu instid0(VALU_DEP_2) | instskip(NEXT) | instid1(VALU_DEP_2)
	v_dual_cndmask_b32 v74, v77, v10 :: v_dual_cndmask_b32 v75, v76, v9
	v_dual_cndmask_b32 v76, v72, v10 :: v_dual_cndmask_b32 v77, v71, v9
	s_wait_alu 0xf1ff
	s_delay_alu instid0(VALU_DEP_2) | instskip(NEXT) | instid1(VALU_DEP_3)
	v_cndmask_b32_e64 v72, v74, v8, s19
	v_cndmask_b32_e64 v71, v75, v7, s19
	s_delay_alu instid0(VALU_DEP_3) | instskip(SKIP_1) | instid1(VALU_DEP_3)
	v_cndmask_b32_e64 v8, v76, v8, s19
	v_cndmask_b32_e64 v7, v77, v7, s19
	v_cmp_class_f64_e64 s19, v[71:72], 0x1f8
	s_delay_alu instid0(VALU_DEP_2)
	v_cmp_neq_f64_e32 vcc_lo, v[71:72], v[7:8]
	s_or_b32 s19, vcc_lo, s19
	s_wait_alu 0xfffe
	s_and_saveexec_b32 s48, s19
	s_cbranch_execz .LBB71_90
; %bb.89:
	v_add_f64_e64 v[9:10], v[71:72], -v[7:8]
	s_mov_b32 s20, 0x652b82fe
	s_mov_b32 s21, 0x3ff71547
	;; [unrolled: 1-line block ×10, first 2 shown]
	s_wait_alu 0xfffe
	s_delay_alu instid0(VALU_DEP_1) | instskip(SKIP_4) | instid1(VALU_DEP_3)
	v_mul_f64_e32 v[71:72], s[20:21], v[9:10]
	s_mov_b32 s21, 0xbfe62e42
	s_mov_b32 s20, 0xfefa39ef
	v_cmp_nlt_f64_e32 vcc_lo, 0x40900000, v[9:10]
	v_cmp_ngt_f64_e64 s19, 0xc090cc00, v[9:10]
	v_rndne_f64_e32 v[71:72], v[71:72]
	s_wait_alu 0xfffe
	s_delay_alu instid0(VALU_DEP_1) | instskip(SKIP_2) | instid1(VALU_DEP_2)
	v_fma_f64 v[74:75], v[71:72], s[20:21], v[9:10]
	v_cvt_i32_f64_e32 v78, v[71:72]
	s_mov_b32 s21, 0x3fe62e42
	v_fma_f64 v[74:75], v[71:72], s[42:43], v[74:75]
	s_mov_b32 s43, 0x3c7abc9e
	s_delay_alu instid0(VALU_DEP_1)
	v_fma_f64 v[76:77], v[74:75], s[50:51], s[44:45]
	s_mov_b32 s44, 0x623fde64
	s_mov_b32 s45, 0x3ec71dee
	;; [unrolled: 1-line block ×4, first 2 shown]
	s_wait_alu 0xfffe
	s_delay_alu instid0(VALU_DEP_1) | instskip(SKIP_3) | instid1(VALU_DEP_1)
	v_fma_f64 v[76:77], v[74:75], v[76:77], s[44:45]
	s_mov_b32 s44, 0x7c89e6b0
	s_mov_b32 s45, 0x3efa0199
	s_wait_alu 0xfffe
	v_fma_f64 v[76:77], v[74:75], v[76:77], s[44:45]
	s_mov_b32 s44, 0x14761f6e
	s_mov_b32 s45, 0x3f2a01a0
	s_wait_alu 0xfffe
	s_delay_alu instid0(VALU_DEP_1) | instskip(SKIP_3) | instid1(VALU_DEP_1)
	v_fma_f64 v[76:77], v[74:75], v[76:77], s[44:45]
	s_mov_b32 s44, 0x1852b7b0
	s_mov_b32 s45, 0x3f56c16c
	s_wait_alu 0xfffe
	v_fma_f64 v[76:77], v[74:75], v[76:77], s[44:45]
	s_mov_b32 s44, 0x11122322
	s_mov_b32 s45, 0x3f811111
	;; [unrolled: 9-line block ×4, first 2 shown]
	s_delay_alu instid0(VALU_DEP_1) | instskip(NEXT) | instid1(VALU_DEP_1)
	v_fma_f64 v[76:77], v[74:75], v[76:77], 1.0
	v_fma_f64 v[71:72], v[74:75], v[76:77], 1.0
	s_delay_alu instid0(VALU_DEP_1) | instskip(SKIP_1) | instid1(VALU_DEP_1)
	v_ldexp_f64 v[71:72], v[71:72], v78
	s_wait_alu 0xfffd
	v_cndmask_b32_e32 v72, 0x7ff00000, v72, vcc_lo
	s_and_b32 vcc_lo, s19, vcc_lo
	s_wait_alu 0xfffe
	s_delay_alu instid0(VALU_DEP_2) | instskip(NEXT) | instid1(VALU_DEP_2)
	v_cndmask_b32_e32 v9, 0, v71, vcc_lo
	v_cndmask_b32_e64 v10, 0, v72, s19
	s_delay_alu instid0(VALU_DEP_1) | instskip(SKIP_1) | instid1(VALU_DEP_2)
	v_add_f64_e32 v[71:72], 1.0, v[9:10]
	v_cmp_neq_f64_e64 s19, 0x7ff00000, v[9:10]
	v_frexp_mant_f64_e32 v[74:75], v[71:72]
	v_frexp_exp_i32_f64_e32 v78, v[71:72]
	v_add_f64_e32 v[76:77], -1.0, v[71:72]
	s_delay_alu instid0(VALU_DEP_3) | instskip(SKIP_1) | instid1(VALU_DEP_2)
	v_cmp_gt_f64_e32 vcc_lo, s[44:45], v[74:75]
	s_mov_b32 s44, 0x55555780
	v_add_f64_e64 v[74:75], v[76:77], -v[71:72]
	v_add_f64_e64 v[76:77], v[9:10], -v[76:77]
	s_wait_alu 0xfffd
	v_subrev_co_ci_u32_e64 v82, null, 0, v78, vcc_lo
	s_delay_alu instid0(VALU_DEP_3) | instskip(SKIP_1) | instid1(VALU_DEP_3)
	v_add_f64_e32 v[74:75], 1.0, v[74:75]
	v_cmp_nge_f64_e32 vcc_lo, -1.0, v[9:10]
	v_sub_nc_u32_e32 v80, 0, v82
	s_delay_alu instid0(VALU_DEP_1) | instskip(NEXT) | instid1(VALU_DEP_4)
	v_ldexp_f64 v[71:72], v[71:72], v80
	v_add_f64_e32 v[74:75], v[76:77], v[74:75]
	s_and_b32 vcc_lo, vcc_lo, s19
	s_delay_alu instid0(VALU_DEP_2) | instskip(SKIP_1) | instid1(VALU_DEP_3)
	v_add_f64_e32 v[78:79], 1.0, v[71:72]
	v_add_f64_e32 v[104:105], -1.0, v[71:72]
	v_ldexp_f64 v[74:75], v[74:75], v80
	s_delay_alu instid0(VALU_DEP_3) | instskip(NEXT) | instid1(VALU_DEP_3)
	v_add_f64_e32 v[76:77], -1.0, v[78:79]
	v_add_f64_e32 v[106:107], 1.0, v[104:105]
	s_delay_alu instid0(VALU_DEP_2) | instskip(NEXT) | instid1(VALU_DEP_2)
	v_add_f64_e64 v[76:77], v[71:72], -v[76:77]
	v_add_f64_e64 v[71:72], v[71:72], -v[106:107]
	s_delay_alu instid0(VALU_DEP_2) | instskip(NEXT) | instid1(VALU_DEP_2)
	v_add_f64_e32 v[76:77], v[74:75], v[76:77]
	v_add_f64_e32 v[71:72], v[74:75], v[71:72]
	s_delay_alu instid0(VALU_DEP_2) | instskip(NEXT) | instid1(VALU_DEP_2)
	v_add_f64_e32 v[80:81], v[78:79], v[76:77]
	v_add_f64_e32 v[106:107], v[104:105], v[71:72]
	s_delay_alu instid0(VALU_DEP_2) | instskip(SKIP_1) | instid1(VALU_DEP_2)
	v_rcp_f64_e32 v[102:103], v[80:81]
	v_add_f64_e64 v[78:79], v[80:81], -v[78:79]
	v_add_f64_e64 v[104:105], v[106:107], -v[104:105]
	s_delay_alu instid0(VALU_DEP_2) | instskip(NEXT) | instid1(TRANS32_DEP_1)
	v_add_f64_e64 v[76:77], v[76:77], -v[78:79]
	v_fma_f64 v[108:109], -v[80:81], v[102:103], 1.0
	s_delay_alu instid0(VALU_DEP_3) | instskip(NEXT) | instid1(VALU_DEP_2)
	v_add_f64_e64 v[71:72], v[71:72], -v[104:105]
	v_fma_f64 v[102:103], v[108:109], v[102:103], v[102:103]
	s_delay_alu instid0(VALU_DEP_1) | instskip(NEXT) | instid1(VALU_DEP_1)
	v_fma_f64 v[74:75], -v[80:81], v[102:103], 1.0
	v_fma_f64 v[74:75], v[74:75], v[102:103], v[102:103]
	s_delay_alu instid0(VALU_DEP_1) | instskip(NEXT) | instid1(VALU_DEP_1)
	v_mul_f64_e32 v[102:103], v[106:107], v[74:75]
	v_mul_f64_e32 v[108:109], v[80:81], v[102:103]
	s_delay_alu instid0(VALU_DEP_1) | instskip(NEXT) | instid1(VALU_DEP_1)
	v_fma_f64 v[78:79], v[102:103], v[80:81], -v[108:109]
	v_fma_f64 v[78:79], v[102:103], v[76:77], v[78:79]
	s_delay_alu instid0(VALU_DEP_1) | instskip(NEXT) | instid1(VALU_DEP_1)
	v_add_f64_e32 v[110:111], v[108:109], v[78:79]
	v_add_f64_e64 v[112:113], v[106:107], -v[110:111]
	v_add_f64_e64 v[104:105], v[110:111], -v[108:109]
	s_delay_alu instid0(VALU_DEP_2) | instskip(NEXT) | instid1(VALU_DEP_2)
	v_add_f64_e64 v[106:107], v[106:107], -v[112:113]
	v_add_f64_e64 v[78:79], v[104:105], -v[78:79]
	s_delay_alu instid0(VALU_DEP_2) | instskip(NEXT) | instid1(VALU_DEP_1)
	v_add_f64_e64 v[106:107], v[106:107], -v[110:111]
	v_add_f64_e32 v[71:72], v[71:72], v[106:107]
	s_delay_alu instid0(VALU_DEP_1) | instskip(NEXT) | instid1(VALU_DEP_1)
	v_add_f64_e32 v[71:72], v[78:79], v[71:72]
	v_add_f64_e32 v[78:79], v[112:113], v[71:72]
	s_delay_alu instid0(VALU_DEP_1) | instskip(SKIP_1) | instid1(VALU_DEP_2)
	v_mul_f64_e32 v[104:105], v[74:75], v[78:79]
	v_add_f64_e64 v[110:111], v[112:113], -v[78:79]
	v_mul_f64_e32 v[106:107], v[80:81], v[104:105]
	s_delay_alu instid0(VALU_DEP_2) | instskip(NEXT) | instid1(VALU_DEP_2)
	v_add_f64_e32 v[71:72], v[71:72], v[110:111]
	v_fma_f64 v[80:81], v[104:105], v[80:81], -v[106:107]
	s_delay_alu instid0(VALU_DEP_1) | instskip(NEXT) | instid1(VALU_DEP_1)
	v_fma_f64 v[76:77], v[104:105], v[76:77], v[80:81]
	v_add_f64_e32 v[80:81], v[106:107], v[76:77]
	s_delay_alu instid0(VALU_DEP_1) | instskip(SKIP_1) | instid1(VALU_DEP_2)
	v_add_f64_e64 v[108:109], v[78:79], -v[80:81]
	v_add_f64_e64 v[106:107], v[80:81], -v[106:107]
	;; [unrolled: 1-line block ×3, first 2 shown]
	s_delay_alu instid0(VALU_DEP_2) | instskip(NEXT) | instid1(VALU_DEP_2)
	v_add_f64_e64 v[76:77], v[106:107], -v[76:77]
	v_add_f64_e64 v[78:79], v[78:79], -v[80:81]
	s_delay_alu instid0(VALU_DEP_1) | instskip(SKIP_1) | instid1(VALU_DEP_2)
	v_add_f64_e32 v[71:72], v[71:72], v[78:79]
	v_add_f64_e32 v[78:79], v[102:103], v[104:105]
	;; [unrolled: 1-line block ×3, first 2 shown]
	s_delay_alu instid0(VALU_DEP_2) | instskip(NEXT) | instid1(VALU_DEP_2)
	v_add_f64_e64 v[76:77], v[78:79], -v[102:103]
	v_add_f64_e32 v[71:72], v[108:109], v[71:72]
	s_delay_alu instid0(VALU_DEP_2) | instskip(NEXT) | instid1(VALU_DEP_2)
	v_add_f64_e64 v[76:77], v[104:105], -v[76:77]
	v_mul_f64_e32 v[71:72], v[74:75], v[71:72]
	s_delay_alu instid0(VALU_DEP_1) | instskip(NEXT) | instid1(VALU_DEP_1)
	v_add_f64_e32 v[71:72], v[76:77], v[71:72]
	v_add_f64_e32 v[74:75], v[78:79], v[71:72]
	s_delay_alu instid0(VALU_DEP_1) | instskip(NEXT) | instid1(VALU_DEP_1)
	v_mul_f64_e32 v[76:77], v[74:75], v[74:75]
	v_fma_f64 v[80:81], v[76:77], s[52:53], s[50:51]
	s_mov_b32 s50, 0xd7f4df2e
	s_mov_b32 s51, 0x3fc7474d
	v_mul_f64_e32 v[102:103], v[74:75], v[76:77]
	s_wait_alu 0xfffe
	s_delay_alu instid0(VALU_DEP_2) | instskip(SKIP_3) | instid1(VALU_DEP_1)
	v_fma_f64 v[80:81], v[76:77], v[80:81], s[50:51]
	s_mov_b32 s50, 0x16291751
	s_mov_b32 s51, 0x3fcc71c0
	s_wait_alu 0xfffe
	v_fma_f64 v[80:81], v[76:77], v[80:81], s[50:51]
	s_mov_b32 s50, 0x9b27acf1
	s_mov_b32 s51, 0x3fd24924
	s_wait_alu 0xfffe
	s_delay_alu instid0(VALU_DEP_1) | instskip(SKIP_3) | instid1(VALU_DEP_1)
	v_fma_f64 v[80:81], v[76:77], v[80:81], s[50:51]
	s_mov_b32 s50, 0x998ef7b6
	s_mov_b32 s51, 0x3fd99999
	s_wait_alu 0xfffe
	v_fma_f64 v[80:81], v[76:77], v[80:81], s[50:51]
	s_delay_alu instid0(VALU_DEP_1) | instskip(SKIP_2) | instid1(VALU_DEP_3)
	v_fma_f64 v[76:77], v[76:77], v[80:81], s[44:45]
	v_ldexp_f64 v[80:81], v[74:75], 1
	v_add_f64_e64 v[74:75], v[74:75], -v[78:79]
	v_mul_f64_e32 v[76:77], v[102:103], v[76:77]
	v_cvt_f64_i32_e32 v[102:103], v82
	s_delay_alu instid0(VALU_DEP_3) | instskip(NEXT) | instid1(VALU_DEP_3)
	v_add_f64_e64 v[71:72], v[71:72], -v[74:75]
	v_add_f64_e32 v[78:79], v[80:81], v[76:77]
	s_delay_alu instid0(VALU_DEP_3) | instskip(NEXT) | instid1(VALU_DEP_3)
	v_mul_f64_e32 v[104:105], s[20:21], v[102:103]
	v_ldexp_f64 v[71:72], v[71:72], 1
	s_delay_alu instid0(VALU_DEP_3) | instskip(NEXT) | instid1(VALU_DEP_3)
	v_add_f64_e64 v[74:75], v[78:79], -v[80:81]
	v_fma_f64 v[80:81], v[102:103], s[20:21], -v[104:105]
	v_cmp_ngt_f64_e64 s20, -1.0, v[9:10]
	s_delay_alu instid0(VALU_DEP_3) | instskip(NEXT) | instid1(VALU_DEP_3)
	v_add_f64_e64 v[74:75], v[76:77], -v[74:75]
	v_fma_f64 v[76:77], v[102:103], s[42:43], v[80:81]
	s_delay_alu instid0(VALU_DEP_2) | instskip(NEXT) | instid1(VALU_DEP_2)
	v_add_f64_e32 v[71:72], v[71:72], v[74:75]
	v_add_f64_e32 v[74:75], v[104:105], v[76:77]
	s_delay_alu instid0(VALU_DEP_2) | instskip(NEXT) | instid1(VALU_DEP_2)
	v_add_f64_e32 v[80:81], v[78:79], v[71:72]
	v_add_f64_e64 v[104:105], v[74:75], -v[104:105]
	s_delay_alu instid0(VALU_DEP_2) | instskip(SKIP_1) | instid1(VALU_DEP_3)
	v_add_f64_e32 v[102:103], v[74:75], v[80:81]
	v_add_f64_e64 v[78:79], v[80:81], -v[78:79]
	v_add_f64_e64 v[76:77], v[76:77], -v[104:105]
	s_delay_alu instid0(VALU_DEP_3) | instskip(NEXT) | instid1(VALU_DEP_3)
	v_add_f64_e64 v[106:107], v[102:103], -v[74:75]
	v_add_f64_e64 v[71:72], v[71:72], -v[78:79]
	s_delay_alu instid0(VALU_DEP_2) | instskip(SKIP_1) | instid1(VALU_DEP_3)
	v_add_f64_e64 v[108:109], v[102:103], -v[106:107]
	v_add_f64_e64 v[78:79], v[80:81], -v[106:107]
	v_add_f64_e32 v[80:81], v[76:77], v[71:72]
	s_delay_alu instid0(VALU_DEP_3) | instskip(NEXT) | instid1(VALU_DEP_1)
	v_add_f64_e64 v[74:75], v[74:75], -v[108:109]
	v_add_f64_e32 v[74:75], v[78:79], v[74:75]
	s_delay_alu instid0(VALU_DEP_3) | instskip(NEXT) | instid1(VALU_DEP_2)
	v_add_f64_e64 v[78:79], v[80:81], -v[76:77]
	v_add_f64_e32 v[74:75], v[80:81], v[74:75]
	s_delay_alu instid0(VALU_DEP_2) | instskip(SKIP_1) | instid1(VALU_DEP_3)
	v_add_f64_e64 v[80:81], v[80:81], -v[78:79]
	v_add_f64_e64 v[71:72], v[71:72], -v[78:79]
	v_add_f64_e32 v[104:105], v[102:103], v[74:75]
	s_delay_alu instid0(VALU_DEP_3) | instskip(NEXT) | instid1(VALU_DEP_2)
	v_add_f64_e64 v[76:77], v[76:77], -v[80:81]
	v_add_f64_e64 v[78:79], v[104:105], -v[102:103]
	s_delay_alu instid0(VALU_DEP_2) | instskip(NEXT) | instid1(VALU_DEP_2)
	v_add_f64_e32 v[71:72], v[71:72], v[76:77]
	v_add_f64_e64 v[74:75], v[74:75], -v[78:79]
	s_delay_alu instid0(VALU_DEP_1) | instskip(NEXT) | instid1(VALU_DEP_1)
	v_add_f64_e32 v[71:72], v[71:72], v[74:75]
	v_add_f64_e32 v[71:72], v[104:105], v[71:72]
	s_delay_alu instid0(VALU_DEP_1) | instskip(SKIP_1) | instid1(VALU_DEP_3)
	v_cndmask_b32_e32 v71, 0, v71, vcc_lo
	v_cmp_neq_f64_e32 vcc_lo, -1.0, v[9:10]
	v_cndmask_b32_e64 v72, 0x7ff00000, v72, s19
	s_wait_alu 0xf1ff
	s_delay_alu instid0(VALU_DEP_1) | instskip(SKIP_1) | instid1(VALU_DEP_1)
	v_cndmask_b32_e64 v72, 0x7ff80000, v72, s20
	s_wait_alu 0xfffd
	v_cndmask_b32_e32 v72, 0xfff00000, v72, vcc_lo
	s_delay_alu instid0(VALU_DEP_1)
	v_add_f64_e32 v[9:10], v[7:8], v[71:72]
.LBB71_90:
	s_wait_alu 0xfffe
	s_or_b32 exec_lo, exec_lo, s48
	s_delay_alu instid0(VALU_DEP_1)
	v_dual_mov_b32 v7, v9 :: v_dual_mov_b32 v8, v10
.LBB71_91:
	s_wait_alu 0xfffe
	s_or_b32 exec_lo, exec_lo, s47
	ds_store_b64 v98, v[7:8]
.LBB71_92:
	s_wait_alu 0xfffe
	s_or_b32 exec_lo, exec_lo, s46
	s_delay_alu instid0(SALU_CYCLE_1)
	s_mov_b32 s46, exec_lo
	v_cmp_gt_u32_e32 vcc_lo, 32, v0
	s_wait_loadcnt_dscnt 0x0
	s_barrier_signal -1
	s_barrier_wait -1
	global_inv scope:SCOPE_SE
                                        ; implicit-def: $vgpr71_vgpr72
	v_cmpx_lt_u32_e32 31, v0
	s_cbranch_execz .LBB71_96
; %bb.93:
	v_lshl_add_u32 v7, v73, 3, -8
	v_cmp_u_f64_e64 s20, v[5:6], v[5:6]
	ds_load_b64 v[71:72], v7
	v_max_num_f64_e32 v[7:8], v[5:6], v[5:6]
	s_wait_dscnt 0x0
	v_max_num_f64_e32 v[9:10], v[71:72], v[71:72]
	v_cmp_u_f64_e64 s19, v[71:72], v[71:72]
	s_delay_alu instid0(VALU_DEP_2) | instskip(SKIP_2) | instid1(VALU_DEP_2)
	v_min_num_f64_e32 v[73:74], v[9:10], v[7:8]
	v_max_num_f64_e32 v[7:8], v[9:10], v[7:8]
	s_wait_alu 0xf1ff
	v_cndmask_b32_e64 v9, v73, v71, s19
	s_delay_alu instid0(VALU_DEP_3) | instskip(NEXT) | instid1(VALU_DEP_3)
	v_cndmask_b32_e64 v10, v74, v72, s19
	v_cndmask_b32_e64 v8, v8, v72, s19
	s_delay_alu instid0(VALU_DEP_4) | instskip(NEXT) | instid1(VALU_DEP_4)
	v_cndmask_b32_e64 v7, v7, v71, s19
	v_cndmask_b32_e64 v9, v9, v5, s20
	s_delay_alu instid0(VALU_DEP_4) | instskip(NEXT) | instid1(VALU_DEP_4)
	v_cndmask_b32_e64 v10, v10, v6, s20
	v_cndmask_b32_e64 v8, v8, v6, s20
	s_delay_alu instid0(VALU_DEP_4) | instskip(SKIP_1) | instid1(VALU_DEP_4)
	v_cndmask_b32_e64 v7, v7, v5, s20
	v_dual_mov_b32 v5, v71 :: v_dual_mov_b32 v6, v72
	v_cmp_class_f64_e64 s20, v[9:10], 0x1f8
	s_delay_alu instid0(VALU_DEP_3)
	v_cmp_neq_f64_e64 s19, v[9:10], v[7:8]
	s_or_b32 s19, s19, s20
	s_wait_alu 0xfffe
	s_and_saveexec_b32 s47, s19
	s_cbranch_execz .LBB71_95
; %bb.94:
	v_add_f64_e64 v[5:6], v[9:10], -v[7:8]
	s_mov_b32 s20, 0x652b82fe
	s_mov_b32 s21, 0x3ff71547
	;; [unrolled: 1-line block ×10, first 2 shown]
	s_wait_alu 0xfffe
	s_delay_alu instid0(VALU_DEP_1) | instskip(SKIP_3) | instid1(VALU_DEP_2)
	v_mul_f64_e32 v[9:10], s[20:21], v[5:6]
	s_mov_b32 s20, 0xfca7ab0c
	s_mov_b32 s21, 0x3e928af3
	v_cmp_nlt_f64_e64 s19, 0x40900000, v[5:6]
	v_rndne_f64_e32 v[9:10], v[9:10]
	s_delay_alu instid0(VALU_DEP_1) | instskip(SKIP_2) | instid1(VALU_DEP_2)
	v_fma_f64 v[73:74], v[9:10], s[42:43], v[5:6]
	v_cvt_i32_f64_e32 v77, v[9:10]
	s_mov_b32 s43, 0x3fe62e42
	v_fma_f64 v[73:74], v[9:10], s[44:45], v[73:74]
	s_mov_b32 s45, 0x3c7abc9e
	s_wait_alu 0xfffe
	s_delay_alu instid0(VALU_DEP_1)
	v_fma_f64 v[75:76], v[73:74], s[48:49], s[20:21]
	s_mov_b32 s20, 0x623fde64
	s_mov_b32 s21, 0x3ec71dee
	;; [unrolled: 1-line block ×4, first 2 shown]
	s_wait_alu 0xfffe
	s_delay_alu instid0(VALU_DEP_1) | instskip(SKIP_3) | instid1(VALU_DEP_1)
	v_fma_f64 v[75:76], v[73:74], v[75:76], s[20:21]
	s_mov_b32 s20, 0x7c89e6b0
	s_mov_b32 s21, 0x3efa0199
	s_wait_alu 0xfffe
	v_fma_f64 v[75:76], v[73:74], v[75:76], s[20:21]
	s_mov_b32 s20, 0x14761f6e
	s_mov_b32 s21, 0x3f2a01a0
	s_wait_alu 0xfffe
	s_delay_alu instid0(VALU_DEP_1) | instskip(SKIP_3) | instid1(VALU_DEP_1)
	v_fma_f64 v[75:76], v[73:74], v[75:76], s[20:21]
	s_mov_b32 s20, 0x1852b7b0
	s_mov_b32 s21, 0x3f56c16c
	s_wait_alu 0xfffe
	v_fma_f64 v[75:76], v[73:74], v[75:76], s[20:21]
	s_mov_b32 s20, 0x11122322
	s_mov_b32 s21, 0x3f811111
	;; [unrolled: 9-line block ×3, first 2 shown]
	s_wait_alu 0xfffe
	s_delay_alu instid0(VALU_DEP_1) | instskip(SKIP_3) | instid1(VALU_DEP_1)
	v_fma_f64 v[75:76], v[73:74], v[75:76], s[20:21]
	s_mov_b32 s20, 11
	s_mov_b32 s21, 0x3fe00000
	s_wait_alu 0xfffe
	v_fma_f64 v[75:76], v[73:74], v[75:76], s[20:21]
	v_cmp_ngt_f64_e64 s20, 0xc090cc00, v[5:6]
	s_mov_b32 s21, 0x3fe55555
	v_fma_f64 v[75:76], v[73:74], v[75:76], 1.0
	s_delay_alu instid0(VALU_DEP_1) | instskip(NEXT) | instid1(VALU_DEP_1)
	v_fma_f64 v[9:10], v[73:74], v[75:76], 1.0
	v_ldexp_f64 v[9:10], v[9:10], v77
	s_wait_alu 0xf1ff
	s_delay_alu instid0(VALU_DEP_1) | instskip(SKIP_2) | instid1(VALU_DEP_2)
	v_cndmask_b32_e64 v10, 0x7ff00000, v10, s19
	s_and_b32 s19, s20, s19
	s_wait_alu 0xfffe
	v_cndmask_b32_e64 v5, 0, v9, s19
	s_delay_alu instid0(VALU_DEP_2) | instskip(SKIP_1) | instid1(VALU_DEP_1)
	v_cndmask_b32_e64 v6, 0, v10, s20
	s_mov_b32 s20, 0x55555555
	v_add_f64_e32 v[9:10], 1.0, v[5:6]
	s_delay_alu instid0(VALU_DEP_1) | instskip(SKIP_3) | instid1(VALU_DEP_3)
	v_frexp_mant_f64_e32 v[73:74], v[9:10]
	v_frexp_exp_i32_f64_e32 v77, v[9:10]
	v_add_f64_e32 v[75:76], -1.0, v[9:10]
	s_wait_alu 0xfffe
	v_cmp_gt_f64_e64 s19, s[20:21], v[73:74]
	s_mov_b32 s20, 0x55555780
	v_add_f64_e64 v[73:74], v[75:76], -v[9:10]
	v_add_f64_e64 v[75:76], v[5:6], -v[75:76]
	s_wait_alu 0xf1ff
	v_subrev_co_ci_u32_e64 v112, null, 0, v77, s19
	s_delay_alu instid0(VALU_DEP_3) | instskip(SKIP_1) | instid1(VALU_DEP_3)
	v_add_f64_e32 v[73:74], 1.0, v[73:74]
	v_cmp_nge_f64_e64 s19, -1.0, v[5:6]
	v_sub_nc_u32_e32 v79, 0, v112
	s_delay_alu instid0(VALU_DEP_1) | instskip(NEXT) | instid1(VALU_DEP_4)
	v_ldexp_f64 v[9:10], v[9:10], v79
	v_add_f64_e32 v[73:74], v[75:76], v[73:74]
	s_delay_alu instid0(VALU_DEP_2) | instskip(SKIP_1) | instid1(VALU_DEP_3)
	v_add_f64_e32 v[77:78], 1.0, v[9:10]
	v_add_f64_e32 v[102:103], -1.0, v[9:10]
	v_ldexp_f64 v[73:74], v[73:74], v79
	s_delay_alu instid0(VALU_DEP_3) | instskip(NEXT) | instid1(VALU_DEP_3)
	v_add_f64_e32 v[75:76], -1.0, v[77:78]
	v_add_f64_e32 v[104:105], 1.0, v[102:103]
	s_delay_alu instid0(VALU_DEP_2) | instskip(NEXT) | instid1(VALU_DEP_2)
	v_add_f64_e64 v[75:76], v[9:10], -v[75:76]
	v_add_f64_e64 v[9:10], v[9:10], -v[104:105]
	s_delay_alu instid0(VALU_DEP_2) | instskip(NEXT) | instid1(VALU_DEP_2)
	v_add_f64_e32 v[75:76], v[73:74], v[75:76]
	v_add_f64_e32 v[9:10], v[73:74], v[9:10]
	s_delay_alu instid0(VALU_DEP_2) | instskip(NEXT) | instid1(VALU_DEP_2)
	v_add_f64_e32 v[79:80], v[77:78], v[75:76]
	v_add_f64_e32 v[104:105], v[102:103], v[9:10]
	s_delay_alu instid0(VALU_DEP_2) | instskip(SKIP_1) | instid1(VALU_DEP_2)
	v_rcp_f64_e32 v[81:82], v[79:80]
	v_add_f64_e64 v[77:78], v[79:80], -v[77:78]
	v_add_f64_e64 v[102:103], v[104:105], -v[102:103]
	s_delay_alu instid0(VALU_DEP_2) | instskip(NEXT) | instid1(TRANS32_DEP_1)
	v_add_f64_e64 v[75:76], v[75:76], -v[77:78]
	v_fma_f64 v[106:107], -v[79:80], v[81:82], 1.0
	s_delay_alu instid0(VALU_DEP_3) | instskip(NEXT) | instid1(VALU_DEP_2)
	v_add_f64_e64 v[9:10], v[9:10], -v[102:103]
	v_fma_f64 v[81:82], v[106:107], v[81:82], v[81:82]
	s_delay_alu instid0(VALU_DEP_1) | instskip(NEXT) | instid1(VALU_DEP_1)
	v_fma_f64 v[73:74], -v[79:80], v[81:82], 1.0
	v_fma_f64 v[73:74], v[73:74], v[81:82], v[81:82]
	s_delay_alu instid0(VALU_DEP_1) | instskip(NEXT) | instid1(VALU_DEP_1)
	v_mul_f64_e32 v[81:82], v[104:105], v[73:74]
	v_mul_f64_e32 v[106:107], v[79:80], v[81:82]
	s_delay_alu instid0(VALU_DEP_1) | instskip(NEXT) | instid1(VALU_DEP_1)
	v_fma_f64 v[77:78], v[81:82], v[79:80], -v[106:107]
	v_fma_f64 v[77:78], v[81:82], v[75:76], v[77:78]
	s_delay_alu instid0(VALU_DEP_1) | instskip(NEXT) | instid1(VALU_DEP_1)
	v_add_f64_e32 v[108:109], v[106:107], v[77:78]
	v_add_f64_e64 v[110:111], v[104:105], -v[108:109]
	v_add_f64_e64 v[102:103], v[108:109], -v[106:107]
	s_delay_alu instid0(VALU_DEP_2) | instskip(NEXT) | instid1(VALU_DEP_2)
	v_add_f64_e64 v[104:105], v[104:105], -v[110:111]
	v_add_f64_e64 v[77:78], v[102:103], -v[77:78]
	s_delay_alu instid0(VALU_DEP_2) | instskip(NEXT) | instid1(VALU_DEP_1)
	v_add_f64_e64 v[104:105], v[104:105], -v[108:109]
	v_add_f64_e32 v[9:10], v[9:10], v[104:105]
	s_delay_alu instid0(VALU_DEP_1) | instskip(NEXT) | instid1(VALU_DEP_1)
	v_add_f64_e32 v[9:10], v[77:78], v[9:10]
	v_add_f64_e32 v[77:78], v[110:111], v[9:10]
	s_delay_alu instid0(VALU_DEP_1) | instskip(SKIP_1) | instid1(VALU_DEP_2)
	v_mul_f64_e32 v[102:103], v[73:74], v[77:78]
	v_add_f64_e64 v[108:109], v[110:111], -v[77:78]
	v_mul_f64_e32 v[104:105], v[79:80], v[102:103]
	s_delay_alu instid0(VALU_DEP_2) | instskip(NEXT) | instid1(VALU_DEP_2)
	v_add_f64_e32 v[9:10], v[9:10], v[108:109]
	v_fma_f64 v[79:80], v[102:103], v[79:80], -v[104:105]
	s_delay_alu instid0(VALU_DEP_1) | instskip(NEXT) | instid1(VALU_DEP_1)
	v_fma_f64 v[75:76], v[102:103], v[75:76], v[79:80]
	v_add_f64_e32 v[79:80], v[104:105], v[75:76]
	s_delay_alu instid0(VALU_DEP_1) | instskip(SKIP_1) | instid1(VALU_DEP_2)
	v_add_f64_e64 v[106:107], v[77:78], -v[79:80]
	v_add_f64_e64 v[104:105], v[79:80], -v[104:105]
	v_add_f64_e64 v[77:78], v[77:78], -v[106:107]
	s_delay_alu instid0(VALU_DEP_2) | instskip(NEXT) | instid1(VALU_DEP_2)
	v_add_f64_e64 v[75:76], v[104:105], -v[75:76]
	v_add_f64_e64 v[77:78], v[77:78], -v[79:80]
	s_delay_alu instid0(VALU_DEP_1) | instskip(SKIP_1) | instid1(VALU_DEP_2)
	v_add_f64_e32 v[9:10], v[9:10], v[77:78]
	v_add_f64_e32 v[77:78], v[81:82], v[102:103]
	;; [unrolled: 1-line block ×3, first 2 shown]
	s_delay_alu instid0(VALU_DEP_2) | instskip(NEXT) | instid1(VALU_DEP_2)
	v_add_f64_e64 v[75:76], v[77:78], -v[81:82]
	v_add_f64_e32 v[9:10], v[106:107], v[9:10]
	s_delay_alu instid0(VALU_DEP_2) | instskip(NEXT) | instid1(VALU_DEP_2)
	v_add_f64_e64 v[75:76], v[102:103], -v[75:76]
	v_mul_f64_e32 v[9:10], v[73:74], v[9:10]
	s_delay_alu instid0(VALU_DEP_1) | instskip(NEXT) | instid1(VALU_DEP_1)
	v_add_f64_e32 v[9:10], v[75:76], v[9:10]
	v_add_f64_e32 v[73:74], v[77:78], v[9:10]
	s_delay_alu instid0(VALU_DEP_1) | instskip(NEXT) | instid1(VALU_DEP_1)
	v_mul_f64_e32 v[75:76], v[73:74], v[73:74]
	v_fma_f64 v[79:80], v[75:76], s[50:51], s[48:49]
	s_mov_b32 s48, 0xd7f4df2e
	s_mov_b32 s49, 0x3fc7474d
	v_mul_f64_e32 v[81:82], v[73:74], v[75:76]
	s_wait_alu 0xfffe
	s_delay_alu instid0(VALU_DEP_2) | instskip(SKIP_3) | instid1(VALU_DEP_1)
	v_fma_f64 v[79:80], v[75:76], v[79:80], s[48:49]
	s_mov_b32 s48, 0x16291751
	s_mov_b32 s49, 0x3fcc71c0
	s_wait_alu 0xfffe
	v_fma_f64 v[79:80], v[75:76], v[79:80], s[48:49]
	s_mov_b32 s48, 0x9b27acf1
	s_mov_b32 s49, 0x3fd24924
	s_wait_alu 0xfffe
	s_delay_alu instid0(VALU_DEP_1) | instskip(SKIP_3) | instid1(VALU_DEP_1)
	v_fma_f64 v[79:80], v[75:76], v[79:80], s[48:49]
	s_mov_b32 s48, 0x998ef7b6
	s_mov_b32 s49, 0x3fd99999
	s_wait_alu 0xfffe
	v_fma_f64 v[79:80], v[75:76], v[79:80], s[48:49]
	s_delay_alu instid0(VALU_DEP_1)
	v_fma_f64 v[75:76], v[75:76], v[79:80], s[20:21]
	v_ldexp_f64 v[79:80], v[73:74], 1
	v_add_f64_e64 v[73:74], v[73:74], -v[77:78]
	v_cmp_neq_f64_e64 s20, 0x7ff00000, v[5:6]
	v_cmp_ngt_f64_e64 s21, -1.0, v[5:6]
	v_mul_f64_e32 v[75:76], v[81:82], v[75:76]
	v_cvt_f64_i32_e32 v[81:82], v112
	v_add_f64_e64 v[9:10], v[9:10], -v[73:74]
	s_and_b32 s19, s19, s20
	s_delay_alu instid0(VALU_DEP_3) | instskip(NEXT) | instid1(VALU_DEP_3)
	v_add_f64_e32 v[77:78], v[79:80], v[75:76]
	v_mul_f64_e32 v[102:103], s[42:43], v[81:82]
	s_delay_alu instid0(VALU_DEP_3) | instskip(NEXT) | instid1(VALU_DEP_3)
	v_ldexp_f64 v[9:10], v[9:10], 1
	v_add_f64_e64 v[73:74], v[77:78], -v[79:80]
	s_delay_alu instid0(VALU_DEP_3) | instskip(NEXT) | instid1(VALU_DEP_2)
	v_fma_f64 v[79:80], v[81:82], s[42:43], -v[102:103]
	v_add_f64_e64 v[73:74], v[75:76], -v[73:74]
	s_delay_alu instid0(VALU_DEP_2) | instskip(NEXT) | instid1(VALU_DEP_2)
	v_fma_f64 v[75:76], v[81:82], s[44:45], v[79:80]
	v_add_f64_e32 v[9:10], v[9:10], v[73:74]
	s_delay_alu instid0(VALU_DEP_2) | instskip(NEXT) | instid1(VALU_DEP_2)
	v_add_f64_e32 v[73:74], v[102:103], v[75:76]
	v_add_f64_e32 v[79:80], v[77:78], v[9:10]
	s_delay_alu instid0(VALU_DEP_2) | instskip(NEXT) | instid1(VALU_DEP_2)
	v_add_f64_e64 v[102:103], v[73:74], -v[102:103]
	v_add_f64_e32 v[81:82], v[73:74], v[79:80]
	v_add_f64_e64 v[77:78], v[79:80], -v[77:78]
	s_delay_alu instid0(VALU_DEP_3) | instskip(NEXT) | instid1(VALU_DEP_3)
	v_add_f64_e64 v[75:76], v[75:76], -v[102:103]
	v_add_f64_e64 v[104:105], v[81:82], -v[73:74]
	s_delay_alu instid0(VALU_DEP_3) | instskip(NEXT) | instid1(VALU_DEP_2)
	v_add_f64_e64 v[9:10], v[9:10], -v[77:78]
	v_add_f64_e64 v[106:107], v[81:82], -v[104:105]
	v_add_f64_e64 v[77:78], v[79:80], -v[104:105]
	s_delay_alu instid0(VALU_DEP_3) | instskip(NEXT) | instid1(VALU_DEP_3)
	v_add_f64_e32 v[79:80], v[75:76], v[9:10]
	v_add_f64_e64 v[73:74], v[73:74], -v[106:107]
	s_delay_alu instid0(VALU_DEP_1) | instskip(NEXT) | instid1(VALU_DEP_3)
	v_add_f64_e32 v[73:74], v[77:78], v[73:74]
	v_add_f64_e64 v[77:78], v[79:80], -v[75:76]
	s_delay_alu instid0(VALU_DEP_2) | instskip(NEXT) | instid1(VALU_DEP_2)
	v_add_f64_e32 v[73:74], v[79:80], v[73:74]
	v_add_f64_e64 v[79:80], v[79:80], -v[77:78]
	v_add_f64_e64 v[9:10], v[9:10], -v[77:78]
	s_delay_alu instid0(VALU_DEP_3) | instskip(NEXT) | instid1(VALU_DEP_3)
	v_add_f64_e32 v[102:103], v[81:82], v[73:74]
	v_add_f64_e64 v[75:76], v[75:76], -v[79:80]
	s_delay_alu instid0(VALU_DEP_2) | instskip(NEXT) | instid1(VALU_DEP_2)
	v_add_f64_e64 v[77:78], v[102:103], -v[81:82]
	v_add_f64_e32 v[9:10], v[9:10], v[75:76]
	s_delay_alu instid0(VALU_DEP_2) | instskip(NEXT) | instid1(VALU_DEP_1)
	v_add_f64_e64 v[73:74], v[73:74], -v[77:78]
	v_add_f64_e32 v[9:10], v[9:10], v[73:74]
	s_delay_alu instid0(VALU_DEP_1) | instskip(SKIP_1) | instid1(VALU_DEP_1)
	v_add_f64_e32 v[9:10], v[102:103], v[9:10]
	s_wait_alu 0xfffe
	v_cndmask_b32_e64 v9, 0, v9, s19
	v_cmp_neq_f64_e64 s19, -1.0, v[5:6]
	s_delay_alu instid0(VALU_DEP_3) | instskip(NEXT) | instid1(VALU_DEP_1)
	v_cndmask_b32_e64 v10, 0x7ff00000, v10, s20
	v_cndmask_b32_e64 v10, 0x7ff80000, v10, s21
	s_wait_alu 0xf1ff
	s_delay_alu instid0(VALU_DEP_1) | instskip(NEXT) | instid1(VALU_DEP_1)
	v_cndmask_b32_e64 v10, 0xfff00000, v10, s19
	v_add_f64_e32 v[5:6], v[7:8], v[9:10]
.LBB71_95:
	s_wait_alu 0xfffe
	s_or_b32 exec_lo, exec_lo, s47
.LBB71_96:
	s_wait_alu 0xfffe
	s_or_b32 exec_lo, exec_lo, s46
	v_sub_co_u32 v7, s19, v101, 1
	s_delay_alu instid0(VALU_DEP_1) | instskip(SKIP_1) | instid1(VALU_DEP_1)
	v_cmp_gt_i32_e64 s20, 0, v7
	s_wait_alu 0xf1ff
	v_cndmask_b32_e64 v7, v7, v101, s20
	s_delay_alu instid0(VALU_DEP_1)
	v_lshlrev_b32_e32 v7, 2, v7
	ds_bpermute_b32 v102, v7, v5
	ds_bpermute_b32 v103, v7, v6
	s_and_saveexec_b32 s88, vcc_lo
	s_cbranch_execz .LBB71_159
; %bb.97:
	v_mov_b32_e32 v8, 0
	ds_load_b64 v[5:6], v8 offset:56
	s_and_saveexec_b32 s20, s19
	s_cbranch_execz .LBB71_99
; %bb.98:
	s_add_co_i32 s42, s33, 32
	s_mov_b32 s43, 0
	s_wait_alu 0xfffe
	s_lshl_b64 s[42:43], s[42:43], 4
	s_wait_alu 0xfffe
	s_add_nc_u64 s[42:43], s[34:35], s[42:43]
	v_mov_b32_e32 v7, 1
	s_wait_alu 0xfffe
	v_dual_mov_b32 v9, s42 :: v_dual_mov_b32 v10, s43
	s_wait_dscnt 0x0
	;;#ASMSTART
	global_store_b128 v[9:10], v[5:8] off scope:SCOPE_DEV	
s_wait_storecnt 0x0
	;;#ASMEND
.LBB71_99:
	s_wait_alu 0xfffe
	s_or_b32 exec_lo, exec_lo, s20
	v_xad_u32 v73, v101, -1, s33
	s_mov_b32 s21, 0
	s_mov_b32 s20, exec_lo
	s_delay_alu instid0(VALU_DEP_1) | instskip(NEXT) | instid1(VALU_DEP_1)
	v_add_nc_u32_e32 v7, 32, v73
	v_lshlrev_b64_e32 v[7:8], 4, v[7:8]
	s_delay_alu instid0(VALU_DEP_1) | instskip(SKIP_1) | instid1(VALU_DEP_2)
	v_add_co_u32 v74, vcc_lo, s34, v7
	s_wait_alu 0xfffd
	v_add_co_ci_u32_e64 v75, null, s35, v8, vcc_lo
	;;#ASMSTART
	global_load_b128 v[7:10], v[74:75] off scope:SCOPE_DEV	
s_wait_loadcnt 0x0
	;;#ASMEND
	v_and_b32_e32 v10, 0xff, v9
	s_delay_alu instid0(VALU_DEP_1)
	v_cmpx_eq_u16_e32 0, v10
	s_cbranch_execz .LBB71_102
.LBB71_100:                             ; =>This Inner Loop Header: Depth=1
	;;#ASMSTART
	global_load_b128 v[7:10], v[74:75] off scope:SCOPE_DEV	
s_wait_loadcnt 0x0
	;;#ASMEND
	v_and_b32_e32 v10, 0xff, v9
	s_delay_alu instid0(VALU_DEP_1)
	v_cmp_ne_u16_e32 vcc_lo, 0, v10
	s_wait_alu 0xfffe
	s_or_b32 s21, vcc_lo, s21
	s_wait_alu 0xfffe
	s_and_not1_b32 exec_lo, exec_lo, s21
	s_cbranch_execnz .LBB71_100
; %bb.101:
	s_or_b32 exec_lo, exec_lo, s21
.LBB71_102:
	s_wait_alu 0xfffe
	s_or_b32 exec_lo, exec_lo, s20
	v_cmp_ne_u32_e32 vcc_lo, 31, v101
	v_and_b32_e32 v74, 0xff, v9
	v_dual_mov_b32 v78, v8 :: v_dual_mov_b32 v77, v7
	v_lshlrev_b32_e64 v105, v101, -1
	s_wait_alu 0xfffd
	v_add_co_ci_u32_e64 v10, null, 0, v101, vcc_lo
	v_cmp_eq_u16_e32 vcc_lo, 2, v74
	s_mov_b32 s46, exec_lo
	s_delay_alu instid0(VALU_DEP_2)
	v_lshlrev_b32_e32 v104, 2, v10
	s_wait_alu 0xfffd
	v_and_or_b32 v10, vcc_lo, v105, 0x80000000
	ds_bpermute_b32 v74, v104, v7
	ds_bpermute_b32 v75, v104, v8
	v_ctz_i32_b32_e32 v10, v10
	s_delay_alu instid0(VALU_DEP_1)
	v_cmpx_lt_u32_e64 v101, v10
	s_cbranch_execz .LBB71_106
; %bb.103:
	s_wait_dscnt 0x0
	v_max_num_f64_e32 v[76:77], v[74:75], v[74:75]
	v_max_num_f64_e32 v[78:79], v[7:8], v[7:8]
	v_cmp_u_f64_e32 vcc_lo, v[74:75], v[74:75]
	v_cmp_u_f64_e64 s20, v[7:8], v[7:8]
	s_delay_alu instid0(VALU_DEP_3) | instskip(SKIP_2) | instid1(VALU_DEP_2)
	v_min_num_f64_e32 v[80:81], v[76:77], v[78:79]
	v_max_num_f64_e32 v[76:77], v[76:77], v[78:79]
	s_wait_alu 0xfffd
	v_dual_cndmask_b32 v78, v81, v75 :: v_dual_cndmask_b32 v79, v80, v74
	s_delay_alu instid0(VALU_DEP_2) | instskip(SKIP_1) | instid1(VALU_DEP_2)
	v_dual_cndmask_b32 v80, v77, v75 :: v_dual_cndmask_b32 v81, v76, v74
	s_wait_alu 0xf1ff
	v_cndmask_b32_e64 v77, v78, v8, s20
	s_delay_alu instid0(VALU_DEP_3) | instskip(NEXT) | instid1(VALU_DEP_3)
	v_cndmask_b32_e64 v76, v79, v7, s20
	v_cndmask_b32_e64 v8, v80, v8, s20
	;; [unrolled: 1-line block ×3, first 2 shown]
	s_delay_alu instid0(VALU_DEP_3) | instskip(NEXT) | instid1(VALU_DEP_2)
	v_cmp_class_f64_e64 s20, v[76:77], 0x1f8
	v_cmp_neq_f64_e32 vcc_lo, v[76:77], v[7:8]
	s_or_b32 s20, vcc_lo, s20
	s_wait_alu 0xfffe
	s_and_saveexec_b32 s47, s20
	s_cbranch_execz .LBB71_105
; %bb.104:
	v_add_f64_e64 v[74:75], v[76:77], -v[7:8]
	s_mov_b32 s20, 0x652b82fe
	s_mov_b32 s21, 0x3ff71547
	;; [unrolled: 1-line block ×10, first 2 shown]
	s_wait_alu 0xfffe
	s_delay_alu instid0(VALU_DEP_1) | instskip(SKIP_3) | instid1(VALU_DEP_2)
	v_mul_f64_e32 v[76:77], s[20:21], v[74:75]
	s_mov_b32 s20, 0xfca7ab0c
	s_mov_b32 s21, 0x3e928af3
	v_cmp_nlt_f64_e32 vcc_lo, 0x40900000, v[74:75]
	v_rndne_f64_e32 v[76:77], v[76:77]
	s_delay_alu instid0(VALU_DEP_1) | instskip(SKIP_2) | instid1(VALU_DEP_2)
	v_fma_f64 v[78:79], v[76:77], s[42:43], v[74:75]
	v_cvt_i32_f64_e32 v82, v[76:77]
	s_mov_b32 s43, 0x3fe62e42
	v_fma_f64 v[78:79], v[76:77], s[44:45], v[78:79]
	s_mov_b32 s45, 0x3c7abc9e
	s_wait_alu 0xfffe
	s_delay_alu instid0(VALU_DEP_1)
	v_fma_f64 v[80:81], v[78:79], s[48:49], s[20:21]
	s_mov_b32 s20, 0x623fde64
	s_mov_b32 s21, 0x3ec71dee
	;; [unrolled: 1-line block ×4, first 2 shown]
	s_wait_alu 0xfffe
	s_delay_alu instid0(VALU_DEP_1) | instskip(SKIP_3) | instid1(VALU_DEP_1)
	v_fma_f64 v[80:81], v[78:79], v[80:81], s[20:21]
	s_mov_b32 s20, 0x7c89e6b0
	s_mov_b32 s21, 0x3efa0199
	s_wait_alu 0xfffe
	v_fma_f64 v[80:81], v[78:79], v[80:81], s[20:21]
	s_mov_b32 s20, 0x14761f6e
	s_mov_b32 s21, 0x3f2a01a0
	s_wait_alu 0xfffe
	s_delay_alu instid0(VALU_DEP_1) | instskip(SKIP_3) | instid1(VALU_DEP_1)
	v_fma_f64 v[80:81], v[78:79], v[80:81], s[20:21]
	s_mov_b32 s20, 0x1852b7b0
	s_mov_b32 s21, 0x3f56c16c
	s_wait_alu 0xfffe
	v_fma_f64 v[80:81], v[78:79], v[80:81], s[20:21]
	s_mov_b32 s20, 0x11122322
	s_mov_b32 s21, 0x3f811111
	s_wait_alu 0xfffe
	s_delay_alu instid0(VALU_DEP_1) | instskip(SKIP_3) | instid1(VALU_DEP_1)
	v_fma_f64 v[80:81], v[78:79], v[80:81], s[20:21]
	s_mov_b32 s20, 0x555502a1
	s_mov_b32 s21, 0x3fa55555
	s_wait_alu 0xfffe
	v_fma_f64 v[80:81], v[78:79], v[80:81], s[20:21]
	s_mov_b32 s20, 0x55555511
	s_mov_b32 s21, 0x3fc55555
	s_wait_alu 0xfffe
	s_delay_alu instid0(VALU_DEP_1) | instskip(SKIP_3) | instid1(VALU_DEP_1)
	v_fma_f64 v[80:81], v[78:79], v[80:81], s[20:21]
	s_mov_b32 s20, 11
	s_mov_b32 s21, 0x3fe00000
	s_wait_alu 0xfffe
	v_fma_f64 v[80:81], v[78:79], v[80:81], s[20:21]
	v_cmp_ngt_f64_e64 s20, 0xc090cc00, v[74:75]
	s_mov_b32 s21, 0x3fe55555
	v_fma_f64 v[80:81], v[78:79], v[80:81], 1.0
	s_delay_alu instid0(VALU_DEP_1) | instskip(NEXT) | instid1(VALU_DEP_1)
	v_fma_f64 v[76:77], v[78:79], v[80:81], 1.0
	v_ldexp_f64 v[76:77], v[76:77], v82
	s_wait_alu 0xfffd
	s_delay_alu instid0(VALU_DEP_1) | instskip(SKIP_2) | instid1(VALU_DEP_2)
	v_cndmask_b32_e32 v77, 0x7ff00000, v77, vcc_lo
	s_and_b32 vcc_lo, s20, vcc_lo
	s_wait_alu 0xfffe
	v_cndmask_b32_e32 v74, 0, v76, vcc_lo
	s_delay_alu instid0(VALU_DEP_2) | instskip(SKIP_1) | instid1(VALU_DEP_1)
	v_cndmask_b32_e64 v75, 0, v77, s20
	s_mov_b32 s20, 0x55555555
	v_add_f64_e32 v[76:77], 1.0, v[74:75]
	s_delay_alu instid0(VALU_DEP_1) | instskip(SKIP_3) | instid1(VALU_DEP_3)
	v_frexp_mant_f64_e32 v[78:79], v[76:77]
	v_frexp_exp_i32_f64_e32 v82, v[76:77]
	v_add_f64_e32 v[80:81], -1.0, v[76:77]
	s_wait_alu 0xfffe
	v_cmp_gt_f64_e32 vcc_lo, s[20:21], v[78:79]
	s_mov_b32 s20, 0x55555780
	s_delay_alu instid0(VALU_DEP_2) | instskip(SKIP_3) | instid1(VALU_DEP_3)
	v_add_f64_e64 v[78:79], v[80:81], -v[76:77]
	v_add_f64_e64 v[80:81], v[74:75], -v[80:81]
	s_wait_alu 0xfffd
	v_subrev_co_ci_u32_e64 v82, null, 0, v82, vcc_lo
	v_add_f64_e32 v[78:79], 1.0, v[78:79]
	v_cmp_nge_f64_e32 vcc_lo, -1.0, v[74:75]
	s_delay_alu instid0(VALU_DEP_3) | instskip(NEXT) | instid1(VALU_DEP_1)
	v_sub_nc_u32_e32 v108, 0, v82
	v_ldexp_f64 v[76:77], v[76:77], v108
	s_delay_alu instid0(VALU_DEP_4) | instskip(NEXT) | instid1(VALU_DEP_2)
	v_add_f64_e32 v[78:79], v[80:81], v[78:79]
	v_add_f64_e32 v[106:107], 1.0, v[76:77]
	v_add_f64_e32 v[112:113], -1.0, v[76:77]
	s_delay_alu instid0(VALU_DEP_3) | instskip(NEXT) | instid1(VALU_DEP_3)
	v_ldexp_f64 v[78:79], v[78:79], v108
	v_add_f64_e32 v[80:81], -1.0, v[106:107]
	s_delay_alu instid0(VALU_DEP_3) | instskip(NEXT) | instid1(VALU_DEP_2)
	v_add_f64_e32 v[114:115], 1.0, v[112:113]
	v_add_f64_e64 v[80:81], v[76:77], -v[80:81]
	s_delay_alu instid0(VALU_DEP_2) | instskip(NEXT) | instid1(VALU_DEP_2)
	v_add_f64_e64 v[76:77], v[76:77], -v[114:115]
	v_add_f64_e32 v[80:81], v[78:79], v[80:81]
	s_delay_alu instid0(VALU_DEP_2) | instskip(NEXT) | instid1(VALU_DEP_2)
	v_add_f64_e32 v[76:77], v[78:79], v[76:77]
	v_add_f64_e32 v[108:109], v[106:107], v[80:81]
	s_delay_alu instid0(VALU_DEP_2) | instskip(NEXT) | instid1(VALU_DEP_2)
	v_add_f64_e32 v[114:115], v[112:113], v[76:77]
	v_rcp_f64_e32 v[110:111], v[108:109]
	v_add_f64_e64 v[106:107], v[108:109], -v[106:107]
	s_delay_alu instid0(VALU_DEP_2) | instskip(NEXT) | instid1(VALU_DEP_2)
	v_add_f64_e64 v[112:113], v[114:115], -v[112:113]
	v_add_f64_e64 v[80:81], v[80:81], -v[106:107]
	s_delay_alu instid0(TRANS32_DEP_1) | instskip(NEXT) | instid1(VALU_DEP_3)
	v_fma_f64 v[116:117], -v[108:109], v[110:111], 1.0
	v_add_f64_e64 v[76:77], v[76:77], -v[112:113]
	s_delay_alu instid0(VALU_DEP_2) | instskip(NEXT) | instid1(VALU_DEP_1)
	v_fma_f64 v[110:111], v[116:117], v[110:111], v[110:111]
	v_fma_f64 v[78:79], -v[108:109], v[110:111], 1.0
	s_delay_alu instid0(VALU_DEP_1) | instskip(NEXT) | instid1(VALU_DEP_1)
	v_fma_f64 v[78:79], v[78:79], v[110:111], v[110:111]
	v_mul_f64_e32 v[110:111], v[114:115], v[78:79]
	s_delay_alu instid0(VALU_DEP_1) | instskip(NEXT) | instid1(VALU_DEP_1)
	v_mul_f64_e32 v[116:117], v[108:109], v[110:111]
	v_fma_f64 v[106:107], v[110:111], v[108:109], -v[116:117]
	s_delay_alu instid0(VALU_DEP_1) | instskip(NEXT) | instid1(VALU_DEP_1)
	v_fma_f64 v[106:107], v[110:111], v[80:81], v[106:107]
	v_add_f64_e32 v[118:119], v[116:117], v[106:107]
	s_delay_alu instid0(VALU_DEP_1) | instskip(SKIP_1) | instid1(VALU_DEP_2)
	v_add_f64_e64 v[120:121], v[114:115], -v[118:119]
	v_add_f64_e64 v[112:113], v[118:119], -v[116:117]
	;; [unrolled: 1-line block ×3, first 2 shown]
	s_delay_alu instid0(VALU_DEP_2) | instskip(NEXT) | instid1(VALU_DEP_2)
	v_add_f64_e64 v[106:107], v[112:113], -v[106:107]
	v_add_f64_e64 v[114:115], v[114:115], -v[118:119]
	s_delay_alu instid0(VALU_DEP_1) | instskip(NEXT) | instid1(VALU_DEP_1)
	v_add_f64_e32 v[76:77], v[76:77], v[114:115]
	v_add_f64_e32 v[76:77], v[106:107], v[76:77]
	s_delay_alu instid0(VALU_DEP_1) | instskip(NEXT) | instid1(VALU_DEP_1)
	v_add_f64_e32 v[106:107], v[120:121], v[76:77]
	v_mul_f64_e32 v[112:113], v[78:79], v[106:107]
	v_add_f64_e64 v[118:119], v[120:121], -v[106:107]
	s_delay_alu instid0(VALU_DEP_2) | instskip(NEXT) | instid1(VALU_DEP_2)
	v_mul_f64_e32 v[114:115], v[108:109], v[112:113]
	v_add_f64_e32 v[76:77], v[76:77], v[118:119]
	s_delay_alu instid0(VALU_DEP_2) | instskip(NEXT) | instid1(VALU_DEP_1)
	v_fma_f64 v[108:109], v[112:113], v[108:109], -v[114:115]
	v_fma_f64 v[80:81], v[112:113], v[80:81], v[108:109]
	s_delay_alu instid0(VALU_DEP_1) | instskip(NEXT) | instid1(VALU_DEP_1)
	v_add_f64_e32 v[108:109], v[114:115], v[80:81]
	v_add_f64_e64 v[116:117], v[106:107], -v[108:109]
	v_add_f64_e64 v[114:115], v[108:109], -v[114:115]
	s_delay_alu instid0(VALU_DEP_2) | instskip(NEXT) | instid1(VALU_DEP_2)
	v_add_f64_e64 v[106:107], v[106:107], -v[116:117]
	v_add_f64_e64 v[80:81], v[114:115], -v[80:81]
	s_delay_alu instid0(VALU_DEP_2) | instskip(NEXT) | instid1(VALU_DEP_1)
	v_add_f64_e64 v[106:107], v[106:107], -v[108:109]
	v_add_f64_e32 v[76:77], v[76:77], v[106:107]
	v_add_f64_e32 v[106:107], v[110:111], v[112:113]
	s_delay_alu instid0(VALU_DEP_2) | instskip(NEXT) | instid1(VALU_DEP_2)
	v_add_f64_e32 v[76:77], v[80:81], v[76:77]
	v_add_f64_e64 v[80:81], v[106:107], -v[110:111]
	s_delay_alu instid0(VALU_DEP_2) | instskip(NEXT) | instid1(VALU_DEP_2)
	v_add_f64_e32 v[76:77], v[116:117], v[76:77]
	v_add_f64_e64 v[80:81], v[112:113], -v[80:81]
	s_delay_alu instid0(VALU_DEP_2) | instskip(NEXT) | instid1(VALU_DEP_1)
	v_mul_f64_e32 v[76:77], v[78:79], v[76:77]
	v_add_f64_e32 v[76:77], v[80:81], v[76:77]
	s_delay_alu instid0(VALU_DEP_1) | instskip(NEXT) | instid1(VALU_DEP_1)
	v_add_f64_e32 v[78:79], v[106:107], v[76:77]
	v_mul_f64_e32 v[80:81], v[78:79], v[78:79]
	s_delay_alu instid0(VALU_DEP_1) | instskip(SKIP_4) | instid1(VALU_DEP_2)
	v_fma_f64 v[108:109], v[80:81], s[50:51], s[48:49]
	s_mov_b32 s48, 0xd7f4df2e
	s_mov_b32 s49, 0x3fc7474d
	v_mul_f64_e32 v[110:111], v[78:79], v[80:81]
	s_wait_alu 0xfffe
	v_fma_f64 v[108:109], v[80:81], v[108:109], s[48:49]
	s_mov_b32 s48, 0x16291751
	s_mov_b32 s49, 0x3fcc71c0
	s_wait_alu 0xfffe
	s_delay_alu instid0(VALU_DEP_1) | instskip(SKIP_3) | instid1(VALU_DEP_1)
	v_fma_f64 v[108:109], v[80:81], v[108:109], s[48:49]
	s_mov_b32 s48, 0x9b27acf1
	s_mov_b32 s49, 0x3fd24924
	s_wait_alu 0xfffe
	v_fma_f64 v[108:109], v[80:81], v[108:109], s[48:49]
	s_mov_b32 s48, 0x998ef7b6
	s_mov_b32 s49, 0x3fd99999
	s_wait_alu 0xfffe
	s_delay_alu instid0(VALU_DEP_1) | instskip(NEXT) | instid1(VALU_DEP_1)
	v_fma_f64 v[108:109], v[80:81], v[108:109], s[48:49]
	v_fma_f64 v[80:81], v[80:81], v[108:109], s[20:21]
	v_ldexp_f64 v[108:109], v[78:79], 1
	v_add_f64_e64 v[78:79], v[78:79], -v[106:107]
	v_cmp_neq_f64_e64 s20, 0x7ff00000, v[74:75]
	v_cmp_ngt_f64_e64 s21, -1.0, v[74:75]
	v_mul_f64_e32 v[80:81], v[110:111], v[80:81]
	v_cvt_f64_i32_e32 v[110:111], v82
	v_add_f64_e64 v[76:77], v[76:77], -v[78:79]
	s_and_b32 vcc_lo, vcc_lo, s20
	s_delay_alu instid0(VALU_DEP_3) | instskip(NEXT) | instid1(VALU_DEP_3)
	v_add_f64_e32 v[106:107], v[108:109], v[80:81]
	v_mul_f64_e32 v[112:113], s[42:43], v[110:111]
	s_delay_alu instid0(VALU_DEP_3) | instskip(NEXT) | instid1(VALU_DEP_3)
	v_ldexp_f64 v[76:77], v[76:77], 1
	v_add_f64_e64 v[78:79], v[106:107], -v[108:109]
	s_delay_alu instid0(VALU_DEP_3) | instskip(NEXT) | instid1(VALU_DEP_2)
	v_fma_f64 v[108:109], v[110:111], s[42:43], -v[112:113]
	v_add_f64_e64 v[78:79], v[80:81], -v[78:79]
	s_delay_alu instid0(VALU_DEP_2) | instskip(NEXT) | instid1(VALU_DEP_2)
	v_fma_f64 v[80:81], v[110:111], s[44:45], v[108:109]
	v_add_f64_e32 v[76:77], v[76:77], v[78:79]
	s_delay_alu instid0(VALU_DEP_2) | instskip(NEXT) | instid1(VALU_DEP_2)
	v_add_f64_e32 v[78:79], v[112:113], v[80:81]
	v_add_f64_e32 v[108:109], v[106:107], v[76:77]
	s_delay_alu instid0(VALU_DEP_2) | instskip(NEXT) | instid1(VALU_DEP_2)
	v_add_f64_e64 v[112:113], v[78:79], -v[112:113]
	v_add_f64_e32 v[110:111], v[78:79], v[108:109]
	v_add_f64_e64 v[106:107], v[108:109], -v[106:107]
	s_delay_alu instid0(VALU_DEP_3) | instskip(NEXT) | instid1(VALU_DEP_3)
	v_add_f64_e64 v[80:81], v[80:81], -v[112:113]
	v_add_f64_e64 v[114:115], v[110:111], -v[78:79]
	s_delay_alu instid0(VALU_DEP_3) | instskip(NEXT) | instid1(VALU_DEP_2)
	v_add_f64_e64 v[76:77], v[76:77], -v[106:107]
	v_add_f64_e64 v[116:117], v[110:111], -v[114:115]
	;; [unrolled: 1-line block ×3, first 2 shown]
	s_delay_alu instid0(VALU_DEP_3) | instskip(NEXT) | instid1(VALU_DEP_3)
	v_add_f64_e32 v[108:109], v[80:81], v[76:77]
	v_add_f64_e64 v[78:79], v[78:79], -v[116:117]
	s_delay_alu instid0(VALU_DEP_1) | instskip(NEXT) | instid1(VALU_DEP_3)
	v_add_f64_e32 v[78:79], v[106:107], v[78:79]
	v_add_f64_e64 v[106:107], v[108:109], -v[80:81]
	s_delay_alu instid0(VALU_DEP_2) | instskip(NEXT) | instid1(VALU_DEP_2)
	v_add_f64_e32 v[78:79], v[108:109], v[78:79]
	v_add_f64_e64 v[108:109], v[108:109], -v[106:107]
	v_add_f64_e64 v[76:77], v[76:77], -v[106:107]
	s_delay_alu instid0(VALU_DEP_3) | instskip(NEXT) | instid1(VALU_DEP_3)
	v_add_f64_e32 v[112:113], v[110:111], v[78:79]
	v_add_f64_e64 v[80:81], v[80:81], -v[108:109]
	s_delay_alu instid0(VALU_DEP_2) | instskip(NEXT) | instid1(VALU_DEP_2)
	v_add_f64_e64 v[106:107], v[112:113], -v[110:111]
	v_add_f64_e32 v[76:77], v[76:77], v[80:81]
	s_delay_alu instid0(VALU_DEP_2) | instskip(NEXT) | instid1(VALU_DEP_1)
	v_add_f64_e64 v[78:79], v[78:79], -v[106:107]
	v_add_f64_e32 v[76:77], v[76:77], v[78:79]
	s_delay_alu instid0(VALU_DEP_1) | instskip(SKIP_1) | instid1(VALU_DEP_1)
	v_add_f64_e32 v[76:77], v[112:113], v[76:77]
	s_wait_alu 0xfffe
	v_cndmask_b32_e32 v76, 0, v76, vcc_lo
	v_cmp_neq_f64_e32 vcc_lo, -1.0, v[74:75]
	s_delay_alu instid0(VALU_DEP_3) | instskip(NEXT) | instid1(VALU_DEP_1)
	v_cndmask_b32_e64 v77, 0x7ff00000, v77, s20
	v_cndmask_b32_e64 v77, 0x7ff80000, v77, s21
	s_wait_alu 0xfffd
	s_delay_alu instid0(VALU_DEP_1) | instskip(NEXT) | instid1(VALU_DEP_1)
	v_cndmask_b32_e32 v77, 0xfff00000, v77, vcc_lo
	v_add_f64_e32 v[74:75], v[7:8], v[76:77]
.LBB71_105:
	s_wait_alu 0xfffe
	s_or_b32 exec_lo, exec_lo, s47
	s_delay_alu instid0(VALU_DEP_1)
	v_dual_mov_b32 v7, v74 :: v_dual_mov_b32 v8, v75
	v_dual_mov_b32 v78, v75 :: v_dual_mov_b32 v77, v74
.LBB71_106:
	s_wait_alu 0xfffe
	s_or_b32 exec_lo, exec_lo, s46
	v_cmp_gt_u32_e32 vcc_lo, 30, v101
	v_add_nc_u32_e32 v107, 2, v101
	s_mov_b32 s46, exec_lo
	s_wait_dscnt 0x1
	s_wait_alu 0xfffd
	v_cndmask_b32_e64 v74, 0, 2, vcc_lo
	s_delay_alu instid0(VALU_DEP_1)
	v_add_lshl_u32 v106, v74, v101, 2
	ds_bpermute_b32 v74, v106, v7
	s_wait_dscnt 0x1
	ds_bpermute_b32 v75, v106, v8
	v_cmpx_le_u32_e64 v107, v10
	s_cbranch_execz .LBB71_110
; %bb.107:
	s_wait_dscnt 0x0
	v_max_num_f64_e32 v[7:8], v[74:75], v[74:75]
	v_max_num_f64_e32 v[79:80], v[77:78], v[77:78]
	v_cmp_u_f64_e32 vcc_lo, v[74:75], v[74:75]
	v_cmp_u_f64_e64 s20, v[77:78], v[77:78]
	s_delay_alu instid0(VALU_DEP_3) | instskip(SKIP_2) | instid1(VALU_DEP_2)
	v_min_num_f64_e32 v[81:82], v[7:8], v[79:80]
	v_max_num_f64_e32 v[7:8], v[7:8], v[79:80]
	s_wait_alu 0xfffd
	v_dual_cndmask_b32 v76, v82, v75 :: v_dual_cndmask_b32 v79, v81, v74
	s_delay_alu instid0(VALU_DEP_2) | instskip(SKIP_1) | instid1(VALU_DEP_2)
	v_dual_cndmask_b32 v8, v8, v75 :: v_dual_cndmask_b32 v7, v7, v74
	s_wait_alu 0xf1ff
	v_cndmask_b32_e64 v80, v76, v78, s20
	s_delay_alu instid0(VALU_DEP_3) | instskip(NEXT) | instid1(VALU_DEP_3)
	v_cndmask_b32_e64 v79, v79, v77, s20
	v_cndmask_b32_e64 v8, v8, v78, s20
	;; [unrolled: 1-line block ×3, first 2 shown]
	s_delay_alu instid0(VALU_DEP_3) | instskip(NEXT) | instid1(VALU_DEP_2)
	v_cmp_class_f64_e64 s20, v[79:80], 0x1f8
	v_cmp_neq_f64_e32 vcc_lo, v[79:80], v[7:8]
	s_or_b32 s20, vcc_lo, s20
	s_wait_alu 0xfffe
	s_and_saveexec_b32 s47, s20
	s_cbranch_execz .LBB71_109
; %bb.108:
	v_add_f64_e64 v[74:75], v[79:80], -v[7:8]
	s_mov_b32 s20, 0x652b82fe
	s_mov_b32 s21, 0x3ff71547
	;; [unrolled: 1-line block ×10, first 2 shown]
	s_wait_alu 0xfffe
	s_delay_alu instid0(VALU_DEP_1) | instskip(SKIP_3) | instid1(VALU_DEP_2)
	v_mul_f64_e32 v[76:77], s[20:21], v[74:75]
	s_mov_b32 s20, 0xfca7ab0c
	s_mov_b32 s21, 0x3e928af3
	v_cmp_nlt_f64_e32 vcc_lo, 0x40900000, v[74:75]
	v_rndne_f64_e32 v[76:77], v[76:77]
	s_delay_alu instid0(VALU_DEP_1) | instskip(SKIP_2) | instid1(VALU_DEP_2)
	v_fma_f64 v[78:79], v[76:77], s[42:43], v[74:75]
	v_cvt_i32_f64_e32 v82, v[76:77]
	s_mov_b32 s43, 0x3fe62e42
	v_fma_f64 v[78:79], v[76:77], s[44:45], v[78:79]
	s_mov_b32 s45, 0x3c7abc9e
	s_wait_alu 0xfffe
	s_delay_alu instid0(VALU_DEP_1)
	v_fma_f64 v[80:81], v[78:79], s[48:49], s[20:21]
	s_mov_b32 s20, 0x623fde64
	s_mov_b32 s21, 0x3ec71dee
	;; [unrolled: 1-line block ×4, first 2 shown]
	s_wait_alu 0xfffe
	s_delay_alu instid0(VALU_DEP_1) | instskip(SKIP_3) | instid1(VALU_DEP_1)
	v_fma_f64 v[80:81], v[78:79], v[80:81], s[20:21]
	s_mov_b32 s20, 0x7c89e6b0
	s_mov_b32 s21, 0x3efa0199
	s_wait_alu 0xfffe
	v_fma_f64 v[80:81], v[78:79], v[80:81], s[20:21]
	s_mov_b32 s20, 0x14761f6e
	s_mov_b32 s21, 0x3f2a01a0
	s_wait_alu 0xfffe
	s_delay_alu instid0(VALU_DEP_1) | instskip(SKIP_3) | instid1(VALU_DEP_1)
	v_fma_f64 v[80:81], v[78:79], v[80:81], s[20:21]
	s_mov_b32 s20, 0x1852b7b0
	s_mov_b32 s21, 0x3f56c16c
	s_wait_alu 0xfffe
	v_fma_f64 v[80:81], v[78:79], v[80:81], s[20:21]
	s_mov_b32 s20, 0x11122322
	s_mov_b32 s21, 0x3f811111
	;; [unrolled: 9-line block ×3, first 2 shown]
	s_wait_alu 0xfffe
	s_delay_alu instid0(VALU_DEP_1) | instskip(SKIP_3) | instid1(VALU_DEP_1)
	v_fma_f64 v[80:81], v[78:79], v[80:81], s[20:21]
	s_mov_b32 s20, 11
	s_mov_b32 s21, 0x3fe00000
	s_wait_alu 0xfffe
	v_fma_f64 v[80:81], v[78:79], v[80:81], s[20:21]
	v_cmp_ngt_f64_e64 s20, 0xc090cc00, v[74:75]
	s_mov_b32 s21, 0x3fe55555
	v_fma_f64 v[80:81], v[78:79], v[80:81], 1.0
	s_delay_alu instid0(VALU_DEP_1) | instskip(NEXT) | instid1(VALU_DEP_1)
	v_fma_f64 v[76:77], v[78:79], v[80:81], 1.0
	v_ldexp_f64 v[76:77], v[76:77], v82
	s_wait_alu 0xfffd
	s_delay_alu instid0(VALU_DEP_1) | instskip(SKIP_2) | instid1(VALU_DEP_2)
	v_cndmask_b32_e32 v77, 0x7ff00000, v77, vcc_lo
	s_and_b32 vcc_lo, s20, vcc_lo
	s_wait_alu 0xfffe
	v_cndmask_b32_e32 v74, 0, v76, vcc_lo
	s_delay_alu instid0(VALU_DEP_2) | instskip(SKIP_1) | instid1(VALU_DEP_1)
	v_cndmask_b32_e64 v75, 0, v77, s20
	s_mov_b32 s20, 0x55555555
	v_add_f64_e32 v[76:77], 1.0, v[74:75]
	s_delay_alu instid0(VALU_DEP_1) | instskip(SKIP_3) | instid1(VALU_DEP_3)
	v_frexp_mant_f64_e32 v[78:79], v[76:77]
	v_frexp_exp_i32_f64_e32 v82, v[76:77]
	v_add_f64_e32 v[80:81], -1.0, v[76:77]
	s_wait_alu 0xfffe
	v_cmp_gt_f64_e32 vcc_lo, s[20:21], v[78:79]
	s_mov_b32 s20, 0x55555780
	s_delay_alu instid0(VALU_DEP_2) | instskip(SKIP_3) | instid1(VALU_DEP_3)
	v_add_f64_e64 v[78:79], v[80:81], -v[76:77]
	v_add_f64_e64 v[80:81], v[74:75], -v[80:81]
	s_wait_alu 0xfffd
	v_subrev_co_ci_u32_e64 v82, null, 0, v82, vcc_lo
	v_add_f64_e32 v[78:79], 1.0, v[78:79]
	v_cmp_nge_f64_e32 vcc_lo, -1.0, v[74:75]
	s_delay_alu instid0(VALU_DEP_3) | instskip(NEXT) | instid1(VALU_DEP_1)
	v_sub_nc_u32_e32 v110, 0, v82
	v_ldexp_f64 v[76:77], v[76:77], v110
	s_delay_alu instid0(VALU_DEP_4) | instskip(NEXT) | instid1(VALU_DEP_2)
	v_add_f64_e32 v[78:79], v[80:81], v[78:79]
	v_add_f64_e32 v[108:109], 1.0, v[76:77]
	v_add_f64_e32 v[114:115], -1.0, v[76:77]
	s_delay_alu instid0(VALU_DEP_3) | instskip(NEXT) | instid1(VALU_DEP_3)
	v_ldexp_f64 v[78:79], v[78:79], v110
	v_add_f64_e32 v[80:81], -1.0, v[108:109]
	s_delay_alu instid0(VALU_DEP_3) | instskip(NEXT) | instid1(VALU_DEP_2)
	v_add_f64_e32 v[116:117], 1.0, v[114:115]
	v_add_f64_e64 v[80:81], v[76:77], -v[80:81]
	s_delay_alu instid0(VALU_DEP_2) | instskip(NEXT) | instid1(VALU_DEP_2)
	v_add_f64_e64 v[76:77], v[76:77], -v[116:117]
	v_add_f64_e32 v[80:81], v[78:79], v[80:81]
	s_delay_alu instid0(VALU_DEP_2) | instskip(NEXT) | instid1(VALU_DEP_2)
	v_add_f64_e32 v[76:77], v[78:79], v[76:77]
	v_add_f64_e32 v[110:111], v[108:109], v[80:81]
	s_delay_alu instid0(VALU_DEP_2) | instskip(NEXT) | instid1(VALU_DEP_2)
	v_add_f64_e32 v[116:117], v[114:115], v[76:77]
	v_rcp_f64_e32 v[112:113], v[110:111]
	v_add_f64_e64 v[108:109], v[110:111], -v[108:109]
	s_delay_alu instid0(VALU_DEP_2) | instskip(NEXT) | instid1(VALU_DEP_2)
	v_add_f64_e64 v[114:115], v[116:117], -v[114:115]
	v_add_f64_e64 v[80:81], v[80:81], -v[108:109]
	s_delay_alu instid0(TRANS32_DEP_1) | instskip(NEXT) | instid1(VALU_DEP_3)
	v_fma_f64 v[118:119], -v[110:111], v[112:113], 1.0
	v_add_f64_e64 v[76:77], v[76:77], -v[114:115]
	s_delay_alu instid0(VALU_DEP_2) | instskip(NEXT) | instid1(VALU_DEP_1)
	v_fma_f64 v[112:113], v[118:119], v[112:113], v[112:113]
	v_fma_f64 v[78:79], -v[110:111], v[112:113], 1.0
	s_delay_alu instid0(VALU_DEP_1) | instskip(NEXT) | instid1(VALU_DEP_1)
	v_fma_f64 v[78:79], v[78:79], v[112:113], v[112:113]
	v_mul_f64_e32 v[112:113], v[116:117], v[78:79]
	s_delay_alu instid0(VALU_DEP_1) | instskip(NEXT) | instid1(VALU_DEP_1)
	v_mul_f64_e32 v[118:119], v[110:111], v[112:113]
	v_fma_f64 v[108:109], v[112:113], v[110:111], -v[118:119]
	s_delay_alu instid0(VALU_DEP_1) | instskip(NEXT) | instid1(VALU_DEP_1)
	v_fma_f64 v[108:109], v[112:113], v[80:81], v[108:109]
	v_add_f64_e32 v[120:121], v[118:119], v[108:109]
	s_delay_alu instid0(VALU_DEP_1) | instskip(SKIP_1) | instid1(VALU_DEP_2)
	v_add_f64_e64 v[122:123], v[116:117], -v[120:121]
	v_add_f64_e64 v[114:115], v[120:121], -v[118:119]
	;; [unrolled: 1-line block ×3, first 2 shown]
	s_delay_alu instid0(VALU_DEP_2) | instskip(NEXT) | instid1(VALU_DEP_2)
	v_add_f64_e64 v[108:109], v[114:115], -v[108:109]
	v_add_f64_e64 v[116:117], v[116:117], -v[120:121]
	s_delay_alu instid0(VALU_DEP_1) | instskip(NEXT) | instid1(VALU_DEP_1)
	v_add_f64_e32 v[76:77], v[76:77], v[116:117]
	v_add_f64_e32 v[76:77], v[108:109], v[76:77]
	s_delay_alu instid0(VALU_DEP_1) | instskip(NEXT) | instid1(VALU_DEP_1)
	v_add_f64_e32 v[108:109], v[122:123], v[76:77]
	v_mul_f64_e32 v[114:115], v[78:79], v[108:109]
	v_add_f64_e64 v[120:121], v[122:123], -v[108:109]
	s_delay_alu instid0(VALU_DEP_2) | instskip(NEXT) | instid1(VALU_DEP_2)
	v_mul_f64_e32 v[116:117], v[110:111], v[114:115]
	v_add_f64_e32 v[76:77], v[76:77], v[120:121]
	s_delay_alu instid0(VALU_DEP_2) | instskip(NEXT) | instid1(VALU_DEP_1)
	v_fma_f64 v[110:111], v[114:115], v[110:111], -v[116:117]
	v_fma_f64 v[80:81], v[114:115], v[80:81], v[110:111]
	s_delay_alu instid0(VALU_DEP_1) | instskip(NEXT) | instid1(VALU_DEP_1)
	v_add_f64_e32 v[110:111], v[116:117], v[80:81]
	v_add_f64_e64 v[118:119], v[108:109], -v[110:111]
	v_add_f64_e64 v[116:117], v[110:111], -v[116:117]
	s_delay_alu instid0(VALU_DEP_2) | instskip(NEXT) | instid1(VALU_DEP_2)
	v_add_f64_e64 v[108:109], v[108:109], -v[118:119]
	v_add_f64_e64 v[80:81], v[116:117], -v[80:81]
	s_delay_alu instid0(VALU_DEP_2) | instskip(NEXT) | instid1(VALU_DEP_1)
	v_add_f64_e64 v[108:109], v[108:109], -v[110:111]
	v_add_f64_e32 v[76:77], v[76:77], v[108:109]
	v_add_f64_e32 v[108:109], v[112:113], v[114:115]
	s_delay_alu instid0(VALU_DEP_2) | instskip(NEXT) | instid1(VALU_DEP_2)
	v_add_f64_e32 v[76:77], v[80:81], v[76:77]
	v_add_f64_e64 v[80:81], v[108:109], -v[112:113]
	s_delay_alu instid0(VALU_DEP_2) | instskip(NEXT) | instid1(VALU_DEP_2)
	v_add_f64_e32 v[76:77], v[118:119], v[76:77]
	v_add_f64_e64 v[80:81], v[114:115], -v[80:81]
	s_delay_alu instid0(VALU_DEP_2) | instskip(NEXT) | instid1(VALU_DEP_1)
	v_mul_f64_e32 v[76:77], v[78:79], v[76:77]
	v_add_f64_e32 v[76:77], v[80:81], v[76:77]
	s_delay_alu instid0(VALU_DEP_1) | instskip(NEXT) | instid1(VALU_DEP_1)
	v_add_f64_e32 v[78:79], v[108:109], v[76:77]
	v_mul_f64_e32 v[80:81], v[78:79], v[78:79]
	s_delay_alu instid0(VALU_DEP_1) | instskip(SKIP_4) | instid1(VALU_DEP_2)
	v_fma_f64 v[110:111], v[80:81], s[50:51], s[48:49]
	s_mov_b32 s48, 0xd7f4df2e
	s_mov_b32 s49, 0x3fc7474d
	v_mul_f64_e32 v[112:113], v[78:79], v[80:81]
	s_wait_alu 0xfffe
	v_fma_f64 v[110:111], v[80:81], v[110:111], s[48:49]
	s_mov_b32 s48, 0x16291751
	s_mov_b32 s49, 0x3fcc71c0
	s_wait_alu 0xfffe
	s_delay_alu instid0(VALU_DEP_1) | instskip(SKIP_3) | instid1(VALU_DEP_1)
	v_fma_f64 v[110:111], v[80:81], v[110:111], s[48:49]
	s_mov_b32 s48, 0x9b27acf1
	s_mov_b32 s49, 0x3fd24924
	s_wait_alu 0xfffe
	v_fma_f64 v[110:111], v[80:81], v[110:111], s[48:49]
	s_mov_b32 s48, 0x998ef7b6
	s_mov_b32 s49, 0x3fd99999
	s_wait_alu 0xfffe
	s_delay_alu instid0(VALU_DEP_1) | instskip(NEXT) | instid1(VALU_DEP_1)
	v_fma_f64 v[110:111], v[80:81], v[110:111], s[48:49]
	v_fma_f64 v[80:81], v[80:81], v[110:111], s[20:21]
	v_ldexp_f64 v[110:111], v[78:79], 1
	v_add_f64_e64 v[78:79], v[78:79], -v[108:109]
	v_cmp_neq_f64_e64 s20, 0x7ff00000, v[74:75]
	v_cmp_ngt_f64_e64 s21, -1.0, v[74:75]
	v_mul_f64_e32 v[80:81], v[112:113], v[80:81]
	v_cvt_f64_i32_e32 v[112:113], v82
	v_add_f64_e64 v[76:77], v[76:77], -v[78:79]
	s_and_b32 vcc_lo, vcc_lo, s20
	s_delay_alu instid0(VALU_DEP_3) | instskip(NEXT) | instid1(VALU_DEP_3)
	v_add_f64_e32 v[108:109], v[110:111], v[80:81]
	v_mul_f64_e32 v[114:115], s[42:43], v[112:113]
	s_delay_alu instid0(VALU_DEP_3) | instskip(NEXT) | instid1(VALU_DEP_3)
	v_ldexp_f64 v[76:77], v[76:77], 1
	v_add_f64_e64 v[78:79], v[108:109], -v[110:111]
	s_delay_alu instid0(VALU_DEP_3) | instskip(NEXT) | instid1(VALU_DEP_2)
	v_fma_f64 v[110:111], v[112:113], s[42:43], -v[114:115]
	v_add_f64_e64 v[78:79], v[80:81], -v[78:79]
	s_delay_alu instid0(VALU_DEP_2) | instskip(NEXT) | instid1(VALU_DEP_2)
	v_fma_f64 v[80:81], v[112:113], s[44:45], v[110:111]
	v_add_f64_e32 v[76:77], v[76:77], v[78:79]
	s_delay_alu instid0(VALU_DEP_2) | instskip(NEXT) | instid1(VALU_DEP_2)
	v_add_f64_e32 v[78:79], v[114:115], v[80:81]
	v_add_f64_e32 v[110:111], v[108:109], v[76:77]
	s_delay_alu instid0(VALU_DEP_2) | instskip(NEXT) | instid1(VALU_DEP_2)
	v_add_f64_e64 v[114:115], v[78:79], -v[114:115]
	v_add_f64_e32 v[112:113], v[78:79], v[110:111]
	v_add_f64_e64 v[108:109], v[110:111], -v[108:109]
	s_delay_alu instid0(VALU_DEP_3) | instskip(NEXT) | instid1(VALU_DEP_3)
	v_add_f64_e64 v[80:81], v[80:81], -v[114:115]
	v_add_f64_e64 v[116:117], v[112:113], -v[78:79]
	s_delay_alu instid0(VALU_DEP_3) | instskip(NEXT) | instid1(VALU_DEP_2)
	v_add_f64_e64 v[76:77], v[76:77], -v[108:109]
	v_add_f64_e64 v[118:119], v[112:113], -v[116:117]
	;; [unrolled: 1-line block ×3, first 2 shown]
	s_delay_alu instid0(VALU_DEP_3) | instskip(NEXT) | instid1(VALU_DEP_3)
	v_add_f64_e32 v[110:111], v[80:81], v[76:77]
	v_add_f64_e64 v[78:79], v[78:79], -v[118:119]
	s_delay_alu instid0(VALU_DEP_1) | instskip(NEXT) | instid1(VALU_DEP_3)
	v_add_f64_e32 v[78:79], v[108:109], v[78:79]
	v_add_f64_e64 v[108:109], v[110:111], -v[80:81]
	s_delay_alu instid0(VALU_DEP_2) | instskip(NEXT) | instid1(VALU_DEP_2)
	v_add_f64_e32 v[78:79], v[110:111], v[78:79]
	v_add_f64_e64 v[110:111], v[110:111], -v[108:109]
	v_add_f64_e64 v[76:77], v[76:77], -v[108:109]
	s_delay_alu instid0(VALU_DEP_3) | instskip(NEXT) | instid1(VALU_DEP_3)
	v_add_f64_e32 v[114:115], v[112:113], v[78:79]
	v_add_f64_e64 v[80:81], v[80:81], -v[110:111]
	s_delay_alu instid0(VALU_DEP_2) | instskip(NEXT) | instid1(VALU_DEP_2)
	v_add_f64_e64 v[108:109], v[114:115], -v[112:113]
	v_add_f64_e32 v[76:77], v[76:77], v[80:81]
	s_delay_alu instid0(VALU_DEP_2) | instskip(NEXT) | instid1(VALU_DEP_1)
	v_add_f64_e64 v[78:79], v[78:79], -v[108:109]
	v_add_f64_e32 v[76:77], v[76:77], v[78:79]
	s_delay_alu instid0(VALU_DEP_1) | instskip(SKIP_1) | instid1(VALU_DEP_1)
	v_add_f64_e32 v[76:77], v[114:115], v[76:77]
	s_wait_alu 0xfffe
	v_cndmask_b32_e32 v76, 0, v76, vcc_lo
	v_cmp_neq_f64_e32 vcc_lo, -1.0, v[74:75]
	s_delay_alu instid0(VALU_DEP_3) | instskip(NEXT) | instid1(VALU_DEP_1)
	v_cndmask_b32_e64 v77, 0x7ff00000, v77, s20
	v_cndmask_b32_e64 v77, 0x7ff80000, v77, s21
	s_wait_alu 0xfffd
	s_delay_alu instid0(VALU_DEP_1) | instskip(NEXT) | instid1(VALU_DEP_1)
	v_cndmask_b32_e32 v77, 0xfff00000, v77, vcc_lo
	v_add_f64_e32 v[74:75], v[7:8], v[76:77]
.LBB71_109:
	s_wait_alu 0xfffe
	s_or_b32 exec_lo, exec_lo, s47
	s_delay_alu instid0(VALU_DEP_1)
	v_dual_mov_b32 v7, v74 :: v_dual_mov_b32 v8, v75
	v_dual_mov_b32 v78, v75 :: v_dual_mov_b32 v77, v74
.LBB71_110:
	s_wait_alu 0xfffe
	s_or_b32 exec_lo, exec_lo, s46
	v_cmp_gt_u32_e32 vcc_lo, 28, v101
	v_add_nc_u32_e32 v109, 4, v101
	s_mov_b32 s46, exec_lo
	s_wait_dscnt 0x1
	s_wait_alu 0xfffd
	v_cndmask_b32_e64 v74, 0, 4, vcc_lo
	s_delay_alu instid0(VALU_DEP_1)
	v_add_lshl_u32 v108, v74, v101, 2
	ds_bpermute_b32 v74, v108, v7
	s_wait_dscnt 0x1
	ds_bpermute_b32 v75, v108, v8
	v_cmpx_le_u32_e64 v109, v10
	s_cbranch_execz .LBB71_114
; %bb.111:
	s_wait_dscnt 0x0
	v_max_num_f64_e32 v[7:8], v[74:75], v[74:75]
	v_max_num_f64_e32 v[79:80], v[77:78], v[77:78]
	v_cmp_u_f64_e32 vcc_lo, v[74:75], v[74:75]
	v_cmp_u_f64_e64 s20, v[77:78], v[77:78]
	s_delay_alu instid0(VALU_DEP_3) | instskip(SKIP_2) | instid1(VALU_DEP_2)
	v_min_num_f64_e32 v[81:82], v[7:8], v[79:80]
	v_max_num_f64_e32 v[7:8], v[7:8], v[79:80]
	s_wait_alu 0xfffd
	v_dual_cndmask_b32 v76, v82, v75 :: v_dual_cndmask_b32 v79, v81, v74
	s_delay_alu instid0(VALU_DEP_2) | instskip(SKIP_1) | instid1(VALU_DEP_2)
	v_dual_cndmask_b32 v8, v8, v75 :: v_dual_cndmask_b32 v7, v7, v74
	s_wait_alu 0xf1ff
	v_cndmask_b32_e64 v80, v76, v78, s20
	s_delay_alu instid0(VALU_DEP_3) | instskip(NEXT) | instid1(VALU_DEP_3)
	v_cndmask_b32_e64 v79, v79, v77, s20
	v_cndmask_b32_e64 v8, v8, v78, s20
	;; [unrolled: 1-line block ×3, first 2 shown]
	s_delay_alu instid0(VALU_DEP_3) | instskip(NEXT) | instid1(VALU_DEP_2)
	v_cmp_class_f64_e64 s20, v[79:80], 0x1f8
	v_cmp_neq_f64_e32 vcc_lo, v[79:80], v[7:8]
	s_or_b32 s20, vcc_lo, s20
	s_wait_alu 0xfffe
	s_and_saveexec_b32 s47, s20
	s_cbranch_execz .LBB71_113
; %bb.112:
	v_add_f64_e64 v[74:75], v[79:80], -v[7:8]
	s_mov_b32 s20, 0x652b82fe
	s_mov_b32 s21, 0x3ff71547
	;; [unrolled: 1-line block ×10, first 2 shown]
	s_wait_alu 0xfffe
	s_delay_alu instid0(VALU_DEP_1) | instskip(SKIP_3) | instid1(VALU_DEP_2)
	v_mul_f64_e32 v[76:77], s[20:21], v[74:75]
	s_mov_b32 s20, 0xfca7ab0c
	s_mov_b32 s21, 0x3e928af3
	v_cmp_nlt_f64_e32 vcc_lo, 0x40900000, v[74:75]
	v_rndne_f64_e32 v[76:77], v[76:77]
	s_delay_alu instid0(VALU_DEP_1) | instskip(SKIP_2) | instid1(VALU_DEP_2)
	v_fma_f64 v[78:79], v[76:77], s[42:43], v[74:75]
	v_cvt_i32_f64_e32 v82, v[76:77]
	s_mov_b32 s43, 0x3fe62e42
	v_fma_f64 v[78:79], v[76:77], s[44:45], v[78:79]
	s_mov_b32 s45, 0x3c7abc9e
	s_wait_alu 0xfffe
	s_delay_alu instid0(VALU_DEP_1)
	v_fma_f64 v[80:81], v[78:79], s[48:49], s[20:21]
	s_mov_b32 s20, 0x623fde64
	s_mov_b32 s21, 0x3ec71dee
	;; [unrolled: 1-line block ×4, first 2 shown]
	s_wait_alu 0xfffe
	s_delay_alu instid0(VALU_DEP_1) | instskip(SKIP_3) | instid1(VALU_DEP_1)
	v_fma_f64 v[80:81], v[78:79], v[80:81], s[20:21]
	s_mov_b32 s20, 0x7c89e6b0
	s_mov_b32 s21, 0x3efa0199
	s_wait_alu 0xfffe
	v_fma_f64 v[80:81], v[78:79], v[80:81], s[20:21]
	s_mov_b32 s20, 0x14761f6e
	s_mov_b32 s21, 0x3f2a01a0
	s_wait_alu 0xfffe
	s_delay_alu instid0(VALU_DEP_1) | instskip(SKIP_3) | instid1(VALU_DEP_1)
	v_fma_f64 v[80:81], v[78:79], v[80:81], s[20:21]
	s_mov_b32 s20, 0x1852b7b0
	s_mov_b32 s21, 0x3f56c16c
	s_wait_alu 0xfffe
	v_fma_f64 v[80:81], v[78:79], v[80:81], s[20:21]
	s_mov_b32 s20, 0x11122322
	s_mov_b32 s21, 0x3f811111
	;; [unrolled: 9-line block ×3, first 2 shown]
	s_wait_alu 0xfffe
	s_delay_alu instid0(VALU_DEP_1) | instskip(SKIP_3) | instid1(VALU_DEP_1)
	v_fma_f64 v[80:81], v[78:79], v[80:81], s[20:21]
	s_mov_b32 s20, 11
	s_mov_b32 s21, 0x3fe00000
	s_wait_alu 0xfffe
	v_fma_f64 v[80:81], v[78:79], v[80:81], s[20:21]
	v_cmp_ngt_f64_e64 s20, 0xc090cc00, v[74:75]
	s_mov_b32 s21, 0x3fe55555
	v_fma_f64 v[80:81], v[78:79], v[80:81], 1.0
	s_delay_alu instid0(VALU_DEP_1) | instskip(NEXT) | instid1(VALU_DEP_1)
	v_fma_f64 v[76:77], v[78:79], v[80:81], 1.0
	v_ldexp_f64 v[76:77], v[76:77], v82
	s_wait_alu 0xfffd
	s_delay_alu instid0(VALU_DEP_1) | instskip(SKIP_2) | instid1(VALU_DEP_2)
	v_cndmask_b32_e32 v77, 0x7ff00000, v77, vcc_lo
	s_and_b32 vcc_lo, s20, vcc_lo
	s_wait_alu 0xfffe
	v_cndmask_b32_e32 v74, 0, v76, vcc_lo
	s_delay_alu instid0(VALU_DEP_2) | instskip(SKIP_1) | instid1(VALU_DEP_1)
	v_cndmask_b32_e64 v75, 0, v77, s20
	s_mov_b32 s20, 0x55555555
	v_add_f64_e32 v[76:77], 1.0, v[74:75]
	s_delay_alu instid0(VALU_DEP_1) | instskip(SKIP_3) | instid1(VALU_DEP_3)
	v_frexp_mant_f64_e32 v[78:79], v[76:77]
	v_frexp_exp_i32_f64_e32 v82, v[76:77]
	v_add_f64_e32 v[80:81], -1.0, v[76:77]
	s_wait_alu 0xfffe
	v_cmp_gt_f64_e32 vcc_lo, s[20:21], v[78:79]
	s_mov_b32 s20, 0x55555780
	s_delay_alu instid0(VALU_DEP_2) | instskip(SKIP_3) | instid1(VALU_DEP_3)
	v_add_f64_e64 v[78:79], v[80:81], -v[76:77]
	v_add_f64_e64 v[80:81], v[74:75], -v[80:81]
	s_wait_alu 0xfffd
	v_subrev_co_ci_u32_e64 v82, null, 0, v82, vcc_lo
	v_add_f64_e32 v[78:79], 1.0, v[78:79]
	v_cmp_nge_f64_e32 vcc_lo, -1.0, v[74:75]
	s_delay_alu instid0(VALU_DEP_3) | instskip(NEXT) | instid1(VALU_DEP_1)
	v_sub_nc_u32_e32 v112, 0, v82
	v_ldexp_f64 v[76:77], v[76:77], v112
	s_delay_alu instid0(VALU_DEP_4) | instskip(NEXT) | instid1(VALU_DEP_2)
	v_add_f64_e32 v[78:79], v[80:81], v[78:79]
	v_add_f64_e32 v[110:111], 1.0, v[76:77]
	v_add_f64_e32 v[116:117], -1.0, v[76:77]
	s_delay_alu instid0(VALU_DEP_3) | instskip(NEXT) | instid1(VALU_DEP_3)
	v_ldexp_f64 v[78:79], v[78:79], v112
	v_add_f64_e32 v[80:81], -1.0, v[110:111]
	s_delay_alu instid0(VALU_DEP_3) | instskip(NEXT) | instid1(VALU_DEP_2)
	v_add_f64_e32 v[118:119], 1.0, v[116:117]
	v_add_f64_e64 v[80:81], v[76:77], -v[80:81]
	s_delay_alu instid0(VALU_DEP_2) | instskip(NEXT) | instid1(VALU_DEP_2)
	v_add_f64_e64 v[76:77], v[76:77], -v[118:119]
	v_add_f64_e32 v[80:81], v[78:79], v[80:81]
	s_delay_alu instid0(VALU_DEP_2) | instskip(NEXT) | instid1(VALU_DEP_2)
	v_add_f64_e32 v[76:77], v[78:79], v[76:77]
	v_add_f64_e32 v[112:113], v[110:111], v[80:81]
	s_delay_alu instid0(VALU_DEP_2) | instskip(NEXT) | instid1(VALU_DEP_2)
	v_add_f64_e32 v[118:119], v[116:117], v[76:77]
	v_rcp_f64_e32 v[114:115], v[112:113]
	v_add_f64_e64 v[110:111], v[112:113], -v[110:111]
	s_delay_alu instid0(VALU_DEP_2) | instskip(NEXT) | instid1(VALU_DEP_2)
	v_add_f64_e64 v[116:117], v[118:119], -v[116:117]
	v_add_f64_e64 v[80:81], v[80:81], -v[110:111]
	s_delay_alu instid0(TRANS32_DEP_1) | instskip(NEXT) | instid1(VALU_DEP_3)
	v_fma_f64 v[120:121], -v[112:113], v[114:115], 1.0
	v_add_f64_e64 v[76:77], v[76:77], -v[116:117]
	s_delay_alu instid0(VALU_DEP_2) | instskip(NEXT) | instid1(VALU_DEP_1)
	v_fma_f64 v[114:115], v[120:121], v[114:115], v[114:115]
	v_fma_f64 v[78:79], -v[112:113], v[114:115], 1.0
	s_delay_alu instid0(VALU_DEP_1) | instskip(NEXT) | instid1(VALU_DEP_1)
	v_fma_f64 v[78:79], v[78:79], v[114:115], v[114:115]
	v_mul_f64_e32 v[114:115], v[118:119], v[78:79]
	s_delay_alu instid0(VALU_DEP_1) | instskip(NEXT) | instid1(VALU_DEP_1)
	v_mul_f64_e32 v[120:121], v[112:113], v[114:115]
	v_fma_f64 v[110:111], v[114:115], v[112:113], -v[120:121]
	s_delay_alu instid0(VALU_DEP_1) | instskip(NEXT) | instid1(VALU_DEP_1)
	v_fma_f64 v[110:111], v[114:115], v[80:81], v[110:111]
	v_add_f64_e32 v[122:123], v[120:121], v[110:111]
	s_delay_alu instid0(VALU_DEP_1) | instskip(SKIP_1) | instid1(VALU_DEP_2)
	v_add_f64_e64 v[124:125], v[118:119], -v[122:123]
	v_add_f64_e64 v[116:117], v[122:123], -v[120:121]
	;; [unrolled: 1-line block ×3, first 2 shown]
	s_delay_alu instid0(VALU_DEP_2) | instskip(NEXT) | instid1(VALU_DEP_2)
	v_add_f64_e64 v[110:111], v[116:117], -v[110:111]
	v_add_f64_e64 v[118:119], v[118:119], -v[122:123]
	s_delay_alu instid0(VALU_DEP_1) | instskip(NEXT) | instid1(VALU_DEP_1)
	v_add_f64_e32 v[76:77], v[76:77], v[118:119]
	v_add_f64_e32 v[76:77], v[110:111], v[76:77]
	s_delay_alu instid0(VALU_DEP_1) | instskip(NEXT) | instid1(VALU_DEP_1)
	v_add_f64_e32 v[110:111], v[124:125], v[76:77]
	v_mul_f64_e32 v[116:117], v[78:79], v[110:111]
	v_add_f64_e64 v[122:123], v[124:125], -v[110:111]
	s_delay_alu instid0(VALU_DEP_2) | instskip(NEXT) | instid1(VALU_DEP_2)
	v_mul_f64_e32 v[118:119], v[112:113], v[116:117]
	v_add_f64_e32 v[76:77], v[76:77], v[122:123]
	s_delay_alu instid0(VALU_DEP_2) | instskip(NEXT) | instid1(VALU_DEP_1)
	v_fma_f64 v[112:113], v[116:117], v[112:113], -v[118:119]
	v_fma_f64 v[80:81], v[116:117], v[80:81], v[112:113]
	s_delay_alu instid0(VALU_DEP_1) | instskip(NEXT) | instid1(VALU_DEP_1)
	v_add_f64_e32 v[112:113], v[118:119], v[80:81]
	v_add_f64_e64 v[120:121], v[110:111], -v[112:113]
	v_add_f64_e64 v[118:119], v[112:113], -v[118:119]
	s_delay_alu instid0(VALU_DEP_2) | instskip(NEXT) | instid1(VALU_DEP_2)
	v_add_f64_e64 v[110:111], v[110:111], -v[120:121]
	v_add_f64_e64 v[80:81], v[118:119], -v[80:81]
	s_delay_alu instid0(VALU_DEP_2) | instskip(NEXT) | instid1(VALU_DEP_1)
	v_add_f64_e64 v[110:111], v[110:111], -v[112:113]
	v_add_f64_e32 v[76:77], v[76:77], v[110:111]
	v_add_f64_e32 v[110:111], v[114:115], v[116:117]
	s_delay_alu instid0(VALU_DEP_2) | instskip(NEXT) | instid1(VALU_DEP_2)
	v_add_f64_e32 v[76:77], v[80:81], v[76:77]
	v_add_f64_e64 v[80:81], v[110:111], -v[114:115]
	s_delay_alu instid0(VALU_DEP_2) | instskip(NEXT) | instid1(VALU_DEP_2)
	v_add_f64_e32 v[76:77], v[120:121], v[76:77]
	v_add_f64_e64 v[80:81], v[116:117], -v[80:81]
	s_delay_alu instid0(VALU_DEP_2) | instskip(NEXT) | instid1(VALU_DEP_1)
	v_mul_f64_e32 v[76:77], v[78:79], v[76:77]
	v_add_f64_e32 v[76:77], v[80:81], v[76:77]
	s_delay_alu instid0(VALU_DEP_1) | instskip(NEXT) | instid1(VALU_DEP_1)
	v_add_f64_e32 v[78:79], v[110:111], v[76:77]
	v_mul_f64_e32 v[80:81], v[78:79], v[78:79]
	s_delay_alu instid0(VALU_DEP_1) | instskip(SKIP_4) | instid1(VALU_DEP_2)
	v_fma_f64 v[112:113], v[80:81], s[50:51], s[48:49]
	s_mov_b32 s48, 0xd7f4df2e
	s_mov_b32 s49, 0x3fc7474d
	v_mul_f64_e32 v[114:115], v[78:79], v[80:81]
	s_wait_alu 0xfffe
	v_fma_f64 v[112:113], v[80:81], v[112:113], s[48:49]
	s_mov_b32 s48, 0x16291751
	s_mov_b32 s49, 0x3fcc71c0
	s_wait_alu 0xfffe
	s_delay_alu instid0(VALU_DEP_1) | instskip(SKIP_3) | instid1(VALU_DEP_1)
	v_fma_f64 v[112:113], v[80:81], v[112:113], s[48:49]
	s_mov_b32 s48, 0x9b27acf1
	s_mov_b32 s49, 0x3fd24924
	s_wait_alu 0xfffe
	v_fma_f64 v[112:113], v[80:81], v[112:113], s[48:49]
	s_mov_b32 s48, 0x998ef7b6
	s_mov_b32 s49, 0x3fd99999
	s_wait_alu 0xfffe
	s_delay_alu instid0(VALU_DEP_1) | instskip(NEXT) | instid1(VALU_DEP_1)
	v_fma_f64 v[112:113], v[80:81], v[112:113], s[48:49]
	v_fma_f64 v[80:81], v[80:81], v[112:113], s[20:21]
	v_ldexp_f64 v[112:113], v[78:79], 1
	v_add_f64_e64 v[78:79], v[78:79], -v[110:111]
	v_cmp_neq_f64_e64 s20, 0x7ff00000, v[74:75]
	v_cmp_ngt_f64_e64 s21, -1.0, v[74:75]
	v_mul_f64_e32 v[80:81], v[114:115], v[80:81]
	v_cvt_f64_i32_e32 v[114:115], v82
	v_add_f64_e64 v[76:77], v[76:77], -v[78:79]
	s_and_b32 vcc_lo, vcc_lo, s20
	s_delay_alu instid0(VALU_DEP_3) | instskip(NEXT) | instid1(VALU_DEP_3)
	v_add_f64_e32 v[110:111], v[112:113], v[80:81]
	v_mul_f64_e32 v[116:117], s[42:43], v[114:115]
	s_delay_alu instid0(VALU_DEP_3) | instskip(NEXT) | instid1(VALU_DEP_3)
	v_ldexp_f64 v[76:77], v[76:77], 1
	v_add_f64_e64 v[78:79], v[110:111], -v[112:113]
	s_delay_alu instid0(VALU_DEP_3) | instskip(NEXT) | instid1(VALU_DEP_2)
	v_fma_f64 v[112:113], v[114:115], s[42:43], -v[116:117]
	v_add_f64_e64 v[78:79], v[80:81], -v[78:79]
	s_delay_alu instid0(VALU_DEP_2) | instskip(NEXT) | instid1(VALU_DEP_2)
	v_fma_f64 v[80:81], v[114:115], s[44:45], v[112:113]
	v_add_f64_e32 v[76:77], v[76:77], v[78:79]
	s_delay_alu instid0(VALU_DEP_2) | instskip(NEXT) | instid1(VALU_DEP_2)
	v_add_f64_e32 v[78:79], v[116:117], v[80:81]
	v_add_f64_e32 v[112:113], v[110:111], v[76:77]
	s_delay_alu instid0(VALU_DEP_2) | instskip(NEXT) | instid1(VALU_DEP_2)
	v_add_f64_e64 v[116:117], v[78:79], -v[116:117]
	v_add_f64_e32 v[114:115], v[78:79], v[112:113]
	v_add_f64_e64 v[110:111], v[112:113], -v[110:111]
	s_delay_alu instid0(VALU_DEP_3) | instskip(NEXT) | instid1(VALU_DEP_3)
	v_add_f64_e64 v[80:81], v[80:81], -v[116:117]
	v_add_f64_e64 v[118:119], v[114:115], -v[78:79]
	s_delay_alu instid0(VALU_DEP_3) | instskip(NEXT) | instid1(VALU_DEP_2)
	v_add_f64_e64 v[76:77], v[76:77], -v[110:111]
	v_add_f64_e64 v[120:121], v[114:115], -v[118:119]
	;; [unrolled: 1-line block ×3, first 2 shown]
	s_delay_alu instid0(VALU_DEP_3) | instskip(NEXT) | instid1(VALU_DEP_3)
	v_add_f64_e32 v[112:113], v[80:81], v[76:77]
	v_add_f64_e64 v[78:79], v[78:79], -v[120:121]
	s_delay_alu instid0(VALU_DEP_1) | instskip(NEXT) | instid1(VALU_DEP_3)
	v_add_f64_e32 v[78:79], v[110:111], v[78:79]
	v_add_f64_e64 v[110:111], v[112:113], -v[80:81]
	s_delay_alu instid0(VALU_DEP_2) | instskip(NEXT) | instid1(VALU_DEP_2)
	v_add_f64_e32 v[78:79], v[112:113], v[78:79]
	v_add_f64_e64 v[112:113], v[112:113], -v[110:111]
	v_add_f64_e64 v[76:77], v[76:77], -v[110:111]
	s_delay_alu instid0(VALU_DEP_3) | instskip(NEXT) | instid1(VALU_DEP_3)
	v_add_f64_e32 v[116:117], v[114:115], v[78:79]
	v_add_f64_e64 v[80:81], v[80:81], -v[112:113]
	s_delay_alu instid0(VALU_DEP_2) | instskip(NEXT) | instid1(VALU_DEP_2)
	v_add_f64_e64 v[110:111], v[116:117], -v[114:115]
	v_add_f64_e32 v[76:77], v[76:77], v[80:81]
	s_delay_alu instid0(VALU_DEP_2) | instskip(NEXT) | instid1(VALU_DEP_1)
	v_add_f64_e64 v[78:79], v[78:79], -v[110:111]
	v_add_f64_e32 v[76:77], v[76:77], v[78:79]
	s_delay_alu instid0(VALU_DEP_1) | instskip(SKIP_1) | instid1(VALU_DEP_1)
	v_add_f64_e32 v[76:77], v[116:117], v[76:77]
	s_wait_alu 0xfffe
	v_cndmask_b32_e32 v76, 0, v76, vcc_lo
	v_cmp_neq_f64_e32 vcc_lo, -1.0, v[74:75]
	s_delay_alu instid0(VALU_DEP_3) | instskip(NEXT) | instid1(VALU_DEP_1)
	v_cndmask_b32_e64 v77, 0x7ff00000, v77, s20
	v_cndmask_b32_e64 v77, 0x7ff80000, v77, s21
	s_wait_alu 0xfffd
	s_delay_alu instid0(VALU_DEP_1) | instskip(NEXT) | instid1(VALU_DEP_1)
	v_cndmask_b32_e32 v77, 0xfff00000, v77, vcc_lo
	v_add_f64_e32 v[74:75], v[7:8], v[76:77]
.LBB71_113:
	s_wait_alu 0xfffe
	s_or_b32 exec_lo, exec_lo, s47
	s_delay_alu instid0(VALU_DEP_1)
	v_dual_mov_b32 v7, v74 :: v_dual_mov_b32 v8, v75
	v_dual_mov_b32 v78, v75 :: v_dual_mov_b32 v77, v74
.LBB71_114:
	s_wait_alu 0xfffe
	s_or_b32 exec_lo, exec_lo, s46
	v_cmp_gt_u32_e32 vcc_lo, 24, v101
	v_add_nc_u32_e32 v111, 8, v101
	s_mov_b32 s46, exec_lo
	s_wait_dscnt 0x1
	s_wait_alu 0xfffd
	v_cndmask_b32_e64 v74, 0, 8, vcc_lo
	s_delay_alu instid0(VALU_DEP_1)
	v_add_lshl_u32 v110, v74, v101, 2
	ds_bpermute_b32 v74, v110, v7
	s_wait_dscnt 0x1
	ds_bpermute_b32 v75, v110, v8
	v_cmpx_le_u32_e64 v111, v10
	s_cbranch_execz .LBB71_118
; %bb.115:
	s_wait_dscnt 0x0
	v_max_num_f64_e32 v[7:8], v[74:75], v[74:75]
	v_max_num_f64_e32 v[79:80], v[77:78], v[77:78]
	v_cmp_u_f64_e32 vcc_lo, v[74:75], v[74:75]
	v_cmp_u_f64_e64 s20, v[77:78], v[77:78]
	s_delay_alu instid0(VALU_DEP_3) | instskip(SKIP_2) | instid1(VALU_DEP_2)
	v_min_num_f64_e32 v[81:82], v[7:8], v[79:80]
	v_max_num_f64_e32 v[7:8], v[7:8], v[79:80]
	s_wait_alu 0xfffd
	v_dual_cndmask_b32 v76, v82, v75 :: v_dual_cndmask_b32 v79, v81, v74
	s_delay_alu instid0(VALU_DEP_2) | instskip(SKIP_1) | instid1(VALU_DEP_2)
	v_dual_cndmask_b32 v8, v8, v75 :: v_dual_cndmask_b32 v7, v7, v74
	s_wait_alu 0xf1ff
	v_cndmask_b32_e64 v80, v76, v78, s20
	s_delay_alu instid0(VALU_DEP_3) | instskip(NEXT) | instid1(VALU_DEP_3)
	v_cndmask_b32_e64 v79, v79, v77, s20
	v_cndmask_b32_e64 v8, v8, v78, s20
	;; [unrolled: 1-line block ×3, first 2 shown]
	s_delay_alu instid0(VALU_DEP_3) | instskip(NEXT) | instid1(VALU_DEP_2)
	v_cmp_class_f64_e64 s20, v[79:80], 0x1f8
	v_cmp_neq_f64_e32 vcc_lo, v[79:80], v[7:8]
	s_or_b32 s20, vcc_lo, s20
	s_wait_alu 0xfffe
	s_and_saveexec_b32 s47, s20
	s_cbranch_execz .LBB71_117
; %bb.116:
	v_add_f64_e64 v[74:75], v[79:80], -v[7:8]
	s_mov_b32 s20, 0x652b82fe
	s_mov_b32 s21, 0x3ff71547
	;; [unrolled: 1-line block ×10, first 2 shown]
	s_wait_alu 0xfffe
	s_delay_alu instid0(VALU_DEP_1) | instskip(SKIP_3) | instid1(VALU_DEP_2)
	v_mul_f64_e32 v[76:77], s[20:21], v[74:75]
	s_mov_b32 s20, 0xfca7ab0c
	s_mov_b32 s21, 0x3e928af3
	v_cmp_nlt_f64_e32 vcc_lo, 0x40900000, v[74:75]
	v_rndne_f64_e32 v[76:77], v[76:77]
	s_delay_alu instid0(VALU_DEP_1) | instskip(SKIP_2) | instid1(VALU_DEP_2)
	v_fma_f64 v[78:79], v[76:77], s[42:43], v[74:75]
	v_cvt_i32_f64_e32 v82, v[76:77]
	s_mov_b32 s43, 0x3fe62e42
	v_fma_f64 v[78:79], v[76:77], s[44:45], v[78:79]
	s_mov_b32 s45, 0x3c7abc9e
	s_wait_alu 0xfffe
	s_delay_alu instid0(VALU_DEP_1)
	v_fma_f64 v[80:81], v[78:79], s[48:49], s[20:21]
	s_mov_b32 s20, 0x623fde64
	s_mov_b32 s21, 0x3ec71dee
	;; [unrolled: 1-line block ×4, first 2 shown]
	s_wait_alu 0xfffe
	s_delay_alu instid0(VALU_DEP_1) | instskip(SKIP_3) | instid1(VALU_DEP_1)
	v_fma_f64 v[80:81], v[78:79], v[80:81], s[20:21]
	s_mov_b32 s20, 0x7c89e6b0
	s_mov_b32 s21, 0x3efa0199
	s_wait_alu 0xfffe
	v_fma_f64 v[80:81], v[78:79], v[80:81], s[20:21]
	s_mov_b32 s20, 0x14761f6e
	s_mov_b32 s21, 0x3f2a01a0
	s_wait_alu 0xfffe
	s_delay_alu instid0(VALU_DEP_1) | instskip(SKIP_3) | instid1(VALU_DEP_1)
	v_fma_f64 v[80:81], v[78:79], v[80:81], s[20:21]
	s_mov_b32 s20, 0x1852b7b0
	s_mov_b32 s21, 0x3f56c16c
	s_wait_alu 0xfffe
	v_fma_f64 v[80:81], v[78:79], v[80:81], s[20:21]
	s_mov_b32 s20, 0x11122322
	s_mov_b32 s21, 0x3f811111
	;; [unrolled: 9-line block ×3, first 2 shown]
	s_wait_alu 0xfffe
	s_delay_alu instid0(VALU_DEP_1) | instskip(SKIP_3) | instid1(VALU_DEP_1)
	v_fma_f64 v[80:81], v[78:79], v[80:81], s[20:21]
	s_mov_b32 s20, 11
	s_mov_b32 s21, 0x3fe00000
	s_wait_alu 0xfffe
	v_fma_f64 v[80:81], v[78:79], v[80:81], s[20:21]
	v_cmp_ngt_f64_e64 s20, 0xc090cc00, v[74:75]
	s_mov_b32 s21, 0x3fe55555
	v_fma_f64 v[80:81], v[78:79], v[80:81], 1.0
	s_delay_alu instid0(VALU_DEP_1) | instskip(NEXT) | instid1(VALU_DEP_1)
	v_fma_f64 v[76:77], v[78:79], v[80:81], 1.0
	v_ldexp_f64 v[76:77], v[76:77], v82
	s_wait_alu 0xfffd
	s_delay_alu instid0(VALU_DEP_1) | instskip(SKIP_2) | instid1(VALU_DEP_2)
	v_cndmask_b32_e32 v77, 0x7ff00000, v77, vcc_lo
	s_and_b32 vcc_lo, s20, vcc_lo
	s_wait_alu 0xfffe
	v_cndmask_b32_e32 v74, 0, v76, vcc_lo
	s_delay_alu instid0(VALU_DEP_2) | instskip(SKIP_1) | instid1(VALU_DEP_1)
	v_cndmask_b32_e64 v75, 0, v77, s20
	s_mov_b32 s20, 0x55555555
	v_add_f64_e32 v[76:77], 1.0, v[74:75]
	s_delay_alu instid0(VALU_DEP_1) | instskip(SKIP_3) | instid1(VALU_DEP_3)
	v_frexp_mant_f64_e32 v[78:79], v[76:77]
	v_frexp_exp_i32_f64_e32 v82, v[76:77]
	v_add_f64_e32 v[80:81], -1.0, v[76:77]
	s_wait_alu 0xfffe
	v_cmp_gt_f64_e32 vcc_lo, s[20:21], v[78:79]
	s_mov_b32 s20, 0x55555780
	s_delay_alu instid0(VALU_DEP_2) | instskip(SKIP_3) | instid1(VALU_DEP_3)
	v_add_f64_e64 v[78:79], v[80:81], -v[76:77]
	v_add_f64_e64 v[80:81], v[74:75], -v[80:81]
	s_wait_alu 0xfffd
	v_subrev_co_ci_u32_e64 v82, null, 0, v82, vcc_lo
	v_add_f64_e32 v[78:79], 1.0, v[78:79]
	v_cmp_nge_f64_e32 vcc_lo, -1.0, v[74:75]
	s_delay_alu instid0(VALU_DEP_3) | instskip(NEXT) | instid1(VALU_DEP_1)
	v_sub_nc_u32_e32 v114, 0, v82
	v_ldexp_f64 v[76:77], v[76:77], v114
	s_delay_alu instid0(VALU_DEP_4) | instskip(NEXT) | instid1(VALU_DEP_2)
	v_add_f64_e32 v[78:79], v[80:81], v[78:79]
	v_add_f64_e32 v[112:113], 1.0, v[76:77]
	v_add_f64_e32 v[118:119], -1.0, v[76:77]
	s_delay_alu instid0(VALU_DEP_3) | instskip(NEXT) | instid1(VALU_DEP_3)
	v_ldexp_f64 v[78:79], v[78:79], v114
	v_add_f64_e32 v[80:81], -1.0, v[112:113]
	s_delay_alu instid0(VALU_DEP_3) | instskip(NEXT) | instid1(VALU_DEP_2)
	v_add_f64_e32 v[120:121], 1.0, v[118:119]
	v_add_f64_e64 v[80:81], v[76:77], -v[80:81]
	s_delay_alu instid0(VALU_DEP_2) | instskip(NEXT) | instid1(VALU_DEP_2)
	v_add_f64_e64 v[76:77], v[76:77], -v[120:121]
	v_add_f64_e32 v[80:81], v[78:79], v[80:81]
	s_delay_alu instid0(VALU_DEP_2) | instskip(NEXT) | instid1(VALU_DEP_2)
	v_add_f64_e32 v[76:77], v[78:79], v[76:77]
	v_add_f64_e32 v[114:115], v[112:113], v[80:81]
	s_delay_alu instid0(VALU_DEP_2) | instskip(NEXT) | instid1(VALU_DEP_2)
	v_add_f64_e32 v[120:121], v[118:119], v[76:77]
	v_rcp_f64_e32 v[116:117], v[114:115]
	v_add_f64_e64 v[112:113], v[114:115], -v[112:113]
	s_delay_alu instid0(VALU_DEP_2) | instskip(NEXT) | instid1(VALU_DEP_2)
	v_add_f64_e64 v[118:119], v[120:121], -v[118:119]
	v_add_f64_e64 v[80:81], v[80:81], -v[112:113]
	s_delay_alu instid0(TRANS32_DEP_1) | instskip(NEXT) | instid1(VALU_DEP_3)
	v_fma_f64 v[122:123], -v[114:115], v[116:117], 1.0
	v_add_f64_e64 v[76:77], v[76:77], -v[118:119]
	s_delay_alu instid0(VALU_DEP_2) | instskip(NEXT) | instid1(VALU_DEP_1)
	v_fma_f64 v[116:117], v[122:123], v[116:117], v[116:117]
	v_fma_f64 v[78:79], -v[114:115], v[116:117], 1.0
	s_delay_alu instid0(VALU_DEP_1) | instskip(NEXT) | instid1(VALU_DEP_1)
	v_fma_f64 v[78:79], v[78:79], v[116:117], v[116:117]
	v_mul_f64_e32 v[116:117], v[120:121], v[78:79]
	s_delay_alu instid0(VALU_DEP_1) | instskip(NEXT) | instid1(VALU_DEP_1)
	v_mul_f64_e32 v[122:123], v[114:115], v[116:117]
	v_fma_f64 v[112:113], v[116:117], v[114:115], -v[122:123]
	s_delay_alu instid0(VALU_DEP_1) | instskip(NEXT) | instid1(VALU_DEP_1)
	v_fma_f64 v[112:113], v[116:117], v[80:81], v[112:113]
	v_add_f64_e32 v[124:125], v[122:123], v[112:113]
	s_delay_alu instid0(VALU_DEP_1) | instskip(SKIP_1) | instid1(VALU_DEP_2)
	v_add_f64_e64 v[126:127], v[120:121], -v[124:125]
	v_add_f64_e64 v[118:119], v[124:125], -v[122:123]
	;; [unrolled: 1-line block ×3, first 2 shown]
	s_delay_alu instid0(VALU_DEP_2) | instskip(NEXT) | instid1(VALU_DEP_2)
	v_add_f64_e64 v[112:113], v[118:119], -v[112:113]
	v_add_f64_e64 v[120:121], v[120:121], -v[124:125]
	s_delay_alu instid0(VALU_DEP_1) | instskip(NEXT) | instid1(VALU_DEP_1)
	v_add_f64_e32 v[76:77], v[76:77], v[120:121]
	v_add_f64_e32 v[76:77], v[112:113], v[76:77]
	s_delay_alu instid0(VALU_DEP_1) | instskip(NEXT) | instid1(VALU_DEP_1)
	v_add_f64_e32 v[112:113], v[126:127], v[76:77]
	v_mul_f64_e32 v[118:119], v[78:79], v[112:113]
	v_add_f64_e64 v[124:125], v[126:127], -v[112:113]
	s_delay_alu instid0(VALU_DEP_2) | instskip(NEXT) | instid1(VALU_DEP_2)
	v_mul_f64_e32 v[120:121], v[114:115], v[118:119]
	v_add_f64_e32 v[76:77], v[76:77], v[124:125]
	s_delay_alu instid0(VALU_DEP_2) | instskip(NEXT) | instid1(VALU_DEP_1)
	v_fma_f64 v[114:115], v[118:119], v[114:115], -v[120:121]
	v_fma_f64 v[80:81], v[118:119], v[80:81], v[114:115]
	s_delay_alu instid0(VALU_DEP_1) | instskip(NEXT) | instid1(VALU_DEP_1)
	v_add_f64_e32 v[114:115], v[120:121], v[80:81]
	v_add_f64_e64 v[122:123], v[112:113], -v[114:115]
	v_add_f64_e64 v[120:121], v[114:115], -v[120:121]
	s_delay_alu instid0(VALU_DEP_2) | instskip(NEXT) | instid1(VALU_DEP_2)
	v_add_f64_e64 v[112:113], v[112:113], -v[122:123]
	v_add_f64_e64 v[80:81], v[120:121], -v[80:81]
	s_delay_alu instid0(VALU_DEP_2) | instskip(NEXT) | instid1(VALU_DEP_1)
	v_add_f64_e64 v[112:113], v[112:113], -v[114:115]
	v_add_f64_e32 v[76:77], v[76:77], v[112:113]
	v_add_f64_e32 v[112:113], v[116:117], v[118:119]
	s_delay_alu instid0(VALU_DEP_2) | instskip(NEXT) | instid1(VALU_DEP_2)
	v_add_f64_e32 v[76:77], v[80:81], v[76:77]
	v_add_f64_e64 v[80:81], v[112:113], -v[116:117]
	s_delay_alu instid0(VALU_DEP_2) | instskip(NEXT) | instid1(VALU_DEP_2)
	v_add_f64_e32 v[76:77], v[122:123], v[76:77]
	v_add_f64_e64 v[80:81], v[118:119], -v[80:81]
	s_delay_alu instid0(VALU_DEP_2) | instskip(NEXT) | instid1(VALU_DEP_1)
	v_mul_f64_e32 v[76:77], v[78:79], v[76:77]
	v_add_f64_e32 v[76:77], v[80:81], v[76:77]
	s_delay_alu instid0(VALU_DEP_1) | instskip(NEXT) | instid1(VALU_DEP_1)
	v_add_f64_e32 v[78:79], v[112:113], v[76:77]
	v_mul_f64_e32 v[80:81], v[78:79], v[78:79]
	s_delay_alu instid0(VALU_DEP_1) | instskip(SKIP_4) | instid1(VALU_DEP_2)
	v_fma_f64 v[114:115], v[80:81], s[50:51], s[48:49]
	s_mov_b32 s48, 0xd7f4df2e
	s_mov_b32 s49, 0x3fc7474d
	v_mul_f64_e32 v[116:117], v[78:79], v[80:81]
	s_wait_alu 0xfffe
	v_fma_f64 v[114:115], v[80:81], v[114:115], s[48:49]
	s_mov_b32 s48, 0x16291751
	s_mov_b32 s49, 0x3fcc71c0
	s_wait_alu 0xfffe
	s_delay_alu instid0(VALU_DEP_1) | instskip(SKIP_3) | instid1(VALU_DEP_1)
	v_fma_f64 v[114:115], v[80:81], v[114:115], s[48:49]
	s_mov_b32 s48, 0x9b27acf1
	s_mov_b32 s49, 0x3fd24924
	s_wait_alu 0xfffe
	v_fma_f64 v[114:115], v[80:81], v[114:115], s[48:49]
	s_mov_b32 s48, 0x998ef7b6
	s_mov_b32 s49, 0x3fd99999
	s_wait_alu 0xfffe
	s_delay_alu instid0(VALU_DEP_1) | instskip(NEXT) | instid1(VALU_DEP_1)
	v_fma_f64 v[114:115], v[80:81], v[114:115], s[48:49]
	v_fma_f64 v[80:81], v[80:81], v[114:115], s[20:21]
	v_ldexp_f64 v[114:115], v[78:79], 1
	v_add_f64_e64 v[78:79], v[78:79], -v[112:113]
	v_cmp_neq_f64_e64 s20, 0x7ff00000, v[74:75]
	v_cmp_ngt_f64_e64 s21, -1.0, v[74:75]
	v_mul_f64_e32 v[80:81], v[116:117], v[80:81]
	v_cvt_f64_i32_e32 v[116:117], v82
	v_add_f64_e64 v[76:77], v[76:77], -v[78:79]
	s_and_b32 vcc_lo, vcc_lo, s20
	s_delay_alu instid0(VALU_DEP_3) | instskip(NEXT) | instid1(VALU_DEP_3)
	v_add_f64_e32 v[112:113], v[114:115], v[80:81]
	v_mul_f64_e32 v[118:119], s[42:43], v[116:117]
	s_delay_alu instid0(VALU_DEP_3) | instskip(NEXT) | instid1(VALU_DEP_3)
	v_ldexp_f64 v[76:77], v[76:77], 1
	v_add_f64_e64 v[78:79], v[112:113], -v[114:115]
	s_delay_alu instid0(VALU_DEP_3) | instskip(NEXT) | instid1(VALU_DEP_2)
	v_fma_f64 v[114:115], v[116:117], s[42:43], -v[118:119]
	v_add_f64_e64 v[78:79], v[80:81], -v[78:79]
	s_delay_alu instid0(VALU_DEP_2) | instskip(NEXT) | instid1(VALU_DEP_2)
	v_fma_f64 v[80:81], v[116:117], s[44:45], v[114:115]
	v_add_f64_e32 v[76:77], v[76:77], v[78:79]
	s_delay_alu instid0(VALU_DEP_2) | instskip(NEXT) | instid1(VALU_DEP_2)
	v_add_f64_e32 v[78:79], v[118:119], v[80:81]
	v_add_f64_e32 v[114:115], v[112:113], v[76:77]
	s_delay_alu instid0(VALU_DEP_2) | instskip(NEXT) | instid1(VALU_DEP_2)
	v_add_f64_e64 v[118:119], v[78:79], -v[118:119]
	v_add_f64_e32 v[116:117], v[78:79], v[114:115]
	v_add_f64_e64 v[112:113], v[114:115], -v[112:113]
	s_delay_alu instid0(VALU_DEP_3) | instskip(NEXT) | instid1(VALU_DEP_3)
	v_add_f64_e64 v[80:81], v[80:81], -v[118:119]
	v_add_f64_e64 v[120:121], v[116:117], -v[78:79]
	s_delay_alu instid0(VALU_DEP_3) | instskip(NEXT) | instid1(VALU_DEP_2)
	v_add_f64_e64 v[76:77], v[76:77], -v[112:113]
	v_add_f64_e64 v[122:123], v[116:117], -v[120:121]
	;; [unrolled: 1-line block ×3, first 2 shown]
	s_delay_alu instid0(VALU_DEP_3) | instskip(NEXT) | instid1(VALU_DEP_3)
	v_add_f64_e32 v[114:115], v[80:81], v[76:77]
	v_add_f64_e64 v[78:79], v[78:79], -v[122:123]
	s_delay_alu instid0(VALU_DEP_1) | instskip(NEXT) | instid1(VALU_DEP_3)
	v_add_f64_e32 v[78:79], v[112:113], v[78:79]
	v_add_f64_e64 v[112:113], v[114:115], -v[80:81]
	s_delay_alu instid0(VALU_DEP_2) | instskip(NEXT) | instid1(VALU_DEP_2)
	v_add_f64_e32 v[78:79], v[114:115], v[78:79]
	v_add_f64_e64 v[114:115], v[114:115], -v[112:113]
	v_add_f64_e64 v[76:77], v[76:77], -v[112:113]
	s_delay_alu instid0(VALU_DEP_3) | instskip(NEXT) | instid1(VALU_DEP_3)
	v_add_f64_e32 v[118:119], v[116:117], v[78:79]
	v_add_f64_e64 v[80:81], v[80:81], -v[114:115]
	s_delay_alu instid0(VALU_DEP_2) | instskip(NEXT) | instid1(VALU_DEP_2)
	v_add_f64_e64 v[112:113], v[118:119], -v[116:117]
	v_add_f64_e32 v[76:77], v[76:77], v[80:81]
	s_delay_alu instid0(VALU_DEP_2) | instskip(NEXT) | instid1(VALU_DEP_1)
	v_add_f64_e64 v[78:79], v[78:79], -v[112:113]
	v_add_f64_e32 v[76:77], v[76:77], v[78:79]
	s_delay_alu instid0(VALU_DEP_1) | instskip(SKIP_1) | instid1(VALU_DEP_1)
	v_add_f64_e32 v[76:77], v[118:119], v[76:77]
	s_wait_alu 0xfffe
	v_cndmask_b32_e32 v76, 0, v76, vcc_lo
	v_cmp_neq_f64_e32 vcc_lo, -1.0, v[74:75]
	s_delay_alu instid0(VALU_DEP_3) | instskip(NEXT) | instid1(VALU_DEP_1)
	v_cndmask_b32_e64 v77, 0x7ff00000, v77, s20
	v_cndmask_b32_e64 v77, 0x7ff80000, v77, s21
	s_wait_alu 0xfffd
	s_delay_alu instid0(VALU_DEP_1) | instskip(NEXT) | instid1(VALU_DEP_1)
	v_cndmask_b32_e32 v77, 0xfff00000, v77, vcc_lo
	v_add_f64_e32 v[74:75], v[7:8], v[76:77]
.LBB71_117:
	s_wait_alu 0xfffe
	s_or_b32 exec_lo, exec_lo, s47
	s_delay_alu instid0(VALU_DEP_1)
	v_dual_mov_b32 v7, v74 :: v_dual_mov_b32 v8, v75
	v_dual_mov_b32 v78, v75 :: v_dual_mov_b32 v77, v74
.LBB71_118:
	s_wait_alu 0xfffe
	s_or_b32 exec_lo, exec_lo, s46
	v_lshl_or_b32 v112, v101, 2, 64
	v_add_nc_u32_e32 v113, 16, v101
	s_mov_b32 s46, exec_lo
	s_wait_dscnt 0x1
	ds_bpermute_b32 v74, v112, v7
	s_wait_dscnt 0x1
	ds_bpermute_b32 v75, v112, v8
	v_cmpx_le_u32_e64 v113, v10
	s_cbranch_execz .LBB71_122
; %bb.119:
	s_wait_dscnt 0x0
	v_max_num_f64_e32 v[7:8], v[74:75], v[74:75]
	v_max_num_f64_e32 v[79:80], v[77:78], v[77:78]
	v_cmp_u_f64_e32 vcc_lo, v[74:75], v[74:75]
	v_cmp_u_f64_e64 s20, v[77:78], v[77:78]
	s_delay_alu instid0(VALU_DEP_3) | instskip(SKIP_2) | instid1(VALU_DEP_1)
	v_min_num_f64_e32 v[81:82], v[7:8], v[79:80]
	v_max_num_f64_e32 v[7:8], v[7:8], v[79:80]
	s_wait_alu 0xfffd
	v_dual_cndmask_b32 v10, v82, v75 :: v_dual_cndmask_b32 v7, v7, v74
	s_delay_alu instid0(VALU_DEP_3) | instskip(NEXT) | instid1(VALU_DEP_3)
	v_cndmask_b32_e32 v76, v81, v74, vcc_lo
	v_cndmask_b32_e32 v8, v8, v75, vcc_lo
	s_wait_alu 0xf1ff
	s_delay_alu instid0(VALU_DEP_3) | instskip(SKIP_3) | instid1(VALU_DEP_2)
	v_cndmask_b32_e64 v80, v10, v78, s20
	v_cndmask_b32_e64 v7, v7, v77, s20
	;; [unrolled: 1-line block ×4, first 2 shown]
	v_cmp_class_f64_e64 s20, v[79:80], 0x1f8
	s_delay_alu instid0(VALU_DEP_2)
	v_cmp_neq_f64_e32 vcc_lo, v[79:80], v[7:8]
	s_or_b32 s20, vcc_lo, s20
	s_wait_alu 0xfffe
	s_and_saveexec_b32 s47, s20
	s_cbranch_execz .LBB71_121
; %bb.120:
	v_add_f64_e64 v[74:75], v[79:80], -v[7:8]
	s_mov_b32 s20, 0x652b82fe
	s_mov_b32 s21, 0x3ff71547
	;; [unrolled: 1-line block ×10, first 2 shown]
	s_wait_alu 0xfffe
	s_delay_alu instid0(VALU_DEP_1) | instskip(SKIP_3) | instid1(VALU_DEP_2)
	v_mul_f64_e32 v[76:77], s[20:21], v[74:75]
	s_mov_b32 s20, 0xfca7ab0c
	s_mov_b32 s21, 0x3e928af3
	v_cmp_nlt_f64_e32 vcc_lo, 0x40900000, v[74:75]
	v_rndne_f64_e32 v[76:77], v[76:77]
	s_delay_alu instid0(VALU_DEP_1) | instskip(SKIP_2) | instid1(VALU_DEP_2)
	v_fma_f64 v[78:79], v[76:77], s[42:43], v[74:75]
	v_cvt_i32_f64_e32 v10, v[76:77]
	s_mov_b32 s43, 0x3fe62e42
	v_fma_f64 v[78:79], v[76:77], s[44:45], v[78:79]
	s_mov_b32 s45, 0x3c7abc9e
	s_wait_alu 0xfffe
	s_delay_alu instid0(VALU_DEP_1)
	v_fma_f64 v[80:81], v[78:79], s[48:49], s[20:21]
	s_mov_b32 s20, 0x623fde64
	s_mov_b32 s21, 0x3ec71dee
	;; [unrolled: 1-line block ×4, first 2 shown]
	s_wait_alu 0xfffe
	s_delay_alu instid0(VALU_DEP_1) | instskip(SKIP_3) | instid1(VALU_DEP_1)
	v_fma_f64 v[80:81], v[78:79], v[80:81], s[20:21]
	s_mov_b32 s20, 0x7c89e6b0
	s_mov_b32 s21, 0x3efa0199
	s_wait_alu 0xfffe
	v_fma_f64 v[80:81], v[78:79], v[80:81], s[20:21]
	s_mov_b32 s20, 0x14761f6e
	s_mov_b32 s21, 0x3f2a01a0
	s_wait_alu 0xfffe
	s_delay_alu instid0(VALU_DEP_1) | instskip(SKIP_3) | instid1(VALU_DEP_1)
	v_fma_f64 v[80:81], v[78:79], v[80:81], s[20:21]
	s_mov_b32 s20, 0x1852b7b0
	s_mov_b32 s21, 0x3f56c16c
	s_wait_alu 0xfffe
	v_fma_f64 v[80:81], v[78:79], v[80:81], s[20:21]
	s_mov_b32 s20, 0x11122322
	s_mov_b32 s21, 0x3f811111
	;; [unrolled: 9-line block ×3, first 2 shown]
	s_wait_alu 0xfffe
	s_delay_alu instid0(VALU_DEP_1) | instskip(SKIP_3) | instid1(VALU_DEP_1)
	v_fma_f64 v[80:81], v[78:79], v[80:81], s[20:21]
	s_mov_b32 s20, 11
	s_mov_b32 s21, 0x3fe00000
	s_wait_alu 0xfffe
	v_fma_f64 v[80:81], v[78:79], v[80:81], s[20:21]
	v_cmp_ngt_f64_e64 s20, 0xc090cc00, v[74:75]
	s_mov_b32 s21, 0x3fe55555
	v_fma_f64 v[80:81], v[78:79], v[80:81], 1.0
	s_delay_alu instid0(VALU_DEP_1) | instskip(NEXT) | instid1(VALU_DEP_1)
	v_fma_f64 v[76:77], v[78:79], v[80:81], 1.0
	v_ldexp_f64 v[76:77], v[76:77], v10
	s_wait_alu 0xfffd
	s_delay_alu instid0(VALU_DEP_1) | instskip(SKIP_2) | instid1(VALU_DEP_2)
	v_cndmask_b32_e32 v10, 0x7ff00000, v77, vcc_lo
	s_and_b32 vcc_lo, s20, vcc_lo
	s_wait_alu 0xfffe
	v_cndmask_b32_e32 v74, 0, v76, vcc_lo
	s_delay_alu instid0(VALU_DEP_2) | instskip(SKIP_1) | instid1(VALU_DEP_1)
	v_cndmask_b32_e64 v75, 0, v10, s20
	s_mov_b32 s20, 0x55555555
	v_add_f64_e32 v[76:77], 1.0, v[74:75]
	s_delay_alu instid0(VALU_DEP_1) | instskip(SKIP_3) | instid1(VALU_DEP_3)
	v_frexp_mant_f64_e32 v[78:79], v[76:77]
	v_frexp_exp_i32_f64_e32 v10, v[76:77]
	v_add_f64_e32 v[80:81], -1.0, v[76:77]
	s_wait_alu 0xfffe
	v_cmp_gt_f64_e32 vcc_lo, s[20:21], v[78:79]
	s_mov_b32 s20, 0x55555780
	s_delay_alu instid0(VALU_DEP_2) | instskip(SKIP_3) | instid1(VALU_DEP_3)
	v_add_f64_e64 v[78:79], v[80:81], -v[76:77]
	v_add_f64_e64 v[80:81], v[74:75], -v[80:81]
	s_wait_alu 0xfffd
	v_subrev_co_ci_u32_e64 v10, null, 0, v10, vcc_lo
	v_add_f64_e32 v[78:79], 1.0, v[78:79]
	v_cmp_nge_f64_e32 vcc_lo, -1.0, v[74:75]
	s_delay_alu instid0(VALU_DEP_3) | instskip(NEXT) | instid1(VALU_DEP_1)
	v_sub_nc_u32_e32 v82, 0, v10
	v_ldexp_f64 v[76:77], v[76:77], v82
	s_delay_alu instid0(VALU_DEP_4) | instskip(NEXT) | instid1(VALU_DEP_2)
	v_add_f64_e32 v[78:79], v[80:81], v[78:79]
	v_add_f64_e32 v[114:115], 1.0, v[76:77]
	v_add_f64_e32 v[120:121], -1.0, v[76:77]
	s_delay_alu instid0(VALU_DEP_3) | instskip(NEXT) | instid1(VALU_DEP_3)
	v_ldexp_f64 v[78:79], v[78:79], v82
	v_add_f64_e32 v[80:81], -1.0, v[114:115]
	s_delay_alu instid0(VALU_DEP_3) | instskip(NEXT) | instid1(VALU_DEP_2)
	v_add_f64_e32 v[122:123], 1.0, v[120:121]
	v_add_f64_e64 v[80:81], v[76:77], -v[80:81]
	s_delay_alu instid0(VALU_DEP_2) | instskip(NEXT) | instid1(VALU_DEP_2)
	v_add_f64_e64 v[76:77], v[76:77], -v[122:123]
	v_add_f64_e32 v[80:81], v[78:79], v[80:81]
	s_delay_alu instid0(VALU_DEP_2) | instskip(NEXT) | instid1(VALU_DEP_2)
	v_add_f64_e32 v[76:77], v[78:79], v[76:77]
	v_add_f64_e32 v[116:117], v[114:115], v[80:81]
	s_delay_alu instid0(VALU_DEP_2) | instskip(NEXT) | instid1(VALU_DEP_2)
	v_add_f64_e32 v[122:123], v[120:121], v[76:77]
	v_rcp_f64_e32 v[118:119], v[116:117]
	v_add_f64_e64 v[114:115], v[116:117], -v[114:115]
	s_delay_alu instid0(VALU_DEP_2) | instskip(NEXT) | instid1(VALU_DEP_2)
	v_add_f64_e64 v[120:121], v[122:123], -v[120:121]
	v_add_f64_e64 v[80:81], v[80:81], -v[114:115]
	s_delay_alu instid0(TRANS32_DEP_1) | instskip(NEXT) | instid1(VALU_DEP_3)
	v_fma_f64 v[124:125], -v[116:117], v[118:119], 1.0
	v_add_f64_e64 v[76:77], v[76:77], -v[120:121]
	s_delay_alu instid0(VALU_DEP_2) | instskip(NEXT) | instid1(VALU_DEP_1)
	v_fma_f64 v[118:119], v[124:125], v[118:119], v[118:119]
	v_fma_f64 v[78:79], -v[116:117], v[118:119], 1.0
	s_delay_alu instid0(VALU_DEP_1) | instskip(NEXT) | instid1(VALU_DEP_1)
	v_fma_f64 v[78:79], v[78:79], v[118:119], v[118:119]
	v_mul_f64_e32 v[118:119], v[122:123], v[78:79]
	s_delay_alu instid0(VALU_DEP_1) | instskip(NEXT) | instid1(VALU_DEP_1)
	v_mul_f64_e32 v[124:125], v[116:117], v[118:119]
	v_fma_f64 v[114:115], v[118:119], v[116:117], -v[124:125]
	s_delay_alu instid0(VALU_DEP_1) | instskip(NEXT) | instid1(VALU_DEP_1)
	v_fma_f64 v[114:115], v[118:119], v[80:81], v[114:115]
	v_add_f64_e32 v[126:127], v[124:125], v[114:115]
	s_delay_alu instid0(VALU_DEP_1) | instskip(SKIP_1) | instid1(VALU_DEP_2)
	v_add_f64_e64 v[128:129], v[122:123], -v[126:127]
	v_add_f64_e64 v[120:121], v[126:127], -v[124:125]
	;; [unrolled: 1-line block ×3, first 2 shown]
	s_delay_alu instid0(VALU_DEP_2) | instskip(NEXT) | instid1(VALU_DEP_2)
	v_add_f64_e64 v[114:115], v[120:121], -v[114:115]
	v_add_f64_e64 v[122:123], v[122:123], -v[126:127]
	s_delay_alu instid0(VALU_DEP_1) | instskip(NEXT) | instid1(VALU_DEP_1)
	v_add_f64_e32 v[76:77], v[76:77], v[122:123]
	v_add_f64_e32 v[76:77], v[114:115], v[76:77]
	s_delay_alu instid0(VALU_DEP_1) | instskip(NEXT) | instid1(VALU_DEP_1)
	v_add_f64_e32 v[114:115], v[128:129], v[76:77]
	v_mul_f64_e32 v[120:121], v[78:79], v[114:115]
	v_add_f64_e64 v[126:127], v[128:129], -v[114:115]
	s_delay_alu instid0(VALU_DEP_2) | instskip(NEXT) | instid1(VALU_DEP_2)
	v_mul_f64_e32 v[122:123], v[116:117], v[120:121]
	v_add_f64_e32 v[76:77], v[76:77], v[126:127]
	s_delay_alu instid0(VALU_DEP_2) | instskip(NEXT) | instid1(VALU_DEP_1)
	v_fma_f64 v[116:117], v[120:121], v[116:117], -v[122:123]
	v_fma_f64 v[80:81], v[120:121], v[80:81], v[116:117]
	s_delay_alu instid0(VALU_DEP_1) | instskip(NEXT) | instid1(VALU_DEP_1)
	v_add_f64_e32 v[116:117], v[122:123], v[80:81]
	v_add_f64_e64 v[124:125], v[114:115], -v[116:117]
	v_add_f64_e64 v[122:123], v[116:117], -v[122:123]
	s_delay_alu instid0(VALU_DEP_2) | instskip(NEXT) | instid1(VALU_DEP_2)
	v_add_f64_e64 v[114:115], v[114:115], -v[124:125]
	v_add_f64_e64 v[80:81], v[122:123], -v[80:81]
	s_delay_alu instid0(VALU_DEP_2) | instskip(NEXT) | instid1(VALU_DEP_1)
	v_add_f64_e64 v[114:115], v[114:115], -v[116:117]
	v_add_f64_e32 v[76:77], v[76:77], v[114:115]
	v_add_f64_e32 v[114:115], v[118:119], v[120:121]
	s_delay_alu instid0(VALU_DEP_2) | instskip(NEXT) | instid1(VALU_DEP_2)
	v_add_f64_e32 v[76:77], v[80:81], v[76:77]
	v_add_f64_e64 v[80:81], v[114:115], -v[118:119]
	s_delay_alu instid0(VALU_DEP_2) | instskip(NEXT) | instid1(VALU_DEP_2)
	v_add_f64_e32 v[76:77], v[124:125], v[76:77]
	v_add_f64_e64 v[80:81], v[120:121], -v[80:81]
	s_delay_alu instid0(VALU_DEP_2) | instskip(NEXT) | instid1(VALU_DEP_1)
	v_mul_f64_e32 v[76:77], v[78:79], v[76:77]
	v_add_f64_e32 v[76:77], v[80:81], v[76:77]
	s_delay_alu instid0(VALU_DEP_1) | instskip(NEXT) | instid1(VALU_DEP_1)
	v_add_f64_e32 v[78:79], v[114:115], v[76:77]
	v_mul_f64_e32 v[80:81], v[78:79], v[78:79]
	s_delay_alu instid0(VALU_DEP_1) | instskip(SKIP_4) | instid1(VALU_DEP_2)
	v_fma_f64 v[116:117], v[80:81], s[50:51], s[48:49]
	s_mov_b32 s48, 0xd7f4df2e
	s_mov_b32 s49, 0x3fc7474d
	v_mul_f64_e32 v[118:119], v[78:79], v[80:81]
	s_wait_alu 0xfffe
	v_fma_f64 v[116:117], v[80:81], v[116:117], s[48:49]
	s_mov_b32 s48, 0x16291751
	s_mov_b32 s49, 0x3fcc71c0
	s_wait_alu 0xfffe
	s_delay_alu instid0(VALU_DEP_1) | instskip(SKIP_3) | instid1(VALU_DEP_1)
	v_fma_f64 v[116:117], v[80:81], v[116:117], s[48:49]
	s_mov_b32 s48, 0x9b27acf1
	s_mov_b32 s49, 0x3fd24924
	s_wait_alu 0xfffe
	v_fma_f64 v[116:117], v[80:81], v[116:117], s[48:49]
	s_mov_b32 s48, 0x998ef7b6
	s_mov_b32 s49, 0x3fd99999
	s_wait_alu 0xfffe
	s_delay_alu instid0(VALU_DEP_1) | instskip(NEXT) | instid1(VALU_DEP_1)
	v_fma_f64 v[116:117], v[80:81], v[116:117], s[48:49]
	v_fma_f64 v[80:81], v[80:81], v[116:117], s[20:21]
	v_ldexp_f64 v[116:117], v[78:79], 1
	v_add_f64_e64 v[78:79], v[78:79], -v[114:115]
	v_cmp_neq_f64_e64 s20, 0x7ff00000, v[74:75]
	v_cmp_ngt_f64_e64 s21, -1.0, v[74:75]
	v_mul_f64_e32 v[80:81], v[118:119], v[80:81]
	v_cvt_f64_i32_e32 v[118:119], v10
	v_add_f64_e64 v[76:77], v[76:77], -v[78:79]
	s_and_b32 vcc_lo, vcc_lo, s20
	s_delay_alu instid0(VALU_DEP_3) | instskip(NEXT) | instid1(VALU_DEP_3)
	v_add_f64_e32 v[114:115], v[116:117], v[80:81]
	v_mul_f64_e32 v[120:121], s[42:43], v[118:119]
	s_delay_alu instid0(VALU_DEP_3) | instskip(NEXT) | instid1(VALU_DEP_3)
	v_ldexp_f64 v[76:77], v[76:77], 1
	v_add_f64_e64 v[78:79], v[114:115], -v[116:117]
	s_delay_alu instid0(VALU_DEP_3) | instskip(NEXT) | instid1(VALU_DEP_2)
	v_fma_f64 v[116:117], v[118:119], s[42:43], -v[120:121]
	v_add_f64_e64 v[78:79], v[80:81], -v[78:79]
	s_delay_alu instid0(VALU_DEP_2) | instskip(NEXT) | instid1(VALU_DEP_2)
	v_fma_f64 v[80:81], v[118:119], s[44:45], v[116:117]
	v_add_f64_e32 v[76:77], v[76:77], v[78:79]
	s_delay_alu instid0(VALU_DEP_2) | instskip(NEXT) | instid1(VALU_DEP_2)
	v_add_f64_e32 v[78:79], v[120:121], v[80:81]
	v_add_f64_e32 v[116:117], v[114:115], v[76:77]
	s_delay_alu instid0(VALU_DEP_2) | instskip(NEXT) | instid1(VALU_DEP_2)
	v_add_f64_e64 v[120:121], v[78:79], -v[120:121]
	v_add_f64_e32 v[118:119], v[78:79], v[116:117]
	v_add_f64_e64 v[114:115], v[116:117], -v[114:115]
	s_delay_alu instid0(VALU_DEP_3) | instskip(NEXT) | instid1(VALU_DEP_3)
	v_add_f64_e64 v[80:81], v[80:81], -v[120:121]
	v_add_f64_e64 v[122:123], v[118:119], -v[78:79]
	s_delay_alu instid0(VALU_DEP_3) | instskip(NEXT) | instid1(VALU_DEP_2)
	v_add_f64_e64 v[76:77], v[76:77], -v[114:115]
	v_add_f64_e64 v[124:125], v[118:119], -v[122:123]
	v_add_f64_e64 v[114:115], v[116:117], -v[122:123]
	s_delay_alu instid0(VALU_DEP_3) | instskip(NEXT) | instid1(VALU_DEP_3)
	v_add_f64_e32 v[116:117], v[80:81], v[76:77]
	v_add_f64_e64 v[78:79], v[78:79], -v[124:125]
	s_delay_alu instid0(VALU_DEP_1) | instskip(NEXT) | instid1(VALU_DEP_3)
	v_add_f64_e32 v[78:79], v[114:115], v[78:79]
	v_add_f64_e64 v[114:115], v[116:117], -v[80:81]
	s_delay_alu instid0(VALU_DEP_2) | instskip(NEXT) | instid1(VALU_DEP_2)
	v_add_f64_e32 v[78:79], v[116:117], v[78:79]
	v_add_f64_e64 v[116:117], v[116:117], -v[114:115]
	v_add_f64_e64 v[76:77], v[76:77], -v[114:115]
	s_delay_alu instid0(VALU_DEP_3) | instskip(NEXT) | instid1(VALU_DEP_3)
	v_add_f64_e32 v[120:121], v[118:119], v[78:79]
	v_add_f64_e64 v[80:81], v[80:81], -v[116:117]
	s_delay_alu instid0(VALU_DEP_2) | instskip(NEXT) | instid1(VALU_DEP_2)
	v_add_f64_e64 v[114:115], v[120:121], -v[118:119]
	v_add_f64_e32 v[76:77], v[76:77], v[80:81]
	s_delay_alu instid0(VALU_DEP_2) | instskip(NEXT) | instid1(VALU_DEP_1)
	v_add_f64_e64 v[78:79], v[78:79], -v[114:115]
	v_add_f64_e32 v[76:77], v[76:77], v[78:79]
	s_delay_alu instid0(VALU_DEP_1) | instskip(SKIP_1) | instid1(VALU_DEP_1)
	v_add_f64_e32 v[76:77], v[120:121], v[76:77]
	s_wait_alu 0xfffe
	v_cndmask_b32_e32 v76, 0, v76, vcc_lo
	v_cmp_neq_f64_e32 vcc_lo, -1.0, v[74:75]
	s_delay_alu instid0(VALU_DEP_3) | instskip(NEXT) | instid1(VALU_DEP_1)
	v_cndmask_b32_e64 v10, 0x7ff00000, v77, s20
	v_cndmask_b32_e64 v10, 0x7ff80000, v10, s21
	s_wait_alu 0xfffd
	s_delay_alu instid0(VALU_DEP_1) | instskip(NEXT) | instid1(VALU_DEP_1)
	v_cndmask_b32_e32 v77, 0xfff00000, v10, vcc_lo
	v_add_f64_e32 v[74:75], v[7:8], v[76:77]
.LBB71_121:
	s_wait_alu 0xfffe
	s_or_b32 exec_lo, exec_lo, s47
	s_delay_alu instid0(VALU_DEP_1)
	v_dual_mov_b32 v78, v75 :: v_dual_mov_b32 v77, v74
.LBB71_122:
	s_wait_alu 0xfffe
	s_or_b32 exec_lo, exec_lo, s46
	s_wait_dscnt 0x1
	v_mov_b32_e32 v74, 0
	s_mov_b32 s42, 0x652b82fe
	s_mov_b32 s44, 0xfefa39ef
	;; [unrolled: 1-line block ×43, first 2 shown]
	s_branch .LBB71_125
.LBB71_123:                             ;   in Loop: Header=BB71_125 Depth=1
	s_or_b32 exec_lo, exec_lo, s89
	v_subrev_nc_u32_e32 v73, 32, v73
	s_mov_b32 s20, 0
.LBB71_124:                             ;   in Loop: Header=BB71_125 Depth=1
	s_wait_alu 0xfffe
	s_and_b32 vcc_lo, exec_lo, s20
	s_wait_alu 0xfffe
	s_cbranch_vccnz .LBB71_153
.LBB71_125:                             ; =>This Loop Header: Depth=1
                                        ;     Child Loop BB71_128 Depth 2
	v_and_b32_e32 v7, 0xff, v9
	s_wait_dscnt 0x0
	s_delay_alu instid0(VALU_DEP_3) | instskip(SKIP_1) | instid1(VALU_DEP_2)
	v_dual_mov_b32 v75, v77 :: v_dual_mov_b32 v76, v78
	s_mov_b32 s20, -1
                                        ; implicit-def: $vgpr77_vgpr78
                                        ; implicit-def: $vgpr9
	v_cmp_ne_u16_e32 vcc_lo, 2, v7
	s_cmp_lg_u32 vcc_lo, exec_lo
	s_cbranch_scc1 .LBB71_124
; %bb.126:                              ;   in Loop: Header=BB71_125 Depth=1
	v_lshlrev_b64_e32 v[7:8], 4, v[73:74]
	s_mov_b32 s20, exec_lo
	s_delay_alu instid0(VALU_DEP_1) | instskip(SKIP_1) | instid1(VALU_DEP_2)
	v_add_co_u32 v77, vcc_lo, s34, v7
	s_wait_alu 0xfffd
	v_add_co_ci_u32_e64 v78, null, s35, v8, vcc_lo
	;;#ASMSTART
	global_load_b128 v[7:10], v[77:78] off scope:SCOPE_DEV	
s_wait_loadcnt 0x0
	;;#ASMEND
	v_and_b32_e32 v10, 0xff, v9
	s_delay_alu instid0(VALU_DEP_1)
	v_cmpx_eq_u16_e32 0, v10
	s_cbranch_execz .LBB71_130
; %bb.127:                              ;   in Loop: Header=BB71_125 Depth=1
	s_mov_b32 s21, 0
.LBB71_128:                             ;   Parent Loop BB71_125 Depth=1
                                        ; =>  This Inner Loop Header: Depth=2
	;;#ASMSTART
	global_load_b128 v[7:10], v[77:78] off scope:SCOPE_DEV	
s_wait_loadcnt 0x0
	;;#ASMEND
	v_and_b32_e32 v10, 0xff, v9
	s_delay_alu instid0(VALU_DEP_1)
	v_cmp_ne_u16_e32 vcc_lo, 0, v10
	s_wait_alu 0xfffe
	s_or_b32 s21, vcc_lo, s21
	s_wait_alu 0xfffe
	s_and_not1_b32 exec_lo, exec_lo, s21
	s_cbranch_execnz .LBB71_128
; %bb.129:                              ;   in Loop: Header=BB71_125 Depth=1
	s_or_b32 exec_lo, exec_lo, s21
.LBB71_130:                             ;   in Loop: Header=BB71_125 Depth=1
	s_wait_alu 0xfffe
	s_or_b32 exec_lo, exec_lo, s20
	v_and_b32_e32 v10, 0xff, v9
	ds_bpermute_b32 v79, v104, v7
	ds_bpermute_b32 v80, v104, v8
	v_dual_mov_b32 v78, v8 :: v_dual_mov_b32 v77, v7
	v_cmp_eq_u16_e32 vcc_lo, 2, v10
	s_mov_b32 s89, exec_lo
	s_wait_alu 0xfffd
	v_and_or_b32 v10, vcc_lo, v105, 0x80000000
	s_delay_alu instid0(VALU_DEP_1) | instskip(NEXT) | instid1(VALU_DEP_1)
	v_ctz_i32_b32_e32 v10, v10
	v_cmpx_lt_u32_e64 v101, v10
	s_cbranch_execz .LBB71_134
; %bb.131:                              ;   in Loop: Header=BB71_125 Depth=1
	s_wait_dscnt 0x0
	v_max_num_f64_e32 v[77:78], v[79:80], v[79:80]
	v_max_num_f64_e32 v[81:82], v[7:8], v[7:8]
	v_cmp_u_f64_e32 vcc_lo, v[79:80], v[79:80]
	v_cmp_u_f64_e64 s20, v[7:8], v[7:8]
	s_delay_alu instid0(VALU_DEP_3) | instskip(SKIP_2) | instid1(VALU_DEP_2)
	v_min_num_f64_e32 v[114:115], v[77:78], v[81:82]
	v_max_num_f64_e32 v[77:78], v[77:78], v[81:82]
	s_wait_alu 0xfffd
	v_dual_cndmask_b32 v81, v115, v80 :: v_dual_cndmask_b32 v82, v114, v79
	s_delay_alu instid0(VALU_DEP_2) | instskip(SKIP_1) | instid1(VALU_DEP_2)
	v_dual_cndmask_b32 v114, v78, v80 :: v_dual_cndmask_b32 v115, v77, v79
	s_wait_alu 0xf1ff
	v_cndmask_b32_e64 v78, v81, v8, s20
	s_delay_alu instid0(VALU_DEP_3) | instskip(NEXT) | instid1(VALU_DEP_3)
	v_cndmask_b32_e64 v77, v82, v7, s20
	v_cndmask_b32_e64 v8, v114, v8, s20
	;; [unrolled: 1-line block ×3, first 2 shown]
	s_delay_alu instid0(VALU_DEP_3) | instskip(NEXT) | instid1(VALU_DEP_2)
	v_cmp_class_f64_e64 s20, v[77:78], 0x1f8
	v_cmp_neq_f64_e32 vcc_lo, v[77:78], v[7:8]
	s_or_b32 s20, vcc_lo, s20
	s_wait_alu 0xfffe
	s_and_saveexec_b32 s90, s20
	s_cbranch_execz .LBB71_133
; %bb.132:                              ;   in Loop: Header=BB71_125 Depth=1
	v_add_f64_e64 v[77:78], v[77:78], -v[7:8]
	s_mov_b32 s83, s69
	s_mov_b32 s84, s44
	;; [unrolled: 1-line block ×3, first 2 shown]
	s_delay_alu instid0(VALU_DEP_1) | instskip(SKIP_2) | instid1(VALU_DEP_3)
	v_mul_f64_e32 v[79:80], s[42:43], v[77:78]
	v_cmp_nlt_f64_e32 vcc_lo, 0x40900000, v[77:78]
	v_cmp_ngt_f64_e64 s20, 0xc090cc00, v[77:78]
	v_rndne_f64_e32 v[79:80], v[79:80]
	s_delay_alu instid0(VALU_DEP_1) | instskip(SKIP_1) | instid1(VALU_DEP_2)
	v_fma_f64 v[81:82], v[79:80], s[44:45], v[77:78]
	v_cvt_i32_f64_e32 v116, v[79:80]
	v_fma_f64 v[81:82], v[79:80], s[46:47], v[81:82]
	s_delay_alu instid0(VALU_DEP_1) | instskip(NEXT) | instid1(VALU_DEP_1)
	v_fma_f64 v[114:115], v[81:82], s[50:51], s[48:49]
	v_fma_f64 v[114:115], v[81:82], v[114:115], s[52:53]
	s_delay_alu instid0(VALU_DEP_1) | instskip(NEXT) | instid1(VALU_DEP_1)
	v_fma_f64 v[114:115], v[81:82], v[114:115], s[54:55]
	;; [unrolled: 3-line block ×5, first 2 shown]
	v_fma_f64 v[114:115], v[81:82], v[114:115], 1.0
	s_delay_alu instid0(VALU_DEP_1) | instskip(NEXT) | instid1(VALU_DEP_1)
	v_fma_f64 v[79:80], v[81:82], v[114:115], 1.0
	v_ldexp_f64 v[79:80], v[79:80], v116
	s_wait_alu 0xfffd
	s_delay_alu instid0(VALU_DEP_1) | instskip(SKIP_2) | instid1(VALU_DEP_2)
	v_cndmask_b32_e32 v80, 0x7ff00000, v80, vcc_lo
	s_and_b32 vcc_lo, s20, vcc_lo
	s_wait_alu 0xfffe
	v_cndmask_b32_e32 v77, 0, v79, vcc_lo
	s_delay_alu instid0(VALU_DEP_2) | instskip(NEXT) | instid1(VALU_DEP_1)
	v_cndmask_b32_e64 v78, 0, v80, s20
	v_add_f64_e32 v[79:80], 1.0, v[77:78]
	v_cmp_neq_f64_e64 s20, 0x7ff00000, v[77:78]
	v_cmp_ngt_f64_e64 s21, -1.0, v[77:78]
	s_delay_alu instid0(VALU_DEP_3) | instskip(SKIP_2) | instid1(VALU_DEP_3)
	v_frexp_mant_f64_e32 v[81:82], v[79:80]
	v_frexp_exp_i32_f64_e32 v116, v[79:80]
	v_add_f64_e32 v[114:115], -1.0, v[79:80]
	v_cmp_gt_f64_e32 vcc_lo, s[68:69], v[81:82]
	s_delay_alu instid0(VALU_DEP_2) | instskip(SKIP_3) | instid1(VALU_DEP_3)
	v_add_f64_e64 v[81:82], v[114:115], -v[79:80]
	v_add_f64_e64 v[114:115], v[77:78], -v[114:115]
	s_wait_alu 0xfffd
	v_subrev_co_ci_u32_e64 v132, null, 0, v116, vcc_lo
	v_add_f64_e32 v[81:82], 1.0, v[81:82]
	v_cmp_nge_f64_e32 vcc_lo, -1.0, v[77:78]
	s_delay_alu instid0(VALU_DEP_3) | instskip(NEXT) | instid1(VALU_DEP_1)
	v_sub_nc_u32_e32 v118, 0, v132
	v_ldexp_f64 v[79:80], v[79:80], v118
	s_delay_alu instid0(VALU_DEP_4) | instskip(SKIP_1) | instid1(VALU_DEP_2)
	v_add_f64_e32 v[81:82], v[114:115], v[81:82]
	s_and_b32 vcc_lo, vcc_lo, s20
	v_add_f64_e32 v[116:117], 1.0, v[79:80]
	v_add_f64_e32 v[122:123], -1.0, v[79:80]
	s_delay_alu instid0(VALU_DEP_3) | instskip(NEXT) | instid1(VALU_DEP_3)
	v_ldexp_f64 v[81:82], v[81:82], v118
	v_add_f64_e32 v[114:115], -1.0, v[116:117]
	s_delay_alu instid0(VALU_DEP_3) | instskip(NEXT) | instid1(VALU_DEP_2)
	v_add_f64_e32 v[124:125], 1.0, v[122:123]
	v_add_f64_e64 v[114:115], v[79:80], -v[114:115]
	s_delay_alu instid0(VALU_DEP_2) | instskip(NEXT) | instid1(VALU_DEP_2)
	v_add_f64_e64 v[79:80], v[79:80], -v[124:125]
	v_add_f64_e32 v[114:115], v[81:82], v[114:115]
	s_delay_alu instid0(VALU_DEP_2) | instskip(NEXT) | instid1(VALU_DEP_2)
	v_add_f64_e32 v[79:80], v[81:82], v[79:80]
	v_add_f64_e32 v[118:119], v[116:117], v[114:115]
	s_delay_alu instid0(VALU_DEP_2) | instskip(NEXT) | instid1(VALU_DEP_2)
	v_add_f64_e32 v[124:125], v[122:123], v[79:80]
	v_rcp_f64_e32 v[120:121], v[118:119]
	v_add_f64_e64 v[116:117], v[118:119], -v[116:117]
	s_delay_alu instid0(VALU_DEP_2) | instskip(NEXT) | instid1(VALU_DEP_2)
	v_add_f64_e64 v[122:123], v[124:125], -v[122:123]
	v_add_f64_e64 v[114:115], v[114:115], -v[116:117]
	s_delay_alu instid0(TRANS32_DEP_1) | instskip(NEXT) | instid1(VALU_DEP_3)
	v_fma_f64 v[126:127], -v[118:119], v[120:121], 1.0
	v_add_f64_e64 v[79:80], v[79:80], -v[122:123]
	s_delay_alu instid0(VALU_DEP_2) | instskip(NEXT) | instid1(VALU_DEP_1)
	v_fma_f64 v[120:121], v[126:127], v[120:121], v[120:121]
	v_fma_f64 v[81:82], -v[118:119], v[120:121], 1.0
	s_delay_alu instid0(VALU_DEP_1) | instskip(NEXT) | instid1(VALU_DEP_1)
	v_fma_f64 v[81:82], v[81:82], v[120:121], v[120:121]
	v_mul_f64_e32 v[120:121], v[124:125], v[81:82]
	s_delay_alu instid0(VALU_DEP_1) | instskip(NEXT) | instid1(VALU_DEP_1)
	v_mul_f64_e32 v[126:127], v[118:119], v[120:121]
	v_fma_f64 v[116:117], v[120:121], v[118:119], -v[126:127]
	s_delay_alu instid0(VALU_DEP_1) | instskip(NEXT) | instid1(VALU_DEP_1)
	v_fma_f64 v[116:117], v[120:121], v[114:115], v[116:117]
	v_add_f64_e32 v[128:129], v[126:127], v[116:117]
	s_delay_alu instid0(VALU_DEP_1) | instskip(SKIP_1) | instid1(VALU_DEP_2)
	v_add_f64_e64 v[130:131], v[124:125], -v[128:129]
	v_add_f64_e64 v[122:123], v[128:129], -v[126:127]
	;; [unrolled: 1-line block ×3, first 2 shown]
	s_delay_alu instid0(VALU_DEP_2) | instskip(NEXT) | instid1(VALU_DEP_2)
	v_add_f64_e64 v[116:117], v[122:123], -v[116:117]
	v_add_f64_e64 v[124:125], v[124:125], -v[128:129]
	s_delay_alu instid0(VALU_DEP_1) | instskip(NEXT) | instid1(VALU_DEP_1)
	v_add_f64_e32 v[79:80], v[79:80], v[124:125]
	v_add_f64_e32 v[79:80], v[116:117], v[79:80]
	s_delay_alu instid0(VALU_DEP_1) | instskip(NEXT) | instid1(VALU_DEP_1)
	v_add_f64_e32 v[116:117], v[130:131], v[79:80]
	v_mul_f64_e32 v[122:123], v[81:82], v[116:117]
	v_add_f64_e64 v[128:129], v[130:131], -v[116:117]
	s_delay_alu instid0(VALU_DEP_2) | instskip(NEXT) | instid1(VALU_DEP_2)
	v_mul_f64_e32 v[124:125], v[118:119], v[122:123]
	v_add_f64_e32 v[79:80], v[79:80], v[128:129]
	s_delay_alu instid0(VALU_DEP_2) | instskip(NEXT) | instid1(VALU_DEP_1)
	v_fma_f64 v[118:119], v[122:123], v[118:119], -v[124:125]
	v_fma_f64 v[114:115], v[122:123], v[114:115], v[118:119]
	s_delay_alu instid0(VALU_DEP_1) | instskip(NEXT) | instid1(VALU_DEP_1)
	v_add_f64_e32 v[118:119], v[124:125], v[114:115]
	v_add_f64_e64 v[126:127], v[116:117], -v[118:119]
	v_add_f64_e64 v[124:125], v[118:119], -v[124:125]
	s_delay_alu instid0(VALU_DEP_2) | instskip(NEXT) | instid1(VALU_DEP_2)
	v_add_f64_e64 v[116:117], v[116:117], -v[126:127]
	v_add_f64_e64 v[114:115], v[124:125], -v[114:115]
	s_delay_alu instid0(VALU_DEP_2) | instskip(NEXT) | instid1(VALU_DEP_1)
	v_add_f64_e64 v[116:117], v[116:117], -v[118:119]
	v_add_f64_e32 v[79:80], v[79:80], v[116:117]
	v_add_f64_e32 v[116:117], v[120:121], v[122:123]
	s_delay_alu instid0(VALU_DEP_2) | instskip(NEXT) | instid1(VALU_DEP_2)
	v_add_f64_e32 v[79:80], v[114:115], v[79:80]
	v_add_f64_e64 v[114:115], v[116:117], -v[120:121]
	s_delay_alu instid0(VALU_DEP_2) | instskip(NEXT) | instid1(VALU_DEP_2)
	v_add_f64_e32 v[79:80], v[126:127], v[79:80]
	v_add_f64_e64 v[114:115], v[122:123], -v[114:115]
	s_delay_alu instid0(VALU_DEP_2) | instskip(NEXT) | instid1(VALU_DEP_1)
	v_mul_f64_e32 v[79:80], v[81:82], v[79:80]
	v_add_f64_e32 v[79:80], v[114:115], v[79:80]
	s_delay_alu instid0(VALU_DEP_1) | instskip(NEXT) | instid1(VALU_DEP_1)
	v_add_f64_e32 v[81:82], v[116:117], v[79:80]
	v_mul_f64_e32 v[114:115], v[81:82], v[81:82]
	s_delay_alu instid0(VALU_DEP_1) | instskip(SKIP_1) | instid1(VALU_DEP_2)
	v_fma_f64 v[118:119], v[114:115], s[72:73], s[70:71]
	v_mul_f64_e32 v[120:121], v[81:82], v[114:115]
	v_fma_f64 v[118:119], v[114:115], v[118:119], s[74:75]
	s_delay_alu instid0(VALU_DEP_1) | instskip(NEXT) | instid1(VALU_DEP_1)
	v_fma_f64 v[118:119], v[114:115], v[118:119], s[76:77]
	v_fma_f64 v[118:119], v[114:115], v[118:119], s[78:79]
	s_delay_alu instid0(VALU_DEP_1) | instskip(NEXT) | instid1(VALU_DEP_1)
	v_fma_f64 v[118:119], v[114:115], v[118:119], s[80:81]
	v_fma_f64 v[114:115], v[114:115], v[118:119], s[82:83]
	v_ldexp_f64 v[118:119], v[81:82], 1
	v_add_f64_e64 v[81:82], v[81:82], -v[116:117]
	s_delay_alu instid0(VALU_DEP_3) | instskip(SKIP_1) | instid1(VALU_DEP_3)
	v_mul_f64_e32 v[114:115], v[120:121], v[114:115]
	v_cvt_f64_i32_e32 v[120:121], v132
	v_add_f64_e64 v[79:80], v[79:80], -v[81:82]
	s_delay_alu instid0(VALU_DEP_3) | instskip(NEXT) | instid1(VALU_DEP_3)
	v_add_f64_e32 v[116:117], v[118:119], v[114:115]
	v_mul_f64_e32 v[122:123], s[84:85], v[120:121]
	s_delay_alu instid0(VALU_DEP_3) | instskip(NEXT) | instid1(VALU_DEP_3)
	v_ldexp_f64 v[79:80], v[79:80], 1
	v_add_f64_e64 v[81:82], v[116:117], -v[118:119]
	s_delay_alu instid0(VALU_DEP_3) | instskip(NEXT) | instid1(VALU_DEP_2)
	v_fma_f64 v[118:119], v[120:121], s[84:85], -v[122:123]
	v_add_f64_e64 v[81:82], v[114:115], -v[81:82]
	s_delay_alu instid0(VALU_DEP_2) | instskip(NEXT) | instid1(VALU_DEP_2)
	v_fma_f64 v[114:115], v[120:121], s[86:87], v[118:119]
	v_add_f64_e32 v[79:80], v[79:80], v[81:82]
	s_delay_alu instid0(VALU_DEP_2) | instskip(NEXT) | instid1(VALU_DEP_2)
	v_add_f64_e32 v[81:82], v[122:123], v[114:115]
	v_add_f64_e32 v[118:119], v[116:117], v[79:80]
	s_delay_alu instid0(VALU_DEP_2) | instskip(NEXT) | instid1(VALU_DEP_2)
	v_add_f64_e64 v[122:123], v[81:82], -v[122:123]
	v_add_f64_e32 v[120:121], v[81:82], v[118:119]
	v_add_f64_e64 v[116:117], v[118:119], -v[116:117]
	s_delay_alu instid0(VALU_DEP_3) | instskip(NEXT) | instid1(VALU_DEP_3)
	v_add_f64_e64 v[114:115], v[114:115], -v[122:123]
	v_add_f64_e64 v[124:125], v[120:121], -v[81:82]
	s_delay_alu instid0(VALU_DEP_3) | instskip(NEXT) | instid1(VALU_DEP_2)
	v_add_f64_e64 v[79:80], v[79:80], -v[116:117]
	v_add_f64_e64 v[126:127], v[120:121], -v[124:125]
	;; [unrolled: 1-line block ×3, first 2 shown]
	s_delay_alu instid0(VALU_DEP_3) | instskip(NEXT) | instid1(VALU_DEP_3)
	v_add_f64_e32 v[118:119], v[114:115], v[79:80]
	v_add_f64_e64 v[81:82], v[81:82], -v[126:127]
	s_delay_alu instid0(VALU_DEP_1) | instskip(NEXT) | instid1(VALU_DEP_3)
	v_add_f64_e32 v[81:82], v[116:117], v[81:82]
	v_add_f64_e64 v[116:117], v[118:119], -v[114:115]
	s_delay_alu instid0(VALU_DEP_2) | instskip(NEXT) | instid1(VALU_DEP_2)
	v_add_f64_e32 v[81:82], v[118:119], v[81:82]
	v_add_f64_e64 v[118:119], v[118:119], -v[116:117]
	v_add_f64_e64 v[79:80], v[79:80], -v[116:117]
	s_delay_alu instid0(VALU_DEP_3) | instskip(NEXT) | instid1(VALU_DEP_3)
	v_add_f64_e32 v[122:123], v[120:121], v[81:82]
	v_add_f64_e64 v[114:115], v[114:115], -v[118:119]
	s_delay_alu instid0(VALU_DEP_2) | instskip(NEXT) | instid1(VALU_DEP_2)
	v_add_f64_e64 v[116:117], v[122:123], -v[120:121]
	v_add_f64_e32 v[79:80], v[79:80], v[114:115]
	s_delay_alu instid0(VALU_DEP_2) | instskip(NEXT) | instid1(VALU_DEP_1)
	v_add_f64_e64 v[81:82], v[81:82], -v[116:117]
	v_add_f64_e32 v[79:80], v[79:80], v[81:82]
	s_delay_alu instid0(VALU_DEP_1) | instskip(SKIP_1) | instid1(VALU_DEP_1)
	v_add_f64_e32 v[79:80], v[122:123], v[79:80]
	s_wait_alu 0xfffe
	v_cndmask_b32_e32 v79, 0, v79, vcc_lo
	v_cmp_neq_f64_e32 vcc_lo, -1.0, v[77:78]
	s_delay_alu instid0(VALU_DEP_3) | instskip(NEXT) | instid1(VALU_DEP_1)
	v_cndmask_b32_e64 v80, 0x7ff00000, v80, s20
	v_cndmask_b32_e64 v80, 0x7ff80000, v80, s21
	s_wait_alu 0xfffd
	s_delay_alu instid0(VALU_DEP_1) | instskip(NEXT) | instid1(VALU_DEP_1)
	v_cndmask_b32_e32 v80, 0xfff00000, v80, vcc_lo
	v_add_f64_e32 v[79:80], v[7:8], v[79:80]
.LBB71_133:                             ;   in Loop: Header=BB71_125 Depth=1
	s_or_b32 exec_lo, exec_lo, s90
	s_delay_alu instid0(VALU_DEP_1)
	v_dual_mov_b32 v7, v79 :: v_dual_mov_b32 v8, v80
	v_dual_mov_b32 v77, v79 :: v_dual_mov_b32 v78, v80
.LBB71_134:                             ;   in Loop: Header=BB71_125 Depth=1
	s_or_b32 exec_lo, exec_lo, s89
	s_wait_dscnt 0x1
	ds_bpermute_b32 v79, v106, v7
	s_wait_dscnt 0x1
	ds_bpermute_b32 v80, v106, v8
	s_mov_b32 s89, exec_lo
	v_cmpx_le_u32_e64 v107, v10
	s_cbranch_execz .LBB71_138
; %bb.135:                              ;   in Loop: Header=BB71_125 Depth=1
	s_wait_dscnt 0x0
	v_max_num_f64_e32 v[7:8], v[79:80], v[79:80]
	v_max_num_f64_e32 v[81:82], v[77:78], v[77:78]
	v_cmp_u_f64_e32 vcc_lo, v[79:80], v[79:80]
	v_cmp_u_f64_e64 s20, v[77:78], v[77:78]
	s_delay_alu instid0(VALU_DEP_3) | instskip(SKIP_2) | instid1(VALU_DEP_2)
	v_min_num_f64_e32 v[114:115], v[7:8], v[81:82]
	v_max_num_f64_e32 v[7:8], v[7:8], v[81:82]
	s_wait_alu 0xfffd
	v_dual_cndmask_b32 v81, v115, v80 :: v_dual_cndmask_b32 v114, v114, v79
	s_delay_alu instid0(VALU_DEP_2) | instskip(SKIP_1) | instid1(VALU_DEP_2)
	v_dual_cndmask_b32 v8, v8, v80 :: v_dual_cndmask_b32 v7, v7, v79
	s_wait_alu 0xf1ff
	v_cndmask_b32_e64 v82, v81, v78, s20
	s_delay_alu instid0(VALU_DEP_3) | instskip(NEXT) | instid1(VALU_DEP_3)
	v_cndmask_b32_e64 v81, v114, v77, s20
	v_cndmask_b32_e64 v8, v8, v78, s20
	;; [unrolled: 1-line block ×3, first 2 shown]
	s_delay_alu instid0(VALU_DEP_3) | instskip(NEXT) | instid1(VALU_DEP_2)
	v_cmp_class_f64_e64 s20, v[81:82], 0x1f8
	v_cmp_neq_f64_e32 vcc_lo, v[81:82], v[7:8]
	s_or_b32 s20, vcc_lo, s20
	s_wait_alu 0xfffe
	s_and_saveexec_b32 s90, s20
	s_cbranch_execz .LBB71_137
; %bb.136:                              ;   in Loop: Header=BB71_125 Depth=1
	v_add_f64_e64 v[77:78], v[81:82], -v[7:8]
	s_mov_b32 s83, s69
	s_mov_b32 s84, s44
	;; [unrolled: 1-line block ×3, first 2 shown]
	s_delay_alu instid0(VALU_DEP_1) | instskip(SKIP_2) | instid1(VALU_DEP_3)
	v_mul_f64_e32 v[79:80], s[42:43], v[77:78]
	v_cmp_nlt_f64_e32 vcc_lo, 0x40900000, v[77:78]
	v_cmp_ngt_f64_e64 s20, 0xc090cc00, v[77:78]
	v_rndne_f64_e32 v[79:80], v[79:80]
	s_delay_alu instid0(VALU_DEP_1) | instskip(SKIP_1) | instid1(VALU_DEP_2)
	v_fma_f64 v[81:82], v[79:80], s[44:45], v[77:78]
	v_cvt_i32_f64_e32 v116, v[79:80]
	v_fma_f64 v[81:82], v[79:80], s[46:47], v[81:82]
	s_delay_alu instid0(VALU_DEP_1) | instskip(NEXT) | instid1(VALU_DEP_1)
	v_fma_f64 v[114:115], v[81:82], s[50:51], s[48:49]
	v_fma_f64 v[114:115], v[81:82], v[114:115], s[52:53]
	s_delay_alu instid0(VALU_DEP_1) | instskip(NEXT) | instid1(VALU_DEP_1)
	v_fma_f64 v[114:115], v[81:82], v[114:115], s[54:55]
	;; [unrolled: 3-line block ×5, first 2 shown]
	v_fma_f64 v[114:115], v[81:82], v[114:115], 1.0
	s_delay_alu instid0(VALU_DEP_1) | instskip(NEXT) | instid1(VALU_DEP_1)
	v_fma_f64 v[79:80], v[81:82], v[114:115], 1.0
	v_ldexp_f64 v[79:80], v[79:80], v116
	s_wait_alu 0xfffd
	s_delay_alu instid0(VALU_DEP_1) | instskip(SKIP_2) | instid1(VALU_DEP_2)
	v_cndmask_b32_e32 v80, 0x7ff00000, v80, vcc_lo
	s_and_b32 vcc_lo, s20, vcc_lo
	s_wait_alu 0xfffe
	v_cndmask_b32_e32 v77, 0, v79, vcc_lo
	s_delay_alu instid0(VALU_DEP_2) | instskip(NEXT) | instid1(VALU_DEP_1)
	v_cndmask_b32_e64 v78, 0, v80, s20
	v_add_f64_e32 v[79:80], 1.0, v[77:78]
	v_cmp_neq_f64_e64 s20, 0x7ff00000, v[77:78]
	v_cmp_ngt_f64_e64 s21, -1.0, v[77:78]
	s_delay_alu instid0(VALU_DEP_3) | instskip(SKIP_2) | instid1(VALU_DEP_3)
	v_frexp_mant_f64_e32 v[81:82], v[79:80]
	v_frexp_exp_i32_f64_e32 v116, v[79:80]
	v_add_f64_e32 v[114:115], -1.0, v[79:80]
	v_cmp_gt_f64_e32 vcc_lo, s[68:69], v[81:82]
	s_delay_alu instid0(VALU_DEP_2) | instskip(SKIP_3) | instid1(VALU_DEP_3)
	v_add_f64_e64 v[81:82], v[114:115], -v[79:80]
	v_add_f64_e64 v[114:115], v[77:78], -v[114:115]
	s_wait_alu 0xfffd
	v_subrev_co_ci_u32_e64 v132, null, 0, v116, vcc_lo
	v_add_f64_e32 v[81:82], 1.0, v[81:82]
	v_cmp_nge_f64_e32 vcc_lo, -1.0, v[77:78]
	s_delay_alu instid0(VALU_DEP_3) | instskip(NEXT) | instid1(VALU_DEP_1)
	v_sub_nc_u32_e32 v118, 0, v132
	v_ldexp_f64 v[79:80], v[79:80], v118
	s_delay_alu instid0(VALU_DEP_4) | instskip(SKIP_1) | instid1(VALU_DEP_2)
	v_add_f64_e32 v[81:82], v[114:115], v[81:82]
	s_and_b32 vcc_lo, vcc_lo, s20
	v_add_f64_e32 v[116:117], 1.0, v[79:80]
	v_add_f64_e32 v[122:123], -1.0, v[79:80]
	s_delay_alu instid0(VALU_DEP_3) | instskip(NEXT) | instid1(VALU_DEP_3)
	v_ldexp_f64 v[81:82], v[81:82], v118
	v_add_f64_e32 v[114:115], -1.0, v[116:117]
	s_delay_alu instid0(VALU_DEP_3) | instskip(NEXT) | instid1(VALU_DEP_2)
	v_add_f64_e32 v[124:125], 1.0, v[122:123]
	v_add_f64_e64 v[114:115], v[79:80], -v[114:115]
	s_delay_alu instid0(VALU_DEP_2) | instskip(NEXT) | instid1(VALU_DEP_2)
	v_add_f64_e64 v[79:80], v[79:80], -v[124:125]
	v_add_f64_e32 v[114:115], v[81:82], v[114:115]
	s_delay_alu instid0(VALU_DEP_2) | instskip(NEXT) | instid1(VALU_DEP_2)
	v_add_f64_e32 v[79:80], v[81:82], v[79:80]
	v_add_f64_e32 v[118:119], v[116:117], v[114:115]
	s_delay_alu instid0(VALU_DEP_2) | instskip(NEXT) | instid1(VALU_DEP_2)
	v_add_f64_e32 v[124:125], v[122:123], v[79:80]
	v_rcp_f64_e32 v[120:121], v[118:119]
	v_add_f64_e64 v[116:117], v[118:119], -v[116:117]
	s_delay_alu instid0(VALU_DEP_2) | instskip(NEXT) | instid1(VALU_DEP_2)
	v_add_f64_e64 v[122:123], v[124:125], -v[122:123]
	v_add_f64_e64 v[114:115], v[114:115], -v[116:117]
	s_delay_alu instid0(TRANS32_DEP_1) | instskip(NEXT) | instid1(VALU_DEP_3)
	v_fma_f64 v[126:127], -v[118:119], v[120:121], 1.0
	v_add_f64_e64 v[79:80], v[79:80], -v[122:123]
	s_delay_alu instid0(VALU_DEP_2) | instskip(NEXT) | instid1(VALU_DEP_1)
	v_fma_f64 v[120:121], v[126:127], v[120:121], v[120:121]
	v_fma_f64 v[81:82], -v[118:119], v[120:121], 1.0
	s_delay_alu instid0(VALU_DEP_1) | instskip(NEXT) | instid1(VALU_DEP_1)
	v_fma_f64 v[81:82], v[81:82], v[120:121], v[120:121]
	v_mul_f64_e32 v[120:121], v[124:125], v[81:82]
	s_delay_alu instid0(VALU_DEP_1) | instskip(NEXT) | instid1(VALU_DEP_1)
	v_mul_f64_e32 v[126:127], v[118:119], v[120:121]
	v_fma_f64 v[116:117], v[120:121], v[118:119], -v[126:127]
	s_delay_alu instid0(VALU_DEP_1) | instskip(NEXT) | instid1(VALU_DEP_1)
	v_fma_f64 v[116:117], v[120:121], v[114:115], v[116:117]
	v_add_f64_e32 v[128:129], v[126:127], v[116:117]
	s_delay_alu instid0(VALU_DEP_1) | instskip(SKIP_1) | instid1(VALU_DEP_2)
	v_add_f64_e64 v[130:131], v[124:125], -v[128:129]
	v_add_f64_e64 v[122:123], v[128:129], -v[126:127]
	;; [unrolled: 1-line block ×3, first 2 shown]
	s_delay_alu instid0(VALU_DEP_2) | instskip(NEXT) | instid1(VALU_DEP_2)
	v_add_f64_e64 v[116:117], v[122:123], -v[116:117]
	v_add_f64_e64 v[124:125], v[124:125], -v[128:129]
	s_delay_alu instid0(VALU_DEP_1) | instskip(NEXT) | instid1(VALU_DEP_1)
	v_add_f64_e32 v[79:80], v[79:80], v[124:125]
	v_add_f64_e32 v[79:80], v[116:117], v[79:80]
	s_delay_alu instid0(VALU_DEP_1) | instskip(NEXT) | instid1(VALU_DEP_1)
	v_add_f64_e32 v[116:117], v[130:131], v[79:80]
	v_mul_f64_e32 v[122:123], v[81:82], v[116:117]
	v_add_f64_e64 v[128:129], v[130:131], -v[116:117]
	s_delay_alu instid0(VALU_DEP_2) | instskip(NEXT) | instid1(VALU_DEP_2)
	v_mul_f64_e32 v[124:125], v[118:119], v[122:123]
	v_add_f64_e32 v[79:80], v[79:80], v[128:129]
	s_delay_alu instid0(VALU_DEP_2) | instskip(NEXT) | instid1(VALU_DEP_1)
	v_fma_f64 v[118:119], v[122:123], v[118:119], -v[124:125]
	v_fma_f64 v[114:115], v[122:123], v[114:115], v[118:119]
	s_delay_alu instid0(VALU_DEP_1) | instskip(NEXT) | instid1(VALU_DEP_1)
	v_add_f64_e32 v[118:119], v[124:125], v[114:115]
	v_add_f64_e64 v[126:127], v[116:117], -v[118:119]
	v_add_f64_e64 v[124:125], v[118:119], -v[124:125]
	s_delay_alu instid0(VALU_DEP_2) | instskip(NEXT) | instid1(VALU_DEP_2)
	v_add_f64_e64 v[116:117], v[116:117], -v[126:127]
	v_add_f64_e64 v[114:115], v[124:125], -v[114:115]
	s_delay_alu instid0(VALU_DEP_2) | instskip(NEXT) | instid1(VALU_DEP_1)
	v_add_f64_e64 v[116:117], v[116:117], -v[118:119]
	v_add_f64_e32 v[79:80], v[79:80], v[116:117]
	v_add_f64_e32 v[116:117], v[120:121], v[122:123]
	s_delay_alu instid0(VALU_DEP_2) | instskip(NEXT) | instid1(VALU_DEP_2)
	v_add_f64_e32 v[79:80], v[114:115], v[79:80]
	v_add_f64_e64 v[114:115], v[116:117], -v[120:121]
	s_delay_alu instid0(VALU_DEP_2) | instskip(NEXT) | instid1(VALU_DEP_2)
	v_add_f64_e32 v[79:80], v[126:127], v[79:80]
	v_add_f64_e64 v[114:115], v[122:123], -v[114:115]
	s_delay_alu instid0(VALU_DEP_2) | instskip(NEXT) | instid1(VALU_DEP_1)
	v_mul_f64_e32 v[79:80], v[81:82], v[79:80]
	v_add_f64_e32 v[79:80], v[114:115], v[79:80]
	s_delay_alu instid0(VALU_DEP_1) | instskip(NEXT) | instid1(VALU_DEP_1)
	v_add_f64_e32 v[81:82], v[116:117], v[79:80]
	v_mul_f64_e32 v[114:115], v[81:82], v[81:82]
	s_delay_alu instid0(VALU_DEP_1) | instskip(SKIP_1) | instid1(VALU_DEP_2)
	v_fma_f64 v[118:119], v[114:115], s[72:73], s[70:71]
	v_mul_f64_e32 v[120:121], v[81:82], v[114:115]
	v_fma_f64 v[118:119], v[114:115], v[118:119], s[74:75]
	s_delay_alu instid0(VALU_DEP_1) | instskip(NEXT) | instid1(VALU_DEP_1)
	v_fma_f64 v[118:119], v[114:115], v[118:119], s[76:77]
	v_fma_f64 v[118:119], v[114:115], v[118:119], s[78:79]
	s_delay_alu instid0(VALU_DEP_1) | instskip(NEXT) | instid1(VALU_DEP_1)
	v_fma_f64 v[118:119], v[114:115], v[118:119], s[80:81]
	v_fma_f64 v[114:115], v[114:115], v[118:119], s[82:83]
	v_ldexp_f64 v[118:119], v[81:82], 1
	v_add_f64_e64 v[81:82], v[81:82], -v[116:117]
	s_delay_alu instid0(VALU_DEP_3) | instskip(SKIP_1) | instid1(VALU_DEP_3)
	v_mul_f64_e32 v[114:115], v[120:121], v[114:115]
	v_cvt_f64_i32_e32 v[120:121], v132
	v_add_f64_e64 v[79:80], v[79:80], -v[81:82]
	s_delay_alu instid0(VALU_DEP_3) | instskip(NEXT) | instid1(VALU_DEP_3)
	v_add_f64_e32 v[116:117], v[118:119], v[114:115]
	v_mul_f64_e32 v[122:123], s[84:85], v[120:121]
	s_delay_alu instid0(VALU_DEP_3) | instskip(NEXT) | instid1(VALU_DEP_3)
	v_ldexp_f64 v[79:80], v[79:80], 1
	v_add_f64_e64 v[81:82], v[116:117], -v[118:119]
	s_delay_alu instid0(VALU_DEP_3) | instskip(NEXT) | instid1(VALU_DEP_2)
	v_fma_f64 v[118:119], v[120:121], s[84:85], -v[122:123]
	v_add_f64_e64 v[81:82], v[114:115], -v[81:82]
	s_delay_alu instid0(VALU_DEP_2) | instskip(NEXT) | instid1(VALU_DEP_2)
	v_fma_f64 v[114:115], v[120:121], s[86:87], v[118:119]
	v_add_f64_e32 v[79:80], v[79:80], v[81:82]
	s_delay_alu instid0(VALU_DEP_2) | instskip(NEXT) | instid1(VALU_DEP_2)
	v_add_f64_e32 v[81:82], v[122:123], v[114:115]
	v_add_f64_e32 v[118:119], v[116:117], v[79:80]
	s_delay_alu instid0(VALU_DEP_2) | instskip(NEXT) | instid1(VALU_DEP_2)
	v_add_f64_e64 v[122:123], v[81:82], -v[122:123]
	v_add_f64_e32 v[120:121], v[81:82], v[118:119]
	v_add_f64_e64 v[116:117], v[118:119], -v[116:117]
	s_delay_alu instid0(VALU_DEP_3) | instskip(NEXT) | instid1(VALU_DEP_3)
	v_add_f64_e64 v[114:115], v[114:115], -v[122:123]
	v_add_f64_e64 v[124:125], v[120:121], -v[81:82]
	s_delay_alu instid0(VALU_DEP_3) | instskip(NEXT) | instid1(VALU_DEP_2)
	v_add_f64_e64 v[79:80], v[79:80], -v[116:117]
	v_add_f64_e64 v[126:127], v[120:121], -v[124:125]
	;; [unrolled: 1-line block ×3, first 2 shown]
	s_delay_alu instid0(VALU_DEP_3) | instskip(NEXT) | instid1(VALU_DEP_3)
	v_add_f64_e32 v[118:119], v[114:115], v[79:80]
	v_add_f64_e64 v[81:82], v[81:82], -v[126:127]
	s_delay_alu instid0(VALU_DEP_1) | instskip(NEXT) | instid1(VALU_DEP_3)
	v_add_f64_e32 v[81:82], v[116:117], v[81:82]
	v_add_f64_e64 v[116:117], v[118:119], -v[114:115]
	s_delay_alu instid0(VALU_DEP_2) | instskip(NEXT) | instid1(VALU_DEP_2)
	v_add_f64_e32 v[81:82], v[118:119], v[81:82]
	v_add_f64_e64 v[118:119], v[118:119], -v[116:117]
	v_add_f64_e64 v[79:80], v[79:80], -v[116:117]
	s_delay_alu instid0(VALU_DEP_3) | instskip(NEXT) | instid1(VALU_DEP_3)
	v_add_f64_e32 v[122:123], v[120:121], v[81:82]
	v_add_f64_e64 v[114:115], v[114:115], -v[118:119]
	s_delay_alu instid0(VALU_DEP_2) | instskip(NEXT) | instid1(VALU_DEP_2)
	v_add_f64_e64 v[116:117], v[122:123], -v[120:121]
	v_add_f64_e32 v[79:80], v[79:80], v[114:115]
	s_delay_alu instid0(VALU_DEP_2) | instskip(NEXT) | instid1(VALU_DEP_1)
	v_add_f64_e64 v[81:82], v[81:82], -v[116:117]
	v_add_f64_e32 v[79:80], v[79:80], v[81:82]
	s_delay_alu instid0(VALU_DEP_1) | instskip(SKIP_1) | instid1(VALU_DEP_1)
	v_add_f64_e32 v[79:80], v[122:123], v[79:80]
	s_wait_alu 0xfffe
	v_cndmask_b32_e32 v79, 0, v79, vcc_lo
	v_cmp_neq_f64_e32 vcc_lo, -1.0, v[77:78]
	s_delay_alu instid0(VALU_DEP_3) | instskip(NEXT) | instid1(VALU_DEP_1)
	v_cndmask_b32_e64 v80, 0x7ff00000, v80, s20
	v_cndmask_b32_e64 v80, 0x7ff80000, v80, s21
	s_wait_alu 0xfffd
	s_delay_alu instid0(VALU_DEP_1) | instskip(NEXT) | instid1(VALU_DEP_1)
	v_cndmask_b32_e32 v80, 0xfff00000, v80, vcc_lo
	v_add_f64_e32 v[79:80], v[7:8], v[79:80]
.LBB71_137:                             ;   in Loop: Header=BB71_125 Depth=1
	s_or_b32 exec_lo, exec_lo, s90
	s_delay_alu instid0(VALU_DEP_1)
	v_dual_mov_b32 v7, v79 :: v_dual_mov_b32 v8, v80
	v_dual_mov_b32 v77, v79 :: v_dual_mov_b32 v78, v80
.LBB71_138:                             ;   in Loop: Header=BB71_125 Depth=1
	s_or_b32 exec_lo, exec_lo, s89
	s_wait_dscnt 0x1
	ds_bpermute_b32 v79, v108, v7
	s_wait_dscnt 0x1
	ds_bpermute_b32 v80, v108, v8
	s_mov_b32 s89, exec_lo
	v_cmpx_le_u32_e64 v109, v10
	s_cbranch_execz .LBB71_142
; %bb.139:                              ;   in Loop: Header=BB71_125 Depth=1
	s_wait_dscnt 0x0
	v_max_num_f64_e32 v[7:8], v[79:80], v[79:80]
	v_max_num_f64_e32 v[81:82], v[77:78], v[77:78]
	v_cmp_u_f64_e32 vcc_lo, v[79:80], v[79:80]
	v_cmp_u_f64_e64 s20, v[77:78], v[77:78]
	s_delay_alu instid0(VALU_DEP_3) | instskip(SKIP_2) | instid1(VALU_DEP_2)
	v_min_num_f64_e32 v[114:115], v[7:8], v[81:82]
	v_max_num_f64_e32 v[7:8], v[7:8], v[81:82]
	s_wait_alu 0xfffd
	v_dual_cndmask_b32 v81, v115, v80 :: v_dual_cndmask_b32 v114, v114, v79
	s_delay_alu instid0(VALU_DEP_2) | instskip(SKIP_1) | instid1(VALU_DEP_2)
	v_dual_cndmask_b32 v8, v8, v80 :: v_dual_cndmask_b32 v7, v7, v79
	s_wait_alu 0xf1ff
	v_cndmask_b32_e64 v82, v81, v78, s20
	s_delay_alu instid0(VALU_DEP_3) | instskip(NEXT) | instid1(VALU_DEP_3)
	v_cndmask_b32_e64 v81, v114, v77, s20
	v_cndmask_b32_e64 v8, v8, v78, s20
	;; [unrolled: 1-line block ×3, first 2 shown]
	s_delay_alu instid0(VALU_DEP_3) | instskip(NEXT) | instid1(VALU_DEP_2)
	v_cmp_class_f64_e64 s20, v[81:82], 0x1f8
	v_cmp_neq_f64_e32 vcc_lo, v[81:82], v[7:8]
	s_or_b32 s20, vcc_lo, s20
	s_wait_alu 0xfffe
	s_and_saveexec_b32 s90, s20
	s_cbranch_execz .LBB71_141
; %bb.140:                              ;   in Loop: Header=BB71_125 Depth=1
	v_add_f64_e64 v[77:78], v[81:82], -v[7:8]
	s_mov_b32 s83, s69
	s_mov_b32 s84, s44
	;; [unrolled: 1-line block ×3, first 2 shown]
	s_delay_alu instid0(VALU_DEP_1) | instskip(SKIP_2) | instid1(VALU_DEP_3)
	v_mul_f64_e32 v[79:80], s[42:43], v[77:78]
	v_cmp_nlt_f64_e32 vcc_lo, 0x40900000, v[77:78]
	v_cmp_ngt_f64_e64 s20, 0xc090cc00, v[77:78]
	v_rndne_f64_e32 v[79:80], v[79:80]
	s_delay_alu instid0(VALU_DEP_1) | instskip(SKIP_1) | instid1(VALU_DEP_2)
	v_fma_f64 v[81:82], v[79:80], s[44:45], v[77:78]
	v_cvt_i32_f64_e32 v116, v[79:80]
	v_fma_f64 v[81:82], v[79:80], s[46:47], v[81:82]
	s_delay_alu instid0(VALU_DEP_1) | instskip(NEXT) | instid1(VALU_DEP_1)
	v_fma_f64 v[114:115], v[81:82], s[50:51], s[48:49]
	v_fma_f64 v[114:115], v[81:82], v[114:115], s[52:53]
	s_delay_alu instid0(VALU_DEP_1) | instskip(NEXT) | instid1(VALU_DEP_1)
	v_fma_f64 v[114:115], v[81:82], v[114:115], s[54:55]
	;; [unrolled: 3-line block ×5, first 2 shown]
	v_fma_f64 v[114:115], v[81:82], v[114:115], 1.0
	s_delay_alu instid0(VALU_DEP_1) | instskip(NEXT) | instid1(VALU_DEP_1)
	v_fma_f64 v[79:80], v[81:82], v[114:115], 1.0
	v_ldexp_f64 v[79:80], v[79:80], v116
	s_wait_alu 0xfffd
	s_delay_alu instid0(VALU_DEP_1) | instskip(SKIP_2) | instid1(VALU_DEP_2)
	v_cndmask_b32_e32 v80, 0x7ff00000, v80, vcc_lo
	s_and_b32 vcc_lo, s20, vcc_lo
	s_wait_alu 0xfffe
	v_cndmask_b32_e32 v77, 0, v79, vcc_lo
	s_delay_alu instid0(VALU_DEP_2) | instskip(NEXT) | instid1(VALU_DEP_1)
	v_cndmask_b32_e64 v78, 0, v80, s20
	v_add_f64_e32 v[79:80], 1.0, v[77:78]
	v_cmp_neq_f64_e64 s20, 0x7ff00000, v[77:78]
	v_cmp_ngt_f64_e64 s21, -1.0, v[77:78]
	s_delay_alu instid0(VALU_DEP_3) | instskip(SKIP_2) | instid1(VALU_DEP_3)
	v_frexp_mant_f64_e32 v[81:82], v[79:80]
	v_frexp_exp_i32_f64_e32 v116, v[79:80]
	v_add_f64_e32 v[114:115], -1.0, v[79:80]
	v_cmp_gt_f64_e32 vcc_lo, s[68:69], v[81:82]
	s_delay_alu instid0(VALU_DEP_2) | instskip(SKIP_3) | instid1(VALU_DEP_3)
	v_add_f64_e64 v[81:82], v[114:115], -v[79:80]
	v_add_f64_e64 v[114:115], v[77:78], -v[114:115]
	s_wait_alu 0xfffd
	v_subrev_co_ci_u32_e64 v132, null, 0, v116, vcc_lo
	v_add_f64_e32 v[81:82], 1.0, v[81:82]
	v_cmp_nge_f64_e32 vcc_lo, -1.0, v[77:78]
	s_delay_alu instid0(VALU_DEP_3) | instskip(NEXT) | instid1(VALU_DEP_1)
	v_sub_nc_u32_e32 v118, 0, v132
	v_ldexp_f64 v[79:80], v[79:80], v118
	s_delay_alu instid0(VALU_DEP_4) | instskip(SKIP_1) | instid1(VALU_DEP_2)
	v_add_f64_e32 v[81:82], v[114:115], v[81:82]
	s_and_b32 vcc_lo, vcc_lo, s20
	v_add_f64_e32 v[116:117], 1.0, v[79:80]
	v_add_f64_e32 v[122:123], -1.0, v[79:80]
	s_delay_alu instid0(VALU_DEP_3) | instskip(NEXT) | instid1(VALU_DEP_3)
	v_ldexp_f64 v[81:82], v[81:82], v118
	v_add_f64_e32 v[114:115], -1.0, v[116:117]
	s_delay_alu instid0(VALU_DEP_3) | instskip(NEXT) | instid1(VALU_DEP_2)
	v_add_f64_e32 v[124:125], 1.0, v[122:123]
	v_add_f64_e64 v[114:115], v[79:80], -v[114:115]
	s_delay_alu instid0(VALU_DEP_2) | instskip(NEXT) | instid1(VALU_DEP_2)
	v_add_f64_e64 v[79:80], v[79:80], -v[124:125]
	v_add_f64_e32 v[114:115], v[81:82], v[114:115]
	s_delay_alu instid0(VALU_DEP_2) | instskip(NEXT) | instid1(VALU_DEP_2)
	v_add_f64_e32 v[79:80], v[81:82], v[79:80]
	v_add_f64_e32 v[118:119], v[116:117], v[114:115]
	s_delay_alu instid0(VALU_DEP_2) | instskip(NEXT) | instid1(VALU_DEP_2)
	v_add_f64_e32 v[124:125], v[122:123], v[79:80]
	v_rcp_f64_e32 v[120:121], v[118:119]
	v_add_f64_e64 v[116:117], v[118:119], -v[116:117]
	s_delay_alu instid0(VALU_DEP_2) | instskip(NEXT) | instid1(VALU_DEP_2)
	v_add_f64_e64 v[122:123], v[124:125], -v[122:123]
	v_add_f64_e64 v[114:115], v[114:115], -v[116:117]
	s_delay_alu instid0(TRANS32_DEP_1) | instskip(NEXT) | instid1(VALU_DEP_3)
	v_fma_f64 v[126:127], -v[118:119], v[120:121], 1.0
	v_add_f64_e64 v[79:80], v[79:80], -v[122:123]
	s_delay_alu instid0(VALU_DEP_2) | instskip(NEXT) | instid1(VALU_DEP_1)
	v_fma_f64 v[120:121], v[126:127], v[120:121], v[120:121]
	v_fma_f64 v[81:82], -v[118:119], v[120:121], 1.0
	s_delay_alu instid0(VALU_DEP_1) | instskip(NEXT) | instid1(VALU_DEP_1)
	v_fma_f64 v[81:82], v[81:82], v[120:121], v[120:121]
	v_mul_f64_e32 v[120:121], v[124:125], v[81:82]
	s_delay_alu instid0(VALU_DEP_1) | instskip(NEXT) | instid1(VALU_DEP_1)
	v_mul_f64_e32 v[126:127], v[118:119], v[120:121]
	v_fma_f64 v[116:117], v[120:121], v[118:119], -v[126:127]
	s_delay_alu instid0(VALU_DEP_1) | instskip(NEXT) | instid1(VALU_DEP_1)
	v_fma_f64 v[116:117], v[120:121], v[114:115], v[116:117]
	v_add_f64_e32 v[128:129], v[126:127], v[116:117]
	s_delay_alu instid0(VALU_DEP_1) | instskip(SKIP_1) | instid1(VALU_DEP_2)
	v_add_f64_e64 v[130:131], v[124:125], -v[128:129]
	v_add_f64_e64 v[122:123], v[128:129], -v[126:127]
	;; [unrolled: 1-line block ×3, first 2 shown]
	s_delay_alu instid0(VALU_DEP_2) | instskip(NEXT) | instid1(VALU_DEP_2)
	v_add_f64_e64 v[116:117], v[122:123], -v[116:117]
	v_add_f64_e64 v[124:125], v[124:125], -v[128:129]
	s_delay_alu instid0(VALU_DEP_1) | instskip(NEXT) | instid1(VALU_DEP_1)
	v_add_f64_e32 v[79:80], v[79:80], v[124:125]
	v_add_f64_e32 v[79:80], v[116:117], v[79:80]
	s_delay_alu instid0(VALU_DEP_1) | instskip(NEXT) | instid1(VALU_DEP_1)
	v_add_f64_e32 v[116:117], v[130:131], v[79:80]
	v_mul_f64_e32 v[122:123], v[81:82], v[116:117]
	v_add_f64_e64 v[128:129], v[130:131], -v[116:117]
	s_delay_alu instid0(VALU_DEP_2) | instskip(NEXT) | instid1(VALU_DEP_2)
	v_mul_f64_e32 v[124:125], v[118:119], v[122:123]
	v_add_f64_e32 v[79:80], v[79:80], v[128:129]
	s_delay_alu instid0(VALU_DEP_2) | instskip(NEXT) | instid1(VALU_DEP_1)
	v_fma_f64 v[118:119], v[122:123], v[118:119], -v[124:125]
	v_fma_f64 v[114:115], v[122:123], v[114:115], v[118:119]
	s_delay_alu instid0(VALU_DEP_1) | instskip(NEXT) | instid1(VALU_DEP_1)
	v_add_f64_e32 v[118:119], v[124:125], v[114:115]
	v_add_f64_e64 v[126:127], v[116:117], -v[118:119]
	v_add_f64_e64 v[124:125], v[118:119], -v[124:125]
	s_delay_alu instid0(VALU_DEP_2) | instskip(NEXT) | instid1(VALU_DEP_2)
	v_add_f64_e64 v[116:117], v[116:117], -v[126:127]
	v_add_f64_e64 v[114:115], v[124:125], -v[114:115]
	s_delay_alu instid0(VALU_DEP_2) | instskip(NEXT) | instid1(VALU_DEP_1)
	v_add_f64_e64 v[116:117], v[116:117], -v[118:119]
	v_add_f64_e32 v[79:80], v[79:80], v[116:117]
	v_add_f64_e32 v[116:117], v[120:121], v[122:123]
	s_delay_alu instid0(VALU_DEP_2) | instskip(NEXT) | instid1(VALU_DEP_2)
	v_add_f64_e32 v[79:80], v[114:115], v[79:80]
	v_add_f64_e64 v[114:115], v[116:117], -v[120:121]
	s_delay_alu instid0(VALU_DEP_2) | instskip(NEXT) | instid1(VALU_DEP_2)
	v_add_f64_e32 v[79:80], v[126:127], v[79:80]
	v_add_f64_e64 v[114:115], v[122:123], -v[114:115]
	s_delay_alu instid0(VALU_DEP_2) | instskip(NEXT) | instid1(VALU_DEP_1)
	v_mul_f64_e32 v[79:80], v[81:82], v[79:80]
	v_add_f64_e32 v[79:80], v[114:115], v[79:80]
	s_delay_alu instid0(VALU_DEP_1) | instskip(NEXT) | instid1(VALU_DEP_1)
	v_add_f64_e32 v[81:82], v[116:117], v[79:80]
	v_mul_f64_e32 v[114:115], v[81:82], v[81:82]
	s_delay_alu instid0(VALU_DEP_1) | instskip(SKIP_1) | instid1(VALU_DEP_2)
	v_fma_f64 v[118:119], v[114:115], s[72:73], s[70:71]
	v_mul_f64_e32 v[120:121], v[81:82], v[114:115]
	v_fma_f64 v[118:119], v[114:115], v[118:119], s[74:75]
	s_delay_alu instid0(VALU_DEP_1) | instskip(NEXT) | instid1(VALU_DEP_1)
	v_fma_f64 v[118:119], v[114:115], v[118:119], s[76:77]
	v_fma_f64 v[118:119], v[114:115], v[118:119], s[78:79]
	s_delay_alu instid0(VALU_DEP_1) | instskip(NEXT) | instid1(VALU_DEP_1)
	v_fma_f64 v[118:119], v[114:115], v[118:119], s[80:81]
	v_fma_f64 v[114:115], v[114:115], v[118:119], s[82:83]
	v_ldexp_f64 v[118:119], v[81:82], 1
	v_add_f64_e64 v[81:82], v[81:82], -v[116:117]
	s_delay_alu instid0(VALU_DEP_3) | instskip(SKIP_1) | instid1(VALU_DEP_3)
	v_mul_f64_e32 v[114:115], v[120:121], v[114:115]
	v_cvt_f64_i32_e32 v[120:121], v132
	v_add_f64_e64 v[79:80], v[79:80], -v[81:82]
	s_delay_alu instid0(VALU_DEP_3) | instskip(NEXT) | instid1(VALU_DEP_3)
	v_add_f64_e32 v[116:117], v[118:119], v[114:115]
	v_mul_f64_e32 v[122:123], s[84:85], v[120:121]
	s_delay_alu instid0(VALU_DEP_3) | instskip(NEXT) | instid1(VALU_DEP_3)
	v_ldexp_f64 v[79:80], v[79:80], 1
	v_add_f64_e64 v[81:82], v[116:117], -v[118:119]
	s_delay_alu instid0(VALU_DEP_3) | instskip(NEXT) | instid1(VALU_DEP_2)
	v_fma_f64 v[118:119], v[120:121], s[84:85], -v[122:123]
	v_add_f64_e64 v[81:82], v[114:115], -v[81:82]
	s_delay_alu instid0(VALU_DEP_2) | instskip(NEXT) | instid1(VALU_DEP_2)
	v_fma_f64 v[114:115], v[120:121], s[86:87], v[118:119]
	v_add_f64_e32 v[79:80], v[79:80], v[81:82]
	s_delay_alu instid0(VALU_DEP_2) | instskip(NEXT) | instid1(VALU_DEP_2)
	v_add_f64_e32 v[81:82], v[122:123], v[114:115]
	v_add_f64_e32 v[118:119], v[116:117], v[79:80]
	s_delay_alu instid0(VALU_DEP_2) | instskip(NEXT) | instid1(VALU_DEP_2)
	v_add_f64_e64 v[122:123], v[81:82], -v[122:123]
	v_add_f64_e32 v[120:121], v[81:82], v[118:119]
	v_add_f64_e64 v[116:117], v[118:119], -v[116:117]
	s_delay_alu instid0(VALU_DEP_3) | instskip(NEXT) | instid1(VALU_DEP_3)
	v_add_f64_e64 v[114:115], v[114:115], -v[122:123]
	v_add_f64_e64 v[124:125], v[120:121], -v[81:82]
	s_delay_alu instid0(VALU_DEP_3) | instskip(NEXT) | instid1(VALU_DEP_2)
	v_add_f64_e64 v[79:80], v[79:80], -v[116:117]
	v_add_f64_e64 v[126:127], v[120:121], -v[124:125]
	v_add_f64_e64 v[116:117], v[118:119], -v[124:125]
	s_delay_alu instid0(VALU_DEP_3) | instskip(NEXT) | instid1(VALU_DEP_3)
	v_add_f64_e32 v[118:119], v[114:115], v[79:80]
	v_add_f64_e64 v[81:82], v[81:82], -v[126:127]
	s_delay_alu instid0(VALU_DEP_1) | instskip(NEXT) | instid1(VALU_DEP_3)
	v_add_f64_e32 v[81:82], v[116:117], v[81:82]
	v_add_f64_e64 v[116:117], v[118:119], -v[114:115]
	s_delay_alu instid0(VALU_DEP_2) | instskip(NEXT) | instid1(VALU_DEP_2)
	v_add_f64_e32 v[81:82], v[118:119], v[81:82]
	v_add_f64_e64 v[118:119], v[118:119], -v[116:117]
	v_add_f64_e64 v[79:80], v[79:80], -v[116:117]
	s_delay_alu instid0(VALU_DEP_3) | instskip(NEXT) | instid1(VALU_DEP_3)
	v_add_f64_e32 v[122:123], v[120:121], v[81:82]
	v_add_f64_e64 v[114:115], v[114:115], -v[118:119]
	s_delay_alu instid0(VALU_DEP_2) | instskip(NEXT) | instid1(VALU_DEP_2)
	v_add_f64_e64 v[116:117], v[122:123], -v[120:121]
	v_add_f64_e32 v[79:80], v[79:80], v[114:115]
	s_delay_alu instid0(VALU_DEP_2) | instskip(NEXT) | instid1(VALU_DEP_1)
	v_add_f64_e64 v[81:82], v[81:82], -v[116:117]
	v_add_f64_e32 v[79:80], v[79:80], v[81:82]
	s_delay_alu instid0(VALU_DEP_1) | instskip(SKIP_1) | instid1(VALU_DEP_1)
	v_add_f64_e32 v[79:80], v[122:123], v[79:80]
	s_wait_alu 0xfffe
	v_cndmask_b32_e32 v79, 0, v79, vcc_lo
	v_cmp_neq_f64_e32 vcc_lo, -1.0, v[77:78]
	s_delay_alu instid0(VALU_DEP_3) | instskip(NEXT) | instid1(VALU_DEP_1)
	v_cndmask_b32_e64 v80, 0x7ff00000, v80, s20
	v_cndmask_b32_e64 v80, 0x7ff80000, v80, s21
	s_wait_alu 0xfffd
	s_delay_alu instid0(VALU_DEP_1) | instskip(NEXT) | instid1(VALU_DEP_1)
	v_cndmask_b32_e32 v80, 0xfff00000, v80, vcc_lo
	v_add_f64_e32 v[79:80], v[7:8], v[79:80]
.LBB71_141:                             ;   in Loop: Header=BB71_125 Depth=1
	s_or_b32 exec_lo, exec_lo, s90
	s_delay_alu instid0(VALU_DEP_1)
	v_dual_mov_b32 v7, v79 :: v_dual_mov_b32 v8, v80
	v_dual_mov_b32 v77, v79 :: v_dual_mov_b32 v78, v80
.LBB71_142:                             ;   in Loop: Header=BB71_125 Depth=1
	s_or_b32 exec_lo, exec_lo, s89
	s_wait_dscnt 0x1
	ds_bpermute_b32 v79, v110, v7
	s_wait_dscnt 0x1
	ds_bpermute_b32 v80, v110, v8
	s_mov_b32 s89, exec_lo
	v_cmpx_le_u32_e64 v111, v10
	s_cbranch_execz .LBB71_146
; %bb.143:                              ;   in Loop: Header=BB71_125 Depth=1
	s_wait_dscnt 0x0
	v_max_num_f64_e32 v[7:8], v[79:80], v[79:80]
	v_max_num_f64_e32 v[81:82], v[77:78], v[77:78]
	v_cmp_u_f64_e32 vcc_lo, v[79:80], v[79:80]
	v_cmp_u_f64_e64 s20, v[77:78], v[77:78]
	s_delay_alu instid0(VALU_DEP_3) | instskip(SKIP_2) | instid1(VALU_DEP_2)
	v_min_num_f64_e32 v[114:115], v[7:8], v[81:82]
	v_max_num_f64_e32 v[7:8], v[7:8], v[81:82]
	s_wait_alu 0xfffd
	v_dual_cndmask_b32 v81, v115, v80 :: v_dual_cndmask_b32 v114, v114, v79
	s_delay_alu instid0(VALU_DEP_2) | instskip(SKIP_1) | instid1(VALU_DEP_2)
	v_dual_cndmask_b32 v8, v8, v80 :: v_dual_cndmask_b32 v7, v7, v79
	s_wait_alu 0xf1ff
	v_cndmask_b32_e64 v82, v81, v78, s20
	s_delay_alu instid0(VALU_DEP_3) | instskip(NEXT) | instid1(VALU_DEP_3)
	v_cndmask_b32_e64 v81, v114, v77, s20
	v_cndmask_b32_e64 v8, v8, v78, s20
	;; [unrolled: 1-line block ×3, first 2 shown]
	s_delay_alu instid0(VALU_DEP_3) | instskip(NEXT) | instid1(VALU_DEP_2)
	v_cmp_class_f64_e64 s20, v[81:82], 0x1f8
	v_cmp_neq_f64_e32 vcc_lo, v[81:82], v[7:8]
	s_or_b32 s20, vcc_lo, s20
	s_wait_alu 0xfffe
	s_and_saveexec_b32 s90, s20
	s_cbranch_execz .LBB71_145
; %bb.144:                              ;   in Loop: Header=BB71_125 Depth=1
	v_add_f64_e64 v[77:78], v[81:82], -v[7:8]
	s_mov_b32 s83, s69
	s_mov_b32 s84, s44
	;; [unrolled: 1-line block ×3, first 2 shown]
	s_delay_alu instid0(VALU_DEP_1) | instskip(SKIP_2) | instid1(VALU_DEP_3)
	v_mul_f64_e32 v[79:80], s[42:43], v[77:78]
	v_cmp_nlt_f64_e32 vcc_lo, 0x40900000, v[77:78]
	v_cmp_ngt_f64_e64 s20, 0xc090cc00, v[77:78]
	v_rndne_f64_e32 v[79:80], v[79:80]
	s_delay_alu instid0(VALU_DEP_1) | instskip(SKIP_1) | instid1(VALU_DEP_2)
	v_fma_f64 v[81:82], v[79:80], s[44:45], v[77:78]
	v_cvt_i32_f64_e32 v116, v[79:80]
	v_fma_f64 v[81:82], v[79:80], s[46:47], v[81:82]
	s_delay_alu instid0(VALU_DEP_1) | instskip(NEXT) | instid1(VALU_DEP_1)
	v_fma_f64 v[114:115], v[81:82], s[50:51], s[48:49]
	v_fma_f64 v[114:115], v[81:82], v[114:115], s[52:53]
	s_delay_alu instid0(VALU_DEP_1) | instskip(NEXT) | instid1(VALU_DEP_1)
	v_fma_f64 v[114:115], v[81:82], v[114:115], s[54:55]
	;; [unrolled: 3-line block ×5, first 2 shown]
	v_fma_f64 v[114:115], v[81:82], v[114:115], 1.0
	s_delay_alu instid0(VALU_DEP_1) | instskip(NEXT) | instid1(VALU_DEP_1)
	v_fma_f64 v[79:80], v[81:82], v[114:115], 1.0
	v_ldexp_f64 v[79:80], v[79:80], v116
	s_wait_alu 0xfffd
	s_delay_alu instid0(VALU_DEP_1) | instskip(SKIP_2) | instid1(VALU_DEP_2)
	v_cndmask_b32_e32 v80, 0x7ff00000, v80, vcc_lo
	s_and_b32 vcc_lo, s20, vcc_lo
	s_wait_alu 0xfffe
	v_cndmask_b32_e32 v77, 0, v79, vcc_lo
	s_delay_alu instid0(VALU_DEP_2) | instskip(NEXT) | instid1(VALU_DEP_1)
	v_cndmask_b32_e64 v78, 0, v80, s20
	v_add_f64_e32 v[79:80], 1.0, v[77:78]
	v_cmp_neq_f64_e64 s20, 0x7ff00000, v[77:78]
	v_cmp_ngt_f64_e64 s21, -1.0, v[77:78]
	s_delay_alu instid0(VALU_DEP_3) | instskip(SKIP_2) | instid1(VALU_DEP_3)
	v_frexp_mant_f64_e32 v[81:82], v[79:80]
	v_frexp_exp_i32_f64_e32 v116, v[79:80]
	v_add_f64_e32 v[114:115], -1.0, v[79:80]
	v_cmp_gt_f64_e32 vcc_lo, s[68:69], v[81:82]
	s_delay_alu instid0(VALU_DEP_2) | instskip(SKIP_3) | instid1(VALU_DEP_3)
	v_add_f64_e64 v[81:82], v[114:115], -v[79:80]
	v_add_f64_e64 v[114:115], v[77:78], -v[114:115]
	s_wait_alu 0xfffd
	v_subrev_co_ci_u32_e64 v132, null, 0, v116, vcc_lo
	v_add_f64_e32 v[81:82], 1.0, v[81:82]
	v_cmp_nge_f64_e32 vcc_lo, -1.0, v[77:78]
	s_delay_alu instid0(VALU_DEP_3) | instskip(NEXT) | instid1(VALU_DEP_1)
	v_sub_nc_u32_e32 v118, 0, v132
	v_ldexp_f64 v[79:80], v[79:80], v118
	s_delay_alu instid0(VALU_DEP_4) | instskip(SKIP_1) | instid1(VALU_DEP_2)
	v_add_f64_e32 v[81:82], v[114:115], v[81:82]
	s_and_b32 vcc_lo, vcc_lo, s20
	v_add_f64_e32 v[116:117], 1.0, v[79:80]
	v_add_f64_e32 v[122:123], -1.0, v[79:80]
	s_delay_alu instid0(VALU_DEP_3) | instskip(NEXT) | instid1(VALU_DEP_3)
	v_ldexp_f64 v[81:82], v[81:82], v118
	v_add_f64_e32 v[114:115], -1.0, v[116:117]
	s_delay_alu instid0(VALU_DEP_3) | instskip(NEXT) | instid1(VALU_DEP_2)
	v_add_f64_e32 v[124:125], 1.0, v[122:123]
	v_add_f64_e64 v[114:115], v[79:80], -v[114:115]
	s_delay_alu instid0(VALU_DEP_2) | instskip(NEXT) | instid1(VALU_DEP_2)
	v_add_f64_e64 v[79:80], v[79:80], -v[124:125]
	v_add_f64_e32 v[114:115], v[81:82], v[114:115]
	s_delay_alu instid0(VALU_DEP_2) | instskip(NEXT) | instid1(VALU_DEP_2)
	v_add_f64_e32 v[79:80], v[81:82], v[79:80]
	v_add_f64_e32 v[118:119], v[116:117], v[114:115]
	s_delay_alu instid0(VALU_DEP_2) | instskip(NEXT) | instid1(VALU_DEP_2)
	v_add_f64_e32 v[124:125], v[122:123], v[79:80]
	v_rcp_f64_e32 v[120:121], v[118:119]
	v_add_f64_e64 v[116:117], v[118:119], -v[116:117]
	s_delay_alu instid0(VALU_DEP_2) | instskip(NEXT) | instid1(VALU_DEP_2)
	v_add_f64_e64 v[122:123], v[124:125], -v[122:123]
	v_add_f64_e64 v[114:115], v[114:115], -v[116:117]
	s_delay_alu instid0(TRANS32_DEP_1) | instskip(NEXT) | instid1(VALU_DEP_3)
	v_fma_f64 v[126:127], -v[118:119], v[120:121], 1.0
	v_add_f64_e64 v[79:80], v[79:80], -v[122:123]
	s_delay_alu instid0(VALU_DEP_2) | instskip(NEXT) | instid1(VALU_DEP_1)
	v_fma_f64 v[120:121], v[126:127], v[120:121], v[120:121]
	v_fma_f64 v[81:82], -v[118:119], v[120:121], 1.0
	s_delay_alu instid0(VALU_DEP_1) | instskip(NEXT) | instid1(VALU_DEP_1)
	v_fma_f64 v[81:82], v[81:82], v[120:121], v[120:121]
	v_mul_f64_e32 v[120:121], v[124:125], v[81:82]
	s_delay_alu instid0(VALU_DEP_1) | instskip(NEXT) | instid1(VALU_DEP_1)
	v_mul_f64_e32 v[126:127], v[118:119], v[120:121]
	v_fma_f64 v[116:117], v[120:121], v[118:119], -v[126:127]
	s_delay_alu instid0(VALU_DEP_1) | instskip(NEXT) | instid1(VALU_DEP_1)
	v_fma_f64 v[116:117], v[120:121], v[114:115], v[116:117]
	v_add_f64_e32 v[128:129], v[126:127], v[116:117]
	s_delay_alu instid0(VALU_DEP_1) | instskip(SKIP_1) | instid1(VALU_DEP_2)
	v_add_f64_e64 v[130:131], v[124:125], -v[128:129]
	v_add_f64_e64 v[122:123], v[128:129], -v[126:127]
	;; [unrolled: 1-line block ×3, first 2 shown]
	s_delay_alu instid0(VALU_DEP_2) | instskip(NEXT) | instid1(VALU_DEP_2)
	v_add_f64_e64 v[116:117], v[122:123], -v[116:117]
	v_add_f64_e64 v[124:125], v[124:125], -v[128:129]
	s_delay_alu instid0(VALU_DEP_1) | instskip(NEXT) | instid1(VALU_DEP_1)
	v_add_f64_e32 v[79:80], v[79:80], v[124:125]
	v_add_f64_e32 v[79:80], v[116:117], v[79:80]
	s_delay_alu instid0(VALU_DEP_1) | instskip(NEXT) | instid1(VALU_DEP_1)
	v_add_f64_e32 v[116:117], v[130:131], v[79:80]
	v_mul_f64_e32 v[122:123], v[81:82], v[116:117]
	v_add_f64_e64 v[128:129], v[130:131], -v[116:117]
	s_delay_alu instid0(VALU_DEP_2) | instskip(NEXT) | instid1(VALU_DEP_2)
	v_mul_f64_e32 v[124:125], v[118:119], v[122:123]
	v_add_f64_e32 v[79:80], v[79:80], v[128:129]
	s_delay_alu instid0(VALU_DEP_2) | instskip(NEXT) | instid1(VALU_DEP_1)
	v_fma_f64 v[118:119], v[122:123], v[118:119], -v[124:125]
	v_fma_f64 v[114:115], v[122:123], v[114:115], v[118:119]
	s_delay_alu instid0(VALU_DEP_1) | instskip(NEXT) | instid1(VALU_DEP_1)
	v_add_f64_e32 v[118:119], v[124:125], v[114:115]
	v_add_f64_e64 v[126:127], v[116:117], -v[118:119]
	v_add_f64_e64 v[124:125], v[118:119], -v[124:125]
	s_delay_alu instid0(VALU_DEP_2) | instskip(NEXT) | instid1(VALU_DEP_2)
	v_add_f64_e64 v[116:117], v[116:117], -v[126:127]
	v_add_f64_e64 v[114:115], v[124:125], -v[114:115]
	s_delay_alu instid0(VALU_DEP_2) | instskip(NEXT) | instid1(VALU_DEP_1)
	v_add_f64_e64 v[116:117], v[116:117], -v[118:119]
	v_add_f64_e32 v[79:80], v[79:80], v[116:117]
	v_add_f64_e32 v[116:117], v[120:121], v[122:123]
	s_delay_alu instid0(VALU_DEP_2) | instskip(NEXT) | instid1(VALU_DEP_2)
	v_add_f64_e32 v[79:80], v[114:115], v[79:80]
	v_add_f64_e64 v[114:115], v[116:117], -v[120:121]
	s_delay_alu instid0(VALU_DEP_2) | instskip(NEXT) | instid1(VALU_DEP_2)
	v_add_f64_e32 v[79:80], v[126:127], v[79:80]
	v_add_f64_e64 v[114:115], v[122:123], -v[114:115]
	s_delay_alu instid0(VALU_DEP_2) | instskip(NEXT) | instid1(VALU_DEP_1)
	v_mul_f64_e32 v[79:80], v[81:82], v[79:80]
	v_add_f64_e32 v[79:80], v[114:115], v[79:80]
	s_delay_alu instid0(VALU_DEP_1) | instskip(NEXT) | instid1(VALU_DEP_1)
	v_add_f64_e32 v[81:82], v[116:117], v[79:80]
	v_mul_f64_e32 v[114:115], v[81:82], v[81:82]
	s_delay_alu instid0(VALU_DEP_1) | instskip(SKIP_1) | instid1(VALU_DEP_2)
	v_fma_f64 v[118:119], v[114:115], s[72:73], s[70:71]
	v_mul_f64_e32 v[120:121], v[81:82], v[114:115]
	v_fma_f64 v[118:119], v[114:115], v[118:119], s[74:75]
	s_delay_alu instid0(VALU_DEP_1) | instskip(NEXT) | instid1(VALU_DEP_1)
	v_fma_f64 v[118:119], v[114:115], v[118:119], s[76:77]
	v_fma_f64 v[118:119], v[114:115], v[118:119], s[78:79]
	s_delay_alu instid0(VALU_DEP_1) | instskip(NEXT) | instid1(VALU_DEP_1)
	v_fma_f64 v[118:119], v[114:115], v[118:119], s[80:81]
	v_fma_f64 v[114:115], v[114:115], v[118:119], s[82:83]
	v_ldexp_f64 v[118:119], v[81:82], 1
	v_add_f64_e64 v[81:82], v[81:82], -v[116:117]
	s_delay_alu instid0(VALU_DEP_3) | instskip(SKIP_1) | instid1(VALU_DEP_3)
	v_mul_f64_e32 v[114:115], v[120:121], v[114:115]
	v_cvt_f64_i32_e32 v[120:121], v132
	v_add_f64_e64 v[79:80], v[79:80], -v[81:82]
	s_delay_alu instid0(VALU_DEP_3) | instskip(NEXT) | instid1(VALU_DEP_3)
	v_add_f64_e32 v[116:117], v[118:119], v[114:115]
	v_mul_f64_e32 v[122:123], s[84:85], v[120:121]
	s_delay_alu instid0(VALU_DEP_3) | instskip(NEXT) | instid1(VALU_DEP_3)
	v_ldexp_f64 v[79:80], v[79:80], 1
	v_add_f64_e64 v[81:82], v[116:117], -v[118:119]
	s_delay_alu instid0(VALU_DEP_3) | instskip(NEXT) | instid1(VALU_DEP_2)
	v_fma_f64 v[118:119], v[120:121], s[84:85], -v[122:123]
	v_add_f64_e64 v[81:82], v[114:115], -v[81:82]
	s_delay_alu instid0(VALU_DEP_2) | instskip(NEXT) | instid1(VALU_DEP_2)
	v_fma_f64 v[114:115], v[120:121], s[86:87], v[118:119]
	v_add_f64_e32 v[79:80], v[79:80], v[81:82]
	s_delay_alu instid0(VALU_DEP_2) | instskip(NEXT) | instid1(VALU_DEP_2)
	v_add_f64_e32 v[81:82], v[122:123], v[114:115]
	v_add_f64_e32 v[118:119], v[116:117], v[79:80]
	s_delay_alu instid0(VALU_DEP_2) | instskip(NEXT) | instid1(VALU_DEP_2)
	v_add_f64_e64 v[122:123], v[81:82], -v[122:123]
	v_add_f64_e32 v[120:121], v[81:82], v[118:119]
	v_add_f64_e64 v[116:117], v[118:119], -v[116:117]
	s_delay_alu instid0(VALU_DEP_3) | instskip(NEXT) | instid1(VALU_DEP_3)
	v_add_f64_e64 v[114:115], v[114:115], -v[122:123]
	v_add_f64_e64 v[124:125], v[120:121], -v[81:82]
	s_delay_alu instid0(VALU_DEP_3) | instskip(NEXT) | instid1(VALU_DEP_2)
	v_add_f64_e64 v[79:80], v[79:80], -v[116:117]
	v_add_f64_e64 v[126:127], v[120:121], -v[124:125]
	;; [unrolled: 1-line block ×3, first 2 shown]
	s_delay_alu instid0(VALU_DEP_3) | instskip(NEXT) | instid1(VALU_DEP_3)
	v_add_f64_e32 v[118:119], v[114:115], v[79:80]
	v_add_f64_e64 v[81:82], v[81:82], -v[126:127]
	s_delay_alu instid0(VALU_DEP_1) | instskip(NEXT) | instid1(VALU_DEP_3)
	v_add_f64_e32 v[81:82], v[116:117], v[81:82]
	v_add_f64_e64 v[116:117], v[118:119], -v[114:115]
	s_delay_alu instid0(VALU_DEP_2) | instskip(NEXT) | instid1(VALU_DEP_2)
	v_add_f64_e32 v[81:82], v[118:119], v[81:82]
	v_add_f64_e64 v[118:119], v[118:119], -v[116:117]
	v_add_f64_e64 v[79:80], v[79:80], -v[116:117]
	s_delay_alu instid0(VALU_DEP_3) | instskip(NEXT) | instid1(VALU_DEP_3)
	v_add_f64_e32 v[122:123], v[120:121], v[81:82]
	v_add_f64_e64 v[114:115], v[114:115], -v[118:119]
	s_delay_alu instid0(VALU_DEP_2) | instskip(NEXT) | instid1(VALU_DEP_2)
	v_add_f64_e64 v[116:117], v[122:123], -v[120:121]
	v_add_f64_e32 v[79:80], v[79:80], v[114:115]
	s_delay_alu instid0(VALU_DEP_2) | instskip(NEXT) | instid1(VALU_DEP_1)
	v_add_f64_e64 v[81:82], v[81:82], -v[116:117]
	v_add_f64_e32 v[79:80], v[79:80], v[81:82]
	s_delay_alu instid0(VALU_DEP_1) | instskip(SKIP_1) | instid1(VALU_DEP_1)
	v_add_f64_e32 v[79:80], v[122:123], v[79:80]
	s_wait_alu 0xfffe
	v_cndmask_b32_e32 v79, 0, v79, vcc_lo
	v_cmp_neq_f64_e32 vcc_lo, -1.0, v[77:78]
	s_delay_alu instid0(VALU_DEP_3) | instskip(NEXT) | instid1(VALU_DEP_1)
	v_cndmask_b32_e64 v80, 0x7ff00000, v80, s20
	v_cndmask_b32_e64 v80, 0x7ff80000, v80, s21
	s_wait_alu 0xfffd
	s_delay_alu instid0(VALU_DEP_1) | instskip(NEXT) | instid1(VALU_DEP_1)
	v_cndmask_b32_e32 v80, 0xfff00000, v80, vcc_lo
	v_add_f64_e32 v[79:80], v[7:8], v[79:80]
.LBB71_145:                             ;   in Loop: Header=BB71_125 Depth=1
	s_or_b32 exec_lo, exec_lo, s90
	s_delay_alu instid0(VALU_DEP_1)
	v_dual_mov_b32 v7, v79 :: v_dual_mov_b32 v8, v80
	v_dual_mov_b32 v77, v79 :: v_dual_mov_b32 v78, v80
.LBB71_146:                             ;   in Loop: Header=BB71_125 Depth=1
	s_or_b32 exec_lo, exec_lo, s89
	s_wait_dscnt 0x1
	ds_bpermute_b32 v79, v112, v7
	s_wait_dscnt 0x1
	ds_bpermute_b32 v80, v112, v8
	s_mov_b32 s89, exec_lo
	v_cmpx_le_u32_e64 v113, v10
	s_cbranch_execz .LBB71_150
; %bb.147:                              ;   in Loop: Header=BB71_125 Depth=1
	s_wait_dscnt 0x0
	v_max_num_f64_e32 v[7:8], v[79:80], v[79:80]
	v_max_num_f64_e32 v[81:82], v[77:78], v[77:78]
	v_cmp_u_f64_e32 vcc_lo, v[79:80], v[79:80]
	v_cmp_u_f64_e64 s20, v[77:78], v[77:78]
	s_delay_alu instid0(VALU_DEP_3) | instskip(SKIP_2) | instid1(VALU_DEP_2)
	v_min_num_f64_e32 v[114:115], v[7:8], v[81:82]
	v_max_num_f64_e32 v[7:8], v[7:8], v[81:82]
	s_wait_alu 0xfffd
	v_dual_cndmask_b32 v10, v115, v80 :: v_dual_cndmask_b32 v81, v114, v79
	s_delay_alu instid0(VALU_DEP_2) | instskip(SKIP_1) | instid1(VALU_DEP_2)
	v_dual_cndmask_b32 v8, v8, v80 :: v_dual_cndmask_b32 v7, v7, v79
	s_wait_alu 0xf1ff
	v_cndmask_b32_e64 v82, v10, v78, s20
	s_delay_alu instid0(VALU_DEP_3) | instskip(NEXT) | instid1(VALU_DEP_3)
	v_cndmask_b32_e64 v81, v81, v77, s20
	v_cndmask_b32_e64 v8, v8, v78, s20
	;; [unrolled: 1-line block ×3, first 2 shown]
	s_delay_alu instid0(VALU_DEP_3) | instskip(NEXT) | instid1(VALU_DEP_2)
	v_cmp_class_f64_e64 s20, v[81:82], 0x1f8
	v_cmp_neq_f64_e32 vcc_lo, v[81:82], v[7:8]
	s_or_b32 s20, vcc_lo, s20
	s_wait_alu 0xfffe
	s_and_saveexec_b32 s90, s20
	s_cbranch_execz .LBB71_149
; %bb.148:                              ;   in Loop: Header=BB71_125 Depth=1
	v_add_f64_e64 v[77:78], v[81:82], -v[7:8]
	s_mov_b32 s83, s69
	s_mov_b32 s84, s44
	;; [unrolled: 1-line block ×3, first 2 shown]
	s_delay_alu instid0(VALU_DEP_1) | instskip(SKIP_2) | instid1(VALU_DEP_3)
	v_mul_f64_e32 v[79:80], s[42:43], v[77:78]
	v_cmp_nlt_f64_e32 vcc_lo, 0x40900000, v[77:78]
	v_cmp_ngt_f64_e64 s20, 0xc090cc00, v[77:78]
	v_rndne_f64_e32 v[79:80], v[79:80]
	s_delay_alu instid0(VALU_DEP_1) | instskip(SKIP_1) | instid1(VALU_DEP_2)
	v_fma_f64 v[81:82], v[79:80], s[44:45], v[77:78]
	v_cvt_i32_f64_e32 v10, v[79:80]
	v_fma_f64 v[81:82], v[79:80], s[46:47], v[81:82]
	s_delay_alu instid0(VALU_DEP_1) | instskip(NEXT) | instid1(VALU_DEP_1)
	v_fma_f64 v[114:115], v[81:82], s[50:51], s[48:49]
	v_fma_f64 v[114:115], v[81:82], v[114:115], s[52:53]
	s_delay_alu instid0(VALU_DEP_1) | instskip(NEXT) | instid1(VALU_DEP_1)
	v_fma_f64 v[114:115], v[81:82], v[114:115], s[54:55]
	;; [unrolled: 3-line block ×5, first 2 shown]
	v_fma_f64 v[114:115], v[81:82], v[114:115], 1.0
	s_delay_alu instid0(VALU_DEP_1) | instskip(NEXT) | instid1(VALU_DEP_1)
	v_fma_f64 v[79:80], v[81:82], v[114:115], 1.0
	v_ldexp_f64 v[79:80], v[79:80], v10
	s_wait_alu 0xfffd
	s_delay_alu instid0(VALU_DEP_1) | instskip(SKIP_2) | instid1(VALU_DEP_2)
	v_cndmask_b32_e32 v10, 0x7ff00000, v80, vcc_lo
	s_and_b32 vcc_lo, s20, vcc_lo
	s_wait_alu 0xfffe
	v_cndmask_b32_e32 v77, 0, v79, vcc_lo
	s_delay_alu instid0(VALU_DEP_2) | instskip(NEXT) | instid1(VALU_DEP_1)
	v_cndmask_b32_e64 v78, 0, v10, s20
	v_add_f64_e32 v[79:80], 1.0, v[77:78]
	v_cmp_neq_f64_e64 s20, 0x7ff00000, v[77:78]
	v_cmp_ngt_f64_e64 s21, -1.0, v[77:78]
	s_delay_alu instid0(VALU_DEP_3) | instskip(SKIP_2) | instid1(VALU_DEP_3)
	v_frexp_mant_f64_e32 v[81:82], v[79:80]
	v_frexp_exp_i32_f64_e32 v10, v[79:80]
	v_add_f64_e32 v[114:115], -1.0, v[79:80]
	v_cmp_gt_f64_e32 vcc_lo, s[68:69], v[81:82]
	s_delay_alu instid0(VALU_DEP_2) | instskip(SKIP_3) | instid1(VALU_DEP_3)
	v_add_f64_e64 v[81:82], v[114:115], -v[79:80]
	v_add_f64_e64 v[114:115], v[77:78], -v[114:115]
	s_wait_alu 0xfffd
	v_subrev_co_ci_u32_e64 v10, null, 0, v10, vcc_lo
	v_add_f64_e32 v[81:82], 1.0, v[81:82]
	v_cmp_nge_f64_e32 vcc_lo, -1.0, v[77:78]
	s_delay_alu instid0(VALU_DEP_3) | instskip(NEXT) | instid1(VALU_DEP_1)
	v_sub_nc_u32_e32 v118, 0, v10
	v_ldexp_f64 v[79:80], v[79:80], v118
	s_delay_alu instid0(VALU_DEP_4) | instskip(SKIP_1) | instid1(VALU_DEP_2)
	v_add_f64_e32 v[81:82], v[114:115], v[81:82]
	s_and_b32 vcc_lo, vcc_lo, s20
	v_add_f64_e32 v[116:117], 1.0, v[79:80]
	v_add_f64_e32 v[122:123], -1.0, v[79:80]
	s_delay_alu instid0(VALU_DEP_3) | instskip(NEXT) | instid1(VALU_DEP_3)
	v_ldexp_f64 v[81:82], v[81:82], v118
	v_add_f64_e32 v[114:115], -1.0, v[116:117]
	s_delay_alu instid0(VALU_DEP_3) | instskip(NEXT) | instid1(VALU_DEP_2)
	v_add_f64_e32 v[124:125], 1.0, v[122:123]
	v_add_f64_e64 v[114:115], v[79:80], -v[114:115]
	s_delay_alu instid0(VALU_DEP_2) | instskip(NEXT) | instid1(VALU_DEP_2)
	v_add_f64_e64 v[79:80], v[79:80], -v[124:125]
	v_add_f64_e32 v[114:115], v[81:82], v[114:115]
	s_delay_alu instid0(VALU_DEP_2) | instskip(NEXT) | instid1(VALU_DEP_2)
	v_add_f64_e32 v[79:80], v[81:82], v[79:80]
	v_add_f64_e32 v[118:119], v[116:117], v[114:115]
	s_delay_alu instid0(VALU_DEP_2) | instskip(NEXT) | instid1(VALU_DEP_2)
	v_add_f64_e32 v[124:125], v[122:123], v[79:80]
	v_rcp_f64_e32 v[120:121], v[118:119]
	v_add_f64_e64 v[116:117], v[118:119], -v[116:117]
	s_delay_alu instid0(VALU_DEP_2) | instskip(NEXT) | instid1(VALU_DEP_2)
	v_add_f64_e64 v[122:123], v[124:125], -v[122:123]
	v_add_f64_e64 v[114:115], v[114:115], -v[116:117]
	s_delay_alu instid0(TRANS32_DEP_1) | instskip(NEXT) | instid1(VALU_DEP_3)
	v_fma_f64 v[126:127], -v[118:119], v[120:121], 1.0
	v_add_f64_e64 v[79:80], v[79:80], -v[122:123]
	s_delay_alu instid0(VALU_DEP_2) | instskip(NEXT) | instid1(VALU_DEP_1)
	v_fma_f64 v[120:121], v[126:127], v[120:121], v[120:121]
	v_fma_f64 v[81:82], -v[118:119], v[120:121], 1.0
	s_delay_alu instid0(VALU_DEP_1) | instskip(NEXT) | instid1(VALU_DEP_1)
	v_fma_f64 v[81:82], v[81:82], v[120:121], v[120:121]
	v_mul_f64_e32 v[120:121], v[124:125], v[81:82]
	s_delay_alu instid0(VALU_DEP_1) | instskip(NEXT) | instid1(VALU_DEP_1)
	v_mul_f64_e32 v[126:127], v[118:119], v[120:121]
	v_fma_f64 v[116:117], v[120:121], v[118:119], -v[126:127]
	s_delay_alu instid0(VALU_DEP_1) | instskip(NEXT) | instid1(VALU_DEP_1)
	v_fma_f64 v[116:117], v[120:121], v[114:115], v[116:117]
	v_add_f64_e32 v[128:129], v[126:127], v[116:117]
	s_delay_alu instid0(VALU_DEP_1) | instskip(SKIP_1) | instid1(VALU_DEP_2)
	v_add_f64_e64 v[130:131], v[124:125], -v[128:129]
	v_add_f64_e64 v[122:123], v[128:129], -v[126:127]
	;; [unrolled: 1-line block ×3, first 2 shown]
	s_delay_alu instid0(VALU_DEP_2) | instskip(NEXT) | instid1(VALU_DEP_2)
	v_add_f64_e64 v[116:117], v[122:123], -v[116:117]
	v_add_f64_e64 v[124:125], v[124:125], -v[128:129]
	s_delay_alu instid0(VALU_DEP_1) | instskip(NEXT) | instid1(VALU_DEP_1)
	v_add_f64_e32 v[79:80], v[79:80], v[124:125]
	v_add_f64_e32 v[79:80], v[116:117], v[79:80]
	s_delay_alu instid0(VALU_DEP_1) | instskip(NEXT) | instid1(VALU_DEP_1)
	v_add_f64_e32 v[116:117], v[130:131], v[79:80]
	v_mul_f64_e32 v[122:123], v[81:82], v[116:117]
	v_add_f64_e64 v[128:129], v[130:131], -v[116:117]
	s_delay_alu instid0(VALU_DEP_2) | instskip(NEXT) | instid1(VALU_DEP_2)
	v_mul_f64_e32 v[124:125], v[118:119], v[122:123]
	v_add_f64_e32 v[79:80], v[79:80], v[128:129]
	s_delay_alu instid0(VALU_DEP_2) | instskip(NEXT) | instid1(VALU_DEP_1)
	v_fma_f64 v[118:119], v[122:123], v[118:119], -v[124:125]
	v_fma_f64 v[114:115], v[122:123], v[114:115], v[118:119]
	s_delay_alu instid0(VALU_DEP_1) | instskip(NEXT) | instid1(VALU_DEP_1)
	v_add_f64_e32 v[118:119], v[124:125], v[114:115]
	v_add_f64_e64 v[126:127], v[116:117], -v[118:119]
	v_add_f64_e64 v[124:125], v[118:119], -v[124:125]
	s_delay_alu instid0(VALU_DEP_2) | instskip(NEXT) | instid1(VALU_DEP_2)
	v_add_f64_e64 v[116:117], v[116:117], -v[126:127]
	v_add_f64_e64 v[114:115], v[124:125], -v[114:115]
	s_delay_alu instid0(VALU_DEP_2) | instskip(NEXT) | instid1(VALU_DEP_1)
	v_add_f64_e64 v[116:117], v[116:117], -v[118:119]
	v_add_f64_e32 v[79:80], v[79:80], v[116:117]
	v_add_f64_e32 v[116:117], v[120:121], v[122:123]
	s_delay_alu instid0(VALU_DEP_2) | instskip(NEXT) | instid1(VALU_DEP_2)
	v_add_f64_e32 v[79:80], v[114:115], v[79:80]
	v_add_f64_e64 v[114:115], v[116:117], -v[120:121]
	s_delay_alu instid0(VALU_DEP_2) | instskip(NEXT) | instid1(VALU_DEP_2)
	v_add_f64_e32 v[79:80], v[126:127], v[79:80]
	v_add_f64_e64 v[114:115], v[122:123], -v[114:115]
	s_delay_alu instid0(VALU_DEP_2) | instskip(NEXT) | instid1(VALU_DEP_1)
	v_mul_f64_e32 v[79:80], v[81:82], v[79:80]
	v_add_f64_e32 v[79:80], v[114:115], v[79:80]
	s_delay_alu instid0(VALU_DEP_1) | instskip(NEXT) | instid1(VALU_DEP_1)
	v_add_f64_e32 v[81:82], v[116:117], v[79:80]
	v_mul_f64_e32 v[114:115], v[81:82], v[81:82]
	s_delay_alu instid0(VALU_DEP_1) | instskip(SKIP_1) | instid1(VALU_DEP_2)
	v_fma_f64 v[118:119], v[114:115], s[72:73], s[70:71]
	v_mul_f64_e32 v[120:121], v[81:82], v[114:115]
	v_fma_f64 v[118:119], v[114:115], v[118:119], s[74:75]
	s_delay_alu instid0(VALU_DEP_1) | instskip(NEXT) | instid1(VALU_DEP_1)
	v_fma_f64 v[118:119], v[114:115], v[118:119], s[76:77]
	v_fma_f64 v[118:119], v[114:115], v[118:119], s[78:79]
	s_delay_alu instid0(VALU_DEP_1) | instskip(NEXT) | instid1(VALU_DEP_1)
	v_fma_f64 v[118:119], v[114:115], v[118:119], s[80:81]
	v_fma_f64 v[114:115], v[114:115], v[118:119], s[82:83]
	v_ldexp_f64 v[118:119], v[81:82], 1
	v_add_f64_e64 v[81:82], v[81:82], -v[116:117]
	s_delay_alu instid0(VALU_DEP_3) | instskip(SKIP_1) | instid1(VALU_DEP_3)
	v_mul_f64_e32 v[114:115], v[120:121], v[114:115]
	v_cvt_f64_i32_e32 v[120:121], v10
	v_add_f64_e64 v[79:80], v[79:80], -v[81:82]
	s_delay_alu instid0(VALU_DEP_3) | instskip(NEXT) | instid1(VALU_DEP_3)
	v_add_f64_e32 v[116:117], v[118:119], v[114:115]
	v_mul_f64_e32 v[122:123], s[84:85], v[120:121]
	s_delay_alu instid0(VALU_DEP_3) | instskip(NEXT) | instid1(VALU_DEP_3)
	v_ldexp_f64 v[79:80], v[79:80], 1
	v_add_f64_e64 v[81:82], v[116:117], -v[118:119]
	s_delay_alu instid0(VALU_DEP_3) | instskip(NEXT) | instid1(VALU_DEP_2)
	v_fma_f64 v[118:119], v[120:121], s[84:85], -v[122:123]
	v_add_f64_e64 v[81:82], v[114:115], -v[81:82]
	s_delay_alu instid0(VALU_DEP_2) | instskip(NEXT) | instid1(VALU_DEP_2)
	v_fma_f64 v[114:115], v[120:121], s[86:87], v[118:119]
	v_add_f64_e32 v[79:80], v[79:80], v[81:82]
	s_delay_alu instid0(VALU_DEP_2) | instskip(NEXT) | instid1(VALU_DEP_2)
	v_add_f64_e32 v[81:82], v[122:123], v[114:115]
	v_add_f64_e32 v[118:119], v[116:117], v[79:80]
	s_delay_alu instid0(VALU_DEP_2) | instskip(NEXT) | instid1(VALU_DEP_2)
	v_add_f64_e64 v[122:123], v[81:82], -v[122:123]
	v_add_f64_e32 v[120:121], v[81:82], v[118:119]
	v_add_f64_e64 v[116:117], v[118:119], -v[116:117]
	s_delay_alu instid0(VALU_DEP_3) | instskip(NEXT) | instid1(VALU_DEP_3)
	v_add_f64_e64 v[114:115], v[114:115], -v[122:123]
	v_add_f64_e64 v[124:125], v[120:121], -v[81:82]
	s_delay_alu instid0(VALU_DEP_3) | instskip(NEXT) | instid1(VALU_DEP_2)
	v_add_f64_e64 v[79:80], v[79:80], -v[116:117]
	v_add_f64_e64 v[126:127], v[120:121], -v[124:125]
	;; [unrolled: 1-line block ×3, first 2 shown]
	s_delay_alu instid0(VALU_DEP_3) | instskip(NEXT) | instid1(VALU_DEP_3)
	v_add_f64_e32 v[118:119], v[114:115], v[79:80]
	v_add_f64_e64 v[81:82], v[81:82], -v[126:127]
	s_delay_alu instid0(VALU_DEP_1) | instskip(NEXT) | instid1(VALU_DEP_3)
	v_add_f64_e32 v[81:82], v[116:117], v[81:82]
	v_add_f64_e64 v[116:117], v[118:119], -v[114:115]
	s_delay_alu instid0(VALU_DEP_2) | instskip(NEXT) | instid1(VALU_DEP_2)
	v_add_f64_e32 v[81:82], v[118:119], v[81:82]
	v_add_f64_e64 v[118:119], v[118:119], -v[116:117]
	v_add_f64_e64 v[79:80], v[79:80], -v[116:117]
	s_delay_alu instid0(VALU_DEP_3) | instskip(NEXT) | instid1(VALU_DEP_3)
	v_add_f64_e32 v[122:123], v[120:121], v[81:82]
	v_add_f64_e64 v[114:115], v[114:115], -v[118:119]
	s_delay_alu instid0(VALU_DEP_2) | instskip(NEXT) | instid1(VALU_DEP_2)
	v_add_f64_e64 v[116:117], v[122:123], -v[120:121]
	v_add_f64_e32 v[79:80], v[79:80], v[114:115]
	s_delay_alu instid0(VALU_DEP_2) | instskip(NEXT) | instid1(VALU_DEP_1)
	v_add_f64_e64 v[81:82], v[81:82], -v[116:117]
	v_add_f64_e32 v[79:80], v[79:80], v[81:82]
	s_delay_alu instid0(VALU_DEP_1) | instskip(SKIP_1) | instid1(VALU_DEP_1)
	v_add_f64_e32 v[79:80], v[122:123], v[79:80]
	s_wait_alu 0xfffe
	v_cndmask_b32_e32 v79, 0, v79, vcc_lo
	v_cmp_neq_f64_e32 vcc_lo, -1.0, v[77:78]
	s_delay_alu instid0(VALU_DEP_3) | instskip(NEXT) | instid1(VALU_DEP_1)
	v_cndmask_b32_e64 v10, 0x7ff00000, v80, s20
	v_cndmask_b32_e64 v10, 0x7ff80000, v10, s21
	s_wait_alu 0xfffd
	s_delay_alu instid0(VALU_DEP_1) | instskip(NEXT) | instid1(VALU_DEP_1)
	v_cndmask_b32_e32 v80, 0xfff00000, v10, vcc_lo
	v_add_f64_e32 v[79:80], v[7:8], v[79:80]
.LBB71_149:                             ;   in Loop: Header=BB71_125 Depth=1
	s_or_b32 exec_lo, exec_lo, s90
	s_delay_alu instid0(VALU_DEP_1)
	v_dual_mov_b32 v77, v79 :: v_dual_mov_b32 v78, v80
.LBB71_150:                             ;   in Loop: Header=BB71_125 Depth=1
	s_or_b32 exec_lo, exec_lo, s89
	v_max_num_f64_e32 v[7:8], v[75:76], v[75:76]
	s_wait_dscnt 0x0
	s_delay_alu instid0(VALU_DEP_2) | instskip(SKIP_2) | instid1(VALU_DEP_3)
	v_max_num_f64_e32 v[79:80], v[77:78], v[77:78]
	v_cmp_u_f64_e32 vcc_lo, v[77:78], v[77:78]
	v_cmp_u_f64_e64 s20, v[75:76], v[75:76]
	v_min_num_f64_e32 v[81:82], v[79:80], v[7:8]
	v_max_num_f64_e32 v[7:8], v[79:80], v[7:8]
	s_wait_alu 0xfffd
	s_delay_alu instid0(VALU_DEP_2) | instskip(NEXT) | instid1(VALU_DEP_2)
	v_dual_cndmask_b32 v10, v81, v77 :: v_dual_cndmask_b32 v79, v82, v78
	v_dual_cndmask_b32 v8, v8, v78 :: v_dual_cndmask_b32 v7, v7, v77
	s_wait_alu 0xf1ff
	s_delay_alu instid0(VALU_DEP_2) | instskip(NEXT) | instid1(VALU_DEP_3)
	v_cndmask_b32_e64 v80, v79, v76, s20
	v_cndmask_b32_e64 v79, v10, v75, s20
	s_delay_alu instid0(VALU_DEP_3) | instskip(SKIP_1) | instid1(VALU_DEP_3)
	v_cndmask_b32_e64 v8, v8, v76, s20
	v_cndmask_b32_e64 v7, v7, v75, s20
	v_cmp_class_f64_e64 s20, v[79:80], 0x1f8
	s_delay_alu instid0(VALU_DEP_2)
	v_cmp_neq_f64_e32 vcc_lo, v[79:80], v[7:8]
	s_or_b32 s20, vcc_lo, s20
	s_wait_alu 0xfffe
	s_and_saveexec_b32 s21, s20
	s_wait_alu 0xfffe
	s_xor_b32 s89, exec_lo, s21
	s_cbranch_execz .LBB71_123
; %bb.151:                              ;   in Loop: Header=BB71_125 Depth=1
	v_add_f64_e64 v[77:78], v[79:80], -v[7:8]
	s_mov_b32 s83, s69
	s_mov_b32 s84, s44
	;; [unrolled: 1-line block ×3, first 2 shown]
	s_delay_alu instid0(VALU_DEP_1) | instskip(SKIP_2) | instid1(VALU_DEP_3)
	v_mul_f64_e32 v[79:80], s[42:43], v[77:78]
	v_cmp_nlt_f64_e32 vcc_lo, 0x40900000, v[77:78]
	v_cmp_ngt_f64_e64 s20, 0xc090cc00, v[77:78]
	v_rndne_f64_e32 v[79:80], v[79:80]
	s_delay_alu instid0(VALU_DEP_1) | instskip(SKIP_1) | instid1(VALU_DEP_2)
	v_fma_f64 v[81:82], v[79:80], s[44:45], v[77:78]
	v_cvt_i32_f64_e32 v10, v[79:80]
	v_fma_f64 v[81:82], v[79:80], s[46:47], v[81:82]
	s_delay_alu instid0(VALU_DEP_1) | instskip(NEXT) | instid1(VALU_DEP_1)
	v_fma_f64 v[114:115], v[81:82], s[50:51], s[48:49]
	v_fma_f64 v[114:115], v[81:82], v[114:115], s[52:53]
	s_delay_alu instid0(VALU_DEP_1) | instskip(NEXT) | instid1(VALU_DEP_1)
	v_fma_f64 v[114:115], v[81:82], v[114:115], s[54:55]
	;; [unrolled: 3-line block ×5, first 2 shown]
	v_fma_f64 v[114:115], v[81:82], v[114:115], 1.0
	s_delay_alu instid0(VALU_DEP_1) | instskip(NEXT) | instid1(VALU_DEP_1)
	v_fma_f64 v[79:80], v[81:82], v[114:115], 1.0
	v_ldexp_f64 v[79:80], v[79:80], v10
	s_wait_alu 0xfffd
	s_delay_alu instid0(VALU_DEP_1) | instskip(SKIP_2) | instid1(VALU_DEP_2)
	v_cndmask_b32_e32 v10, 0x7ff00000, v80, vcc_lo
	s_and_b32 vcc_lo, s20, vcc_lo
	s_wait_alu 0xfffe
	v_cndmask_b32_e32 v77, 0, v79, vcc_lo
	s_delay_alu instid0(VALU_DEP_2) | instskip(NEXT) | instid1(VALU_DEP_1)
	v_cndmask_b32_e64 v78, 0, v10, s20
	v_add_f64_e32 v[79:80], 1.0, v[77:78]
	v_cmp_neq_f64_e64 s20, 0x7ff00000, v[77:78]
	v_cmp_ngt_f64_e64 s21, -1.0, v[77:78]
	s_delay_alu instid0(VALU_DEP_3) | instskip(SKIP_2) | instid1(VALU_DEP_3)
	v_frexp_mant_f64_e32 v[81:82], v[79:80]
	v_frexp_exp_i32_f64_e32 v10, v[79:80]
	v_add_f64_e32 v[114:115], -1.0, v[79:80]
	v_cmp_gt_f64_e32 vcc_lo, s[68:69], v[81:82]
	s_delay_alu instid0(VALU_DEP_2) | instskip(SKIP_3) | instid1(VALU_DEP_3)
	v_add_f64_e64 v[81:82], v[114:115], -v[79:80]
	v_add_f64_e64 v[114:115], v[77:78], -v[114:115]
	s_wait_alu 0xfffd
	v_subrev_co_ci_u32_e64 v10, null, 0, v10, vcc_lo
	v_add_f64_e32 v[81:82], 1.0, v[81:82]
	v_cmp_nge_f64_e32 vcc_lo, -1.0, v[77:78]
	s_delay_alu instid0(VALU_DEP_3) | instskip(NEXT) | instid1(VALU_DEP_1)
	v_sub_nc_u32_e32 v118, 0, v10
	v_ldexp_f64 v[79:80], v[79:80], v118
	s_delay_alu instid0(VALU_DEP_4) | instskip(SKIP_1) | instid1(VALU_DEP_2)
	v_add_f64_e32 v[81:82], v[114:115], v[81:82]
	s_and_b32 vcc_lo, vcc_lo, s20
	v_add_f64_e32 v[116:117], 1.0, v[79:80]
	v_add_f64_e32 v[122:123], -1.0, v[79:80]
	s_delay_alu instid0(VALU_DEP_3) | instskip(NEXT) | instid1(VALU_DEP_3)
	v_ldexp_f64 v[81:82], v[81:82], v118
	v_add_f64_e32 v[114:115], -1.0, v[116:117]
	s_delay_alu instid0(VALU_DEP_3) | instskip(NEXT) | instid1(VALU_DEP_2)
	v_add_f64_e32 v[124:125], 1.0, v[122:123]
	v_add_f64_e64 v[114:115], v[79:80], -v[114:115]
	s_delay_alu instid0(VALU_DEP_2) | instskip(NEXT) | instid1(VALU_DEP_2)
	v_add_f64_e64 v[79:80], v[79:80], -v[124:125]
	v_add_f64_e32 v[114:115], v[81:82], v[114:115]
	s_delay_alu instid0(VALU_DEP_2) | instskip(NEXT) | instid1(VALU_DEP_2)
	v_add_f64_e32 v[79:80], v[81:82], v[79:80]
	v_add_f64_e32 v[118:119], v[116:117], v[114:115]
	s_delay_alu instid0(VALU_DEP_2) | instskip(NEXT) | instid1(VALU_DEP_2)
	v_add_f64_e32 v[124:125], v[122:123], v[79:80]
	v_rcp_f64_e32 v[120:121], v[118:119]
	v_add_f64_e64 v[116:117], v[118:119], -v[116:117]
	s_delay_alu instid0(VALU_DEP_2) | instskip(NEXT) | instid1(VALU_DEP_2)
	v_add_f64_e64 v[122:123], v[124:125], -v[122:123]
	v_add_f64_e64 v[114:115], v[114:115], -v[116:117]
	s_delay_alu instid0(TRANS32_DEP_1) | instskip(NEXT) | instid1(VALU_DEP_3)
	v_fma_f64 v[126:127], -v[118:119], v[120:121], 1.0
	v_add_f64_e64 v[79:80], v[79:80], -v[122:123]
	s_delay_alu instid0(VALU_DEP_2) | instskip(NEXT) | instid1(VALU_DEP_1)
	v_fma_f64 v[120:121], v[126:127], v[120:121], v[120:121]
	v_fma_f64 v[81:82], -v[118:119], v[120:121], 1.0
	s_delay_alu instid0(VALU_DEP_1) | instskip(NEXT) | instid1(VALU_DEP_1)
	v_fma_f64 v[81:82], v[81:82], v[120:121], v[120:121]
	v_mul_f64_e32 v[120:121], v[124:125], v[81:82]
	s_delay_alu instid0(VALU_DEP_1) | instskip(NEXT) | instid1(VALU_DEP_1)
	v_mul_f64_e32 v[126:127], v[118:119], v[120:121]
	v_fma_f64 v[116:117], v[120:121], v[118:119], -v[126:127]
	s_delay_alu instid0(VALU_DEP_1) | instskip(NEXT) | instid1(VALU_DEP_1)
	v_fma_f64 v[116:117], v[120:121], v[114:115], v[116:117]
	v_add_f64_e32 v[128:129], v[126:127], v[116:117]
	s_delay_alu instid0(VALU_DEP_1) | instskip(SKIP_1) | instid1(VALU_DEP_2)
	v_add_f64_e64 v[130:131], v[124:125], -v[128:129]
	v_add_f64_e64 v[122:123], v[128:129], -v[126:127]
	v_add_f64_e64 v[124:125], v[124:125], -v[130:131]
	s_delay_alu instid0(VALU_DEP_2) | instskip(NEXT) | instid1(VALU_DEP_2)
	v_add_f64_e64 v[116:117], v[122:123], -v[116:117]
	v_add_f64_e64 v[124:125], v[124:125], -v[128:129]
	s_delay_alu instid0(VALU_DEP_1) | instskip(NEXT) | instid1(VALU_DEP_1)
	v_add_f64_e32 v[79:80], v[79:80], v[124:125]
	v_add_f64_e32 v[79:80], v[116:117], v[79:80]
	s_delay_alu instid0(VALU_DEP_1) | instskip(NEXT) | instid1(VALU_DEP_1)
	v_add_f64_e32 v[116:117], v[130:131], v[79:80]
	v_mul_f64_e32 v[122:123], v[81:82], v[116:117]
	v_add_f64_e64 v[128:129], v[130:131], -v[116:117]
	s_delay_alu instid0(VALU_DEP_2) | instskip(NEXT) | instid1(VALU_DEP_2)
	v_mul_f64_e32 v[124:125], v[118:119], v[122:123]
	v_add_f64_e32 v[79:80], v[79:80], v[128:129]
	s_delay_alu instid0(VALU_DEP_2) | instskip(NEXT) | instid1(VALU_DEP_1)
	v_fma_f64 v[118:119], v[122:123], v[118:119], -v[124:125]
	v_fma_f64 v[114:115], v[122:123], v[114:115], v[118:119]
	s_delay_alu instid0(VALU_DEP_1) | instskip(NEXT) | instid1(VALU_DEP_1)
	v_add_f64_e32 v[118:119], v[124:125], v[114:115]
	v_add_f64_e64 v[126:127], v[116:117], -v[118:119]
	v_add_f64_e64 v[124:125], v[118:119], -v[124:125]
	s_delay_alu instid0(VALU_DEP_2) | instskip(NEXT) | instid1(VALU_DEP_2)
	v_add_f64_e64 v[116:117], v[116:117], -v[126:127]
	v_add_f64_e64 v[114:115], v[124:125], -v[114:115]
	s_delay_alu instid0(VALU_DEP_2) | instskip(NEXT) | instid1(VALU_DEP_1)
	v_add_f64_e64 v[116:117], v[116:117], -v[118:119]
	v_add_f64_e32 v[79:80], v[79:80], v[116:117]
	v_add_f64_e32 v[116:117], v[120:121], v[122:123]
	s_delay_alu instid0(VALU_DEP_2) | instskip(NEXT) | instid1(VALU_DEP_2)
	v_add_f64_e32 v[79:80], v[114:115], v[79:80]
	v_add_f64_e64 v[114:115], v[116:117], -v[120:121]
	s_delay_alu instid0(VALU_DEP_2) | instskip(NEXT) | instid1(VALU_DEP_2)
	v_add_f64_e32 v[79:80], v[126:127], v[79:80]
	v_add_f64_e64 v[114:115], v[122:123], -v[114:115]
	s_delay_alu instid0(VALU_DEP_2) | instskip(NEXT) | instid1(VALU_DEP_1)
	v_mul_f64_e32 v[79:80], v[81:82], v[79:80]
	v_add_f64_e32 v[79:80], v[114:115], v[79:80]
	s_delay_alu instid0(VALU_DEP_1) | instskip(NEXT) | instid1(VALU_DEP_1)
	v_add_f64_e32 v[81:82], v[116:117], v[79:80]
	v_mul_f64_e32 v[114:115], v[81:82], v[81:82]
	s_delay_alu instid0(VALU_DEP_1) | instskip(SKIP_1) | instid1(VALU_DEP_2)
	v_fma_f64 v[118:119], v[114:115], s[72:73], s[70:71]
	v_mul_f64_e32 v[120:121], v[81:82], v[114:115]
	v_fma_f64 v[118:119], v[114:115], v[118:119], s[74:75]
	s_delay_alu instid0(VALU_DEP_1) | instskip(NEXT) | instid1(VALU_DEP_1)
	v_fma_f64 v[118:119], v[114:115], v[118:119], s[76:77]
	v_fma_f64 v[118:119], v[114:115], v[118:119], s[78:79]
	s_delay_alu instid0(VALU_DEP_1) | instskip(NEXT) | instid1(VALU_DEP_1)
	v_fma_f64 v[118:119], v[114:115], v[118:119], s[80:81]
	v_fma_f64 v[114:115], v[114:115], v[118:119], s[82:83]
	v_ldexp_f64 v[118:119], v[81:82], 1
	v_add_f64_e64 v[81:82], v[81:82], -v[116:117]
	s_delay_alu instid0(VALU_DEP_3) | instskip(SKIP_1) | instid1(VALU_DEP_3)
	v_mul_f64_e32 v[114:115], v[120:121], v[114:115]
	v_cvt_f64_i32_e32 v[120:121], v10
	v_add_f64_e64 v[79:80], v[79:80], -v[81:82]
	s_delay_alu instid0(VALU_DEP_3) | instskip(NEXT) | instid1(VALU_DEP_3)
	v_add_f64_e32 v[116:117], v[118:119], v[114:115]
	v_mul_f64_e32 v[122:123], s[84:85], v[120:121]
	s_delay_alu instid0(VALU_DEP_3) | instskip(NEXT) | instid1(VALU_DEP_3)
	v_ldexp_f64 v[79:80], v[79:80], 1
	v_add_f64_e64 v[81:82], v[116:117], -v[118:119]
	s_delay_alu instid0(VALU_DEP_3) | instskip(NEXT) | instid1(VALU_DEP_2)
	v_fma_f64 v[118:119], v[120:121], s[84:85], -v[122:123]
	v_add_f64_e64 v[81:82], v[114:115], -v[81:82]
	s_delay_alu instid0(VALU_DEP_2) | instskip(NEXT) | instid1(VALU_DEP_2)
	v_fma_f64 v[114:115], v[120:121], s[86:87], v[118:119]
	v_add_f64_e32 v[79:80], v[79:80], v[81:82]
	s_delay_alu instid0(VALU_DEP_2) | instskip(NEXT) | instid1(VALU_DEP_2)
	v_add_f64_e32 v[81:82], v[122:123], v[114:115]
	v_add_f64_e32 v[118:119], v[116:117], v[79:80]
	s_delay_alu instid0(VALU_DEP_2) | instskip(NEXT) | instid1(VALU_DEP_2)
	v_add_f64_e64 v[122:123], v[81:82], -v[122:123]
	v_add_f64_e32 v[120:121], v[81:82], v[118:119]
	v_add_f64_e64 v[116:117], v[118:119], -v[116:117]
	s_delay_alu instid0(VALU_DEP_3) | instskip(NEXT) | instid1(VALU_DEP_3)
	v_add_f64_e64 v[114:115], v[114:115], -v[122:123]
	v_add_f64_e64 v[124:125], v[120:121], -v[81:82]
	s_delay_alu instid0(VALU_DEP_3) | instskip(NEXT) | instid1(VALU_DEP_2)
	v_add_f64_e64 v[79:80], v[79:80], -v[116:117]
	v_add_f64_e64 v[126:127], v[120:121], -v[124:125]
	v_add_f64_e64 v[116:117], v[118:119], -v[124:125]
	s_delay_alu instid0(VALU_DEP_3) | instskip(NEXT) | instid1(VALU_DEP_3)
	v_add_f64_e32 v[118:119], v[114:115], v[79:80]
	v_add_f64_e64 v[81:82], v[81:82], -v[126:127]
	s_delay_alu instid0(VALU_DEP_1) | instskip(NEXT) | instid1(VALU_DEP_3)
	v_add_f64_e32 v[81:82], v[116:117], v[81:82]
	v_add_f64_e64 v[116:117], v[118:119], -v[114:115]
	s_delay_alu instid0(VALU_DEP_2) | instskip(NEXT) | instid1(VALU_DEP_2)
	v_add_f64_e32 v[81:82], v[118:119], v[81:82]
	v_add_f64_e64 v[118:119], v[118:119], -v[116:117]
	v_add_f64_e64 v[79:80], v[79:80], -v[116:117]
	s_delay_alu instid0(VALU_DEP_3) | instskip(NEXT) | instid1(VALU_DEP_3)
	v_add_f64_e32 v[122:123], v[120:121], v[81:82]
	v_add_f64_e64 v[114:115], v[114:115], -v[118:119]
	s_delay_alu instid0(VALU_DEP_2) | instskip(NEXT) | instid1(VALU_DEP_2)
	v_add_f64_e64 v[116:117], v[122:123], -v[120:121]
	v_add_f64_e32 v[79:80], v[79:80], v[114:115]
	s_delay_alu instid0(VALU_DEP_2) | instskip(NEXT) | instid1(VALU_DEP_1)
	v_add_f64_e64 v[81:82], v[81:82], -v[116:117]
	v_add_f64_e32 v[79:80], v[79:80], v[81:82]
	s_delay_alu instid0(VALU_DEP_1) | instskip(SKIP_1) | instid1(VALU_DEP_1)
	v_add_f64_e32 v[79:80], v[122:123], v[79:80]
	s_wait_alu 0xfffe
	v_cndmask_b32_e32 v79, 0, v79, vcc_lo
	v_cmp_neq_f64_e32 vcc_lo, -1.0, v[77:78]
	s_delay_alu instid0(VALU_DEP_3) | instskip(NEXT) | instid1(VALU_DEP_1)
	v_cndmask_b32_e64 v10, 0x7ff00000, v80, s20
	v_cndmask_b32_e64 v10, 0x7ff80000, v10, s21
	s_wait_alu 0xfffd
	s_delay_alu instid0(VALU_DEP_1) | instskip(NEXT) | instid1(VALU_DEP_1)
	v_cndmask_b32_e32 v80, 0xfff00000, v10, vcc_lo
	v_add_f64_e32 v[77:78], v[7:8], v[79:80]
	s_branch .LBB71_123
.LBB71_152:
                                        ; implicit-def: $vgpr5_vgpr6_vgpr7_vgpr8_vgpr9_vgpr10_vgpr11_vgpr12_vgpr13_vgpr14_vgpr15_vgpr16_vgpr17_vgpr18_vgpr19_vgpr20_vgpr21_vgpr22_vgpr23_vgpr24_vgpr25_vgpr26_vgpr27_vgpr28_vgpr29_vgpr30_vgpr31_vgpr32_vgpr33_vgpr34_vgpr35_vgpr36
	s_cbranch_execnz .LBB71_196
	s_branch .LBB71_307
.LBB71_153:
	s_and_saveexec_b32 s46, s19
	s_cbranch_execz .LBB71_157
; %bb.154:
	v_max_num_f64_e32 v[7:8], v[5:6], v[5:6]
	v_max_num_f64_e32 v[9:10], v[75:76], v[75:76]
	v_cmp_u_f64_e32 vcc_lo, v[75:76], v[75:76]
	v_cmp_u_f64_e64 s20, v[5:6], v[5:6]
	s_delay_alu instid0(VALU_DEP_3) | instskip(SKIP_2) | instid1(VALU_DEP_2)
	v_min_num_f64_e32 v[73:74], v[9:10], v[7:8]
	v_max_num_f64_e32 v[7:8], v[9:10], v[7:8]
	s_wait_alu 0xfffd
	v_dual_cndmask_b32 v9, v73, v75 :: v_dual_cndmask_b32 v10, v74, v76
	s_delay_alu instid0(VALU_DEP_2) | instskip(SKIP_1) | instid1(VALU_DEP_2)
	v_dual_cndmask_b32 v8, v8, v76 :: v_dual_cndmask_b32 v7, v7, v75
	s_wait_alu 0xf1ff
	v_cndmask_b32_e64 v9, v9, v5, s20
	s_delay_alu instid0(VALU_DEP_3) | instskip(NEXT) | instid1(VALU_DEP_3)
	v_cndmask_b32_e64 v10, v10, v6, s20
	v_cndmask_b32_e64 v8, v8, v6, s20
	v_cndmask_b32_e64 v7, v7, v5, s20
	v_dual_mov_b32 v5, v75 :: v_dual_mov_b32 v6, v76
	s_delay_alu instid0(VALU_DEP_4) | instskip(NEXT) | instid1(VALU_DEP_3)
	v_cmp_class_f64_e64 s20, v[9:10], 0x1f8
	v_cmp_neq_f64_e32 vcc_lo, v[9:10], v[7:8]
	s_or_b32 s20, vcc_lo, s20
	s_wait_alu 0xfffe
	s_and_saveexec_b32 s47, s20
	s_cbranch_execz .LBB71_156
; %bb.155:
	v_add_f64_e64 v[5:6], v[9:10], -v[7:8]
	s_mov_b32 s20, 0x652b82fe
	s_mov_b32 s21, 0x3ff71547
	;; [unrolled: 1-line block ×10, first 2 shown]
	s_wait_alu 0xfffe
	s_delay_alu instid0(VALU_DEP_1) | instskip(SKIP_3) | instid1(VALU_DEP_2)
	v_mul_f64_e32 v[9:10], s[20:21], v[5:6]
	s_mov_b32 s20, 0xfca7ab0c
	s_mov_b32 s21, 0x3e928af3
	v_cmp_nlt_f64_e32 vcc_lo, 0x40900000, v[5:6]
	v_rndne_f64_e32 v[9:10], v[9:10]
	s_delay_alu instid0(VALU_DEP_1) | instskip(SKIP_2) | instid1(VALU_DEP_2)
	v_fma_f64 v[73:74], v[9:10], s[42:43], v[5:6]
	v_cvt_i32_f64_e32 v79, v[9:10]
	s_mov_b32 s43, 0x3fe62e42
	v_fma_f64 v[73:74], v[9:10], s[44:45], v[73:74]
	s_mov_b32 s45, 0x3c7abc9e
	s_wait_alu 0xfffe
	s_delay_alu instid0(VALU_DEP_1)
	v_fma_f64 v[77:78], v[73:74], s[48:49], s[20:21]
	s_mov_b32 s20, 0x623fde64
	s_mov_b32 s21, 0x3ec71dee
	;; [unrolled: 1-line block ×4, first 2 shown]
	s_wait_alu 0xfffe
	s_delay_alu instid0(VALU_DEP_1) | instskip(SKIP_3) | instid1(VALU_DEP_1)
	v_fma_f64 v[77:78], v[73:74], v[77:78], s[20:21]
	s_mov_b32 s20, 0x7c89e6b0
	s_mov_b32 s21, 0x3efa0199
	s_wait_alu 0xfffe
	v_fma_f64 v[77:78], v[73:74], v[77:78], s[20:21]
	s_mov_b32 s20, 0x14761f6e
	s_mov_b32 s21, 0x3f2a01a0
	s_wait_alu 0xfffe
	s_delay_alu instid0(VALU_DEP_1) | instskip(SKIP_3) | instid1(VALU_DEP_1)
	v_fma_f64 v[77:78], v[73:74], v[77:78], s[20:21]
	s_mov_b32 s20, 0x1852b7b0
	s_mov_b32 s21, 0x3f56c16c
	s_wait_alu 0xfffe
	v_fma_f64 v[77:78], v[73:74], v[77:78], s[20:21]
	s_mov_b32 s20, 0x11122322
	s_mov_b32 s21, 0x3f811111
	;; [unrolled: 9-line block ×3, first 2 shown]
	s_wait_alu 0xfffe
	s_delay_alu instid0(VALU_DEP_1) | instskip(SKIP_3) | instid1(VALU_DEP_1)
	v_fma_f64 v[77:78], v[73:74], v[77:78], s[20:21]
	s_mov_b32 s20, 11
	s_mov_b32 s21, 0x3fe00000
	s_wait_alu 0xfffe
	v_fma_f64 v[77:78], v[73:74], v[77:78], s[20:21]
	v_cmp_ngt_f64_e64 s20, 0xc090cc00, v[5:6]
	s_mov_b32 s21, 0x3fe55555
	v_fma_f64 v[77:78], v[73:74], v[77:78], 1.0
	s_delay_alu instid0(VALU_DEP_1) | instskip(NEXT) | instid1(VALU_DEP_1)
	v_fma_f64 v[9:10], v[73:74], v[77:78], 1.0
	v_ldexp_f64 v[9:10], v[9:10], v79
	s_wait_alu 0xfffd
	s_delay_alu instid0(VALU_DEP_1) | instskip(SKIP_2) | instid1(VALU_DEP_2)
	v_cndmask_b32_e32 v10, 0x7ff00000, v10, vcc_lo
	s_and_b32 vcc_lo, s20, vcc_lo
	s_wait_alu 0xfffe
	v_cndmask_b32_e32 v5, 0, v9, vcc_lo
	s_delay_alu instid0(VALU_DEP_2) | instskip(SKIP_1) | instid1(VALU_DEP_1)
	v_cndmask_b32_e64 v6, 0, v10, s20
	s_mov_b32 s20, 0x55555555
	v_add_f64_e32 v[9:10], 1.0, v[5:6]
	s_delay_alu instid0(VALU_DEP_1) | instskip(SKIP_3) | instid1(VALU_DEP_3)
	v_frexp_mant_f64_e32 v[73:74], v[9:10]
	v_frexp_exp_i32_f64_e32 v79, v[9:10]
	v_add_f64_e32 v[77:78], -1.0, v[9:10]
	s_wait_alu 0xfffe
	v_cmp_gt_f64_e32 vcc_lo, s[20:21], v[73:74]
	s_mov_b32 s20, 0x55555780
	s_delay_alu instid0(VALU_DEP_2) | instskip(SKIP_3) | instid1(VALU_DEP_3)
	v_add_f64_e64 v[73:74], v[77:78], -v[9:10]
	v_add_f64_e64 v[77:78], v[5:6], -v[77:78]
	s_wait_alu 0xfffd
	v_subrev_co_ci_u32_e64 v101, null, 0, v79, vcc_lo
	v_add_f64_e32 v[73:74], 1.0, v[73:74]
	v_cmp_nge_f64_e32 vcc_lo, -1.0, v[5:6]
	s_delay_alu instid0(VALU_DEP_3) | instskip(NEXT) | instid1(VALU_DEP_1)
	v_sub_nc_u32_e32 v81, 0, v101
	v_ldexp_f64 v[9:10], v[9:10], v81
	s_delay_alu instid0(VALU_DEP_4) | instskip(NEXT) | instid1(VALU_DEP_2)
	v_add_f64_e32 v[73:74], v[77:78], v[73:74]
	v_add_f64_e32 v[79:80], 1.0, v[9:10]
	v_add_f64_e32 v[106:107], -1.0, v[9:10]
	s_delay_alu instid0(VALU_DEP_3) | instskip(NEXT) | instid1(VALU_DEP_3)
	v_ldexp_f64 v[73:74], v[73:74], v81
	v_add_f64_e32 v[77:78], -1.0, v[79:80]
	s_delay_alu instid0(VALU_DEP_3) | instskip(NEXT) | instid1(VALU_DEP_2)
	v_add_f64_e32 v[108:109], 1.0, v[106:107]
	v_add_f64_e64 v[77:78], v[9:10], -v[77:78]
	s_delay_alu instid0(VALU_DEP_2) | instskip(NEXT) | instid1(VALU_DEP_2)
	v_add_f64_e64 v[9:10], v[9:10], -v[108:109]
	v_add_f64_e32 v[77:78], v[73:74], v[77:78]
	s_delay_alu instid0(VALU_DEP_2) | instskip(NEXT) | instid1(VALU_DEP_2)
	v_add_f64_e32 v[9:10], v[73:74], v[9:10]
	v_add_f64_e32 v[81:82], v[79:80], v[77:78]
	s_delay_alu instid0(VALU_DEP_2) | instskip(NEXT) | instid1(VALU_DEP_2)
	v_add_f64_e32 v[108:109], v[106:107], v[9:10]
	v_rcp_f64_e32 v[104:105], v[81:82]
	v_add_f64_e64 v[79:80], v[81:82], -v[79:80]
	s_delay_alu instid0(VALU_DEP_2) | instskip(NEXT) | instid1(VALU_DEP_2)
	v_add_f64_e64 v[106:107], v[108:109], -v[106:107]
	v_add_f64_e64 v[77:78], v[77:78], -v[79:80]
	s_delay_alu instid0(TRANS32_DEP_1) | instskip(NEXT) | instid1(VALU_DEP_3)
	v_fma_f64 v[110:111], -v[81:82], v[104:105], 1.0
	v_add_f64_e64 v[9:10], v[9:10], -v[106:107]
	s_delay_alu instid0(VALU_DEP_2) | instskip(NEXT) | instid1(VALU_DEP_1)
	v_fma_f64 v[104:105], v[110:111], v[104:105], v[104:105]
	v_fma_f64 v[73:74], -v[81:82], v[104:105], 1.0
	s_delay_alu instid0(VALU_DEP_1) | instskip(NEXT) | instid1(VALU_DEP_1)
	v_fma_f64 v[73:74], v[73:74], v[104:105], v[104:105]
	v_mul_f64_e32 v[104:105], v[108:109], v[73:74]
	s_delay_alu instid0(VALU_DEP_1) | instskip(NEXT) | instid1(VALU_DEP_1)
	v_mul_f64_e32 v[110:111], v[81:82], v[104:105]
	v_fma_f64 v[79:80], v[104:105], v[81:82], -v[110:111]
	s_delay_alu instid0(VALU_DEP_1) | instskip(NEXT) | instid1(VALU_DEP_1)
	v_fma_f64 v[79:80], v[104:105], v[77:78], v[79:80]
	v_add_f64_e32 v[112:113], v[110:111], v[79:80]
	s_delay_alu instid0(VALU_DEP_1) | instskip(SKIP_1) | instid1(VALU_DEP_2)
	v_add_f64_e64 v[114:115], v[108:109], -v[112:113]
	v_add_f64_e64 v[106:107], v[112:113], -v[110:111]
	;; [unrolled: 1-line block ×3, first 2 shown]
	s_delay_alu instid0(VALU_DEP_2) | instskip(NEXT) | instid1(VALU_DEP_2)
	v_add_f64_e64 v[79:80], v[106:107], -v[79:80]
	v_add_f64_e64 v[108:109], v[108:109], -v[112:113]
	s_delay_alu instid0(VALU_DEP_1) | instskip(NEXT) | instid1(VALU_DEP_1)
	v_add_f64_e32 v[9:10], v[9:10], v[108:109]
	v_add_f64_e32 v[9:10], v[79:80], v[9:10]
	s_delay_alu instid0(VALU_DEP_1) | instskip(NEXT) | instid1(VALU_DEP_1)
	v_add_f64_e32 v[79:80], v[114:115], v[9:10]
	v_mul_f64_e32 v[106:107], v[73:74], v[79:80]
	v_add_f64_e64 v[112:113], v[114:115], -v[79:80]
	s_delay_alu instid0(VALU_DEP_2) | instskip(NEXT) | instid1(VALU_DEP_2)
	v_mul_f64_e32 v[108:109], v[81:82], v[106:107]
	v_add_f64_e32 v[9:10], v[9:10], v[112:113]
	s_delay_alu instid0(VALU_DEP_2) | instskip(NEXT) | instid1(VALU_DEP_1)
	v_fma_f64 v[81:82], v[106:107], v[81:82], -v[108:109]
	v_fma_f64 v[77:78], v[106:107], v[77:78], v[81:82]
	s_delay_alu instid0(VALU_DEP_1) | instskip(NEXT) | instid1(VALU_DEP_1)
	v_add_f64_e32 v[81:82], v[108:109], v[77:78]
	v_add_f64_e64 v[110:111], v[79:80], -v[81:82]
	v_add_f64_e64 v[108:109], v[81:82], -v[108:109]
	s_delay_alu instid0(VALU_DEP_2) | instskip(NEXT) | instid1(VALU_DEP_2)
	v_add_f64_e64 v[79:80], v[79:80], -v[110:111]
	v_add_f64_e64 v[77:78], v[108:109], -v[77:78]
	s_delay_alu instid0(VALU_DEP_2) | instskip(NEXT) | instid1(VALU_DEP_1)
	v_add_f64_e64 v[79:80], v[79:80], -v[81:82]
	v_add_f64_e32 v[9:10], v[9:10], v[79:80]
	v_add_f64_e32 v[79:80], v[104:105], v[106:107]
	s_delay_alu instid0(VALU_DEP_2) | instskip(NEXT) | instid1(VALU_DEP_2)
	v_add_f64_e32 v[9:10], v[77:78], v[9:10]
	v_add_f64_e64 v[77:78], v[79:80], -v[104:105]
	s_delay_alu instid0(VALU_DEP_2) | instskip(NEXT) | instid1(VALU_DEP_2)
	v_add_f64_e32 v[9:10], v[110:111], v[9:10]
	v_add_f64_e64 v[77:78], v[106:107], -v[77:78]
	s_delay_alu instid0(VALU_DEP_2) | instskip(NEXT) | instid1(VALU_DEP_1)
	v_mul_f64_e32 v[9:10], v[73:74], v[9:10]
	v_add_f64_e32 v[9:10], v[77:78], v[9:10]
	s_delay_alu instid0(VALU_DEP_1) | instskip(NEXT) | instid1(VALU_DEP_1)
	v_add_f64_e32 v[73:74], v[79:80], v[9:10]
	v_mul_f64_e32 v[77:78], v[73:74], v[73:74]
	s_delay_alu instid0(VALU_DEP_1) | instskip(SKIP_4) | instid1(VALU_DEP_2)
	v_fma_f64 v[81:82], v[77:78], s[50:51], s[48:49]
	s_mov_b32 s48, 0xd7f4df2e
	s_mov_b32 s49, 0x3fc7474d
	v_mul_f64_e32 v[104:105], v[73:74], v[77:78]
	s_wait_alu 0xfffe
	v_fma_f64 v[81:82], v[77:78], v[81:82], s[48:49]
	s_mov_b32 s48, 0x16291751
	s_mov_b32 s49, 0x3fcc71c0
	s_wait_alu 0xfffe
	s_delay_alu instid0(VALU_DEP_1) | instskip(SKIP_3) | instid1(VALU_DEP_1)
	v_fma_f64 v[81:82], v[77:78], v[81:82], s[48:49]
	s_mov_b32 s48, 0x9b27acf1
	s_mov_b32 s49, 0x3fd24924
	s_wait_alu 0xfffe
	v_fma_f64 v[81:82], v[77:78], v[81:82], s[48:49]
	s_mov_b32 s48, 0x998ef7b6
	s_mov_b32 s49, 0x3fd99999
	s_wait_alu 0xfffe
	s_delay_alu instid0(VALU_DEP_1) | instskip(NEXT) | instid1(VALU_DEP_1)
	v_fma_f64 v[81:82], v[77:78], v[81:82], s[48:49]
	v_fma_f64 v[77:78], v[77:78], v[81:82], s[20:21]
	v_ldexp_f64 v[81:82], v[73:74], 1
	v_add_f64_e64 v[73:74], v[73:74], -v[79:80]
	v_cmp_neq_f64_e64 s20, 0x7ff00000, v[5:6]
	v_cmp_ngt_f64_e64 s21, -1.0, v[5:6]
	v_mul_f64_e32 v[77:78], v[104:105], v[77:78]
	v_cvt_f64_i32_e32 v[104:105], v101
	v_add_f64_e64 v[9:10], v[9:10], -v[73:74]
	s_and_b32 vcc_lo, vcc_lo, s20
	s_delay_alu instid0(VALU_DEP_3) | instskip(NEXT) | instid1(VALU_DEP_3)
	v_add_f64_e32 v[79:80], v[81:82], v[77:78]
	v_mul_f64_e32 v[106:107], s[42:43], v[104:105]
	s_delay_alu instid0(VALU_DEP_3) | instskip(NEXT) | instid1(VALU_DEP_3)
	v_ldexp_f64 v[9:10], v[9:10], 1
	v_add_f64_e64 v[73:74], v[79:80], -v[81:82]
	s_delay_alu instid0(VALU_DEP_3) | instskip(NEXT) | instid1(VALU_DEP_2)
	v_fma_f64 v[81:82], v[104:105], s[42:43], -v[106:107]
	v_add_f64_e64 v[73:74], v[77:78], -v[73:74]
	s_delay_alu instid0(VALU_DEP_2) | instskip(NEXT) | instid1(VALU_DEP_2)
	v_fma_f64 v[77:78], v[104:105], s[44:45], v[81:82]
	v_add_f64_e32 v[9:10], v[9:10], v[73:74]
	s_delay_alu instid0(VALU_DEP_2) | instskip(NEXT) | instid1(VALU_DEP_2)
	v_add_f64_e32 v[73:74], v[106:107], v[77:78]
	v_add_f64_e32 v[81:82], v[79:80], v[9:10]
	s_delay_alu instid0(VALU_DEP_2) | instskip(NEXT) | instid1(VALU_DEP_2)
	v_add_f64_e64 v[106:107], v[73:74], -v[106:107]
	v_add_f64_e32 v[104:105], v[73:74], v[81:82]
	v_add_f64_e64 v[79:80], v[81:82], -v[79:80]
	s_delay_alu instid0(VALU_DEP_3) | instskip(NEXT) | instid1(VALU_DEP_3)
	v_add_f64_e64 v[77:78], v[77:78], -v[106:107]
	v_add_f64_e64 v[108:109], v[104:105], -v[73:74]
	s_delay_alu instid0(VALU_DEP_3) | instskip(NEXT) | instid1(VALU_DEP_2)
	v_add_f64_e64 v[9:10], v[9:10], -v[79:80]
	v_add_f64_e64 v[110:111], v[104:105], -v[108:109]
	;; [unrolled: 1-line block ×3, first 2 shown]
	s_delay_alu instid0(VALU_DEP_3) | instskip(NEXT) | instid1(VALU_DEP_3)
	v_add_f64_e32 v[81:82], v[77:78], v[9:10]
	v_add_f64_e64 v[73:74], v[73:74], -v[110:111]
	s_delay_alu instid0(VALU_DEP_1) | instskip(NEXT) | instid1(VALU_DEP_3)
	v_add_f64_e32 v[73:74], v[79:80], v[73:74]
	v_add_f64_e64 v[79:80], v[81:82], -v[77:78]
	s_delay_alu instid0(VALU_DEP_2) | instskip(NEXT) | instid1(VALU_DEP_2)
	v_add_f64_e32 v[73:74], v[81:82], v[73:74]
	v_add_f64_e64 v[81:82], v[81:82], -v[79:80]
	v_add_f64_e64 v[9:10], v[9:10], -v[79:80]
	s_delay_alu instid0(VALU_DEP_3) | instskip(NEXT) | instid1(VALU_DEP_3)
	v_add_f64_e32 v[106:107], v[104:105], v[73:74]
	v_add_f64_e64 v[77:78], v[77:78], -v[81:82]
	s_delay_alu instid0(VALU_DEP_2) | instskip(NEXT) | instid1(VALU_DEP_2)
	v_add_f64_e64 v[79:80], v[106:107], -v[104:105]
	v_add_f64_e32 v[9:10], v[9:10], v[77:78]
	s_delay_alu instid0(VALU_DEP_2) | instskip(NEXT) | instid1(VALU_DEP_1)
	v_add_f64_e64 v[73:74], v[73:74], -v[79:80]
	v_add_f64_e32 v[9:10], v[9:10], v[73:74]
	s_delay_alu instid0(VALU_DEP_1) | instskip(SKIP_1) | instid1(VALU_DEP_1)
	v_add_f64_e32 v[9:10], v[106:107], v[9:10]
	s_wait_alu 0xfffe
	v_cndmask_b32_e32 v9, 0, v9, vcc_lo
	v_cmp_neq_f64_e32 vcc_lo, -1.0, v[5:6]
	s_delay_alu instid0(VALU_DEP_3) | instskip(NEXT) | instid1(VALU_DEP_1)
	v_cndmask_b32_e64 v10, 0x7ff00000, v10, s20
	v_cndmask_b32_e64 v10, 0x7ff80000, v10, s21
	s_wait_alu 0xfffd
	s_delay_alu instid0(VALU_DEP_1) | instskip(NEXT) | instid1(VALU_DEP_1)
	v_cndmask_b32_e32 v10, 0xfff00000, v10, vcc_lo
	v_add_f64_e32 v[5:6], v[7:8], v[9:10]
.LBB71_156:
	s_wait_alu 0xfffe
	s_or_b32 exec_lo, exec_lo, s47
	s_add_co_i32 s20, s33, 32
	s_mov_b32 s21, 0
	v_dual_mov_b32 v7, 2 :: v_dual_mov_b32 v8, 0
	s_wait_alu 0xfffe
	s_lshl_b64 s[20:21], s[20:21], 4
	s_wait_alu 0xfffe
	s_add_nc_u64 s[20:21], s[34:35], s[20:21]
	s_wait_alu 0xfffe
	v_dual_mov_b32 v9, s20 :: v_dual_mov_b32 v10, s21
	;;#ASMSTART
	global_store_b128 v[9:10], v[5:8] off scope:SCOPE_DEV	
s_wait_storecnt 0x0
	;;#ASMEND
.LBB71_157:
	s_wait_alu 0xfffe
	s_or_b32 exec_lo, exec_lo, s46
	s_delay_alu instid0(SALU_CYCLE_1)
	s_and_b32 exec_lo, exec_lo, s3
; %bb.158:
	v_mov_b32_e32 v5, 0
	ds_store_b64 v5, v[75:76] offset:56
.LBB71_159:
	s_or_b32 exec_lo, exec_lo, s88
	v_dual_mov_b32 v5, 0 :: v_dual_mov_b32 v10, v2
	s_wait_loadcnt_dscnt 0x0
	s_barrier_signal -1
	s_barrier_wait -1
	global_inv scope:SCOPE_SE
	ds_load_b64 v[5:6], v5 offset:56
	v_mov_b32_e32 v9, v1
	s_and_saveexec_b32 s33, s2
	s_cbranch_execz .LBB71_163
; %bb.160:
	v_cndmask_b32_e64 v9, v102, v71, s19
	v_cndmask_b32_e64 v10, v103, v72, s19
	s_delay_alu instid0(VALU_DEP_1) | instskip(SKIP_1) | instid1(VALU_DEP_2)
	v_max_num_f64_e32 v[7:8], v[9:10], v[9:10]
	v_cmp_u_f64_e32 vcc_lo, v[9:10], v[9:10]
	v_min_num_f64_e32 v[71:72], v[7:8], v[69:70]
	v_max_num_f64_e32 v[7:8], v[7:8], v[69:70]
	s_wait_alu 0xfffd
	s_delay_alu instid0(VALU_DEP_2) | instskip(NEXT) | instid1(VALU_DEP_2)
	v_dual_cndmask_b32 v69, v71, v9 :: v_dual_cndmask_b32 v70, v72, v10
	v_dual_cndmask_b32 v7, v7, v9 :: v_dual_cndmask_b32 v8, v8, v10
	s_delay_alu instid0(VALU_DEP_2) | instskip(NEXT) | instid1(VALU_DEP_3)
	v_cndmask_b32_e64 v69, v69, v1, s18
	v_cndmask_b32_e64 v70, v70, v2, s18
	s_delay_alu instid0(VALU_DEP_3) | instskip(NEXT) | instid1(VALU_DEP_4)
	v_cndmask_b32_e64 v7, v7, v1, s18
	v_cndmask_b32_e64 v8, v8, v2, s18
	s_delay_alu instid0(VALU_DEP_3) | instskip(NEXT) | instid1(VALU_DEP_2)
	v_cmp_class_f64_e64 s18, v[69:70], 0x1f8
	v_cmp_neq_f64_e32 vcc_lo, v[69:70], v[7:8]
	s_or_b32 s18, vcc_lo, s18
	s_wait_alu 0xfffe
	s_and_saveexec_b32 s44, s18
	s_cbranch_execz .LBB71_162
; %bb.161:
	v_add_f64_e64 v[9:10], v[69:70], -v[7:8]
	s_mov_b32 s18, 0x652b82fe
	s_mov_b32 s19, 0x3ff71547
	;; [unrolled: 1-line block ×10, first 2 shown]
	s_wait_alu 0xfffe
	s_delay_alu instid0(VALU_DEP_1) | instskip(SKIP_3) | instid1(VALU_DEP_2)
	v_mul_f64_e32 v[69:70], s[18:19], v[9:10]
	s_mov_b32 s18, 0xfca7ab0c
	s_mov_b32 s19, 0x3e928af3
	v_cmp_nlt_f64_e32 vcc_lo, 0x40900000, v[9:10]
	v_rndne_f64_e32 v[69:70], v[69:70]
	s_delay_alu instid0(VALU_DEP_1) | instskip(SKIP_2) | instid1(VALU_DEP_2)
	v_fma_f64 v[71:72], v[69:70], s[20:21], v[9:10]
	v_cvt_i32_f64_e32 v75, v[69:70]
	s_mov_b32 s21, 0x3fe62e42
	v_fma_f64 v[71:72], v[69:70], s[42:43], v[71:72]
	s_mov_b32 s43, 0x3c7abc9e
	s_wait_alu 0xfffe
	s_delay_alu instid0(VALU_DEP_1)
	v_fma_f64 v[73:74], v[71:72], s[46:47], s[18:19]
	s_mov_b32 s18, 0x623fde64
	s_mov_b32 s19, 0x3ec71dee
	;; [unrolled: 1-line block ×4, first 2 shown]
	s_wait_alu 0xfffe
	s_delay_alu instid0(VALU_DEP_1) | instskip(SKIP_3) | instid1(VALU_DEP_1)
	v_fma_f64 v[73:74], v[71:72], v[73:74], s[18:19]
	s_mov_b32 s18, 0x7c89e6b0
	s_mov_b32 s19, 0x3efa0199
	s_wait_alu 0xfffe
	v_fma_f64 v[73:74], v[71:72], v[73:74], s[18:19]
	s_mov_b32 s18, 0x14761f6e
	s_mov_b32 s19, 0x3f2a01a0
	s_wait_alu 0xfffe
	s_delay_alu instid0(VALU_DEP_1) | instskip(SKIP_3) | instid1(VALU_DEP_1)
	v_fma_f64 v[73:74], v[71:72], v[73:74], s[18:19]
	s_mov_b32 s18, 0x1852b7b0
	s_mov_b32 s19, 0x3f56c16c
	s_wait_alu 0xfffe
	v_fma_f64 v[73:74], v[71:72], v[73:74], s[18:19]
	s_mov_b32 s18, 0x11122322
	s_mov_b32 s19, 0x3f811111
	;; [unrolled: 9-line block ×3, first 2 shown]
	s_wait_alu 0xfffe
	s_delay_alu instid0(VALU_DEP_1) | instskip(SKIP_3) | instid1(VALU_DEP_1)
	v_fma_f64 v[73:74], v[71:72], v[73:74], s[18:19]
	s_mov_b32 s18, 11
	s_mov_b32 s19, 0x3fe00000
	s_wait_alu 0xfffe
	v_fma_f64 v[73:74], v[71:72], v[73:74], s[18:19]
	v_cmp_ngt_f64_e64 s18, 0xc090cc00, v[9:10]
	s_mov_b32 s19, 0x3fe55555
	v_fma_f64 v[73:74], v[71:72], v[73:74], 1.0
	s_delay_alu instid0(VALU_DEP_1) | instskip(NEXT) | instid1(VALU_DEP_1)
	v_fma_f64 v[69:70], v[71:72], v[73:74], 1.0
	v_ldexp_f64 v[69:70], v[69:70], v75
	s_wait_alu 0xfffd
	s_delay_alu instid0(VALU_DEP_1) | instskip(SKIP_2) | instid1(VALU_DEP_2)
	v_cndmask_b32_e32 v70, 0x7ff00000, v70, vcc_lo
	s_and_b32 vcc_lo, s18, vcc_lo
	s_wait_alu 0xfffe
	v_cndmask_b32_e32 v9, 0, v69, vcc_lo
	s_delay_alu instid0(VALU_DEP_2) | instskip(SKIP_1) | instid1(VALU_DEP_1)
	v_cndmask_b32_e64 v10, 0, v70, s18
	s_mov_b32 s18, 0x55555555
	v_add_f64_e32 v[69:70], 1.0, v[9:10]
	s_delay_alu instid0(VALU_DEP_1) | instskip(SKIP_3) | instid1(VALU_DEP_3)
	v_frexp_mant_f64_e32 v[71:72], v[69:70]
	v_frexp_exp_i32_f64_e32 v75, v[69:70]
	v_add_f64_e32 v[73:74], -1.0, v[69:70]
	s_wait_alu 0xfffe
	v_cmp_gt_f64_e32 vcc_lo, s[18:19], v[71:72]
	s_mov_b32 s18, 0x55555780
	s_delay_alu instid0(VALU_DEP_2) | instskip(SKIP_3) | instid1(VALU_DEP_3)
	v_add_f64_e64 v[71:72], v[73:74], -v[69:70]
	v_add_f64_e64 v[73:74], v[9:10], -v[73:74]
	s_wait_alu 0xfffd
	v_subrev_co_ci_u32_e64 v109, null, 0, v75, vcc_lo
	v_add_f64_e32 v[71:72], 1.0, v[71:72]
	v_cmp_nge_f64_e32 vcc_lo, -1.0, v[9:10]
	s_delay_alu instid0(VALU_DEP_3) | instskip(NEXT) | instid1(VALU_DEP_1)
	v_sub_nc_u32_e32 v77, 0, v109
	v_ldexp_f64 v[69:70], v[69:70], v77
	s_delay_alu instid0(VALU_DEP_4) | instskip(NEXT) | instid1(VALU_DEP_2)
	v_add_f64_e32 v[71:72], v[73:74], v[71:72]
	v_add_f64_e32 v[75:76], 1.0, v[69:70]
	v_add_f64_e32 v[81:82], -1.0, v[69:70]
	s_delay_alu instid0(VALU_DEP_3) | instskip(NEXT) | instid1(VALU_DEP_3)
	v_ldexp_f64 v[71:72], v[71:72], v77
	v_add_f64_e32 v[73:74], -1.0, v[75:76]
	s_delay_alu instid0(VALU_DEP_3) | instskip(NEXT) | instid1(VALU_DEP_2)
	v_add_f64_e32 v[101:102], 1.0, v[81:82]
	v_add_f64_e64 v[73:74], v[69:70], -v[73:74]
	s_delay_alu instid0(VALU_DEP_2) | instskip(NEXT) | instid1(VALU_DEP_2)
	v_add_f64_e64 v[69:70], v[69:70], -v[101:102]
	v_add_f64_e32 v[73:74], v[71:72], v[73:74]
	s_delay_alu instid0(VALU_DEP_2) | instskip(NEXT) | instid1(VALU_DEP_2)
	v_add_f64_e32 v[69:70], v[71:72], v[69:70]
	v_add_f64_e32 v[77:78], v[75:76], v[73:74]
	s_delay_alu instid0(VALU_DEP_2) | instskip(NEXT) | instid1(VALU_DEP_2)
	v_add_f64_e32 v[101:102], v[81:82], v[69:70]
	v_rcp_f64_e32 v[79:80], v[77:78]
	v_add_f64_e64 v[75:76], v[77:78], -v[75:76]
	s_delay_alu instid0(VALU_DEP_2) | instskip(NEXT) | instid1(VALU_DEP_2)
	v_add_f64_e64 v[81:82], v[101:102], -v[81:82]
	v_add_f64_e64 v[73:74], v[73:74], -v[75:76]
	s_delay_alu instid0(TRANS32_DEP_1) | instskip(NEXT) | instid1(VALU_DEP_3)
	v_fma_f64 v[103:104], -v[77:78], v[79:80], 1.0
	v_add_f64_e64 v[69:70], v[69:70], -v[81:82]
	s_delay_alu instid0(VALU_DEP_2) | instskip(NEXT) | instid1(VALU_DEP_1)
	v_fma_f64 v[79:80], v[103:104], v[79:80], v[79:80]
	v_fma_f64 v[71:72], -v[77:78], v[79:80], 1.0
	s_delay_alu instid0(VALU_DEP_1) | instskip(NEXT) | instid1(VALU_DEP_1)
	v_fma_f64 v[71:72], v[71:72], v[79:80], v[79:80]
	v_mul_f64_e32 v[79:80], v[101:102], v[71:72]
	s_delay_alu instid0(VALU_DEP_1) | instskip(NEXT) | instid1(VALU_DEP_1)
	v_mul_f64_e32 v[103:104], v[77:78], v[79:80]
	v_fma_f64 v[75:76], v[79:80], v[77:78], -v[103:104]
	s_delay_alu instid0(VALU_DEP_1) | instskip(NEXT) | instid1(VALU_DEP_1)
	v_fma_f64 v[75:76], v[79:80], v[73:74], v[75:76]
	v_add_f64_e32 v[105:106], v[103:104], v[75:76]
	s_delay_alu instid0(VALU_DEP_1) | instskip(SKIP_1) | instid1(VALU_DEP_2)
	v_add_f64_e64 v[107:108], v[101:102], -v[105:106]
	v_add_f64_e64 v[81:82], v[105:106], -v[103:104]
	;; [unrolled: 1-line block ×3, first 2 shown]
	s_delay_alu instid0(VALU_DEP_2) | instskip(NEXT) | instid1(VALU_DEP_2)
	v_add_f64_e64 v[75:76], v[81:82], -v[75:76]
	v_add_f64_e64 v[101:102], v[101:102], -v[105:106]
	s_delay_alu instid0(VALU_DEP_1) | instskip(NEXT) | instid1(VALU_DEP_1)
	v_add_f64_e32 v[69:70], v[69:70], v[101:102]
	v_add_f64_e32 v[69:70], v[75:76], v[69:70]
	s_delay_alu instid0(VALU_DEP_1) | instskip(NEXT) | instid1(VALU_DEP_1)
	v_add_f64_e32 v[75:76], v[107:108], v[69:70]
	v_mul_f64_e32 v[81:82], v[71:72], v[75:76]
	v_add_f64_e64 v[105:106], v[107:108], -v[75:76]
	s_delay_alu instid0(VALU_DEP_2) | instskip(NEXT) | instid1(VALU_DEP_2)
	v_mul_f64_e32 v[101:102], v[77:78], v[81:82]
	v_add_f64_e32 v[69:70], v[69:70], v[105:106]
	s_delay_alu instid0(VALU_DEP_2) | instskip(NEXT) | instid1(VALU_DEP_1)
	v_fma_f64 v[77:78], v[81:82], v[77:78], -v[101:102]
	v_fma_f64 v[73:74], v[81:82], v[73:74], v[77:78]
	s_delay_alu instid0(VALU_DEP_1) | instskip(NEXT) | instid1(VALU_DEP_1)
	v_add_f64_e32 v[77:78], v[101:102], v[73:74]
	v_add_f64_e64 v[103:104], v[75:76], -v[77:78]
	v_add_f64_e64 v[101:102], v[77:78], -v[101:102]
	s_delay_alu instid0(VALU_DEP_2) | instskip(NEXT) | instid1(VALU_DEP_2)
	v_add_f64_e64 v[75:76], v[75:76], -v[103:104]
	v_add_f64_e64 v[73:74], v[101:102], -v[73:74]
	s_delay_alu instid0(VALU_DEP_2) | instskip(NEXT) | instid1(VALU_DEP_1)
	v_add_f64_e64 v[75:76], v[75:76], -v[77:78]
	v_add_f64_e32 v[69:70], v[69:70], v[75:76]
	v_add_f64_e32 v[75:76], v[79:80], v[81:82]
	s_delay_alu instid0(VALU_DEP_2) | instskip(NEXT) | instid1(VALU_DEP_2)
	v_add_f64_e32 v[69:70], v[73:74], v[69:70]
	v_add_f64_e64 v[73:74], v[75:76], -v[79:80]
	s_delay_alu instid0(VALU_DEP_2) | instskip(NEXT) | instid1(VALU_DEP_2)
	v_add_f64_e32 v[69:70], v[103:104], v[69:70]
	v_add_f64_e64 v[73:74], v[81:82], -v[73:74]
	s_delay_alu instid0(VALU_DEP_2) | instskip(NEXT) | instid1(VALU_DEP_1)
	v_mul_f64_e32 v[69:70], v[71:72], v[69:70]
	v_add_f64_e32 v[69:70], v[73:74], v[69:70]
	s_delay_alu instid0(VALU_DEP_1) | instskip(NEXT) | instid1(VALU_DEP_1)
	v_add_f64_e32 v[71:72], v[75:76], v[69:70]
	v_mul_f64_e32 v[73:74], v[71:72], v[71:72]
	s_delay_alu instid0(VALU_DEP_1) | instskip(SKIP_4) | instid1(VALU_DEP_2)
	v_fma_f64 v[77:78], v[73:74], s[48:49], s[46:47]
	s_mov_b32 s46, 0xd7f4df2e
	s_mov_b32 s47, 0x3fc7474d
	v_mul_f64_e32 v[79:80], v[71:72], v[73:74]
	s_wait_alu 0xfffe
	v_fma_f64 v[77:78], v[73:74], v[77:78], s[46:47]
	s_mov_b32 s46, 0x16291751
	s_mov_b32 s47, 0x3fcc71c0
	s_wait_alu 0xfffe
	s_delay_alu instid0(VALU_DEP_1) | instskip(SKIP_3) | instid1(VALU_DEP_1)
	v_fma_f64 v[77:78], v[73:74], v[77:78], s[46:47]
	s_mov_b32 s46, 0x9b27acf1
	s_mov_b32 s47, 0x3fd24924
	s_wait_alu 0xfffe
	v_fma_f64 v[77:78], v[73:74], v[77:78], s[46:47]
	s_mov_b32 s46, 0x998ef7b6
	s_mov_b32 s47, 0x3fd99999
	s_wait_alu 0xfffe
	s_delay_alu instid0(VALU_DEP_1) | instskip(NEXT) | instid1(VALU_DEP_1)
	v_fma_f64 v[77:78], v[73:74], v[77:78], s[46:47]
	v_fma_f64 v[73:74], v[73:74], v[77:78], s[18:19]
	v_ldexp_f64 v[77:78], v[71:72], 1
	v_add_f64_e64 v[71:72], v[71:72], -v[75:76]
	v_cmp_neq_f64_e64 s18, 0x7ff00000, v[9:10]
	v_cmp_ngt_f64_e64 s19, -1.0, v[9:10]
	v_mul_f64_e32 v[73:74], v[79:80], v[73:74]
	v_cvt_f64_i32_e32 v[79:80], v109
	v_add_f64_e64 v[69:70], v[69:70], -v[71:72]
	s_and_b32 vcc_lo, vcc_lo, s18
	s_delay_alu instid0(VALU_DEP_3) | instskip(NEXT) | instid1(VALU_DEP_3)
	v_add_f64_e32 v[75:76], v[77:78], v[73:74]
	v_mul_f64_e32 v[81:82], s[20:21], v[79:80]
	s_delay_alu instid0(VALU_DEP_3) | instskip(NEXT) | instid1(VALU_DEP_3)
	v_ldexp_f64 v[69:70], v[69:70], 1
	v_add_f64_e64 v[71:72], v[75:76], -v[77:78]
	s_delay_alu instid0(VALU_DEP_3) | instskip(NEXT) | instid1(VALU_DEP_2)
	v_fma_f64 v[77:78], v[79:80], s[20:21], -v[81:82]
	v_add_f64_e64 v[71:72], v[73:74], -v[71:72]
	s_delay_alu instid0(VALU_DEP_2) | instskip(NEXT) | instid1(VALU_DEP_2)
	v_fma_f64 v[73:74], v[79:80], s[42:43], v[77:78]
	v_add_f64_e32 v[69:70], v[69:70], v[71:72]
	s_delay_alu instid0(VALU_DEP_2) | instskip(NEXT) | instid1(VALU_DEP_2)
	v_add_f64_e32 v[71:72], v[81:82], v[73:74]
	v_add_f64_e32 v[77:78], v[75:76], v[69:70]
	s_delay_alu instid0(VALU_DEP_2) | instskip(NEXT) | instid1(VALU_DEP_2)
	v_add_f64_e64 v[81:82], v[71:72], -v[81:82]
	v_add_f64_e32 v[79:80], v[71:72], v[77:78]
	v_add_f64_e64 v[75:76], v[77:78], -v[75:76]
	s_delay_alu instid0(VALU_DEP_3) | instskip(NEXT) | instid1(VALU_DEP_3)
	v_add_f64_e64 v[73:74], v[73:74], -v[81:82]
	v_add_f64_e64 v[101:102], v[79:80], -v[71:72]
	s_delay_alu instid0(VALU_DEP_3) | instskip(NEXT) | instid1(VALU_DEP_2)
	v_add_f64_e64 v[69:70], v[69:70], -v[75:76]
	v_add_f64_e64 v[103:104], v[79:80], -v[101:102]
	;; [unrolled: 1-line block ×3, first 2 shown]
	s_delay_alu instid0(VALU_DEP_3) | instskip(NEXT) | instid1(VALU_DEP_3)
	v_add_f64_e32 v[77:78], v[73:74], v[69:70]
	v_add_f64_e64 v[71:72], v[71:72], -v[103:104]
	s_delay_alu instid0(VALU_DEP_1) | instskip(NEXT) | instid1(VALU_DEP_3)
	v_add_f64_e32 v[71:72], v[75:76], v[71:72]
	v_add_f64_e64 v[75:76], v[77:78], -v[73:74]
	s_delay_alu instid0(VALU_DEP_2) | instskip(NEXT) | instid1(VALU_DEP_2)
	v_add_f64_e32 v[71:72], v[77:78], v[71:72]
	v_add_f64_e64 v[77:78], v[77:78], -v[75:76]
	v_add_f64_e64 v[69:70], v[69:70], -v[75:76]
	s_delay_alu instid0(VALU_DEP_3) | instskip(NEXT) | instid1(VALU_DEP_3)
	v_add_f64_e32 v[81:82], v[79:80], v[71:72]
	v_add_f64_e64 v[73:74], v[73:74], -v[77:78]
	s_delay_alu instid0(VALU_DEP_2) | instskip(NEXT) | instid1(VALU_DEP_2)
	v_add_f64_e64 v[75:76], v[81:82], -v[79:80]
	v_add_f64_e32 v[69:70], v[69:70], v[73:74]
	s_delay_alu instid0(VALU_DEP_2) | instskip(NEXT) | instid1(VALU_DEP_1)
	v_add_f64_e64 v[71:72], v[71:72], -v[75:76]
	v_add_f64_e32 v[69:70], v[69:70], v[71:72]
	s_delay_alu instid0(VALU_DEP_1) | instskip(SKIP_1) | instid1(VALU_DEP_1)
	v_add_f64_e32 v[69:70], v[81:82], v[69:70]
	s_wait_alu 0xfffe
	v_cndmask_b32_e32 v69, 0, v69, vcc_lo
	v_cmp_neq_f64_e32 vcc_lo, -1.0, v[9:10]
	s_delay_alu instid0(VALU_DEP_3) | instskip(NEXT) | instid1(VALU_DEP_1)
	v_cndmask_b32_e64 v70, 0x7ff00000, v70, s18
	v_cndmask_b32_e64 v70, 0x7ff80000, v70, s19
	s_wait_alu 0xfffd
	s_delay_alu instid0(VALU_DEP_1) | instskip(NEXT) | instid1(VALU_DEP_1)
	v_cndmask_b32_e32 v70, 0xfff00000, v70, vcc_lo
	v_add_f64_e32 v[9:10], v[7:8], v[69:70]
.LBB71_162:
	s_wait_alu 0xfffe
	s_or_b32 exec_lo, exec_lo, s44
.LBB71_163:
	s_wait_alu 0xfffe
	s_or_b32 exec_lo, exec_lo, s33
	s_delay_alu instid0(VALU_DEP_1) | instskip(SKIP_4) | instid1(VALU_DEP_3)
	v_max_num_f64_e32 v[7:8], v[9:10], v[9:10]
	s_wait_dscnt 0x0
	v_max_num_f64_e32 v[69:70], v[5:6], v[5:6]
	v_cmp_u_f64_e32 vcc_lo, v[5:6], v[5:6]
	v_cmp_u_f64_e64 s18, v[9:10], v[9:10]
	v_min_num_f64_e32 v[71:72], v[69:70], v[7:8]
	v_max_num_f64_e32 v[7:8], v[69:70], v[7:8]
	s_wait_alu 0xfffd
	s_delay_alu instid0(VALU_DEP_2) | instskip(NEXT) | instid1(VALU_DEP_2)
	v_dual_cndmask_b32 v69, v71, v5 :: v_dual_cndmask_b32 v70, v72, v6
	v_dual_cndmask_b32 v8, v8, v6 :: v_dual_cndmask_b32 v7, v7, v5
	s_wait_alu 0xf1ff
	s_delay_alu instid0(VALU_DEP_2) | instskip(NEXT) | instid1(VALU_DEP_3)
	v_cndmask_b32_e64 v69, v69, v9, s18
	v_cndmask_b32_e64 v70, v70, v10, s18
	s_delay_alu instid0(VALU_DEP_3) | instskip(SKIP_1) | instid1(VALU_DEP_3)
	v_cndmask_b32_e64 v8, v8, v10, s18
	v_cndmask_b32_e64 v7, v7, v9, s18
	v_cmp_class_f64_e64 s18, v[69:70], 0x1f8
	s_delay_alu instid0(VALU_DEP_2)
	v_cmp_neq_f64_e32 vcc_lo, v[69:70], v[7:8]
	s_or_b32 s18, vcc_lo, s18
	s_wait_alu 0xfffe
	s_and_saveexec_b32 s33, s18
	s_cbranch_execz .LBB71_165
; %bb.164:
	v_add_f64_e64 v[5:6], v[69:70], -v[7:8]
	s_mov_b32 s18, 0x652b82fe
	s_mov_b32 s19, 0x3ff71547
	;; [unrolled: 1-line block ×10, first 2 shown]
	s_wait_alu 0xfffe
	s_delay_alu instid0(VALU_DEP_1) | instskip(SKIP_3) | instid1(VALU_DEP_2)
	v_mul_f64_e32 v[9:10], s[18:19], v[5:6]
	s_mov_b32 s18, 0xfca7ab0c
	s_mov_b32 s19, 0x3e928af3
	v_cmp_nlt_f64_e32 vcc_lo, 0x40900000, v[5:6]
	v_rndne_f64_e32 v[9:10], v[9:10]
	s_delay_alu instid0(VALU_DEP_1) | instskip(SKIP_2) | instid1(VALU_DEP_2)
	v_fma_f64 v[69:70], v[9:10], s[20:21], v[5:6]
	v_cvt_i32_f64_e32 v73, v[9:10]
	s_mov_b32 s21, 0x3fe62e42
	v_fma_f64 v[69:70], v[9:10], s[42:43], v[69:70]
	s_mov_b32 s43, 0x3c7abc9e
	s_wait_alu 0xfffe
	s_delay_alu instid0(VALU_DEP_1)
	v_fma_f64 v[71:72], v[69:70], s[44:45], s[18:19]
	s_mov_b32 s18, 0x623fde64
	s_mov_b32 s19, 0x3ec71dee
	;; [unrolled: 1-line block ×4, first 2 shown]
	s_wait_alu 0xfffe
	s_delay_alu instid0(VALU_DEP_1) | instskip(SKIP_3) | instid1(VALU_DEP_1)
	v_fma_f64 v[71:72], v[69:70], v[71:72], s[18:19]
	s_mov_b32 s18, 0x7c89e6b0
	s_mov_b32 s19, 0x3efa0199
	s_wait_alu 0xfffe
	v_fma_f64 v[71:72], v[69:70], v[71:72], s[18:19]
	s_mov_b32 s18, 0x14761f6e
	s_mov_b32 s19, 0x3f2a01a0
	s_wait_alu 0xfffe
	s_delay_alu instid0(VALU_DEP_1) | instskip(SKIP_3) | instid1(VALU_DEP_1)
	v_fma_f64 v[71:72], v[69:70], v[71:72], s[18:19]
	s_mov_b32 s18, 0x1852b7b0
	s_mov_b32 s19, 0x3f56c16c
	s_wait_alu 0xfffe
	v_fma_f64 v[71:72], v[69:70], v[71:72], s[18:19]
	s_mov_b32 s18, 0x11122322
	s_mov_b32 s19, 0x3f811111
	;; [unrolled: 9-line block ×3, first 2 shown]
	s_wait_alu 0xfffe
	s_delay_alu instid0(VALU_DEP_1) | instskip(SKIP_3) | instid1(VALU_DEP_1)
	v_fma_f64 v[71:72], v[69:70], v[71:72], s[18:19]
	s_mov_b32 s18, 11
	s_mov_b32 s19, 0x3fe00000
	s_wait_alu 0xfffe
	v_fma_f64 v[71:72], v[69:70], v[71:72], s[18:19]
	v_cmp_ngt_f64_e64 s18, 0xc090cc00, v[5:6]
	s_mov_b32 s19, 0x3fe55555
	v_fma_f64 v[71:72], v[69:70], v[71:72], 1.0
	s_delay_alu instid0(VALU_DEP_1) | instskip(NEXT) | instid1(VALU_DEP_1)
	v_fma_f64 v[9:10], v[69:70], v[71:72], 1.0
	v_ldexp_f64 v[9:10], v[9:10], v73
	s_wait_alu 0xfffd
	s_delay_alu instid0(VALU_DEP_1) | instskip(SKIP_2) | instid1(VALU_DEP_2)
	v_cndmask_b32_e32 v10, 0x7ff00000, v10, vcc_lo
	s_and_b32 vcc_lo, s18, vcc_lo
	s_wait_alu 0xfffe
	v_cndmask_b32_e32 v5, 0, v9, vcc_lo
	s_delay_alu instid0(VALU_DEP_2) | instskip(SKIP_1) | instid1(VALU_DEP_1)
	v_cndmask_b32_e64 v6, 0, v10, s18
	s_mov_b32 s18, 0x55555555
	v_add_f64_e32 v[9:10], 1.0, v[5:6]
	s_delay_alu instid0(VALU_DEP_1) | instskip(SKIP_3) | instid1(VALU_DEP_3)
	v_frexp_mant_f64_e32 v[69:70], v[9:10]
	v_frexp_exp_i32_f64_e32 v73, v[9:10]
	v_add_f64_e32 v[71:72], -1.0, v[9:10]
	s_wait_alu 0xfffe
	v_cmp_gt_f64_e32 vcc_lo, s[18:19], v[69:70]
	s_mov_b32 s18, 0x55555780
	s_delay_alu instid0(VALU_DEP_2) | instskip(SKIP_3) | instid1(VALU_DEP_3)
	v_add_f64_e64 v[69:70], v[71:72], -v[9:10]
	v_add_f64_e64 v[71:72], v[5:6], -v[71:72]
	s_wait_alu 0xfffd
	v_subrev_co_ci_u32_e64 v107, null, 0, v73, vcc_lo
	v_add_f64_e32 v[69:70], 1.0, v[69:70]
	v_cmp_nge_f64_e32 vcc_lo, -1.0, v[5:6]
	s_delay_alu instid0(VALU_DEP_3) | instskip(NEXT) | instid1(VALU_DEP_1)
	v_sub_nc_u32_e32 v75, 0, v107
	v_ldexp_f64 v[9:10], v[9:10], v75
	s_delay_alu instid0(VALU_DEP_4) | instskip(NEXT) | instid1(VALU_DEP_2)
	v_add_f64_e32 v[69:70], v[71:72], v[69:70]
	v_add_f64_e32 v[73:74], 1.0, v[9:10]
	v_add_f64_e32 v[79:80], -1.0, v[9:10]
	s_delay_alu instid0(VALU_DEP_3) | instskip(NEXT) | instid1(VALU_DEP_3)
	v_ldexp_f64 v[69:70], v[69:70], v75
	v_add_f64_e32 v[71:72], -1.0, v[73:74]
	s_delay_alu instid0(VALU_DEP_3) | instskip(NEXT) | instid1(VALU_DEP_2)
	v_add_f64_e32 v[81:82], 1.0, v[79:80]
	v_add_f64_e64 v[71:72], v[9:10], -v[71:72]
	s_delay_alu instid0(VALU_DEP_2) | instskip(NEXT) | instid1(VALU_DEP_2)
	v_add_f64_e64 v[9:10], v[9:10], -v[81:82]
	v_add_f64_e32 v[71:72], v[69:70], v[71:72]
	s_delay_alu instid0(VALU_DEP_2) | instskip(NEXT) | instid1(VALU_DEP_2)
	v_add_f64_e32 v[9:10], v[69:70], v[9:10]
	v_add_f64_e32 v[75:76], v[73:74], v[71:72]
	s_delay_alu instid0(VALU_DEP_2) | instskip(NEXT) | instid1(VALU_DEP_2)
	v_add_f64_e32 v[81:82], v[79:80], v[9:10]
	v_rcp_f64_e32 v[77:78], v[75:76]
	v_add_f64_e64 v[73:74], v[75:76], -v[73:74]
	s_delay_alu instid0(VALU_DEP_2) | instskip(NEXT) | instid1(VALU_DEP_2)
	v_add_f64_e64 v[79:80], v[81:82], -v[79:80]
	v_add_f64_e64 v[71:72], v[71:72], -v[73:74]
	s_delay_alu instid0(TRANS32_DEP_1) | instskip(NEXT) | instid1(VALU_DEP_3)
	v_fma_f64 v[101:102], -v[75:76], v[77:78], 1.0
	v_add_f64_e64 v[9:10], v[9:10], -v[79:80]
	s_delay_alu instid0(VALU_DEP_2) | instskip(NEXT) | instid1(VALU_DEP_1)
	v_fma_f64 v[77:78], v[101:102], v[77:78], v[77:78]
	v_fma_f64 v[69:70], -v[75:76], v[77:78], 1.0
	s_delay_alu instid0(VALU_DEP_1) | instskip(NEXT) | instid1(VALU_DEP_1)
	v_fma_f64 v[69:70], v[69:70], v[77:78], v[77:78]
	v_mul_f64_e32 v[77:78], v[81:82], v[69:70]
	s_delay_alu instid0(VALU_DEP_1) | instskip(NEXT) | instid1(VALU_DEP_1)
	v_mul_f64_e32 v[101:102], v[75:76], v[77:78]
	v_fma_f64 v[73:74], v[77:78], v[75:76], -v[101:102]
	s_delay_alu instid0(VALU_DEP_1) | instskip(NEXT) | instid1(VALU_DEP_1)
	v_fma_f64 v[73:74], v[77:78], v[71:72], v[73:74]
	v_add_f64_e32 v[103:104], v[101:102], v[73:74]
	s_delay_alu instid0(VALU_DEP_1) | instskip(SKIP_1) | instid1(VALU_DEP_2)
	v_add_f64_e64 v[105:106], v[81:82], -v[103:104]
	v_add_f64_e64 v[79:80], v[103:104], -v[101:102]
	;; [unrolled: 1-line block ×3, first 2 shown]
	s_delay_alu instid0(VALU_DEP_2) | instskip(NEXT) | instid1(VALU_DEP_2)
	v_add_f64_e64 v[73:74], v[79:80], -v[73:74]
	v_add_f64_e64 v[81:82], v[81:82], -v[103:104]
	s_delay_alu instid0(VALU_DEP_1) | instskip(NEXT) | instid1(VALU_DEP_1)
	v_add_f64_e32 v[9:10], v[9:10], v[81:82]
	v_add_f64_e32 v[9:10], v[73:74], v[9:10]
	s_delay_alu instid0(VALU_DEP_1) | instskip(NEXT) | instid1(VALU_DEP_1)
	v_add_f64_e32 v[73:74], v[105:106], v[9:10]
	v_mul_f64_e32 v[79:80], v[69:70], v[73:74]
	v_add_f64_e64 v[103:104], v[105:106], -v[73:74]
	s_delay_alu instid0(VALU_DEP_2) | instskip(NEXT) | instid1(VALU_DEP_2)
	v_mul_f64_e32 v[81:82], v[75:76], v[79:80]
	v_add_f64_e32 v[9:10], v[9:10], v[103:104]
	s_delay_alu instid0(VALU_DEP_2) | instskip(NEXT) | instid1(VALU_DEP_1)
	v_fma_f64 v[75:76], v[79:80], v[75:76], -v[81:82]
	v_fma_f64 v[71:72], v[79:80], v[71:72], v[75:76]
	s_delay_alu instid0(VALU_DEP_1) | instskip(NEXT) | instid1(VALU_DEP_1)
	v_add_f64_e32 v[75:76], v[81:82], v[71:72]
	v_add_f64_e64 v[101:102], v[73:74], -v[75:76]
	v_add_f64_e64 v[81:82], v[75:76], -v[81:82]
	s_delay_alu instid0(VALU_DEP_2) | instskip(NEXT) | instid1(VALU_DEP_2)
	v_add_f64_e64 v[73:74], v[73:74], -v[101:102]
	v_add_f64_e64 v[71:72], v[81:82], -v[71:72]
	s_delay_alu instid0(VALU_DEP_2) | instskip(NEXT) | instid1(VALU_DEP_1)
	v_add_f64_e64 v[73:74], v[73:74], -v[75:76]
	v_add_f64_e32 v[9:10], v[9:10], v[73:74]
	v_add_f64_e32 v[73:74], v[77:78], v[79:80]
	s_delay_alu instid0(VALU_DEP_2) | instskip(NEXT) | instid1(VALU_DEP_2)
	v_add_f64_e32 v[9:10], v[71:72], v[9:10]
	v_add_f64_e64 v[71:72], v[73:74], -v[77:78]
	s_delay_alu instid0(VALU_DEP_2) | instskip(NEXT) | instid1(VALU_DEP_2)
	v_add_f64_e32 v[9:10], v[101:102], v[9:10]
	v_add_f64_e64 v[71:72], v[79:80], -v[71:72]
	s_delay_alu instid0(VALU_DEP_2) | instskip(NEXT) | instid1(VALU_DEP_1)
	v_mul_f64_e32 v[9:10], v[69:70], v[9:10]
	v_add_f64_e32 v[9:10], v[71:72], v[9:10]
	s_delay_alu instid0(VALU_DEP_1) | instskip(NEXT) | instid1(VALU_DEP_1)
	v_add_f64_e32 v[69:70], v[73:74], v[9:10]
	v_mul_f64_e32 v[71:72], v[69:70], v[69:70]
	s_delay_alu instid0(VALU_DEP_1) | instskip(SKIP_4) | instid1(VALU_DEP_2)
	v_fma_f64 v[75:76], v[71:72], s[46:47], s[44:45]
	s_mov_b32 s44, 0xd7f4df2e
	s_mov_b32 s45, 0x3fc7474d
	v_mul_f64_e32 v[77:78], v[69:70], v[71:72]
	s_wait_alu 0xfffe
	v_fma_f64 v[75:76], v[71:72], v[75:76], s[44:45]
	s_mov_b32 s44, 0x16291751
	s_mov_b32 s45, 0x3fcc71c0
	s_wait_alu 0xfffe
	s_delay_alu instid0(VALU_DEP_1) | instskip(SKIP_3) | instid1(VALU_DEP_1)
	v_fma_f64 v[75:76], v[71:72], v[75:76], s[44:45]
	s_mov_b32 s44, 0x9b27acf1
	s_mov_b32 s45, 0x3fd24924
	s_wait_alu 0xfffe
	v_fma_f64 v[75:76], v[71:72], v[75:76], s[44:45]
	s_mov_b32 s44, 0x998ef7b6
	s_mov_b32 s45, 0x3fd99999
	s_wait_alu 0xfffe
	s_delay_alu instid0(VALU_DEP_1) | instskip(NEXT) | instid1(VALU_DEP_1)
	v_fma_f64 v[75:76], v[71:72], v[75:76], s[44:45]
	v_fma_f64 v[71:72], v[71:72], v[75:76], s[18:19]
	v_ldexp_f64 v[75:76], v[69:70], 1
	v_add_f64_e64 v[69:70], v[69:70], -v[73:74]
	v_cmp_neq_f64_e64 s18, 0x7ff00000, v[5:6]
	v_cmp_ngt_f64_e64 s19, -1.0, v[5:6]
	v_mul_f64_e32 v[71:72], v[77:78], v[71:72]
	v_cvt_f64_i32_e32 v[77:78], v107
	v_add_f64_e64 v[9:10], v[9:10], -v[69:70]
	s_and_b32 vcc_lo, vcc_lo, s18
	s_delay_alu instid0(VALU_DEP_3) | instskip(NEXT) | instid1(VALU_DEP_3)
	v_add_f64_e32 v[73:74], v[75:76], v[71:72]
	v_mul_f64_e32 v[79:80], s[20:21], v[77:78]
	s_delay_alu instid0(VALU_DEP_3) | instskip(NEXT) | instid1(VALU_DEP_3)
	v_ldexp_f64 v[9:10], v[9:10], 1
	v_add_f64_e64 v[69:70], v[73:74], -v[75:76]
	s_delay_alu instid0(VALU_DEP_3) | instskip(NEXT) | instid1(VALU_DEP_2)
	v_fma_f64 v[75:76], v[77:78], s[20:21], -v[79:80]
	v_add_f64_e64 v[69:70], v[71:72], -v[69:70]
	s_delay_alu instid0(VALU_DEP_2) | instskip(NEXT) | instid1(VALU_DEP_2)
	v_fma_f64 v[71:72], v[77:78], s[42:43], v[75:76]
	v_add_f64_e32 v[9:10], v[9:10], v[69:70]
	s_delay_alu instid0(VALU_DEP_2) | instskip(NEXT) | instid1(VALU_DEP_2)
	v_add_f64_e32 v[69:70], v[79:80], v[71:72]
	v_add_f64_e32 v[75:76], v[73:74], v[9:10]
	s_delay_alu instid0(VALU_DEP_2) | instskip(NEXT) | instid1(VALU_DEP_2)
	v_add_f64_e64 v[79:80], v[69:70], -v[79:80]
	v_add_f64_e32 v[77:78], v[69:70], v[75:76]
	v_add_f64_e64 v[73:74], v[75:76], -v[73:74]
	s_delay_alu instid0(VALU_DEP_3) | instskip(NEXT) | instid1(VALU_DEP_3)
	v_add_f64_e64 v[71:72], v[71:72], -v[79:80]
	v_add_f64_e64 v[81:82], v[77:78], -v[69:70]
	s_delay_alu instid0(VALU_DEP_3) | instskip(NEXT) | instid1(VALU_DEP_2)
	v_add_f64_e64 v[9:10], v[9:10], -v[73:74]
	v_add_f64_e64 v[101:102], v[77:78], -v[81:82]
	;; [unrolled: 1-line block ×3, first 2 shown]
	s_delay_alu instid0(VALU_DEP_3) | instskip(NEXT) | instid1(VALU_DEP_3)
	v_add_f64_e32 v[75:76], v[71:72], v[9:10]
	v_add_f64_e64 v[69:70], v[69:70], -v[101:102]
	s_delay_alu instid0(VALU_DEP_1) | instskip(NEXT) | instid1(VALU_DEP_3)
	v_add_f64_e32 v[69:70], v[73:74], v[69:70]
	v_add_f64_e64 v[73:74], v[75:76], -v[71:72]
	s_delay_alu instid0(VALU_DEP_2) | instskip(NEXT) | instid1(VALU_DEP_2)
	v_add_f64_e32 v[69:70], v[75:76], v[69:70]
	v_add_f64_e64 v[75:76], v[75:76], -v[73:74]
	v_add_f64_e64 v[9:10], v[9:10], -v[73:74]
	s_delay_alu instid0(VALU_DEP_3) | instskip(NEXT) | instid1(VALU_DEP_3)
	v_add_f64_e32 v[79:80], v[77:78], v[69:70]
	v_add_f64_e64 v[71:72], v[71:72], -v[75:76]
	s_delay_alu instid0(VALU_DEP_2) | instskip(NEXT) | instid1(VALU_DEP_2)
	v_add_f64_e64 v[73:74], v[79:80], -v[77:78]
	v_add_f64_e32 v[9:10], v[9:10], v[71:72]
	s_delay_alu instid0(VALU_DEP_2) | instskip(NEXT) | instid1(VALU_DEP_1)
	v_add_f64_e64 v[69:70], v[69:70], -v[73:74]
	v_add_f64_e32 v[9:10], v[9:10], v[69:70]
	s_delay_alu instid0(VALU_DEP_1) | instskip(SKIP_1) | instid1(VALU_DEP_1)
	v_add_f64_e32 v[9:10], v[79:80], v[9:10]
	s_wait_alu 0xfffe
	v_cndmask_b32_e32 v9, 0, v9, vcc_lo
	v_cmp_neq_f64_e32 vcc_lo, -1.0, v[5:6]
	s_delay_alu instid0(VALU_DEP_3) | instskip(NEXT) | instid1(VALU_DEP_1)
	v_cndmask_b32_e64 v10, 0x7ff00000, v10, s18
	v_cndmask_b32_e64 v10, 0x7ff80000, v10, s19
	s_wait_alu 0xfffd
	s_delay_alu instid0(VALU_DEP_1) | instskip(NEXT) | instid1(VALU_DEP_1)
	v_cndmask_b32_e32 v10, 0xfff00000, v10, vcc_lo
	v_add_f64_e32 v[5:6], v[7:8], v[9:10]
.LBB71_165:
	s_wait_alu 0xfffe
	s_or_b32 exec_lo, exec_lo, s33
	s_delay_alu instid0(VALU_DEP_1) | instskip(SKIP_1) | instid1(VALU_DEP_2)
	v_max_num_f64_e32 v[7:8], v[5:6], v[5:6]
	v_cmp_u_f64_e32 vcc_lo, v[5:6], v[5:6]
	v_min_num_f64_e32 v[9:10], v[7:8], v[65:66]
	v_max_num_f64_e32 v[7:8], v[7:8], v[65:66]
	s_wait_alu 0xfffd
	s_delay_alu instid0(VALU_DEP_2) | instskip(NEXT) | instid1(VALU_DEP_2)
	v_dual_cndmask_b32 v9, v9, v5 :: v_dual_cndmask_b32 v10, v10, v6
	v_dual_cndmask_b32 v8, v8, v6 :: v_dual_cndmask_b32 v7, v7, v5
	s_delay_alu instid0(VALU_DEP_2) | instskip(NEXT) | instid1(VALU_DEP_3)
	v_cndmask_b32_e64 v69, v9, v3, s1
	v_cndmask_b32_e64 v70, v10, v4, s1
	s_delay_alu instid0(VALU_DEP_3) | instskip(NEXT) | instid1(VALU_DEP_4)
	v_cndmask_b32_e64 v10, v8, v4, s1
	v_cndmask_b32_e64 v9, v7, v3, s1
	v_dual_mov_b32 v8, v6 :: v_dual_mov_b32 v7, v5
	s_delay_alu instid0(VALU_DEP_4) | instskip(NEXT) | instid1(VALU_DEP_3)
	v_cmp_class_f64_e64 s1, v[69:70], 0x1f8
	v_cmp_neq_f64_e32 vcc_lo, v[69:70], v[9:10]
	s_or_b32 s1, vcc_lo, s1
	s_wait_alu 0xfffe
	s_and_saveexec_b32 s33, s1
	s_cbranch_execz .LBB71_167
; %bb.166:
	v_add_f64_e64 v[7:8], v[69:70], -v[9:10]
	s_mov_b32 s18, 0x652b82fe
	s_mov_b32 s19, 0x3ff71547
	;; [unrolled: 1-line block ×10, first 2 shown]
	s_wait_alu 0xfffe
	s_delay_alu instid0(VALU_DEP_1) | instskip(SKIP_4) | instid1(VALU_DEP_3)
	v_mul_f64_e32 v[69:70], s[18:19], v[7:8]
	s_mov_b32 s19, 0xbfe62e42
	s_mov_b32 s18, 0xfefa39ef
	v_cmp_nlt_f64_e32 vcc_lo, 0x40900000, v[7:8]
	v_cmp_ngt_f64_e64 s1, 0xc090cc00, v[7:8]
	v_rndne_f64_e32 v[69:70], v[69:70]
	s_wait_alu 0xfffe
	s_delay_alu instid0(VALU_DEP_1) | instskip(SKIP_2) | instid1(VALU_DEP_2)
	v_fma_f64 v[71:72], v[69:70], s[18:19], v[7:8]
	v_cvt_i32_f64_e32 v75, v[69:70]
	s_mov_b32 s19, 0x3fe62e42
	v_fma_f64 v[71:72], v[69:70], s[20:21], v[71:72]
	s_mov_b32 s21, 0x3c7abc9e
	s_delay_alu instid0(VALU_DEP_1)
	v_fma_f64 v[73:74], v[71:72], s[44:45], s[42:43]
	s_mov_b32 s42, 0x623fde64
	s_mov_b32 s43, 0x3ec71dee
	;; [unrolled: 1-line block ×4, first 2 shown]
	s_wait_alu 0xfffe
	s_delay_alu instid0(VALU_DEP_1) | instskip(SKIP_3) | instid1(VALU_DEP_1)
	v_fma_f64 v[73:74], v[71:72], v[73:74], s[42:43]
	s_mov_b32 s42, 0x7c89e6b0
	s_mov_b32 s43, 0x3efa0199
	s_wait_alu 0xfffe
	v_fma_f64 v[73:74], v[71:72], v[73:74], s[42:43]
	s_mov_b32 s42, 0x14761f6e
	s_mov_b32 s43, 0x3f2a01a0
	s_wait_alu 0xfffe
	s_delay_alu instid0(VALU_DEP_1) | instskip(SKIP_3) | instid1(VALU_DEP_1)
	v_fma_f64 v[73:74], v[71:72], v[73:74], s[42:43]
	s_mov_b32 s42, 0x1852b7b0
	s_mov_b32 s43, 0x3f56c16c
	s_wait_alu 0xfffe
	v_fma_f64 v[73:74], v[71:72], v[73:74], s[42:43]
	s_mov_b32 s42, 0x11122322
	s_mov_b32 s43, 0x3f811111
	;; [unrolled: 9-line block ×4, first 2 shown]
	s_delay_alu instid0(VALU_DEP_1) | instskip(NEXT) | instid1(VALU_DEP_1)
	v_fma_f64 v[73:74], v[71:72], v[73:74], 1.0
	v_fma_f64 v[69:70], v[71:72], v[73:74], 1.0
	s_delay_alu instid0(VALU_DEP_1) | instskip(SKIP_1) | instid1(VALU_DEP_1)
	v_ldexp_f64 v[69:70], v[69:70], v75
	s_wait_alu 0xfffd
	v_cndmask_b32_e32 v70, 0x7ff00000, v70, vcc_lo
	s_and_b32 vcc_lo, s1, vcc_lo
	s_wait_alu 0xfffe
	s_delay_alu instid0(VALU_DEP_2) | instskip(NEXT) | instid1(VALU_DEP_2)
	v_cndmask_b32_e32 v7, 0, v69, vcc_lo
	v_cndmask_b32_e64 v8, 0, v70, s1
	s_delay_alu instid0(VALU_DEP_1) | instskip(SKIP_1) | instid1(VALU_DEP_2)
	v_add_f64_e32 v[69:70], 1.0, v[7:8]
	v_cmp_neq_f64_e64 s1, 0x7ff00000, v[7:8]
	v_frexp_mant_f64_e32 v[71:72], v[69:70]
	v_frexp_exp_i32_f64_e32 v75, v[69:70]
	v_add_f64_e32 v[73:74], -1.0, v[69:70]
	s_delay_alu instid0(VALU_DEP_3) | instskip(SKIP_1) | instid1(VALU_DEP_2)
	v_cmp_gt_f64_e32 vcc_lo, s[42:43], v[71:72]
	s_mov_b32 s42, 0x55555780
	v_add_f64_e64 v[71:72], v[73:74], -v[69:70]
	v_add_f64_e64 v[73:74], v[7:8], -v[73:74]
	s_wait_alu 0xfffd
	v_subrev_co_ci_u32_e64 v109, null, 0, v75, vcc_lo
	s_delay_alu instid0(VALU_DEP_3) | instskip(SKIP_1) | instid1(VALU_DEP_3)
	v_add_f64_e32 v[71:72], 1.0, v[71:72]
	v_cmp_nge_f64_e32 vcc_lo, -1.0, v[7:8]
	v_sub_nc_u32_e32 v77, 0, v109
	s_delay_alu instid0(VALU_DEP_1) | instskip(NEXT) | instid1(VALU_DEP_4)
	v_ldexp_f64 v[69:70], v[69:70], v77
	v_add_f64_e32 v[71:72], v[73:74], v[71:72]
	s_and_b32 vcc_lo, vcc_lo, s1
	s_delay_alu instid0(VALU_DEP_2) | instskip(SKIP_1) | instid1(VALU_DEP_3)
	v_add_f64_e32 v[75:76], 1.0, v[69:70]
	v_add_f64_e32 v[81:82], -1.0, v[69:70]
	v_ldexp_f64 v[71:72], v[71:72], v77
	s_delay_alu instid0(VALU_DEP_3) | instskip(NEXT) | instid1(VALU_DEP_3)
	v_add_f64_e32 v[73:74], -1.0, v[75:76]
	v_add_f64_e32 v[101:102], 1.0, v[81:82]
	s_delay_alu instid0(VALU_DEP_2) | instskip(NEXT) | instid1(VALU_DEP_2)
	v_add_f64_e64 v[73:74], v[69:70], -v[73:74]
	v_add_f64_e64 v[69:70], v[69:70], -v[101:102]
	s_delay_alu instid0(VALU_DEP_2) | instskip(NEXT) | instid1(VALU_DEP_2)
	v_add_f64_e32 v[73:74], v[71:72], v[73:74]
	v_add_f64_e32 v[69:70], v[71:72], v[69:70]
	s_delay_alu instid0(VALU_DEP_2) | instskip(NEXT) | instid1(VALU_DEP_2)
	v_add_f64_e32 v[77:78], v[75:76], v[73:74]
	v_add_f64_e32 v[101:102], v[81:82], v[69:70]
	s_delay_alu instid0(VALU_DEP_2) | instskip(SKIP_1) | instid1(VALU_DEP_2)
	v_rcp_f64_e32 v[79:80], v[77:78]
	v_add_f64_e64 v[75:76], v[77:78], -v[75:76]
	v_add_f64_e64 v[81:82], v[101:102], -v[81:82]
	s_delay_alu instid0(VALU_DEP_2) | instskip(NEXT) | instid1(TRANS32_DEP_1)
	v_add_f64_e64 v[73:74], v[73:74], -v[75:76]
	v_fma_f64 v[103:104], -v[77:78], v[79:80], 1.0
	s_delay_alu instid0(VALU_DEP_3) | instskip(NEXT) | instid1(VALU_DEP_2)
	v_add_f64_e64 v[69:70], v[69:70], -v[81:82]
	v_fma_f64 v[79:80], v[103:104], v[79:80], v[79:80]
	s_delay_alu instid0(VALU_DEP_1) | instskip(NEXT) | instid1(VALU_DEP_1)
	v_fma_f64 v[71:72], -v[77:78], v[79:80], 1.0
	v_fma_f64 v[71:72], v[71:72], v[79:80], v[79:80]
	s_delay_alu instid0(VALU_DEP_1) | instskip(NEXT) | instid1(VALU_DEP_1)
	v_mul_f64_e32 v[79:80], v[101:102], v[71:72]
	v_mul_f64_e32 v[103:104], v[77:78], v[79:80]
	s_delay_alu instid0(VALU_DEP_1) | instskip(NEXT) | instid1(VALU_DEP_1)
	v_fma_f64 v[75:76], v[79:80], v[77:78], -v[103:104]
	v_fma_f64 v[75:76], v[79:80], v[73:74], v[75:76]
	s_delay_alu instid0(VALU_DEP_1) | instskip(NEXT) | instid1(VALU_DEP_1)
	v_add_f64_e32 v[105:106], v[103:104], v[75:76]
	v_add_f64_e64 v[107:108], v[101:102], -v[105:106]
	v_add_f64_e64 v[81:82], v[105:106], -v[103:104]
	s_delay_alu instid0(VALU_DEP_2) | instskip(NEXT) | instid1(VALU_DEP_2)
	v_add_f64_e64 v[101:102], v[101:102], -v[107:108]
	v_add_f64_e64 v[75:76], v[81:82], -v[75:76]
	s_delay_alu instid0(VALU_DEP_2) | instskip(NEXT) | instid1(VALU_DEP_1)
	v_add_f64_e64 v[101:102], v[101:102], -v[105:106]
	v_add_f64_e32 v[69:70], v[69:70], v[101:102]
	s_delay_alu instid0(VALU_DEP_1) | instskip(NEXT) | instid1(VALU_DEP_1)
	v_add_f64_e32 v[69:70], v[75:76], v[69:70]
	v_add_f64_e32 v[75:76], v[107:108], v[69:70]
	s_delay_alu instid0(VALU_DEP_1) | instskip(SKIP_1) | instid1(VALU_DEP_2)
	v_mul_f64_e32 v[81:82], v[71:72], v[75:76]
	v_add_f64_e64 v[105:106], v[107:108], -v[75:76]
	v_mul_f64_e32 v[101:102], v[77:78], v[81:82]
	s_delay_alu instid0(VALU_DEP_2) | instskip(NEXT) | instid1(VALU_DEP_2)
	v_add_f64_e32 v[69:70], v[69:70], v[105:106]
	v_fma_f64 v[77:78], v[81:82], v[77:78], -v[101:102]
	s_delay_alu instid0(VALU_DEP_1) | instskip(NEXT) | instid1(VALU_DEP_1)
	v_fma_f64 v[73:74], v[81:82], v[73:74], v[77:78]
	v_add_f64_e32 v[77:78], v[101:102], v[73:74]
	s_delay_alu instid0(VALU_DEP_1) | instskip(SKIP_1) | instid1(VALU_DEP_2)
	v_add_f64_e64 v[103:104], v[75:76], -v[77:78]
	v_add_f64_e64 v[101:102], v[77:78], -v[101:102]
	v_add_f64_e64 v[75:76], v[75:76], -v[103:104]
	s_delay_alu instid0(VALU_DEP_2) | instskip(NEXT) | instid1(VALU_DEP_2)
	v_add_f64_e64 v[73:74], v[101:102], -v[73:74]
	v_add_f64_e64 v[75:76], v[75:76], -v[77:78]
	s_delay_alu instid0(VALU_DEP_1) | instskip(SKIP_1) | instid1(VALU_DEP_2)
	v_add_f64_e32 v[69:70], v[69:70], v[75:76]
	v_add_f64_e32 v[75:76], v[79:80], v[81:82]
	v_add_f64_e32 v[69:70], v[73:74], v[69:70]
	s_delay_alu instid0(VALU_DEP_2) | instskip(NEXT) | instid1(VALU_DEP_2)
	v_add_f64_e64 v[73:74], v[75:76], -v[79:80]
	v_add_f64_e32 v[69:70], v[103:104], v[69:70]
	s_delay_alu instid0(VALU_DEP_2) | instskip(NEXT) | instid1(VALU_DEP_2)
	v_add_f64_e64 v[73:74], v[81:82], -v[73:74]
	v_mul_f64_e32 v[69:70], v[71:72], v[69:70]
	s_delay_alu instid0(VALU_DEP_1) | instskip(NEXT) | instid1(VALU_DEP_1)
	v_add_f64_e32 v[69:70], v[73:74], v[69:70]
	v_add_f64_e32 v[71:72], v[75:76], v[69:70]
	s_delay_alu instid0(VALU_DEP_1) | instskip(NEXT) | instid1(VALU_DEP_1)
	v_mul_f64_e32 v[73:74], v[71:72], v[71:72]
	v_fma_f64 v[77:78], v[73:74], s[46:47], s[44:45]
	s_mov_b32 s44, 0xd7f4df2e
	s_mov_b32 s45, 0x3fc7474d
	v_mul_f64_e32 v[79:80], v[71:72], v[73:74]
	s_wait_alu 0xfffe
	s_delay_alu instid0(VALU_DEP_2) | instskip(SKIP_3) | instid1(VALU_DEP_1)
	v_fma_f64 v[77:78], v[73:74], v[77:78], s[44:45]
	s_mov_b32 s44, 0x16291751
	s_mov_b32 s45, 0x3fcc71c0
	s_wait_alu 0xfffe
	v_fma_f64 v[77:78], v[73:74], v[77:78], s[44:45]
	s_mov_b32 s44, 0x9b27acf1
	s_mov_b32 s45, 0x3fd24924
	s_wait_alu 0xfffe
	s_delay_alu instid0(VALU_DEP_1) | instskip(SKIP_3) | instid1(VALU_DEP_1)
	v_fma_f64 v[77:78], v[73:74], v[77:78], s[44:45]
	s_mov_b32 s44, 0x998ef7b6
	s_mov_b32 s45, 0x3fd99999
	s_wait_alu 0xfffe
	v_fma_f64 v[77:78], v[73:74], v[77:78], s[44:45]
	s_delay_alu instid0(VALU_DEP_1) | instskip(SKIP_2) | instid1(VALU_DEP_3)
	v_fma_f64 v[73:74], v[73:74], v[77:78], s[42:43]
	v_ldexp_f64 v[77:78], v[71:72], 1
	v_add_f64_e64 v[71:72], v[71:72], -v[75:76]
	v_mul_f64_e32 v[73:74], v[79:80], v[73:74]
	v_cvt_f64_i32_e32 v[79:80], v109
	s_delay_alu instid0(VALU_DEP_3) | instskip(NEXT) | instid1(VALU_DEP_3)
	v_add_f64_e64 v[69:70], v[69:70], -v[71:72]
	v_add_f64_e32 v[75:76], v[77:78], v[73:74]
	s_delay_alu instid0(VALU_DEP_3) | instskip(NEXT) | instid1(VALU_DEP_3)
	v_mul_f64_e32 v[81:82], s[18:19], v[79:80]
	v_ldexp_f64 v[69:70], v[69:70], 1
	s_delay_alu instid0(VALU_DEP_3) | instskip(NEXT) | instid1(VALU_DEP_3)
	v_add_f64_e64 v[71:72], v[75:76], -v[77:78]
	v_fma_f64 v[77:78], v[79:80], s[18:19], -v[81:82]
	v_cmp_ngt_f64_e64 s18, -1.0, v[7:8]
	s_delay_alu instid0(VALU_DEP_3) | instskip(NEXT) | instid1(VALU_DEP_3)
	v_add_f64_e64 v[71:72], v[73:74], -v[71:72]
	v_fma_f64 v[73:74], v[79:80], s[20:21], v[77:78]
	s_delay_alu instid0(VALU_DEP_2) | instskip(NEXT) | instid1(VALU_DEP_2)
	v_add_f64_e32 v[69:70], v[69:70], v[71:72]
	v_add_f64_e32 v[71:72], v[81:82], v[73:74]
	s_delay_alu instid0(VALU_DEP_2) | instskip(NEXT) | instid1(VALU_DEP_2)
	v_add_f64_e32 v[77:78], v[75:76], v[69:70]
	v_add_f64_e64 v[81:82], v[71:72], -v[81:82]
	s_delay_alu instid0(VALU_DEP_2) | instskip(SKIP_1) | instid1(VALU_DEP_3)
	v_add_f64_e32 v[79:80], v[71:72], v[77:78]
	v_add_f64_e64 v[75:76], v[77:78], -v[75:76]
	v_add_f64_e64 v[73:74], v[73:74], -v[81:82]
	s_delay_alu instid0(VALU_DEP_3) | instskip(NEXT) | instid1(VALU_DEP_3)
	v_add_f64_e64 v[101:102], v[79:80], -v[71:72]
	v_add_f64_e64 v[69:70], v[69:70], -v[75:76]
	s_delay_alu instid0(VALU_DEP_2) | instskip(SKIP_1) | instid1(VALU_DEP_3)
	v_add_f64_e64 v[103:104], v[79:80], -v[101:102]
	v_add_f64_e64 v[75:76], v[77:78], -v[101:102]
	v_add_f64_e32 v[77:78], v[73:74], v[69:70]
	s_delay_alu instid0(VALU_DEP_3) | instskip(NEXT) | instid1(VALU_DEP_1)
	v_add_f64_e64 v[71:72], v[71:72], -v[103:104]
	v_add_f64_e32 v[71:72], v[75:76], v[71:72]
	s_delay_alu instid0(VALU_DEP_3) | instskip(NEXT) | instid1(VALU_DEP_2)
	v_add_f64_e64 v[75:76], v[77:78], -v[73:74]
	v_add_f64_e32 v[71:72], v[77:78], v[71:72]
	s_delay_alu instid0(VALU_DEP_2) | instskip(SKIP_1) | instid1(VALU_DEP_3)
	v_add_f64_e64 v[77:78], v[77:78], -v[75:76]
	v_add_f64_e64 v[69:70], v[69:70], -v[75:76]
	v_add_f64_e32 v[81:82], v[79:80], v[71:72]
	s_delay_alu instid0(VALU_DEP_3) | instskip(NEXT) | instid1(VALU_DEP_2)
	v_add_f64_e64 v[73:74], v[73:74], -v[77:78]
	v_add_f64_e64 v[75:76], v[81:82], -v[79:80]
	s_delay_alu instid0(VALU_DEP_2) | instskip(NEXT) | instid1(VALU_DEP_2)
	v_add_f64_e32 v[69:70], v[69:70], v[73:74]
	v_add_f64_e64 v[71:72], v[71:72], -v[75:76]
	s_delay_alu instid0(VALU_DEP_1) | instskip(NEXT) | instid1(VALU_DEP_1)
	v_add_f64_e32 v[69:70], v[69:70], v[71:72]
	v_add_f64_e32 v[69:70], v[81:82], v[69:70]
	s_delay_alu instid0(VALU_DEP_1) | instskip(SKIP_1) | instid1(VALU_DEP_3)
	v_cndmask_b32_e32 v69, 0, v69, vcc_lo
	v_cmp_neq_f64_e32 vcc_lo, -1.0, v[7:8]
	v_cndmask_b32_e64 v70, 0x7ff00000, v70, s1
	s_wait_alu 0xf1ff
	s_delay_alu instid0(VALU_DEP_1) | instskip(SKIP_1) | instid1(VALU_DEP_1)
	v_cndmask_b32_e64 v70, 0x7ff80000, v70, s18
	s_wait_alu 0xfffd
	v_cndmask_b32_e32 v70, 0xfff00000, v70, vcc_lo
	s_delay_alu instid0(VALU_DEP_1)
	v_add_f64_e32 v[7:8], v[9:10], v[69:70]
.LBB71_167:
	s_wait_alu 0xfffe
	s_or_b32 exec_lo, exec_lo, s33
	s_delay_alu instid0(VALU_DEP_1) | instskip(SKIP_1) | instid1(VALU_DEP_2)
	v_max_num_f64_e32 v[9:10], v[7:8], v[7:8]
	v_cmp_u_f64_e32 vcc_lo, v[7:8], v[7:8]
	v_min_num_f64_e32 v[69:70], v[9:10], v[11:12]
	v_max_num_f64_e32 v[9:10], v[9:10], v[11:12]
	s_wait_alu 0xfffd
	s_delay_alu instid0(VALU_DEP_2) | instskip(NEXT) | instid1(VALU_DEP_2)
	v_dual_cndmask_b32 v11, v69, v7 :: v_dual_cndmask_b32 v12, v70, v8
	v_dual_cndmask_b32 v10, v10, v8 :: v_dual_cndmask_b32 v9, v9, v7
	s_delay_alu instid0(VALU_DEP_2) | instskip(NEXT) | instid1(VALU_DEP_3)
	v_cndmask_b32_e64 v69, v11, v61, s4
	v_cndmask_b32_e64 v70, v12, v62, s4
	s_delay_alu instid0(VALU_DEP_3) | instskip(NEXT) | instid1(VALU_DEP_4)
	v_cndmask_b32_e64 v12, v10, v62, s4
	v_cndmask_b32_e64 v11, v9, v61, s4
	v_dual_mov_b32 v10, v8 :: v_dual_mov_b32 v9, v7
	s_delay_alu instid0(VALU_DEP_4) | instskip(NEXT) | instid1(VALU_DEP_3)
	v_cmp_class_f64_e64 s1, v[69:70], 0x1f8
	v_cmp_neq_f64_e32 vcc_lo, v[69:70], v[11:12]
	s_or_b32 s1, vcc_lo, s1
	s_wait_alu 0xfffe
	s_and_saveexec_b32 s33, s1
	s_cbranch_execz .LBB71_169
; %bb.168:
	v_add_f64_e64 v[9:10], v[69:70], -v[11:12]
	s_mov_b32 s18, 0x652b82fe
	s_mov_b32 s19, 0x3ff71547
	;; [unrolled: 1-line block ×10, first 2 shown]
	s_wait_alu 0xfffe
	s_delay_alu instid0(VALU_DEP_1) | instskip(SKIP_4) | instid1(VALU_DEP_3)
	v_mul_f64_e32 v[69:70], s[18:19], v[9:10]
	s_mov_b32 s19, 0xbfe62e42
	s_mov_b32 s18, 0xfefa39ef
	v_cmp_nlt_f64_e32 vcc_lo, 0x40900000, v[9:10]
	v_cmp_ngt_f64_e64 s1, 0xc090cc00, v[9:10]
	v_rndne_f64_e32 v[69:70], v[69:70]
	s_wait_alu 0xfffe
	s_delay_alu instid0(VALU_DEP_1) | instskip(SKIP_2) | instid1(VALU_DEP_2)
	v_fma_f64 v[71:72], v[69:70], s[18:19], v[9:10]
	v_cvt_i32_f64_e32 v75, v[69:70]
	s_mov_b32 s19, 0x3fe62e42
	v_fma_f64 v[71:72], v[69:70], s[20:21], v[71:72]
	s_mov_b32 s21, 0x3c7abc9e
	s_delay_alu instid0(VALU_DEP_1)
	v_fma_f64 v[73:74], v[71:72], s[44:45], s[42:43]
	s_mov_b32 s42, 0x623fde64
	s_mov_b32 s43, 0x3ec71dee
	;; [unrolled: 1-line block ×4, first 2 shown]
	s_wait_alu 0xfffe
	s_delay_alu instid0(VALU_DEP_1) | instskip(SKIP_3) | instid1(VALU_DEP_1)
	v_fma_f64 v[73:74], v[71:72], v[73:74], s[42:43]
	s_mov_b32 s42, 0x7c89e6b0
	s_mov_b32 s43, 0x3efa0199
	s_wait_alu 0xfffe
	v_fma_f64 v[73:74], v[71:72], v[73:74], s[42:43]
	s_mov_b32 s42, 0x14761f6e
	s_mov_b32 s43, 0x3f2a01a0
	s_wait_alu 0xfffe
	s_delay_alu instid0(VALU_DEP_1) | instskip(SKIP_3) | instid1(VALU_DEP_1)
	v_fma_f64 v[73:74], v[71:72], v[73:74], s[42:43]
	s_mov_b32 s42, 0x1852b7b0
	s_mov_b32 s43, 0x3f56c16c
	s_wait_alu 0xfffe
	v_fma_f64 v[73:74], v[71:72], v[73:74], s[42:43]
	s_mov_b32 s42, 0x11122322
	s_mov_b32 s43, 0x3f811111
	;; [unrolled: 9-line block ×4, first 2 shown]
	s_delay_alu instid0(VALU_DEP_1) | instskip(NEXT) | instid1(VALU_DEP_1)
	v_fma_f64 v[73:74], v[71:72], v[73:74], 1.0
	v_fma_f64 v[69:70], v[71:72], v[73:74], 1.0
	s_delay_alu instid0(VALU_DEP_1) | instskip(SKIP_1) | instid1(VALU_DEP_1)
	v_ldexp_f64 v[69:70], v[69:70], v75
	s_wait_alu 0xfffd
	v_cndmask_b32_e32 v70, 0x7ff00000, v70, vcc_lo
	s_and_b32 vcc_lo, s1, vcc_lo
	s_wait_alu 0xfffe
	s_delay_alu instid0(VALU_DEP_2) | instskip(NEXT) | instid1(VALU_DEP_2)
	v_cndmask_b32_e32 v9, 0, v69, vcc_lo
	v_cndmask_b32_e64 v10, 0, v70, s1
	s_delay_alu instid0(VALU_DEP_1) | instskip(SKIP_2) | instid1(VALU_DEP_3)
	v_add_f64_e32 v[69:70], 1.0, v[9:10]
	v_cmp_neq_f64_e64 s1, 0x7ff00000, v[9:10]
	v_cmp_ngt_f64_e64 s4, -1.0, v[9:10]
	v_frexp_mant_f64_e32 v[71:72], v[69:70]
	v_frexp_exp_i32_f64_e32 v75, v[69:70]
	v_add_f64_e32 v[73:74], -1.0, v[69:70]
	s_delay_alu instid0(VALU_DEP_3) | instskip(SKIP_1) | instid1(VALU_DEP_2)
	v_cmp_gt_f64_e32 vcc_lo, s[42:43], v[71:72]
	s_mov_b32 s42, 0x55555780
	v_add_f64_e64 v[71:72], v[73:74], -v[69:70]
	v_add_f64_e64 v[73:74], v[9:10], -v[73:74]
	s_wait_alu 0xfffd
	v_subrev_co_ci_u32_e64 v109, null, 0, v75, vcc_lo
	s_delay_alu instid0(VALU_DEP_3) | instskip(SKIP_1) | instid1(VALU_DEP_3)
	v_add_f64_e32 v[71:72], 1.0, v[71:72]
	v_cmp_nge_f64_e32 vcc_lo, -1.0, v[9:10]
	v_sub_nc_u32_e32 v77, 0, v109
	s_delay_alu instid0(VALU_DEP_1) | instskip(NEXT) | instid1(VALU_DEP_4)
	v_ldexp_f64 v[69:70], v[69:70], v77
	v_add_f64_e32 v[71:72], v[73:74], v[71:72]
	s_and_b32 vcc_lo, vcc_lo, s1
	s_delay_alu instid0(VALU_DEP_2) | instskip(SKIP_1) | instid1(VALU_DEP_3)
	v_add_f64_e32 v[75:76], 1.0, v[69:70]
	v_add_f64_e32 v[81:82], -1.0, v[69:70]
	v_ldexp_f64 v[71:72], v[71:72], v77
	s_delay_alu instid0(VALU_DEP_3) | instskip(NEXT) | instid1(VALU_DEP_3)
	v_add_f64_e32 v[73:74], -1.0, v[75:76]
	v_add_f64_e32 v[101:102], 1.0, v[81:82]
	s_delay_alu instid0(VALU_DEP_2) | instskip(NEXT) | instid1(VALU_DEP_2)
	v_add_f64_e64 v[73:74], v[69:70], -v[73:74]
	v_add_f64_e64 v[69:70], v[69:70], -v[101:102]
	s_delay_alu instid0(VALU_DEP_2) | instskip(NEXT) | instid1(VALU_DEP_2)
	v_add_f64_e32 v[73:74], v[71:72], v[73:74]
	v_add_f64_e32 v[69:70], v[71:72], v[69:70]
	s_delay_alu instid0(VALU_DEP_2) | instskip(NEXT) | instid1(VALU_DEP_2)
	v_add_f64_e32 v[77:78], v[75:76], v[73:74]
	v_add_f64_e32 v[101:102], v[81:82], v[69:70]
	s_delay_alu instid0(VALU_DEP_2) | instskip(SKIP_1) | instid1(VALU_DEP_2)
	v_rcp_f64_e32 v[79:80], v[77:78]
	v_add_f64_e64 v[75:76], v[77:78], -v[75:76]
	v_add_f64_e64 v[81:82], v[101:102], -v[81:82]
	s_delay_alu instid0(VALU_DEP_2) | instskip(NEXT) | instid1(TRANS32_DEP_1)
	v_add_f64_e64 v[73:74], v[73:74], -v[75:76]
	v_fma_f64 v[103:104], -v[77:78], v[79:80], 1.0
	s_delay_alu instid0(VALU_DEP_3) | instskip(NEXT) | instid1(VALU_DEP_2)
	v_add_f64_e64 v[69:70], v[69:70], -v[81:82]
	v_fma_f64 v[79:80], v[103:104], v[79:80], v[79:80]
	s_delay_alu instid0(VALU_DEP_1) | instskip(NEXT) | instid1(VALU_DEP_1)
	v_fma_f64 v[71:72], -v[77:78], v[79:80], 1.0
	v_fma_f64 v[71:72], v[71:72], v[79:80], v[79:80]
	s_delay_alu instid0(VALU_DEP_1) | instskip(NEXT) | instid1(VALU_DEP_1)
	v_mul_f64_e32 v[79:80], v[101:102], v[71:72]
	v_mul_f64_e32 v[103:104], v[77:78], v[79:80]
	s_delay_alu instid0(VALU_DEP_1) | instskip(NEXT) | instid1(VALU_DEP_1)
	v_fma_f64 v[75:76], v[79:80], v[77:78], -v[103:104]
	v_fma_f64 v[75:76], v[79:80], v[73:74], v[75:76]
	s_delay_alu instid0(VALU_DEP_1) | instskip(NEXT) | instid1(VALU_DEP_1)
	v_add_f64_e32 v[105:106], v[103:104], v[75:76]
	v_add_f64_e64 v[107:108], v[101:102], -v[105:106]
	v_add_f64_e64 v[81:82], v[105:106], -v[103:104]
	s_delay_alu instid0(VALU_DEP_2) | instskip(NEXT) | instid1(VALU_DEP_2)
	v_add_f64_e64 v[101:102], v[101:102], -v[107:108]
	v_add_f64_e64 v[75:76], v[81:82], -v[75:76]
	s_delay_alu instid0(VALU_DEP_2) | instskip(NEXT) | instid1(VALU_DEP_1)
	v_add_f64_e64 v[101:102], v[101:102], -v[105:106]
	v_add_f64_e32 v[69:70], v[69:70], v[101:102]
	s_delay_alu instid0(VALU_DEP_1) | instskip(NEXT) | instid1(VALU_DEP_1)
	v_add_f64_e32 v[69:70], v[75:76], v[69:70]
	v_add_f64_e32 v[75:76], v[107:108], v[69:70]
	s_delay_alu instid0(VALU_DEP_1) | instskip(SKIP_1) | instid1(VALU_DEP_2)
	v_mul_f64_e32 v[81:82], v[71:72], v[75:76]
	v_add_f64_e64 v[105:106], v[107:108], -v[75:76]
	v_mul_f64_e32 v[101:102], v[77:78], v[81:82]
	s_delay_alu instid0(VALU_DEP_2) | instskip(NEXT) | instid1(VALU_DEP_2)
	v_add_f64_e32 v[69:70], v[69:70], v[105:106]
	v_fma_f64 v[77:78], v[81:82], v[77:78], -v[101:102]
	s_delay_alu instid0(VALU_DEP_1) | instskip(NEXT) | instid1(VALU_DEP_1)
	v_fma_f64 v[73:74], v[81:82], v[73:74], v[77:78]
	v_add_f64_e32 v[77:78], v[101:102], v[73:74]
	s_delay_alu instid0(VALU_DEP_1) | instskip(SKIP_1) | instid1(VALU_DEP_2)
	v_add_f64_e64 v[103:104], v[75:76], -v[77:78]
	v_add_f64_e64 v[101:102], v[77:78], -v[101:102]
	;; [unrolled: 1-line block ×3, first 2 shown]
	s_delay_alu instid0(VALU_DEP_2) | instskip(NEXT) | instid1(VALU_DEP_2)
	v_add_f64_e64 v[73:74], v[101:102], -v[73:74]
	v_add_f64_e64 v[75:76], v[75:76], -v[77:78]
	s_delay_alu instid0(VALU_DEP_1) | instskip(SKIP_1) | instid1(VALU_DEP_2)
	v_add_f64_e32 v[69:70], v[69:70], v[75:76]
	v_add_f64_e32 v[75:76], v[79:80], v[81:82]
	;; [unrolled: 1-line block ×3, first 2 shown]
	s_delay_alu instid0(VALU_DEP_2) | instskip(NEXT) | instid1(VALU_DEP_2)
	v_add_f64_e64 v[73:74], v[75:76], -v[79:80]
	v_add_f64_e32 v[69:70], v[103:104], v[69:70]
	s_delay_alu instid0(VALU_DEP_2) | instskip(NEXT) | instid1(VALU_DEP_2)
	v_add_f64_e64 v[73:74], v[81:82], -v[73:74]
	v_mul_f64_e32 v[69:70], v[71:72], v[69:70]
	s_delay_alu instid0(VALU_DEP_1) | instskip(NEXT) | instid1(VALU_DEP_1)
	v_add_f64_e32 v[69:70], v[73:74], v[69:70]
	v_add_f64_e32 v[71:72], v[75:76], v[69:70]
	s_delay_alu instid0(VALU_DEP_1) | instskip(NEXT) | instid1(VALU_DEP_1)
	v_mul_f64_e32 v[73:74], v[71:72], v[71:72]
	v_fma_f64 v[77:78], v[73:74], s[46:47], s[44:45]
	s_mov_b32 s44, 0xd7f4df2e
	s_mov_b32 s45, 0x3fc7474d
	v_mul_f64_e32 v[79:80], v[71:72], v[73:74]
	s_wait_alu 0xfffe
	s_delay_alu instid0(VALU_DEP_2) | instskip(SKIP_3) | instid1(VALU_DEP_1)
	v_fma_f64 v[77:78], v[73:74], v[77:78], s[44:45]
	s_mov_b32 s44, 0x16291751
	s_mov_b32 s45, 0x3fcc71c0
	s_wait_alu 0xfffe
	v_fma_f64 v[77:78], v[73:74], v[77:78], s[44:45]
	s_mov_b32 s44, 0x9b27acf1
	s_mov_b32 s45, 0x3fd24924
	s_wait_alu 0xfffe
	s_delay_alu instid0(VALU_DEP_1) | instskip(SKIP_3) | instid1(VALU_DEP_1)
	v_fma_f64 v[77:78], v[73:74], v[77:78], s[44:45]
	s_mov_b32 s44, 0x998ef7b6
	s_mov_b32 s45, 0x3fd99999
	s_wait_alu 0xfffe
	v_fma_f64 v[77:78], v[73:74], v[77:78], s[44:45]
	s_delay_alu instid0(VALU_DEP_1) | instskip(SKIP_2) | instid1(VALU_DEP_3)
	v_fma_f64 v[73:74], v[73:74], v[77:78], s[42:43]
	v_ldexp_f64 v[77:78], v[71:72], 1
	v_add_f64_e64 v[71:72], v[71:72], -v[75:76]
	v_mul_f64_e32 v[73:74], v[79:80], v[73:74]
	v_cvt_f64_i32_e32 v[79:80], v109
	s_delay_alu instid0(VALU_DEP_3) | instskip(NEXT) | instid1(VALU_DEP_3)
	v_add_f64_e64 v[69:70], v[69:70], -v[71:72]
	v_add_f64_e32 v[75:76], v[77:78], v[73:74]
	s_delay_alu instid0(VALU_DEP_3) | instskip(NEXT) | instid1(VALU_DEP_3)
	v_mul_f64_e32 v[81:82], s[18:19], v[79:80]
	v_ldexp_f64 v[69:70], v[69:70], 1
	s_delay_alu instid0(VALU_DEP_3) | instskip(NEXT) | instid1(VALU_DEP_3)
	v_add_f64_e64 v[71:72], v[75:76], -v[77:78]
	v_fma_f64 v[77:78], v[79:80], s[18:19], -v[81:82]
	s_delay_alu instid0(VALU_DEP_2) | instskip(NEXT) | instid1(VALU_DEP_2)
	v_add_f64_e64 v[71:72], v[73:74], -v[71:72]
	v_fma_f64 v[73:74], v[79:80], s[20:21], v[77:78]
	s_delay_alu instid0(VALU_DEP_2) | instskip(NEXT) | instid1(VALU_DEP_2)
	v_add_f64_e32 v[69:70], v[69:70], v[71:72]
	v_add_f64_e32 v[71:72], v[81:82], v[73:74]
	s_delay_alu instid0(VALU_DEP_2) | instskip(NEXT) | instid1(VALU_DEP_2)
	v_add_f64_e32 v[77:78], v[75:76], v[69:70]
	v_add_f64_e64 v[81:82], v[71:72], -v[81:82]
	s_delay_alu instid0(VALU_DEP_2) | instskip(SKIP_1) | instid1(VALU_DEP_3)
	v_add_f64_e32 v[79:80], v[71:72], v[77:78]
	v_add_f64_e64 v[75:76], v[77:78], -v[75:76]
	v_add_f64_e64 v[73:74], v[73:74], -v[81:82]
	s_delay_alu instid0(VALU_DEP_3) | instskip(NEXT) | instid1(VALU_DEP_3)
	v_add_f64_e64 v[101:102], v[79:80], -v[71:72]
	v_add_f64_e64 v[69:70], v[69:70], -v[75:76]
	s_delay_alu instid0(VALU_DEP_2) | instskip(SKIP_1) | instid1(VALU_DEP_3)
	v_add_f64_e64 v[103:104], v[79:80], -v[101:102]
	v_add_f64_e64 v[75:76], v[77:78], -v[101:102]
	v_add_f64_e32 v[77:78], v[73:74], v[69:70]
	s_delay_alu instid0(VALU_DEP_3) | instskip(NEXT) | instid1(VALU_DEP_1)
	v_add_f64_e64 v[71:72], v[71:72], -v[103:104]
	v_add_f64_e32 v[71:72], v[75:76], v[71:72]
	s_delay_alu instid0(VALU_DEP_3) | instskip(NEXT) | instid1(VALU_DEP_2)
	v_add_f64_e64 v[75:76], v[77:78], -v[73:74]
	v_add_f64_e32 v[71:72], v[77:78], v[71:72]
	s_delay_alu instid0(VALU_DEP_2) | instskip(SKIP_1) | instid1(VALU_DEP_3)
	v_add_f64_e64 v[77:78], v[77:78], -v[75:76]
	v_add_f64_e64 v[69:70], v[69:70], -v[75:76]
	v_add_f64_e32 v[81:82], v[79:80], v[71:72]
	s_delay_alu instid0(VALU_DEP_3) | instskip(NEXT) | instid1(VALU_DEP_2)
	v_add_f64_e64 v[73:74], v[73:74], -v[77:78]
	v_add_f64_e64 v[75:76], v[81:82], -v[79:80]
	s_delay_alu instid0(VALU_DEP_2) | instskip(NEXT) | instid1(VALU_DEP_2)
	v_add_f64_e32 v[69:70], v[69:70], v[73:74]
	v_add_f64_e64 v[71:72], v[71:72], -v[75:76]
	s_delay_alu instid0(VALU_DEP_1) | instskip(NEXT) | instid1(VALU_DEP_1)
	v_add_f64_e32 v[69:70], v[69:70], v[71:72]
	v_add_f64_e32 v[69:70], v[81:82], v[69:70]
	s_delay_alu instid0(VALU_DEP_1) | instskip(SKIP_1) | instid1(VALU_DEP_3)
	v_cndmask_b32_e32 v69, 0, v69, vcc_lo
	v_cmp_neq_f64_e32 vcc_lo, -1.0, v[9:10]
	v_cndmask_b32_e64 v70, 0x7ff00000, v70, s1
	s_delay_alu instid0(VALU_DEP_1) | instskip(SKIP_1) | instid1(VALU_DEP_1)
	v_cndmask_b32_e64 v70, 0x7ff80000, v70, s4
	s_wait_alu 0xfffd
	v_cndmask_b32_e32 v70, 0xfff00000, v70, vcc_lo
	s_delay_alu instid0(VALU_DEP_1)
	v_add_f64_e32 v[9:10], v[11:12], v[69:70]
.LBB71_169:
	s_wait_alu 0xfffe
	s_or_b32 exec_lo, exec_lo, s33
	s_delay_alu instid0(VALU_DEP_1) | instskip(SKIP_1) | instid1(VALU_DEP_2)
	v_max_num_f64_e32 v[11:12], v[9:10], v[9:10]
	v_cmp_u_f64_e32 vcc_lo, v[9:10], v[9:10]
	v_min_num_f64_e32 v[69:70], v[11:12], v[13:14]
	v_max_num_f64_e32 v[11:12], v[11:12], v[13:14]
	s_wait_alu 0xfffd
	s_delay_alu instid0(VALU_DEP_2) | instskip(NEXT) | instid1(VALU_DEP_2)
	v_dual_cndmask_b32 v13, v69, v9 :: v_dual_cndmask_b32 v14, v70, v10
	v_dual_cndmask_b32 v12, v12, v10 :: v_dual_cndmask_b32 v11, v11, v9
	s_delay_alu instid0(VALU_DEP_2) | instskip(NEXT) | instid1(VALU_DEP_3)
	v_cndmask_b32_e64 v69, v13, v63, s5
	v_cndmask_b32_e64 v70, v14, v64, s5
	s_delay_alu instid0(VALU_DEP_3) | instskip(NEXT) | instid1(VALU_DEP_4)
	v_cndmask_b32_e64 v14, v12, v64, s5
	v_cndmask_b32_e64 v13, v11, v63, s5
	v_dual_mov_b32 v12, v10 :: v_dual_mov_b32 v11, v9
	s_delay_alu instid0(VALU_DEP_4) | instskip(NEXT) | instid1(VALU_DEP_3)
	v_cmp_class_f64_e64 s1, v[69:70], 0x1f8
	v_cmp_neq_f64_e32 vcc_lo, v[69:70], v[13:14]
	s_or_b32 s1, vcc_lo, s1
	s_wait_alu 0xfffe
	s_and_saveexec_b32 s33, s1
	s_cbranch_execz .LBB71_171
; %bb.170:
	v_add_f64_e64 v[11:12], v[69:70], -v[13:14]
	s_mov_b32 s4, 0x652b82fe
	s_mov_b32 s5, 0x3ff71547
	;; [unrolled: 1-line block ×10, first 2 shown]
	s_wait_alu 0xfffe
	s_delay_alu instid0(VALU_DEP_1) | instskip(SKIP_4) | instid1(VALU_DEP_3)
	v_mul_f64_e32 v[69:70], s[4:5], v[11:12]
	s_mov_b32 s5, 0xbfe62e42
	s_mov_b32 s4, 0xfefa39ef
	v_cmp_nlt_f64_e32 vcc_lo, 0x40900000, v[11:12]
	v_cmp_ngt_f64_e64 s1, 0xc090cc00, v[11:12]
	v_rndne_f64_e32 v[69:70], v[69:70]
	s_wait_alu 0xfffe
	s_delay_alu instid0(VALU_DEP_1) | instskip(SKIP_2) | instid1(VALU_DEP_2)
	v_fma_f64 v[71:72], v[69:70], s[4:5], v[11:12]
	v_cvt_i32_f64_e32 v75, v[69:70]
	s_mov_b32 s5, 0x3fe62e42
	v_fma_f64 v[71:72], v[69:70], s[18:19], v[71:72]
	s_mov_b32 s19, 0x3c7abc9e
	s_delay_alu instid0(VALU_DEP_1)
	v_fma_f64 v[73:74], v[71:72], s[42:43], s[20:21]
	s_mov_b32 s20, 0x623fde64
	s_mov_b32 s21, 0x3ec71dee
	;; [unrolled: 1-line block ×4, first 2 shown]
	s_wait_alu 0xfffe
	s_delay_alu instid0(VALU_DEP_1) | instskip(SKIP_3) | instid1(VALU_DEP_1)
	v_fma_f64 v[73:74], v[71:72], v[73:74], s[20:21]
	s_mov_b32 s20, 0x7c89e6b0
	s_mov_b32 s21, 0x3efa0199
	s_wait_alu 0xfffe
	v_fma_f64 v[73:74], v[71:72], v[73:74], s[20:21]
	s_mov_b32 s20, 0x14761f6e
	s_mov_b32 s21, 0x3f2a01a0
	s_wait_alu 0xfffe
	s_delay_alu instid0(VALU_DEP_1) | instskip(SKIP_3) | instid1(VALU_DEP_1)
	v_fma_f64 v[73:74], v[71:72], v[73:74], s[20:21]
	s_mov_b32 s20, 0x1852b7b0
	s_mov_b32 s21, 0x3f56c16c
	s_wait_alu 0xfffe
	v_fma_f64 v[73:74], v[71:72], v[73:74], s[20:21]
	s_mov_b32 s20, 0x11122322
	s_mov_b32 s21, 0x3f811111
	s_wait_alu 0xfffe
	s_delay_alu instid0(VALU_DEP_1) | instskip(SKIP_3) | instid1(VALU_DEP_1)
	v_fma_f64 v[73:74], v[71:72], v[73:74], s[20:21]
	s_mov_b32 s20, 0x555502a1
	s_mov_b32 s21, 0x3fa55555
	s_wait_alu 0xfffe
	v_fma_f64 v[73:74], v[71:72], v[73:74], s[20:21]
	s_mov_b32 s20, 0x55555511
	s_mov_b32 s21, 0x3fc55555
	s_wait_alu 0xfffe
	s_delay_alu instid0(VALU_DEP_1) | instskip(SKIP_3) | instid1(VALU_DEP_1)
	v_fma_f64 v[73:74], v[71:72], v[73:74], s[20:21]
	s_mov_b32 s20, 11
	s_mov_b32 s21, 0x3fe00000
	s_wait_alu 0xfffe
	v_fma_f64 v[73:74], v[71:72], v[73:74], s[20:21]
	s_mov_b32 s21, 0x3fe55555
	s_mov_b32 s20, 0x55555555
	s_delay_alu instid0(VALU_DEP_1) | instskip(NEXT) | instid1(VALU_DEP_1)
	v_fma_f64 v[73:74], v[71:72], v[73:74], 1.0
	v_fma_f64 v[69:70], v[71:72], v[73:74], 1.0
	s_delay_alu instid0(VALU_DEP_1) | instskip(SKIP_1) | instid1(VALU_DEP_1)
	v_ldexp_f64 v[69:70], v[69:70], v75
	s_wait_alu 0xfffd
	v_cndmask_b32_e32 v70, 0x7ff00000, v70, vcc_lo
	s_and_b32 vcc_lo, s1, vcc_lo
	s_wait_alu 0xfffe
	s_delay_alu instid0(VALU_DEP_2) | instskip(NEXT) | instid1(VALU_DEP_2)
	v_cndmask_b32_e32 v11, 0, v69, vcc_lo
	v_cndmask_b32_e64 v12, 0, v70, s1
	s_delay_alu instid0(VALU_DEP_1) | instskip(SKIP_1) | instid1(VALU_DEP_2)
	v_add_f64_e32 v[69:70], 1.0, v[11:12]
	v_cmp_neq_f64_e64 s1, 0x7ff00000, v[11:12]
	v_frexp_mant_f64_e32 v[71:72], v[69:70]
	v_frexp_exp_i32_f64_e32 v75, v[69:70]
	v_add_f64_e32 v[73:74], -1.0, v[69:70]
	s_delay_alu instid0(VALU_DEP_3) | instskip(SKIP_1) | instid1(VALU_DEP_2)
	v_cmp_gt_f64_e32 vcc_lo, s[20:21], v[71:72]
	s_mov_b32 s20, 0x55555780
	v_add_f64_e64 v[71:72], v[73:74], -v[69:70]
	v_add_f64_e64 v[73:74], v[11:12], -v[73:74]
	s_wait_alu 0xfffd
	v_subrev_co_ci_u32_e64 v109, null, 0, v75, vcc_lo
	s_delay_alu instid0(VALU_DEP_3) | instskip(SKIP_1) | instid1(VALU_DEP_3)
	v_add_f64_e32 v[71:72], 1.0, v[71:72]
	v_cmp_nge_f64_e32 vcc_lo, -1.0, v[11:12]
	v_sub_nc_u32_e32 v77, 0, v109
	s_delay_alu instid0(VALU_DEP_1) | instskip(NEXT) | instid1(VALU_DEP_4)
	v_ldexp_f64 v[69:70], v[69:70], v77
	v_add_f64_e32 v[71:72], v[73:74], v[71:72]
	s_and_b32 vcc_lo, vcc_lo, s1
	s_delay_alu instid0(VALU_DEP_2) | instskip(SKIP_1) | instid1(VALU_DEP_3)
	v_add_f64_e32 v[75:76], 1.0, v[69:70]
	v_add_f64_e32 v[81:82], -1.0, v[69:70]
	v_ldexp_f64 v[71:72], v[71:72], v77
	s_delay_alu instid0(VALU_DEP_3) | instskip(NEXT) | instid1(VALU_DEP_3)
	v_add_f64_e32 v[73:74], -1.0, v[75:76]
	v_add_f64_e32 v[101:102], 1.0, v[81:82]
	s_delay_alu instid0(VALU_DEP_2) | instskip(NEXT) | instid1(VALU_DEP_2)
	v_add_f64_e64 v[73:74], v[69:70], -v[73:74]
	v_add_f64_e64 v[69:70], v[69:70], -v[101:102]
	s_delay_alu instid0(VALU_DEP_2) | instskip(NEXT) | instid1(VALU_DEP_2)
	v_add_f64_e32 v[73:74], v[71:72], v[73:74]
	v_add_f64_e32 v[69:70], v[71:72], v[69:70]
	s_delay_alu instid0(VALU_DEP_2) | instskip(NEXT) | instid1(VALU_DEP_2)
	v_add_f64_e32 v[77:78], v[75:76], v[73:74]
	v_add_f64_e32 v[101:102], v[81:82], v[69:70]
	s_delay_alu instid0(VALU_DEP_2) | instskip(SKIP_1) | instid1(VALU_DEP_2)
	v_rcp_f64_e32 v[79:80], v[77:78]
	v_add_f64_e64 v[75:76], v[77:78], -v[75:76]
	v_add_f64_e64 v[81:82], v[101:102], -v[81:82]
	s_delay_alu instid0(VALU_DEP_2) | instskip(NEXT) | instid1(TRANS32_DEP_1)
	v_add_f64_e64 v[73:74], v[73:74], -v[75:76]
	v_fma_f64 v[103:104], -v[77:78], v[79:80], 1.0
	s_delay_alu instid0(VALU_DEP_3) | instskip(NEXT) | instid1(VALU_DEP_2)
	v_add_f64_e64 v[69:70], v[69:70], -v[81:82]
	v_fma_f64 v[79:80], v[103:104], v[79:80], v[79:80]
	s_delay_alu instid0(VALU_DEP_1) | instskip(NEXT) | instid1(VALU_DEP_1)
	v_fma_f64 v[71:72], -v[77:78], v[79:80], 1.0
	v_fma_f64 v[71:72], v[71:72], v[79:80], v[79:80]
	s_delay_alu instid0(VALU_DEP_1) | instskip(NEXT) | instid1(VALU_DEP_1)
	v_mul_f64_e32 v[79:80], v[101:102], v[71:72]
	v_mul_f64_e32 v[103:104], v[77:78], v[79:80]
	s_delay_alu instid0(VALU_DEP_1) | instskip(NEXT) | instid1(VALU_DEP_1)
	v_fma_f64 v[75:76], v[79:80], v[77:78], -v[103:104]
	v_fma_f64 v[75:76], v[79:80], v[73:74], v[75:76]
	s_delay_alu instid0(VALU_DEP_1) | instskip(NEXT) | instid1(VALU_DEP_1)
	v_add_f64_e32 v[105:106], v[103:104], v[75:76]
	v_add_f64_e64 v[107:108], v[101:102], -v[105:106]
	v_add_f64_e64 v[81:82], v[105:106], -v[103:104]
	s_delay_alu instid0(VALU_DEP_2) | instskip(NEXT) | instid1(VALU_DEP_2)
	v_add_f64_e64 v[101:102], v[101:102], -v[107:108]
	v_add_f64_e64 v[75:76], v[81:82], -v[75:76]
	s_delay_alu instid0(VALU_DEP_2) | instskip(NEXT) | instid1(VALU_DEP_1)
	v_add_f64_e64 v[101:102], v[101:102], -v[105:106]
	v_add_f64_e32 v[69:70], v[69:70], v[101:102]
	s_delay_alu instid0(VALU_DEP_1) | instskip(NEXT) | instid1(VALU_DEP_1)
	v_add_f64_e32 v[69:70], v[75:76], v[69:70]
	v_add_f64_e32 v[75:76], v[107:108], v[69:70]
	s_delay_alu instid0(VALU_DEP_1) | instskip(SKIP_1) | instid1(VALU_DEP_2)
	v_mul_f64_e32 v[81:82], v[71:72], v[75:76]
	v_add_f64_e64 v[105:106], v[107:108], -v[75:76]
	v_mul_f64_e32 v[101:102], v[77:78], v[81:82]
	s_delay_alu instid0(VALU_DEP_2) | instskip(NEXT) | instid1(VALU_DEP_2)
	v_add_f64_e32 v[69:70], v[69:70], v[105:106]
	v_fma_f64 v[77:78], v[81:82], v[77:78], -v[101:102]
	s_delay_alu instid0(VALU_DEP_1) | instskip(NEXT) | instid1(VALU_DEP_1)
	v_fma_f64 v[73:74], v[81:82], v[73:74], v[77:78]
	v_add_f64_e32 v[77:78], v[101:102], v[73:74]
	s_delay_alu instid0(VALU_DEP_1) | instskip(SKIP_1) | instid1(VALU_DEP_2)
	v_add_f64_e64 v[103:104], v[75:76], -v[77:78]
	v_add_f64_e64 v[101:102], v[77:78], -v[101:102]
	;; [unrolled: 1-line block ×3, first 2 shown]
	s_delay_alu instid0(VALU_DEP_2) | instskip(NEXT) | instid1(VALU_DEP_2)
	v_add_f64_e64 v[73:74], v[101:102], -v[73:74]
	v_add_f64_e64 v[75:76], v[75:76], -v[77:78]
	s_delay_alu instid0(VALU_DEP_1) | instskip(SKIP_1) | instid1(VALU_DEP_2)
	v_add_f64_e32 v[69:70], v[69:70], v[75:76]
	v_add_f64_e32 v[75:76], v[79:80], v[81:82]
	;; [unrolled: 1-line block ×3, first 2 shown]
	s_delay_alu instid0(VALU_DEP_2) | instskip(NEXT) | instid1(VALU_DEP_2)
	v_add_f64_e64 v[73:74], v[75:76], -v[79:80]
	v_add_f64_e32 v[69:70], v[103:104], v[69:70]
	s_delay_alu instid0(VALU_DEP_2) | instskip(NEXT) | instid1(VALU_DEP_2)
	v_add_f64_e64 v[73:74], v[81:82], -v[73:74]
	v_mul_f64_e32 v[69:70], v[71:72], v[69:70]
	s_delay_alu instid0(VALU_DEP_1) | instskip(NEXT) | instid1(VALU_DEP_1)
	v_add_f64_e32 v[69:70], v[73:74], v[69:70]
	v_add_f64_e32 v[71:72], v[75:76], v[69:70]
	s_delay_alu instid0(VALU_DEP_1) | instskip(NEXT) | instid1(VALU_DEP_1)
	v_mul_f64_e32 v[73:74], v[71:72], v[71:72]
	v_fma_f64 v[77:78], v[73:74], s[44:45], s[42:43]
	s_mov_b32 s42, 0xd7f4df2e
	s_mov_b32 s43, 0x3fc7474d
	v_mul_f64_e32 v[79:80], v[71:72], v[73:74]
	s_wait_alu 0xfffe
	s_delay_alu instid0(VALU_DEP_2) | instskip(SKIP_3) | instid1(VALU_DEP_1)
	v_fma_f64 v[77:78], v[73:74], v[77:78], s[42:43]
	s_mov_b32 s42, 0x16291751
	s_mov_b32 s43, 0x3fcc71c0
	s_wait_alu 0xfffe
	v_fma_f64 v[77:78], v[73:74], v[77:78], s[42:43]
	s_mov_b32 s42, 0x9b27acf1
	s_mov_b32 s43, 0x3fd24924
	s_wait_alu 0xfffe
	s_delay_alu instid0(VALU_DEP_1) | instskip(SKIP_3) | instid1(VALU_DEP_1)
	v_fma_f64 v[77:78], v[73:74], v[77:78], s[42:43]
	s_mov_b32 s42, 0x998ef7b6
	s_mov_b32 s43, 0x3fd99999
	s_wait_alu 0xfffe
	v_fma_f64 v[77:78], v[73:74], v[77:78], s[42:43]
	s_delay_alu instid0(VALU_DEP_1) | instskip(SKIP_2) | instid1(VALU_DEP_3)
	v_fma_f64 v[73:74], v[73:74], v[77:78], s[20:21]
	v_ldexp_f64 v[77:78], v[71:72], 1
	v_add_f64_e64 v[71:72], v[71:72], -v[75:76]
	v_mul_f64_e32 v[73:74], v[79:80], v[73:74]
	v_cvt_f64_i32_e32 v[79:80], v109
	s_delay_alu instid0(VALU_DEP_3) | instskip(NEXT) | instid1(VALU_DEP_3)
	v_add_f64_e64 v[69:70], v[69:70], -v[71:72]
	v_add_f64_e32 v[75:76], v[77:78], v[73:74]
	s_delay_alu instid0(VALU_DEP_3) | instskip(NEXT) | instid1(VALU_DEP_3)
	v_mul_f64_e32 v[81:82], s[4:5], v[79:80]
	v_ldexp_f64 v[69:70], v[69:70], 1
	s_delay_alu instid0(VALU_DEP_3) | instskip(NEXT) | instid1(VALU_DEP_3)
	v_add_f64_e64 v[71:72], v[75:76], -v[77:78]
	v_fma_f64 v[77:78], v[79:80], s[4:5], -v[81:82]
	v_cmp_ngt_f64_e64 s4, -1.0, v[11:12]
	s_delay_alu instid0(VALU_DEP_3) | instskip(NEXT) | instid1(VALU_DEP_3)
	v_add_f64_e64 v[71:72], v[73:74], -v[71:72]
	v_fma_f64 v[73:74], v[79:80], s[18:19], v[77:78]
	s_delay_alu instid0(VALU_DEP_2) | instskip(NEXT) | instid1(VALU_DEP_2)
	v_add_f64_e32 v[69:70], v[69:70], v[71:72]
	v_add_f64_e32 v[71:72], v[81:82], v[73:74]
	s_delay_alu instid0(VALU_DEP_2) | instskip(NEXT) | instid1(VALU_DEP_2)
	v_add_f64_e32 v[77:78], v[75:76], v[69:70]
	v_add_f64_e64 v[81:82], v[71:72], -v[81:82]
	s_delay_alu instid0(VALU_DEP_2) | instskip(SKIP_1) | instid1(VALU_DEP_3)
	v_add_f64_e32 v[79:80], v[71:72], v[77:78]
	v_add_f64_e64 v[75:76], v[77:78], -v[75:76]
	v_add_f64_e64 v[73:74], v[73:74], -v[81:82]
	s_delay_alu instid0(VALU_DEP_3) | instskip(NEXT) | instid1(VALU_DEP_3)
	v_add_f64_e64 v[101:102], v[79:80], -v[71:72]
	v_add_f64_e64 v[69:70], v[69:70], -v[75:76]
	s_delay_alu instid0(VALU_DEP_2) | instskip(SKIP_1) | instid1(VALU_DEP_3)
	v_add_f64_e64 v[103:104], v[79:80], -v[101:102]
	v_add_f64_e64 v[75:76], v[77:78], -v[101:102]
	v_add_f64_e32 v[77:78], v[73:74], v[69:70]
	s_delay_alu instid0(VALU_DEP_3) | instskip(NEXT) | instid1(VALU_DEP_1)
	v_add_f64_e64 v[71:72], v[71:72], -v[103:104]
	v_add_f64_e32 v[71:72], v[75:76], v[71:72]
	s_delay_alu instid0(VALU_DEP_3) | instskip(NEXT) | instid1(VALU_DEP_2)
	v_add_f64_e64 v[75:76], v[77:78], -v[73:74]
	v_add_f64_e32 v[71:72], v[77:78], v[71:72]
	s_delay_alu instid0(VALU_DEP_2) | instskip(SKIP_1) | instid1(VALU_DEP_3)
	v_add_f64_e64 v[77:78], v[77:78], -v[75:76]
	v_add_f64_e64 v[69:70], v[69:70], -v[75:76]
	v_add_f64_e32 v[81:82], v[79:80], v[71:72]
	s_delay_alu instid0(VALU_DEP_3) | instskip(NEXT) | instid1(VALU_DEP_2)
	v_add_f64_e64 v[73:74], v[73:74], -v[77:78]
	v_add_f64_e64 v[75:76], v[81:82], -v[79:80]
	s_delay_alu instid0(VALU_DEP_2) | instskip(NEXT) | instid1(VALU_DEP_2)
	v_add_f64_e32 v[69:70], v[69:70], v[73:74]
	v_add_f64_e64 v[71:72], v[71:72], -v[75:76]
	s_delay_alu instid0(VALU_DEP_1) | instskip(NEXT) | instid1(VALU_DEP_1)
	v_add_f64_e32 v[69:70], v[69:70], v[71:72]
	v_add_f64_e32 v[69:70], v[81:82], v[69:70]
	s_delay_alu instid0(VALU_DEP_1) | instskip(SKIP_1) | instid1(VALU_DEP_3)
	v_cndmask_b32_e32 v69, 0, v69, vcc_lo
	v_cmp_neq_f64_e32 vcc_lo, -1.0, v[11:12]
	v_cndmask_b32_e64 v70, 0x7ff00000, v70, s1
	s_wait_alu 0xf1ff
	s_delay_alu instid0(VALU_DEP_1) | instskip(SKIP_1) | instid1(VALU_DEP_1)
	v_cndmask_b32_e64 v70, 0x7ff80000, v70, s4
	s_wait_alu 0xfffd
	v_cndmask_b32_e32 v70, 0xfff00000, v70, vcc_lo
	s_delay_alu instid0(VALU_DEP_1)
	v_add_f64_e32 v[11:12], v[13:14], v[69:70]
.LBB71_171:
	s_wait_alu 0xfffe
	s_or_b32 exec_lo, exec_lo, s33
	s_delay_alu instid0(VALU_DEP_1) | instskip(SKIP_1) | instid1(VALU_DEP_2)
	v_max_num_f64_e32 v[13:14], v[11:12], v[11:12]
	v_cmp_u_f64_e32 vcc_lo, v[11:12], v[11:12]
	v_min_num_f64_e32 v[69:70], v[13:14], v[15:16]
	v_max_num_f64_e32 v[13:14], v[13:14], v[15:16]
	s_wait_alu 0xfffd
	s_delay_alu instid0(VALU_DEP_2) | instskip(NEXT) | instid1(VALU_DEP_2)
	v_dual_cndmask_b32 v15, v69, v11 :: v_dual_cndmask_b32 v16, v70, v12
	v_dual_cndmask_b32 v14, v14, v12 :: v_dual_cndmask_b32 v13, v13, v11
	s_delay_alu instid0(VALU_DEP_2) | instskip(NEXT) | instid1(VALU_DEP_3)
	v_cndmask_b32_e64 v69, v15, v57, s6
	v_cndmask_b32_e64 v70, v16, v58, s6
	s_delay_alu instid0(VALU_DEP_3) | instskip(NEXT) | instid1(VALU_DEP_4)
	v_cndmask_b32_e64 v16, v14, v58, s6
	v_cndmask_b32_e64 v15, v13, v57, s6
	v_dual_mov_b32 v14, v12 :: v_dual_mov_b32 v13, v11
	s_delay_alu instid0(VALU_DEP_4) | instskip(NEXT) | instid1(VALU_DEP_3)
	v_cmp_class_f64_e64 s1, v[69:70], 0x1f8
	v_cmp_neq_f64_e32 vcc_lo, v[69:70], v[15:16]
	s_or_b32 s1, vcc_lo, s1
	s_wait_alu 0xfffe
	s_and_saveexec_b32 s6, s1
	s_cbranch_execz .LBB71_173
; %bb.172:
	v_add_f64_e64 v[13:14], v[69:70], -v[15:16]
	s_mov_b32 s4, 0x652b82fe
	s_mov_b32 s5, 0x3ff71547
	;; [unrolled: 1-line block ×10, first 2 shown]
	s_wait_alu 0xfffe
	s_delay_alu instid0(VALU_DEP_1) | instskip(SKIP_4) | instid1(VALU_DEP_3)
	v_mul_f64_e32 v[69:70], s[4:5], v[13:14]
	s_mov_b32 s5, 0xbfe62e42
	s_mov_b32 s4, 0xfefa39ef
	v_cmp_nlt_f64_e32 vcc_lo, 0x40900000, v[13:14]
	v_cmp_ngt_f64_e64 s1, 0xc090cc00, v[13:14]
	v_rndne_f64_e32 v[69:70], v[69:70]
	s_wait_alu 0xfffe
	s_delay_alu instid0(VALU_DEP_1) | instskip(SKIP_2) | instid1(VALU_DEP_2)
	v_fma_f64 v[71:72], v[69:70], s[4:5], v[13:14]
	v_cvt_i32_f64_e32 v75, v[69:70]
	s_mov_b32 s5, 0x3fe62e42
	v_fma_f64 v[71:72], v[69:70], s[18:19], v[71:72]
	s_mov_b32 s19, 0x3c7abc9e
	s_delay_alu instid0(VALU_DEP_1)
	v_fma_f64 v[73:74], v[71:72], s[42:43], s[20:21]
	s_mov_b32 s20, 0x623fde64
	s_mov_b32 s21, 0x3ec71dee
	;; [unrolled: 1-line block ×4, first 2 shown]
	s_wait_alu 0xfffe
	s_delay_alu instid0(VALU_DEP_1) | instskip(SKIP_3) | instid1(VALU_DEP_1)
	v_fma_f64 v[73:74], v[71:72], v[73:74], s[20:21]
	s_mov_b32 s20, 0x7c89e6b0
	s_mov_b32 s21, 0x3efa0199
	s_wait_alu 0xfffe
	v_fma_f64 v[73:74], v[71:72], v[73:74], s[20:21]
	s_mov_b32 s20, 0x14761f6e
	s_mov_b32 s21, 0x3f2a01a0
	s_wait_alu 0xfffe
	s_delay_alu instid0(VALU_DEP_1) | instskip(SKIP_3) | instid1(VALU_DEP_1)
	v_fma_f64 v[73:74], v[71:72], v[73:74], s[20:21]
	s_mov_b32 s20, 0x1852b7b0
	s_mov_b32 s21, 0x3f56c16c
	s_wait_alu 0xfffe
	v_fma_f64 v[73:74], v[71:72], v[73:74], s[20:21]
	s_mov_b32 s20, 0x11122322
	s_mov_b32 s21, 0x3f811111
	;; [unrolled: 9-line block ×4, first 2 shown]
	s_delay_alu instid0(VALU_DEP_1) | instskip(NEXT) | instid1(VALU_DEP_1)
	v_fma_f64 v[73:74], v[71:72], v[73:74], 1.0
	v_fma_f64 v[69:70], v[71:72], v[73:74], 1.0
	s_delay_alu instid0(VALU_DEP_1) | instskip(SKIP_1) | instid1(VALU_DEP_1)
	v_ldexp_f64 v[69:70], v[69:70], v75
	s_wait_alu 0xfffd
	v_cndmask_b32_e32 v70, 0x7ff00000, v70, vcc_lo
	s_and_b32 vcc_lo, s1, vcc_lo
	s_wait_alu 0xfffe
	s_delay_alu instid0(VALU_DEP_2) | instskip(NEXT) | instid1(VALU_DEP_2)
	v_cndmask_b32_e32 v13, 0, v69, vcc_lo
	v_cndmask_b32_e64 v14, 0, v70, s1
	s_delay_alu instid0(VALU_DEP_1) | instskip(SKIP_1) | instid1(VALU_DEP_2)
	v_add_f64_e32 v[69:70], 1.0, v[13:14]
	v_cmp_neq_f64_e64 s1, 0x7ff00000, v[13:14]
	v_frexp_mant_f64_e32 v[71:72], v[69:70]
	v_frexp_exp_i32_f64_e32 v75, v[69:70]
	v_add_f64_e32 v[73:74], -1.0, v[69:70]
	s_delay_alu instid0(VALU_DEP_3) | instskip(SKIP_1) | instid1(VALU_DEP_2)
	v_cmp_gt_f64_e32 vcc_lo, s[20:21], v[71:72]
	s_mov_b32 s20, 0x55555780
	v_add_f64_e64 v[71:72], v[73:74], -v[69:70]
	v_add_f64_e64 v[73:74], v[13:14], -v[73:74]
	s_wait_alu 0xfffd
	v_subrev_co_ci_u32_e64 v109, null, 0, v75, vcc_lo
	s_delay_alu instid0(VALU_DEP_3) | instskip(SKIP_1) | instid1(VALU_DEP_3)
	v_add_f64_e32 v[71:72], 1.0, v[71:72]
	v_cmp_nge_f64_e32 vcc_lo, -1.0, v[13:14]
	v_sub_nc_u32_e32 v77, 0, v109
	s_delay_alu instid0(VALU_DEP_1) | instskip(NEXT) | instid1(VALU_DEP_4)
	v_ldexp_f64 v[69:70], v[69:70], v77
	v_add_f64_e32 v[71:72], v[73:74], v[71:72]
	s_and_b32 vcc_lo, vcc_lo, s1
	s_delay_alu instid0(VALU_DEP_2) | instskip(SKIP_1) | instid1(VALU_DEP_3)
	v_add_f64_e32 v[75:76], 1.0, v[69:70]
	v_add_f64_e32 v[81:82], -1.0, v[69:70]
	v_ldexp_f64 v[71:72], v[71:72], v77
	s_delay_alu instid0(VALU_DEP_3) | instskip(NEXT) | instid1(VALU_DEP_3)
	v_add_f64_e32 v[73:74], -1.0, v[75:76]
	v_add_f64_e32 v[101:102], 1.0, v[81:82]
	s_delay_alu instid0(VALU_DEP_2) | instskip(NEXT) | instid1(VALU_DEP_2)
	v_add_f64_e64 v[73:74], v[69:70], -v[73:74]
	v_add_f64_e64 v[69:70], v[69:70], -v[101:102]
	s_delay_alu instid0(VALU_DEP_2) | instskip(NEXT) | instid1(VALU_DEP_2)
	v_add_f64_e32 v[73:74], v[71:72], v[73:74]
	v_add_f64_e32 v[69:70], v[71:72], v[69:70]
	s_delay_alu instid0(VALU_DEP_2) | instskip(NEXT) | instid1(VALU_DEP_2)
	v_add_f64_e32 v[77:78], v[75:76], v[73:74]
	v_add_f64_e32 v[101:102], v[81:82], v[69:70]
	s_delay_alu instid0(VALU_DEP_2) | instskip(SKIP_1) | instid1(VALU_DEP_2)
	v_rcp_f64_e32 v[79:80], v[77:78]
	v_add_f64_e64 v[75:76], v[77:78], -v[75:76]
	v_add_f64_e64 v[81:82], v[101:102], -v[81:82]
	s_delay_alu instid0(VALU_DEP_2) | instskip(NEXT) | instid1(TRANS32_DEP_1)
	v_add_f64_e64 v[73:74], v[73:74], -v[75:76]
	v_fma_f64 v[103:104], -v[77:78], v[79:80], 1.0
	s_delay_alu instid0(VALU_DEP_3) | instskip(NEXT) | instid1(VALU_DEP_2)
	v_add_f64_e64 v[69:70], v[69:70], -v[81:82]
	v_fma_f64 v[79:80], v[103:104], v[79:80], v[79:80]
	s_delay_alu instid0(VALU_DEP_1) | instskip(NEXT) | instid1(VALU_DEP_1)
	v_fma_f64 v[71:72], -v[77:78], v[79:80], 1.0
	v_fma_f64 v[71:72], v[71:72], v[79:80], v[79:80]
	s_delay_alu instid0(VALU_DEP_1) | instskip(NEXT) | instid1(VALU_DEP_1)
	v_mul_f64_e32 v[79:80], v[101:102], v[71:72]
	v_mul_f64_e32 v[103:104], v[77:78], v[79:80]
	s_delay_alu instid0(VALU_DEP_1) | instskip(NEXT) | instid1(VALU_DEP_1)
	v_fma_f64 v[75:76], v[79:80], v[77:78], -v[103:104]
	v_fma_f64 v[75:76], v[79:80], v[73:74], v[75:76]
	s_delay_alu instid0(VALU_DEP_1) | instskip(NEXT) | instid1(VALU_DEP_1)
	v_add_f64_e32 v[105:106], v[103:104], v[75:76]
	v_add_f64_e64 v[107:108], v[101:102], -v[105:106]
	v_add_f64_e64 v[81:82], v[105:106], -v[103:104]
	s_delay_alu instid0(VALU_DEP_2) | instskip(NEXT) | instid1(VALU_DEP_2)
	v_add_f64_e64 v[101:102], v[101:102], -v[107:108]
	v_add_f64_e64 v[75:76], v[81:82], -v[75:76]
	s_delay_alu instid0(VALU_DEP_2) | instskip(NEXT) | instid1(VALU_DEP_1)
	v_add_f64_e64 v[101:102], v[101:102], -v[105:106]
	v_add_f64_e32 v[69:70], v[69:70], v[101:102]
	s_delay_alu instid0(VALU_DEP_1) | instskip(NEXT) | instid1(VALU_DEP_1)
	v_add_f64_e32 v[69:70], v[75:76], v[69:70]
	v_add_f64_e32 v[75:76], v[107:108], v[69:70]
	s_delay_alu instid0(VALU_DEP_1) | instskip(SKIP_1) | instid1(VALU_DEP_2)
	v_mul_f64_e32 v[81:82], v[71:72], v[75:76]
	v_add_f64_e64 v[105:106], v[107:108], -v[75:76]
	v_mul_f64_e32 v[101:102], v[77:78], v[81:82]
	s_delay_alu instid0(VALU_DEP_2) | instskip(NEXT) | instid1(VALU_DEP_2)
	v_add_f64_e32 v[69:70], v[69:70], v[105:106]
	v_fma_f64 v[77:78], v[81:82], v[77:78], -v[101:102]
	s_delay_alu instid0(VALU_DEP_1) | instskip(NEXT) | instid1(VALU_DEP_1)
	v_fma_f64 v[73:74], v[81:82], v[73:74], v[77:78]
	v_add_f64_e32 v[77:78], v[101:102], v[73:74]
	s_delay_alu instid0(VALU_DEP_1) | instskip(SKIP_1) | instid1(VALU_DEP_2)
	v_add_f64_e64 v[103:104], v[75:76], -v[77:78]
	v_add_f64_e64 v[101:102], v[77:78], -v[101:102]
	;; [unrolled: 1-line block ×3, first 2 shown]
	s_delay_alu instid0(VALU_DEP_2) | instskip(NEXT) | instid1(VALU_DEP_2)
	v_add_f64_e64 v[73:74], v[101:102], -v[73:74]
	v_add_f64_e64 v[75:76], v[75:76], -v[77:78]
	s_delay_alu instid0(VALU_DEP_1) | instskip(SKIP_1) | instid1(VALU_DEP_2)
	v_add_f64_e32 v[69:70], v[69:70], v[75:76]
	v_add_f64_e32 v[75:76], v[79:80], v[81:82]
	;; [unrolled: 1-line block ×3, first 2 shown]
	s_delay_alu instid0(VALU_DEP_2) | instskip(NEXT) | instid1(VALU_DEP_2)
	v_add_f64_e64 v[73:74], v[75:76], -v[79:80]
	v_add_f64_e32 v[69:70], v[103:104], v[69:70]
	s_delay_alu instid0(VALU_DEP_2) | instskip(NEXT) | instid1(VALU_DEP_2)
	v_add_f64_e64 v[73:74], v[81:82], -v[73:74]
	v_mul_f64_e32 v[69:70], v[71:72], v[69:70]
	s_delay_alu instid0(VALU_DEP_1) | instskip(NEXT) | instid1(VALU_DEP_1)
	v_add_f64_e32 v[69:70], v[73:74], v[69:70]
	v_add_f64_e32 v[71:72], v[75:76], v[69:70]
	s_delay_alu instid0(VALU_DEP_1) | instskip(NEXT) | instid1(VALU_DEP_1)
	v_mul_f64_e32 v[73:74], v[71:72], v[71:72]
	v_fma_f64 v[77:78], v[73:74], s[44:45], s[42:43]
	s_mov_b32 s42, 0xd7f4df2e
	s_mov_b32 s43, 0x3fc7474d
	v_mul_f64_e32 v[79:80], v[71:72], v[73:74]
	s_wait_alu 0xfffe
	s_delay_alu instid0(VALU_DEP_2) | instskip(SKIP_3) | instid1(VALU_DEP_1)
	v_fma_f64 v[77:78], v[73:74], v[77:78], s[42:43]
	s_mov_b32 s42, 0x16291751
	s_mov_b32 s43, 0x3fcc71c0
	s_wait_alu 0xfffe
	v_fma_f64 v[77:78], v[73:74], v[77:78], s[42:43]
	s_mov_b32 s42, 0x9b27acf1
	s_mov_b32 s43, 0x3fd24924
	s_wait_alu 0xfffe
	s_delay_alu instid0(VALU_DEP_1) | instskip(SKIP_3) | instid1(VALU_DEP_1)
	v_fma_f64 v[77:78], v[73:74], v[77:78], s[42:43]
	s_mov_b32 s42, 0x998ef7b6
	s_mov_b32 s43, 0x3fd99999
	s_wait_alu 0xfffe
	v_fma_f64 v[77:78], v[73:74], v[77:78], s[42:43]
	s_delay_alu instid0(VALU_DEP_1) | instskip(SKIP_2) | instid1(VALU_DEP_3)
	v_fma_f64 v[73:74], v[73:74], v[77:78], s[20:21]
	v_ldexp_f64 v[77:78], v[71:72], 1
	v_add_f64_e64 v[71:72], v[71:72], -v[75:76]
	v_mul_f64_e32 v[73:74], v[79:80], v[73:74]
	v_cvt_f64_i32_e32 v[79:80], v109
	s_delay_alu instid0(VALU_DEP_3) | instskip(NEXT) | instid1(VALU_DEP_3)
	v_add_f64_e64 v[69:70], v[69:70], -v[71:72]
	v_add_f64_e32 v[75:76], v[77:78], v[73:74]
	s_delay_alu instid0(VALU_DEP_3) | instskip(NEXT) | instid1(VALU_DEP_3)
	v_mul_f64_e32 v[81:82], s[4:5], v[79:80]
	v_ldexp_f64 v[69:70], v[69:70], 1
	s_delay_alu instid0(VALU_DEP_3) | instskip(NEXT) | instid1(VALU_DEP_3)
	v_add_f64_e64 v[71:72], v[75:76], -v[77:78]
	v_fma_f64 v[77:78], v[79:80], s[4:5], -v[81:82]
	v_cmp_ngt_f64_e64 s4, -1.0, v[13:14]
	s_delay_alu instid0(VALU_DEP_3) | instskip(NEXT) | instid1(VALU_DEP_3)
	v_add_f64_e64 v[71:72], v[73:74], -v[71:72]
	v_fma_f64 v[73:74], v[79:80], s[18:19], v[77:78]
	s_delay_alu instid0(VALU_DEP_2) | instskip(NEXT) | instid1(VALU_DEP_2)
	v_add_f64_e32 v[69:70], v[69:70], v[71:72]
	v_add_f64_e32 v[71:72], v[81:82], v[73:74]
	s_delay_alu instid0(VALU_DEP_2) | instskip(NEXT) | instid1(VALU_DEP_2)
	v_add_f64_e32 v[77:78], v[75:76], v[69:70]
	v_add_f64_e64 v[81:82], v[71:72], -v[81:82]
	s_delay_alu instid0(VALU_DEP_2) | instskip(SKIP_1) | instid1(VALU_DEP_3)
	v_add_f64_e32 v[79:80], v[71:72], v[77:78]
	v_add_f64_e64 v[75:76], v[77:78], -v[75:76]
	v_add_f64_e64 v[73:74], v[73:74], -v[81:82]
	s_delay_alu instid0(VALU_DEP_3) | instskip(NEXT) | instid1(VALU_DEP_3)
	v_add_f64_e64 v[101:102], v[79:80], -v[71:72]
	v_add_f64_e64 v[69:70], v[69:70], -v[75:76]
	s_delay_alu instid0(VALU_DEP_2) | instskip(SKIP_1) | instid1(VALU_DEP_3)
	v_add_f64_e64 v[103:104], v[79:80], -v[101:102]
	v_add_f64_e64 v[75:76], v[77:78], -v[101:102]
	v_add_f64_e32 v[77:78], v[73:74], v[69:70]
	s_delay_alu instid0(VALU_DEP_3) | instskip(NEXT) | instid1(VALU_DEP_1)
	v_add_f64_e64 v[71:72], v[71:72], -v[103:104]
	v_add_f64_e32 v[71:72], v[75:76], v[71:72]
	s_delay_alu instid0(VALU_DEP_3) | instskip(NEXT) | instid1(VALU_DEP_2)
	v_add_f64_e64 v[75:76], v[77:78], -v[73:74]
	v_add_f64_e32 v[71:72], v[77:78], v[71:72]
	s_delay_alu instid0(VALU_DEP_2) | instskip(SKIP_1) | instid1(VALU_DEP_3)
	v_add_f64_e64 v[77:78], v[77:78], -v[75:76]
	v_add_f64_e64 v[69:70], v[69:70], -v[75:76]
	v_add_f64_e32 v[81:82], v[79:80], v[71:72]
	s_delay_alu instid0(VALU_DEP_3) | instskip(NEXT) | instid1(VALU_DEP_2)
	v_add_f64_e64 v[73:74], v[73:74], -v[77:78]
	v_add_f64_e64 v[75:76], v[81:82], -v[79:80]
	s_delay_alu instid0(VALU_DEP_2) | instskip(NEXT) | instid1(VALU_DEP_2)
	v_add_f64_e32 v[69:70], v[69:70], v[73:74]
	v_add_f64_e64 v[71:72], v[71:72], -v[75:76]
	s_delay_alu instid0(VALU_DEP_1) | instskip(NEXT) | instid1(VALU_DEP_1)
	v_add_f64_e32 v[69:70], v[69:70], v[71:72]
	v_add_f64_e32 v[69:70], v[81:82], v[69:70]
	s_delay_alu instid0(VALU_DEP_1) | instskip(SKIP_1) | instid1(VALU_DEP_3)
	v_cndmask_b32_e32 v69, 0, v69, vcc_lo
	v_cmp_neq_f64_e32 vcc_lo, -1.0, v[13:14]
	v_cndmask_b32_e64 v70, 0x7ff00000, v70, s1
	s_wait_alu 0xf1ff
	s_delay_alu instid0(VALU_DEP_1) | instskip(SKIP_1) | instid1(VALU_DEP_1)
	v_cndmask_b32_e64 v70, 0x7ff80000, v70, s4
	s_wait_alu 0xfffd
	v_cndmask_b32_e32 v70, 0xfff00000, v70, vcc_lo
	s_delay_alu instid0(VALU_DEP_1)
	v_add_f64_e32 v[13:14], v[15:16], v[69:70]
.LBB71_173:
	s_wait_alu 0xfffe
	s_or_b32 exec_lo, exec_lo, s6
	s_delay_alu instid0(VALU_DEP_1) | instskip(SKIP_1) | instid1(VALU_DEP_2)
	v_max_num_f64_e32 v[15:16], v[13:14], v[13:14]
	v_cmp_u_f64_e32 vcc_lo, v[13:14], v[13:14]
	v_min_num_f64_e32 v[69:70], v[15:16], v[17:18]
	v_max_num_f64_e32 v[15:16], v[15:16], v[17:18]
	s_wait_alu 0xfffd
	s_delay_alu instid0(VALU_DEP_2) | instskip(NEXT) | instid1(VALU_DEP_2)
	v_dual_cndmask_b32 v17, v69, v13 :: v_dual_cndmask_b32 v18, v70, v14
	v_dual_cndmask_b32 v16, v16, v14 :: v_dual_cndmask_b32 v15, v15, v13
	s_delay_alu instid0(VALU_DEP_2) | instskip(NEXT) | instid1(VALU_DEP_3)
	v_cndmask_b32_e64 v69, v17, v59, s7
	v_cndmask_b32_e64 v70, v18, v60, s7
	s_delay_alu instid0(VALU_DEP_3) | instskip(NEXT) | instid1(VALU_DEP_4)
	v_cndmask_b32_e64 v18, v16, v60, s7
	v_cndmask_b32_e64 v17, v15, v59, s7
	v_dual_mov_b32 v16, v14 :: v_dual_mov_b32 v15, v13
	s_delay_alu instid0(VALU_DEP_4) | instskip(NEXT) | instid1(VALU_DEP_3)
	v_cmp_class_f64_e64 s1, v[69:70], 0x1f8
	v_cmp_neq_f64_e32 vcc_lo, v[69:70], v[17:18]
	s_or_b32 s1, vcc_lo, s1
	s_wait_alu 0xfffe
	s_and_saveexec_b32 s20, s1
	s_cbranch_execz .LBB71_175
; %bb.174:
	v_add_f64_e64 v[15:16], v[69:70], -v[17:18]
	s_mov_b32 s4, 0x652b82fe
	s_mov_b32 s5, 0x3ff71547
	;; [unrolled: 1-line block ×10, first 2 shown]
	s_wait_alu 0xfffe
	s_delay_alu instid0(VALU_DEP_1) | instskip(SKIP_4) | instid1(VALU_DEP_3)
	v_mul_f64_e32 v[69:70], s[4:5], v[15:16]
	s_mov_b32 s5, 0xbfe62e42
	s_mov_b32 s4, 0xfefa39ef
	v_cmp_nlt_f64_e32 vcc_lo, 0x40900000, v[15:16]
	v_cmp_ngt_f64_e64 s1, 0xc090cc00, v[15:16]
	v_rndne_f64_e32 v[69:70], v[69:70]
	s_wait_alu 0xfffe
	s_delay_alu instid0(VALU_DEP_1) | instskip(SKIP_2) | instid1(VALU_DEP_2)
	v_fma_f64 v[71:72], v[69:70], s[4:5], v[15:16]
	v_cvt_i32_f64_e32 v75, v[69:70]
	s_mov_b32 s5, 0x3fe62e42
	v_fma_f64 v[71:72], v[69:70], s[6:7], v[71:72]
	s_mov_b32 s7, 0x3c7abc9e
	s_delay_alu instid0(VALU_DEP_1)
	v_fma_f64 v[73:74], v[71:72], s[42:43], s[18:19]
	s_mov_b32 s18, 0x623fde64
	s_mov_b32 s19, 0x3ec71dee
	s_mov_b32 s42, 0x6b47b09a
	s_mov_b32 s43, 0x3fc38538
	s_wait_alu 0xfffe
	s_delay_alu instid0(VALU_DEP_1) | instskip(SKIP_3) | instid1(VALU_DEP_1)
	v_fma_f64 v[73:74], v[71:72], v[73:74], s[18:19]
	s_mov_b32 s18, 0x7c89e6b0
	s_mov_b32 s19, 0x3efa0199
	s_wait_alu 0xfffe
	v_fma_f64 v[73:74], v[71:72], v[73:74], s[18:19]
	s_mov_b32 s18, 0x14761f6e
	s_mov_b32 s19, 0x3f2a01a0
	s_wait_alu 0xfffe
	s_delay_alu instid0(VALU_DEP_1) | instskip(SKIP_3) | instid1(VALU_DEP_1)
	v_fma_f64 v[73:74], v[71:72], v[73:74], s[18:19]
	s_mov_b32 s18, 0x1852b7b0
	s_mov_b32 s19, 0x3f56c16c
	s_wait_alu 0xfffe
	v_fma_f64 v[73:74], v[71:72], v[73:74], s[18:19]
	s_mov_b32 s18, 0x11122322
	s_mov_b32 s19, 0x3f811111
	;; [unrolled: 9-line block ×4, first 2 shown]
	s_delay_alu instid0(VALU_DEP_1) | instskip(NEXT) | instid1(VALU_DEP_1)
	v_fma_f64 v[73:74], v[71:72], v[73:74], 1.0
	v_fma_f64 v[69:70], v[71:72], v[73:74], 1.0
	s_delay_alu instid0(VALU_DEP_1) | instskip(SKIP_1) | instid1(VALU_DEP_1)
	v_ldexp_f64 v[69:70], v[69:70], v75
	s_wait_alu 0xfffd
	v_cndmask_b32_e32 v70, 0x7ff00000, v70, vcc_lo
	s_and_b32 vcc_lo, s1, vcc_lo
	s_wait_alu 0xfffe
	s_delay_alu instid0(VALU_DEP_2) | instskip(NEXT) | instid1(VALU_DEP_2)
	v_cndmask_b32_e32 v15, 0, v69, vcc_lo
	v_cndmask_b32_e64 v16, 0, v70, s1
	s_delay_alu instid0(VALU_DEP_1) | instskip(SKIP_1) | instid1(VALU_DEP_2)
	v_add_f64_e32 v[69:70], 1.0, v[15:16]
	v_cmp_neq_f64_e64 s1, 0x7ff00000, v[15:16]
	v_frexp_mant_f64_e32 v[71:72], v[69:70]
	v_frexp_exp_i32_f64_e32 v75, v[69:70]
	v_add_f64_e32 v[73:74], -1.0, v[69:70]
	s_delay_alu instid0(VALU_DEP_3) | instskip(SKIP_1) | instid1(VALU_DEP_2)
	v_cmp_gt_f64_e32 vcc_lo, s[18:19], v[71:72]
	s_mov_b32 s18, 0x55555780
	v_add_f64_e64 v[71:72], v[73:74], -v[69:70]
	v_add_f64_e64 v[73:74], v[15:16], -v[73:74]
	s_wait_alu 0xfffd
	v_subrev_co_ci_u32_e64 v109, null, 0, v75, vcc_lo
	s_delay_alu instid0(VALU_DEP_3) | instskip(SKIP_1) | instid1(VALU_DEP_3)
	v_add_f64_e32 v[71:72], 1.0, v[71:72]
	v_cmp_nge_f64_e32 vcc_lo, -1.0, v[15:16]
	v_sub_nc_u32_e32 v77, 0, v109
	s_delay_alu instid0(VALU_DEP_1) | instskip(NEXT) | instid1(VALU_DEP_4)
	v_ldexp_f64 v[69:70], v[69:70], v77
	v_add_f64_e32 v[71:72], v[73:74], v[71:72]
	s_and_b32 vcc_lo, vcc_lo, s1
	s_delay_alu instid0(VALU_DEP_2) | instskip(SKIP_1) | instid1(VALU_DEP_3)
	v_add_f64_e32 v[75:76], 1.0, v[69:70]
	v_add_f64_e32 v[81:82], -1.0, v[69:70]
	v_ldexp_f64 v[71:72], v[71:72], v77
	s_delay_alu instid0(VALU_DEP_3) | instskip(NEXT) | instid1(VALU_DEP_3)
	v_add_f64_e32 v[73:74], -1.0, v[75:76]
	v_add_f64_e32 v[101:102], 1.0, v[81:82]
	s_delay_alu instid0(VALU_DEP_2) | instskip(NEXT) | instid1(VALU_DEP_2)
	v_add_f64_e64 v[73:74], v[69:70], -v[73:74]
	v_add_f64_e64 v[69:70], v[69:70], -v[101:102]
	s_delay_alu instid0(VALU_DEP_2) | instskip(NEXT) | instid1(VALU_DEP_2)
	v_add_f64_e32 v[73:74], v[71:72], v[73:74]
	v_add_f64_e32 v[69:70], v[71:72], v[69:70]
	s_delay_alu instid0(VALU_DEP_2) | instskip(NEXT) | instid1(VALU_DEP_2)
	v_add_f64_e32 v[77:78], v[75:76], v[73:74]
	v_add_f64_e32 v[101:102], v[81:82], v[69:70]
	s_delay_alu instid0(VALU_DEP_2) | instskip(SKIP_1) | instid1(VALU_DEP_2)
	v_rcp_f64_e32 v[79:80], v[77:78]
	v_add_f64_e64 v[75:76], v[77:78], -v[75:76]
	v_add_f64_e64 v[81:82], v[101:102], -v[81:82]
	s_delay_alu instid0(VALU_DEP_2) | instskip(NEXT) | instid1(TRANS32_DEP_1)
	v_add_f64_e64 v[73:74], v[73:74], -v[75:76]
	v_fma_f64 v[103:104], -v[77:78], v[79:80], 1.0
	s_delay_alu instid0(VALU_DEP_3) | instskip(NEXT) | instid1(VALU_DEP_2)
	v_add_f64_e64 v[69:70], v[69:70], -v[81:82]
	v_fma_f64 v[79:80], v[103:104], v[79:80], v[79:80]
	s_delay_alu instid0(VALU_DEP_1) | instskip(NEXT) | instid1(VALU_DEP_1)
	v_fma_f64 v[71:72], -v[77:78], v[79:80], 1.0
	v_fma_f64 v[71:72], v[71:72], v[79:80], v[79:80]
	s_delay_alu instid0(VALU_DEP_1) | instskip(NEXT) | instid1(VALU_DEP_1)
	v_mul_f64_e32 v[79:80], v[101:102], v[71:72]
	v_mul_f64_e32 v[103:104], v[77:78], v[79:80]
	s_delay_alu instid0(VALU_DEP_1) | instskip(NEXT) | instid1(VALU_DEP_1)
	v_fma_f64 v[75:76], v[79:80], v[77:78], -v[103:104]
	v_fma_f64 v[75:76], v[79:80], v[73:74], v[75:76]
	s_delay_alu instid0(VALU_DEP_1) | instskip(NEXT) | instid1(VALU_DEP_1)
	v_add_f64_e32 v[105:106], v[103:104], v[75:76]
	v_add_f64_e64 v[107:108], v[101:102], -v[105:106]
	v_add_f64_e64 v[81:82], v[105:106], -v[103:104]
	s_delay_alu instid0(VALU_DEP_2) | instskip(NEXT) | instid1(VALU_DEP_2)
	v_add_f64_e64 v[101:102], v[101:102], -v[107:108]
	v_add_f64_e64 v[75:76], v[81:82], -v[75:76]
	s_delay_alu instid0(VALU_DEP_2) | instskip(NEXT) | instid1(VALU_DEP_1)
	v_add_f64_e64 v[101:102], v[101:102], -v[105:106]
	v_add_f64_e32 v[69:70], v[69:70], v[101:102]
	s_delay_alu instid0(VALU_DEP_1) | instskip(NEXT) | instid1(VALU_DEP_1)
	v_add_f64_e32 v[69:70], v[75:76], v[69:70]
	v_add_f64_e32 v[75:76], v[107:108], v[69:70]
	s_delay_alu instid0(VALU_DEP_1) | instskip(SKIP_1) | instid1(VALU_DEP_2)
	v_mul_f64_e32 v[81:82], v[71:72], v[75:76]
	v_add_f64_e64 v[105:106], v[107:108], -v[75:76]
	v_mul_f64_e32 v[101:102], v[77:78], v[81:82]
	s_delay_alu instid0(VALU_DEP_2) | instskip(NEXT) | instid1(VALU_DEP_2)
	v_add_f64_e32 v[69:70], v[69:70], v[105:106]
	v_fma_f64 v[77:78], v[81:82], v[77:78], -v[101:102]
	s_delay_alu instid0(VALU_DEP_1) | instskip(NEXT) | instid1(VALU_DEP_1)
	v_fma_f64 v[73:74], v[81:82], v[73:74], v[77:78]
	v_add_f64_e32 v[77:78], v[101:102], v[73:74]
	s_delay_alu instid0(VALU_DEP_1) | instskip(SKIP_1) | instid1(VALU_DEP_2)
	v_add_f64_e64 v[103:104], v[75:76], -v[77:78]
	v_add_f64_e64 v[101:102], v[77:78], -v[101:102]
	;; [unrolled: 1-line block ×3, first 2 shown]
	s_delay_alu instid0(VALU_DEP_2) | instskip(NEXT) | instid1(VALU_DEP_2)
	v_add_f64_e64 v[73:74], v[101:102], -v[73:74]
	v_add_f64_e64 v[75:76], v[75:76], -v[77:78]
	s_delay_alu instid0(VALU_DEP_1) | instskip(SKIP_1) | instid1(VALU_DEP_2)
	v_add_f64_e32 v[69:70], v[69:70], v[75:76]
	v_add_f64_e32 v[75:76], v[79:80], v[81:82]
	;; [unrolled: 1-line block ×3, first 2 shown]
	s_delay_alu instid0(VALU_DEP_2) | instskip(NEXT) | instid1(VALU_DEP_2)
	v_add_f64_e64 v[73:74], v[75:76], -v[79:80]
	v_add_f64_e32 v[69:70], v[103:104], v[69:70]
	s_delay_alu instid0(VALU_DEP_2) | instskip(NEXT) | instid1(VALU_DEP_2)
	v_add_f64_e64 v[73:74], v[81:82], -v[73:74]
	v_mul_f64_e32 v[69:70], v[71:72], v[69:70]
	s_delay_alu instid0(VALU_DEP_1) | instskip(NEXT) | instid1(VALU_DEP_1)
	v_add_f64_e32 v[69:70], v[73:74], v[69:70]
	v_add_f64_e32 v[71:72], v[75:76], v[69:70]
	s_delay_alu instid0(VALU_DEP_1) | instskip(NEXT) | instid1(VALU_DEP_1)
	v_mul_f64_e32 v[73:74], v[71:72], v[71:72]
	v_fma_f64 v[77:78], v[73:74], s[44:45], s[42:43]
	s_mov_b32 s42, 0xd7f4df2e
	s_mov_b32 s43, 0x3fc7474d
	v_mul_f64_e32 v[79:80], v[71:72], v[73:74]
	s_wait_alu 0xfffe
	s_delay_alu instid0(VALU_DEP_2) | instskip(SKIP_3) | instid1(VALU_DEP_1)
	v_fma_f64 v[77:78], v[73:74], v[77:78], s[42:43]
	s_mov_b32 s42, 0x16291751
	s_mov_b32 s43, 0x3fcc71c0
	s_wait_alu 0xfffe
	v_fma_f64 v[77:78], v[73:74], v[77:78], s[42:43]
	s_mov_b32 s42, 0x9b27acf1
	s_mov_b32 s43, 0x3fd24924
	s_wait_alu 0xfffe
	s_delay_alu instid0(VALU_DEP_1) | instskip(SKIP_3) | instid1(VALU_DEP_1)
	v_fma_f64 v[77:78], v[73:74], v[77:78], s[42:43]
	s_mov_b32 s42, 0x998ef7b6
	s_mov_b32 s43, 0x3fd99999
	s_wait_alu 0xfffe
	v_fma_f64 v[77:78], v[73:74], v[77:78], s[42:43]
	s_delay_alu instid0(VALU_DEP_1) | instskip(SKIP_2) | instid1(VALU_DEP_3)
	v_fma_f64 v[73:74], v[73:74], v[77:78], s[18:19]
	v_ldexp_f64 v[77:78], v[71:72], 1
	v_add_f64_e64 v[71:72], v[71:72], -v[75:76]
	v_mul_f64_e32 v[73:74], v[79:80], v[73:74]
	v_cvt_f64_i32_e32 v[79:80], v109
	s_delay_alu instid0(VALU_DEP_3) | instskip(NEXT) | instid1(VALU_DEP_3)
	v_add_f64_e64 v[69:70], v[69:70], -v[71:72]
	v_add_f64_e32 v[75:76], v[77:78], v[73:74]
	s_delay_alu instid0(VALU_DEP_3) | instskip(NEXT) | instid1(VALU_DEP_3)
	v_mul_f64_e32 v[81:82], s[4:5], v[79:80]
	v_ldexp_f64 v[69:70], v[69:70], 1
	s_delay_alu instid0(VALU_DEP_3) | instskip(NEXT) | instid1(VALU_DEP_3)
	v_add_f64_e64 v[71:72], v[75:76], -v[77:78]
	v_fma_f64 v[77:78], v[79:80], s[4:5], -v[81:82]
	v_cmp_ngt_f64_e64 s4, -1.0, v[15:16]
	s_delay_alu instid0(VALU_DEP_3) | instskip(NEXT) | instid1(VALU_DEP_3)
	v_add_f64_e64 v[71:72], v[73:74], -v[71:72]
	v_fma_f64 v[73:74], v[79:80], s[6:7], v[77:78]
	s_delay_alu instid0(VALU_DEP_2) | instskip(NEXT) | instid1(VALU_DEP_2)
	v_add_f64_e32 v[69:70], v[69:70], v[71:72]
	v_add_f64_e32 v[71:72], v[81:82], v[73:74]
	s_delay_alu instid0(VALU_DEP_2) | instskip(NEXT) | instid1(VALU_DEP_2)
	v_add_f64_e32 v[77:78], v[75:76], v[69:70]
	v_add_f64_e64 v[81:82], v[71:72], -v[81:82]
	s_delay_alu instid0(VALU_DEP_2) | instskip(SKIP_1) | instid1(VALU_DEP_3)
	v_add_f64_e32 v[79:80], v[71:72], v[77:78]
	v_add_f64_e64 v[75:76], v[77:78], -v[75:76]
	v_add_f64_e64 v[73:74], v[73:74], -v[81:82]
	s_delay_alu instid0(VALU_DEP_3) | instskip(NEXT) | instid1(VALU_DEP_3)
	v_add_f64_e64 v[101:102], v[79:80], -v[71:72]
	v_add_f64_e64 v[69:70], v[69:70], -v[75:76]
	s_delay_alu instid0(VALU_DEP_2) | instskip(SKIP_1) | instid1(VALU_DEP_3)
	v_add_f64_e64 v[103:104], v[79:80], -v[101:102]
	v_add_f64_e64 v[75:76], v[77:78], -v[101:102]
	v_add_f64_e32 v[77:78], v[73:74], v[69:70]
	s_delay_alu instid0(VALU_DEP_3) | instskip(NEXT) | instid1(VALU_DEP_1)
	v_add_f64_e64 v[71:72], v[71:72], -v[103:104]
	v_add_f64_e32 v[71:72], v[75:76], v[71:72]
	s_delay_alu instid0(VALU_DEP_3) | instskip(NEXT) | instid1(VALU_DEP_2)
	v_add_f64_e64 v[75:76], v[77:78], -v[73:74]
	v_add_f64_e32 v[71:72], v[77:78], v[71:72]
	s_delay_alu instid0(VALU_DEP_2) | instskip(SKIP_1) | instid1(VALU_DEP_3)
	v_add_f64_e64 v[77:78], v[77:78], -v[75:76]
	v_add_f64_e64 v[69:70], v[69:70], -v[75:76]
	v_add_f64_e32 v[81:82], v[79:80], v[71:72]
	s_delay_alu instid0(VALU_DEP_3) | instskip(NEXT) | instid1(VALU_DEP_2)
	v_add_f64_e64 v[73:74], v[73:74], -v[77:78]
	v_add_f64_e64 v[75:76], v[81:82], -v[79:80]
	s_delay_alu instid0(VALU_DEP_2) | instskip(NEXT) | instid1(VALU_DEP_2)
	v_add_f64_e32 v[69:70], v[69:70], v[73:74]
	v_add_f64_e64 v[71:72], v[71:72], -v[75:76]
	s_delay_alu instid0(VALU_DEP_1) | instskip(NEXT) | instid1(VALU_DEP_1)
	v_add_f64_e32 v[69:70], v[69:70], v[71:72]
	v_add_f64_e32 v[69:70], v[81:82], v[69:70]
	s_delay_alu instid0(VALU_DEP_1) | instskip(SKIP_1) | instid1(VALU_DEP_3)
	v_cndmask_b32_e32 v69, 0, v69, vcc_lo
	v_cmp_neq_f64_e32 vcc_lo, -1.0, v[15:16]
	v_cndmask_b32_e64 v70, 0x7ff00000, v70, s1
	s_wait_alu 0xf1ff
	s_delay_alu instid0(VALU_DEP_1) | instskip(SKIP_1) | instid1(VALU_DEP_1)
	v_cndmask_b32_e64 v70, 0x7ff80000, v70, s4
	s_wait_alu 0xfffd
	v_cndmask_b32_e32 v70, 0xfff00000, v70, vcc_lo
	s_delay_alu instid0(VALU_DEP_1)
	v_add_f64_e32 v[15:16], v[17:18], v[69:70]
.LBB71_175:
	s_wait_alu 0xfffe
	s_or_b32 exec_lo, exec_lo, s20
	s_delay_alu instid0(VALU_DEP_1) | instskip(SKIP_1) | instid1(VALU_DEP_2)
	v_max_num_f64_e32 v[17:18], v[15:16], v[15:16]
	v_cmp_u_f64_e32 vcc_lo, v[15:16], v[15:16]
	v_min_num_f64_e32 v[69:70], v[17:18], v[19:20]
	v_max_num_f64_e32 v[17:18], v[17:18], v[19:20]
	s_wait_alu 0xfffd
	s_delay_alu instid0(VALU_DEP_2) | instskip(NEXT) | instid1(VALU_DEP_2)
	v_dual_cndmask_b32 v19, v69, v15 :: v_dual_cndmask_b32 v20, v70, v16
	v_dual_cndmask_b32 v18, v18, v16 :: v_dual_cndmask_b32 v17, v17, v15
	s_delay_alu instid0(VALU_DEP_2) | instskip(NEXT) | instid1(VALU_DEP_3)
	v_cndmask_b32_e64 v69, v19, v53, s8
	v_cndmask_b32_e64 v70, v20, v54, s8
	s_delay_alu instid0(VALU_DEP_3) | instskip(NEXT) | instid1(VALU_DEP_4)
	v_cndmask_b32_e64 v20, v18, v54, s8
	v_cndmask_b32_e64 v19, v17, v53, s8
	v_dual_mov_b32 v18, v16 :: v_dual_mov_b32 v17, v15
	s_delay_alu instid0(VALU_DEP_4) | instskip(NEXT) | instid1(VALU_DEP_3)
	v_cmp_class_f64_e64 s1, v[69:70], 0x1f8
	v_cmp_neq_f64_e32 vcc_lo, v[69:70], v[19:20]
	s_or_b32 s1, vcc_lo, s1
	s_wait_alu 0xfffe
	s_and_saveexec_b32 s8, s1
	s_cbranch_execz .LBB71_177
; %bb.176:
	v_add_f64_e64 v[17:18], v[69:70], -v[19:20]
	s_mov_b32 s4, 0x652b82fe
	s_mov_b32 s5, 0x3ff71547
	;; [unrolled: 1-line block ×10, first 2 shown]
	s_wait_alu 0xfffe
	s_delay_alu instid0(VALU_DEP_1) | instskip(SKIP_4) | instid1(VALU_DEP_3)
	v_mul_f64_e32 v[69:70], s[4:5], v[17:18]
	s_mov_b32 s5, 0xbfe62e42
	s_mov_b32 s4, 0xfefa39ef
	v_cmp_nlt_f64_e32 vcc_lo, 0x40900000, v[17:18]
	v_cmp_ngt_f64_e64 s1, 0xc090cc00, v[17:18]
	v_rndne_f64_e32 v[69:70], v[69:70]
	s_wait_alu 0xfffe
	s_delay_alu instid0(VALU_DEP_1) | instskip(SKIP_2) | instid1(VALU_DEP_2)
	v_fma_f64 v[71:72], v[69:70], s[4:5], v[17:18]
	v_cvt_i32_f64_e32 v75, v[69:70]
	s_mov_b32 s5, 0x3fe62e42
	v_fma_f64 v[71:72], v[69:70], s[6:7], v[71:72]
	s_mov_b32 s7, 0x3c7abc9e
	s_delay_alu instid0(VALU_DEP_1)
	v_fma_f64 v[73:74], v[71:72], s[20:21], s[18:19]
	s_mov_b32 s18, 0x623fde64
	s_mov_b32 s19, 0x3ec71dee
	s_mov_b32 s20, 0x6b47b09a
	s_mov_b32 s21, 0x3fc38538
	s_wait_alu 0xfffe
	s_delay_alu instid0(VALU_DEP_1) | instskip(SKIP_3) | instid1(VALU_DEP_1)
	v_fma_f64 v[73:74], v[71:72], v[73:74], s[18:19]
	s_mov_b32 s18, 0x7c89e6b0
	s_mov_b32 s19, 0x3efa0199
	s_wait_alu 0xfffe
	v_fma_f64 v[73:74], v[71:72], v[73:74], s[18:19]
	s_mov_b32 s18, 0x14761f6e
	s_mov_b32 s19, 0x3f2a01a0
	s_wait_alu 0xfffe
	s_delay_alu instid0(VALU_DEP_1) | instskip(SKIP_3) | instid1(VALU_DEP_1)
	v_fma_f64 v[73:74], v[71:72], v[73:74], s[18:19]
	s_mov_b32 s18, 0x1852b7b0
	s_mov_b32 s19, 0x3f56c16c
	s_wait_alu 0xfffe
	v_fma_f64 v[73:74], v[71:72], v[73:74], s[18:19]
	s_mov_b32 s18, 0x11122322
	s_mov_b32 s19, 0x3f811111
	;; [unrolled: 9-line block ×4, first 2 shown]
	s_delay_alu instid0(VALU_DEP_1) | instskip(NEXT) | instid1(VALU_DEP_1)
	v_fma_f64 v[73:74], v[71:72], v[73:74], 1.0
	v_fma_f64 v[69:70], v[71:72], v[73:74], 1.0
	s_delay_alu instid0(VALU_DEP_1) | instskip(SKIP_1) | instid1(VALU_DEP_1)
	v_ldexp_f64 v[69:70], v[69:70], v75
	s_wait_alu 0xfffd
	v_cndmask_b32_e32 v70, 0x7ff00000, v70, vcc_lo
	s_and_b32 vcc_lo, s1, vcc_lo
	s_wait_alu 0xfffe
	s_delay_alu instid0(VALU_DEP_2) | instskip(NEXT) | instid1(VALU_DEP_2)
	v_cndmask_b32_e32 v17, 0, v69, vcc_lo
	v_cndmask_b32_e64 v18, 0, v70, s1
	s_delay_alu instid0(VALU_DEP_1) | instskip(SKIP_1) | instid1(VALU_DEP_2)
	v_add_f64_e32 v[69:70], 1.0, v[17:18]
	v_cmp_neq_f64_e64 s1, 0x7ff00000, v[17:18]
	v_frexp_mant_f64_e32 v[71:72], v[69:70]
	v_frexp_exp_i32_f64_e32 v75, v[69:70]
	v_add_f64_e32 v[73:74], -1.0, v[69:70]
	s_delay_alu instid0(VALU_DEP_3) | instskip(SKIP_1) | instid1(VALU_DEP_2)
	v_cmp_gt_f64_e32 vcc_lo, s[18:19], v[71:72]
	s_mov_b32 s18, 0x55555780
	v_add_f64_e64 v[71:72], v[73:74], -v[69:70]
	v_add_f64_e64 v[73:74], v[17:18], -v[73:74]
	s_wait_alu 0xfffd
	v_subrev_co_ci_u32_e64 v109, null, 0, v75, vcc_lo
	s_delay_alu instid0(VALU_DEP_3) | instskip(SKIP_1) | instid1(VALU_DEP_3)
	v_add_f64_e32 v[71:72], 1.0, v[71:72]
	v_cmp_nge_f64_e32 vcc_lo, -1.0, v[17:18]
	v_sub_nc_u32_e32 v77, 0, v109
	s_delay_alu instid0(VALU_DEP_1) | instskip(NEXT) | instid1(VALU_DEP_4)
	v_ldexp_f64 v[69:70], v[69:70], v77
	v_add_f64_e32 v[71:72], v[73:74], v[71:72]
	s_and_b32 vcc_lo, vcc_lo, s1
	s_delay_alu instid0(VALU_DEP_2) | instskip(SKIP_1) | instid1(VALU_DEP_3)
	v_add_f64_e32 v[75:76], 1.0, v[69:70]
	v_add_f64_e32 v[81:82], -1.0, v[69:70]
	v_ldexp_f64 v[71:72], v[71:72], v77
	s_delay_alu instid0(VALU_DEP_3) | instskip(NEXT) | instid1(VALU_DEP_3)
	v_add_f64_e32 v[73:74], -1.0, v[75:76]
	v_add_f64_e32 v[101:102], 1.0, v[81:82]
	s_delay_alu instid0(VALU_DEP_2) | instskip(NEXT) | instid1(VALU_DEP_2)
	v_add_f64_e64 v[73:74], v[69:70], -v[73:74]
	v_add_f64_e64 v[69:70], v[69:70], -v[101:102]
	s_delay_alu instid0(VALU_DEP_2) | instskip(NEXT) | instid1(VALU_DEP_2)
	v_add_f64_e32 v[73:74], v[71:72], v[73:74]
	v_add_f64_e32 v[69:70], v[71:72], v[69:70]
	s_delay_alu instid0(VALU_DEP_2) | instskip(NEXT) | instid1(VALU_DEP_2)
	v_add_f64_e32 v[77:78], v[75:76], v[73:74]
	v_add_f64_e32 v[101:102], v[81:82], v[69:70]
	s_delay_alu instid0(VALU_DEP_2) | instskip(SKIP_1) | instid1(VALU_DEP_2)
	v_rcp_f64_e32 v[79:80], v[77:78]
	v_add_f64_e64 v[75:76], v[77:78], -v[75:76]
	v_add_f64_e64 v[81:82], v[101:102], -v[81:82]
	s_delay_alu instid0(VALU_DEP_2) | instskip(NEXT) | instid1(TRANS32_DEP_1)
	v_add_f64_e64 v[73:74], v[73:74], -v[75:76]
	v_fma_f64 v[103:104], -v[77:78], v[79:80], 1.0
	s_delay_alu instid0(VALU_DEP_3) | instskip(NEXT) | instid1(VALU_DEP_2)
	v_add_f64_e64 v[69:70], v[69:70], -v[81:82]
	v_fma_f64 v[79:80], v[103:104], v[79:80], v[79:80]
	s_delay_alu instid0(VALU_DEP_1) | instskip(NEXT) | instid1(VALU_DEP_1)
	v_fma_f64 v[71:72], -v[77:78], v[79:80], 1.0
	v_fma_f64 v[71:72], v[71:72], v[79:80], v[79:80]
	s_delay_alu instid0(VALU_DEP_1) | instskip(NEXT) | instid1(VALU_DEP_1)
	v_mul_f64_e32 v[79:80], v[101:102], v[71:72]
	v_mul_f64_e32 v[103:104], v[77:78], v[79:80]
	s_delay_alu instid0(VALU_DEP_1) | instskip(NEXT) | instid1(VALU_DEP_1)
	v_fma_f64 v[75:76], v[79:80], v[77:78], -v[103:104]
	v_fma_f64 v[75:76], v[79:80], v[73:74], v[75:76]
	s_delay_alu instid0(VALU_DEP_1) | instskip(NEXT) | instid1(VALU_DEP_1)
	v_add_f64_e32 v[105:106], v[103:104], v[75:76]
	v_add_f64_e64 v[107:108], v[101:102], -v[105:106]
	v_add_f64_e64 v[81:82], v[105:106], -v[103:104]
	s_delay_alu instid0(VALU_DEP_2) | instskip(NEXT) | instid1(VALU_DEP_2)
	v_add_f64_e64 v[101:102], v[101:102], -v[107:108]
	v_add_f64_e64 v[75:76], v[81:82], -v[75:76]
	s_delay_alu instid0(VALU_DEP_2) | instskip(NEXT) | instid1(VALU_DEP_1)
	v_add_f64_e64 v[101:102], v[101:102], -v[105:106]
	v_add_f64_e32 v[69:70], v[69:70], v[101:102]
	s_delay_alu instid0(VALU_DEP_1) | instskip(NEXT) | instid1(VALU_DEP_1)
	v_add_f64_e32 v[69:70], v[75:76], v[69:70]
	v_add_f64_e32 v[75:76], v[107:108], v[69:70]
	s_delay_alu instid0(VALU_DEP_1) | instskip(SKIP_1) | instid1(VALU_DEP_2)
	v_mul_f64_e32 v[81:82], v[71:72], v[75:76]
	v_add_f64_e64 v[105:106], v[107:108], -v[75:76]
	v_mul_f64_e32 v[101:102], v[77:78], v[81:82]
	s_delay_alu instid0(VALU_DEP_2) | instskip(NEXT) | instid1(VALU_DEP_2)
	v_add_f64_e32 v[69:70], v[69:70], v[105:106]
	v_fma_f64 v[77:78], v[81:82], v[77:78], -v[101:102]
	s_delay_alu instid0(VALU_DEP_1) | instskip(NEXT) | instid1(VALU_DEP_1)
	v_fma_f64 v[73:74], v[81:82], v[73:74], v[77:78]
	v_add_f64_e32 v[77:78], v[101:102], v[73:74]
	s_delay_alu instid0(VALU_DEP_1) | instskip(SKIP_1) | instid1(VALU_DEP_2)
	v_add_f64_e64 v[103:104], v[75:76], -v[77:78]
	v_add_f64_e64 v[101:102], v[77:78], -v[101:102]
	;; [unrolled: 1-line block ×3, first 2 shown]
	s_delay_alu instid0(VALU_DEP_2) | instskip(NEXT) | instid1(VALU_DEP_2)
	v_add_f64_e64 v[73:74], v[101:102], -v[73:74]
	v_add_f64_e64 v[75:76], v[75:76], -v[77:78]
	s_delay_alu instid0(VALU_DEP_1) | instskip(SKIP_1) | instid1(VALU_DEP_2)
	v_add_f64_e32 v[69:70], v[69:70], v[75:76]
	v_add_f64_e32 v[75:76], v[79:80], v[81:82]
	;; [unrolled: 1-line block ×3, first 2 shown]
	s_delay_alu instid0(VALU_DEP_2) | instskip(NEXT) | instid1(VALU_DEP_2)
	v_add_f64_e64 v[73:74], v[75:76], -v[79:80]
	v_add_f64_e32 v[69:70], v[103:104], v[69:70]
	s_delay_alu instid0(VALU_DEP_2) | instskip(NEXT) | instid1(VALU_DEP_2)
	v_add_f64_e64 v[73:74], v[81:82], -v[73:74]
	v_mul_f64_e32 v[69:70], v[71:72], v[69:70]
	s_delay_alu instid0(VALU_DEP_1) | instskip(NEXT) | instid1(VALU_DEP_1)
	v_add_f64_e32 v[69:70], v[73:74], v[69:70]
	v_add_f64_e32 v[71:72], v[75:76], v[69:70]
	s_delay_alu instid0(VALU_DEP_1) | instskip(NEXT) | instid1(VALU_DEP_1)
	v_mul_f64_e32 v[73:74], v[71:72], v[71:72]
	v_fma_f64 v[77:78], v[73:74], s[42:43], s[20:21]
	s_mov_b32 s20, 0xd7f4df2e
	s_mov_b32 s21, 0x3fc7474d
	v_mul_f64_e32 v[79:80], v[71:72], v[73:74]
	s_wait_alu 0xfffe
	s_delay_alu instid0(VALU_DEP_2) | instskip(SKIP_3) | instid1(VALU_DEP_1)
	v_fma_f64 v[77:78], v[73:74], v[77:78], s[20:21]
	s_mov_b32 s20, 0x16291751
	s_mov_b32 s21, 0x3fcc71c0
	s_wait_alu 0xfffe
	v_fma_f64 v[77:78], v[73:74], v[77:78], s[20:21]
	s_mov_b32 s20, 0x9b27acf1
	s_mov_b32 s21, 0x3fd24924
	s_wait_alu 0xfffe
	s_delay_alu instid0(VALU_DEP_1) | instskip(SKIP_3) | instid1(VALU_DEP_1)
	v_fma_f64 v[77:78], v[73:74], v[77:78], s[20:21]
	s_mov_b32 s20, 0x998ef7b6
	s_mov_b32 s21, 0x3fd99999
	s_wait_alu 0xfffe
	v_fma_f64 v[77:78], v[73:74], v[77:78], s[20:21]
	s_delay_alu instid0(VALU_DEP_1) | instskip(SKIP_2) | instid1(VALU_DEP_3)
	v_fma_f64 v[73:74], v[73:74], v[77:78], s[18:19]
	v_ldexp_f64 v[77:78], v[71:72], 1
	v_add_f64_e64 v[71:72], v[71:72], -v[75:76]
	v_mul_f64_e32 v[73:74], v[79:80], v[73:74]
	v_cvt_f64_i32_e32 v[79:80], v109
	s_delay_alu instid0(VALU_DEP_3) | instskip(NEXT) | instid1(VALU_DEP_3)
	v_add_f64_e64 v[69:70], v[69:70], -v[71:72]
	v_add_f64_e32 v[75:76], v[77:78], v[73:74]
	s_delay_alu instid0(VALU_DEP_3) | instskip(NEXT) | instid1(VALU_DEP_3)
	v_mul_f64_e32 v[81:82], s[4:5], v[79:80]
	v_ldexp_f64 v[69:70], v[69:70], 1
	s_delay_alu instid0(VALU_DEP_3) | instskip(NEXT) | instid1(VALU_DEP_3)
	v_add_f64_e64 v[71:72], v[75:76], -v[77:78]
	v_fma_f64 v[77:78], v[79:80], s[4:5], -v[81:82]
	v_cmp_ngt_f64_e64 s4, -1.0, v[17:18]
	s_delay_alu instid0(VALU_DEP_3) | instskip(NEXT) | instid1(VALU_DEP_3)
	v_add_f64_e64 v[71:72], v[73:74], -v[71:72]
	v_fma_f64 v[73:74], v[79:80], s[6:7], v[77:78]
	s_delay_alu instid0(VALU_DEP_2) | instskip(NEXT) | instid1(VALU_DEP_2)
	v_add_f64_e32 v[69:70], v[69:70], v[71:72]
	v_add_f64_e32 v[71:72], v[81:82], v[73:74]
	s_delay_alu instid0(VALU_DEP_2) | instskip(NEXT) | instid1(VALU_DEP_2)
	v_add_f64_e32 v[77:78], v[75:76], v[69:70]
	v_add_f64_e64 v[81:82], v[71:72], -v[81:82]
	s_delay_alu instid0(VALU_DEP_2) | instskip(SKIP_1) | instid1(VALU_DEP_3)
	v_add_f64_e32 v[79:80], v[71:72], v[77:78]
	v_add_f64_e64 v[75:76], v[77:78], -v[75:76]
	v_add_f64_e64 v[73:74], v[73:74], -v[81:82]
	s_delay_alu instid0(VALU_DEP_3) | instskip(NEXT) | instid1(VALU_DEP_3)
	v_add_f64_e64 v[101:102], v[79:80], -v[71:72]
	v_add_f64_e64 v[69:70], v[69:70], -v[75:76]
	s_delay_alu instid0(VALU_DEP_2) | instskip(SKIP_1) | instid1(VALU_DEP_3)
	v_add_f64_e64 v[103:104], v[79:80], -v[101:102]
	v_add_f64_e64 v[75:76], v[77:78], -v[101:102]
	v_add_f64_e32 v[77:78], v[73:74], v[69:70]
	s_delay_alu instid0(VALU_DEP_3) | instskip(NEXT) | instid1(VALU_DEP_1)
	v_add_f64_e64 v[71:72], v[71:72], -v[103:104]
	v_add_f64_e32 v[71:72], v[75:76], v[71:72]
	s_delay_alu instid0(VALU_DEP_3) | instskip(NEXT) | instid1(VALU_DEP_2)
	v_add_f64_e64 v[75:76], v[77:78], -v[73:74]
	v_add_f64_e32 v[71:72], v[77:78], v[71:72]
	s_delay_alu instid0(VALU_DEP_2) | instskip(SKIP_1) | instid1(VALU_DEP_3)
	v_add_f64_e64 v[77:78], v[77:78], -v[75:76]
	v_add_f64_e64 v[69:70], v[69:70], -v[75:76]
	v_add_f64_e32 v[81:82], v[79:80], v[71:72]
	s_delay_alu instid0(VALU_DEP_3) | instskip(NEXT) | instid1(VALU_DEP_2)
	v_add_f64_e64 v[73:74], v[73:74], -v[77:78]
	v_add_f64_e64 v[75:76], v[81:82], -v[79:80]
	s_delay_alu instid0(VALU_DEP_2) | instskip(NEXT) | instid1(VALU_DEP_2)
	v_add_f64_e32 v[69:70], v[69:70], v[73:74]
	v_add_f64_e64 v[71:72], v[71:72], -v[75:76]
	s_delay_alu instid0(VALU_DEP_1) | instskip(NEXT) | instid1(VALU_DEP_1)
	v_add_f64_e32 v[69:70], v[69:70], v[71:72]
	v_add_f64_e32 v[69:70], v[81:82], v[69:70]
	s_delay_alu instid0(VALU_DEP_1) | instskip(SKIP_1) | instid1(VALU_DEP_3)
	v_cndmask_b32_e32 v69, 0, v69, vcc_lo
	v_cmp_neq_f64_e32 vcc_lo, -1.0, v[17:18]
	v_cndmask_b32_e64 v70, 0x7ff00000, v70, s1
	s_wait_alu 0xf1ff
	s_delay_alu instid0(VALU_DEP_1) | instskip(SKIP_1) | instid1(VALU_DEP_1)
	v_cndmask_b32_e64 v70, 0x7ff80000, v70, s4
	s_wait_alu 0xfffd
	v_cndmask_b32_e32 v70, 0xfff00000, v70, vcc_lo
	s_delay_alu instid0(VALU_DEP_1)
	v_add_f64_e32 v[17:18], v[19:20], v[69:70]
.LBB71_177:
	s_wait_alu 0xfffe
	s_or_b32 exec_lo, exec_lo, s8
	s_delay_alu instid0(VALU_DEP_1) | instskip(SKIP_1) | instid1(VALU_DEP_2)
	v_max_num_f64_e32 v[19:20], v[17:18], v[17:18]
	v_cmp_u_f64_e32 vcc_lo, v[17:18], v[17:18]
	v_min_num_f64_e32 v[69:70], v[19:20], v[21:22]
	v_max_num_f64_e32 v[19:20], v[19:20], v[21:22]
	s_wait_alu 0xfffd
	s_delay_alu instid0(VALU_DEP_2) | instskip(NEXT) | instid1(VALU_DEP_2)
	v_dual_cndmask_b32 v21, v69, v17 :: v_dual_cndmask_b32 v22, v70, v18
	v_dual_cndmask_b32 v20, v20, v18 :: v_dual_cndmask_b32 v19, v19, v17
	s_delay_alu instid0(VALU_DEP_2) | instskip(NEXT) | instid1(VALU_DEP_3)
	v_cndmask_b32_e64 v69, v21, v55, s9
	v_cndmask_b32_e64 v70, v22, v56, s9
	s_delay_alu instid0(VALU_DEP_3) | instskip(NEXT) | instid1(VALU_DEP_4)
	v_cndmask_b32_e64 v22, v20, v56, s9
	v_cndmask_b32_e64 v21, v19, v55, s9
	v_dual_mov_b32 v20, v18 :: v_dual_mov_b32 v19, v17
	s_delay_alu instid0(VALU_DEP_4) | instskip(NEXT) | instid1(VALU_DEP_3)
	v_cmp_class_f64_e64 s1, v[69:70], 0x1f8
	v_cmp_neq_f64_e32 vcc_lo, v[69:70], v[21:22]
	s_or_b32 s1, vcc_lo, s1
	s_wait_alu 0xfffe
	s_and_saveexec_b32 s18, s1
	s_cbranch_execz .LBB71_179
; %bb.178:
	v_add_f64_e64 v[19:20], v[69:70], -v[21:22]
	s_mov_b32 s4, 0x652b82fe
	s_mov_b32 s5, 0x3ff71547
	;; [unrolled: 1-line block ×10, first 2 shown]
	s_wait_alu 0xfffe
	s_delay_alu instid0(VALU_DEP_1) | instskip(SKIP_4) | instid1(VALU_DEP_3)
	v_mul_f64_e32 v[69:70], s[4:5], v[19:20]
	s_mov_b32 s5, 0xbfe62e42
	s_mov_b32 s4, 0xfefa39ef
	v_cmp_nlt_f64_e32 vcc_lo, 0x40900000, v[19:20]
	v_cmp_ngt_f64_e64 s1, 0xc090cc00, v[19:20]
	v_rndne_f64_e32 v[69:70], v[69:70]
	s_wait_alu 0xfffe
	s_delay_alu instid0(VALU_DEP_1) | instskip(SKIP_2) | instid1(VALU_DEP_2)
	v_fma_f64 v[71:72], v[69:70], s[4:5], v[19:20]
	v_cvt_i32_f64_e32 v75, v[69:70]
	s_mov_b32 s5, 0x3fe62e42
	v_fma_f64 v[71:72], v[69:70], s[6:7], v[71:72]
	s_mov_b32 s7, 0x3c7abc9e
	s_delay_alu instid0(VALU_DEP_1)
	v_fma_f64 v[73:74], v[71:72], s[20:21], s[8:9]
	s_mov_b32 s8, 0x623fde64
	s_mov_b32 s9, 0x3ec71dee
	;; [unrolled: 1-line block ×4, first 2 shown]
	s_wait_alu 0xfffe
	s_delay_alu instid0(VALU_DEP_1) | instskip(SKIP_3) | instid1(VALU_DEP_1)
	v_fma_f64 v[73:74], v[71:72], v[73:74], s[8:9]
	s_mov_b32 s8, 0x7c89e6b0
	s_mov_b32 s9, 0x3efa0199
	s_wait_alu 0xfffe
	v_fma_f64 v[73:74], v[71:72], v[73:74], s[8:9]
	s_mov_b32 s8, 0x14761f6e
	s_mov_b32 s9, 0x3f2a01a0
	s_wait_alu 0xfffe
	s_delay_alu instid0(VALU_DEP_1) | instskip(SKIP_3) | instid1(VALU_DEP_1)
	v_fma_f64 v[73:74], v[71:72], v[73:74], s[8:9]
	s_mov_b32 s8, 0x1852b7b0
	s_mov_b32 s9, 0x3f56c16c
	s_wait_alu 0xfffe
	v_fma_f64 v[73:74], v[71:72], v[73:74], s[8:9]
	s_mov_b32 s8, 0x11122322
	s_mov_b32 s9, 0x3f811111
	;; [unrolled: 9-line block ×4, first 2 shown]
	s_delay_alu instid0(VALU_DEP_1) | instskip(NEXT) | instid1(VALU_DEP_1)
	v_fma_f64 v[73:74], v[71:72], v[73:74], 1.0
	v_fma_f64 v[69:70], v[71:72], v[73:74], 1.0
	s_delay_alu instid0(VALU_DEP_1) | instskip(SKIP_1) | instid1(VALU_DEP_1)
	v_ldexp_f64 v[69:70], v[69:70], v75
	s_wait_alu 0xfffd
	v_cndmask_b32_e32 v70, 0x7ff00000, v70, vcc_lo
	s_and_b32 vcc_lo, s1, vcc_lo
	s_wait_alu 0xfffe
	s_delay_alu instid0(VALU_DEP_2) | instskip(NEXT) | instid1(VALU_DEP_2)
	v_cndmask_b32_e32 v19, 0, v69, vcc_lo
	v_cndmask_b32_e64 v20, 0, v70, s1
	s_delay_alu instid0(VALU_DEP_1) | instskip(SKIP_1) | instid1(VALU_DEP_2)
	v_add_f64_e32 v[69:70], 1.0, v[19:20]
	v_cmp_neq_f64_e64 s1, 0x7ff00000, v[19:20]
	v_frexp_mant_f64_e32 v[71:72], v[69:70]
	v_frexp_exp_i32_f64_e32 v75, v[69:70]
	v_add_f64_e32 v[73:74], -1.0, v[69:70]
	s_delay_alu instid0(VALU_DEP_3) | instskip(SKIP_1) | instid1(VALU_DEP_2)
	v_cmp_gt_f64_e32 vcc_lo, s[8:9], v[71:72]
	s_mov_b32 s8, 0x55555780
	v_add_f64_e64 v[71:72], v[73:74], -v[69:70]
	v_add_f64_e64 v[73:74], v[19:20], -v[73:74]
	s_wait_alu 0xfffd
	v_subrev_co_ci_u32_e64 v109, null, 0, v75, vcc_lo
	s_delay_alu instid0(VALU_DEP_3) | instskip(SKIP_1) | instid1(VALU_DEP_3)
	v_add_f64_e32 v[71:72], 1.0, v[71:72]
	v_cmp_nge_f64_e32 vcc_lo, -1.0, v[19:20]
	v_sub_nc_u32_e32 v77, 0, v109
	s_delay_alu instid0(VALU_DEP_1) | instskip(NEXT) | instid1(VALU_DEP_4)
	v_ldexp_f64 v[69:70], v[69:70], v77
	v_add_f64_e32 v[71:72], v[73:74], v[71:72]
	s_and_b32 vcc_lo, vcc_lo, s1
	s_delay_alu instid0(VALU_DEP_2) | instskip(SKIP_1) | instid1(VALU_DEP_3)
	v_add_f64_e32 v[75:76], 1.0, v[69:70]
	v_add_f64_e32 v[81:82], -1.0, v[69:70]
	v_ldexp_f64 v[71:72], v[71:72], v77
	s_delay_alu instid0(VALU_DEP_3) | instskip(NEXT) | instid1(VALU_DEP_3)
	v_add_f64_e32 v[73:74], -1.0, v[75:76]
	v_add_f64_e32 v[101:102], 1.0, v[81:82]
	s_delay_alu instid0(VALU_DEP_2) | instskip(NEXT) | instid1(VALU_DEP_2)
	v_add_f64_e64 v[73:74], v[69:70], -v[73:74]
	v_add_f64_e64 v[69:70], v[69:70], -v[101:102]
	s_delay_alu instid0(VALU_DEP_2) | instskip(NEXT) | instid1(VALU_DEP_2)
	v_add_f64_e32 v[73:74], v[71:72], v[73:74]
	v_add_f64_e32 v[69:70], v[71:72], v[69:70]
	s_delay_alu instid0(VALU_DEP_2) | instskip(NEXT) | instid1(VALU_DEP_2)
	v_add_f64_e32 v[77:78], v[75:76], v[73:74]
	v_add_f64_e32 v[101:102], v[81:82], v[69:70]
	s_delay_alu instid0(VALU_DEP_2) | instskip(SKIP_1) | instid1(VALU_DEP_2)
	v_rcp_f64_e32 v[79:80], v[77:78]
	v_add_f64_e64 v[75:76], v[77:78], -v[75:76]
	v_add_f64_e64 v[81:82], v[101:102], -v[81:82]
	s_delay_alu instid0(VALU_DEP_2) | instskip(NEXT) | instid1(TRANS32_DEP_1)
	v_add_f64_e64 v[73:74], v[73:74], -v[75:76]
	v_fma_f64 v[103:104], -v[77:78], v[79:80], 1.0
	s_delay_alu instid0(VALU_DEP_3) | instskip(NEXT) | instid1(VALU_DEP_2)
	v_add_f64_e64 v[69:70], v[69:70], -v[81:82]
	v_fma_f64 v[79:80], v[103:104], v[79:80], v[79:80]
	s_delay_alu instid0(VALU_DEP_1) | instskip(NEXT) | instid1(VALU_DEP_1)
	v_fma_f64 v[71:72], -v[77:78], v[79:80], 1.0
	v_fma_f64 v[71:72], v[71:72], v[79:80], v[79:80]
	s_delay_alu instid0(VALU_DEP_1) | instskip(NEXT) | instid1(VALU_DEP_1)
	v_mul_f64_e32 v[79:80], v[101:102], v[71:72]
	v_mul_f64_e32 v[103:104], v[77:78], v[79:80]
	s_delay_alu instid0(VALU_DEP_1) | instskip(NEXT) | instid1(VALU_DEP_1)
	v_fma_f64 v[75:76], v[79:80], v[77:78], -v[103:104]
	v_fma_f64 v[75:76], v[79:80], v[73:74], v[75:76]
	s_delay_alu instid0(VALU_DEP_1) | instskip(NEXT) | instid1(VALU_DEP_1)
	v_add_f64_e32 v[105:106], v[103:104], v[75:76]
	v_add_f64_e64 v[107:108], v[101:102], -v[105:106]
	v_add_f64_e64 v[81:82], v[105:106], -v[103:104]
	s_delay_alu instid0(VALU_DEP_2) | instskip(NEXT) | instid1(VALU_DEP_2)
	v_add_f64_e64 v[101:102], v[101:102], -v[107:108]
	v_add_f64_e64 v[75:76], v[81:82], -v[75:76]
	s_delay_alu instid0(VALU_DEP_2) | instskip(NEXT) | instid1(VALU_DEP_1)
	v_add_f64_e64 v[101:102], v[101:102], -v[105:106]
	v_add_f64_e32 v[69:70], v[69:70], v[101:102]
	s_delay_alu instid0(VALU_DEP_1) | instskip(NEXT) | instid1(VALU_DEP_1)
	v_add_f64_e32 v[69:70], v[75:76], v[69:70]
	v_add_f64_e32 v[75:76], v[107:108], v[69:70]
	s_delay_alu instid0(VALU_DEP_1) | instskip(SKIP_1) | instid1(VALU_DEP_2)
	v_mul_f64_e32 v[81:82], v[71:72], v[75:76]
	v_add_f64_e64 v[105:106], v[107:108], -v[75:76]
	v_mul_f64_e32 v[101:102], v[77:78], v[81:82]
	s_delay_alu instid0(VALU_DEP_2) | instskip(NEXT) | instid1(VALU_DEP_2)
	v_add_f64_e32 v[69:70], v[69:70], v[105:106]
	v_fma_f64 v[77:78], v[81:82], v[77:78], -v[101:102]
	s_delay_alu instid0(VALU_DEP_1) | instskip(NEXT) | instid1(VALU_DEP_1)
	v_fma_f64 v[73:74], v[81:82], v[73:74], v[77:78]
	v_add_f64_e32 v[77:78], v[101:102], v[73:74]
	s_delay_alu instid0(VALU_DEP_1) | instskip(SKIP_1) | instid1(VALU_DEP_2)
	v_add_f64_e64 v[103:104], v[75:76], -v[77:78]
	v_add_f64_e64 v[101:102], v[77:78], -v[101:102]
	;; [unrolled: 1-line block ×3, first 2 shown]
	s_delay_alu instid0(VALU_DEP_2) | instskip(NEXT) | instid1(VALU_DEP_2)
	v_add_f64_e64 v[73:74], v[101:102], -v[73:74]
	v_add_f64_e64 v[75:76], v[75:76], -v[77:78]
	s_delay_alu instid0(VALU_DEP_1) | instskip(SKIP_1) | instid1(VALU_DEP_2)
	v_add_f64_e32 v[69:70], v[69:70], v[75:76]
	v_add_f64_e32 v[75:76], v[79:80], v[81:82]
	;; [unrolled: 1-line block ×3, first 2 shown]
	s_delay_alu instid0(VALU_DEP_2) | instskip(NEXT) | instid1(VALU_DEP_2)
	v_add_f64_e64 v[73:74], v[75:76], -v[79:80]
	v_add_f64_e32 v[69:70], v[103:104], v[69:70]
	s_delay_alu instid0(VALU_DEP_2) | instskip(NEXT) | instid1(VALU_DEP_2)
	v_add_f64_e64 v[73:74], v[81:82], -v[73:74]
	v_mul_f64_e32 v[69:70], v[71:72], v[69:70]
	s_delay_alu instid0(VALU_DEP_1) | instskip(NEXT) | instid1(VALU_DEP_1)
	v_add_f64_e32 v[69:70], v[73:74], v[69:70]
	v_add_f64_e32 v[71:72], v[75:76], v[69:70]
	s_delay_alu instid0(VALU_DEP_1) | instskip(NEXT) | instid1(VALU_DEP_1)
	v_mul_f64_e32 v[73:74], v[71:72], v[71:72]
	v_fma_f64 v[77:78], v[73:74], s[42:43], s[20:21]
	s_mov_b32 s20, 0xd7f4df2e
	s_mov_b32 s21, 0x3fc7474d
	v_mul_f64_e32 v[79:80], v[71:72], v[73:74]
	s_wait_alu 0xfffe
	s_delay_alu instid0(VALU_DEP_2) | instskip(SKIP_3) | instid1(VALU_DEP_1)
	v_fma_f64 v[77:78], v[73:74], v[77:78], s[20:21]
	s_mov_b32 s20, 0x16291751
	s_mov_b32 s21, 0x3fcc71c0
	s_wait_alu 0xfffe
	v_fma_f64 v[77:78], v[73:74], v[77:78], s[20:21]
	s_mov_b32 s20, 0x9b27acf1
	s_mov_b32 s21, 0x3fd24924
	s_wait_alu 0xfffe
	s_delay_alu instid0(VALU_DEP_1) | instskip(SKIP_3) | instid1(VALU_DEP_1)
	v_fma_f64 v[77:78], v[73:74], v[77:78], s[20:21]
	s_mov_b32 s20, 0x998ef7b6
	s_mov_b32 s21, 0x3fd99999
	s_wait_alu 0xfffe
	v_fma_f64 v[77:78], v[73:74], v[77:78], s[20:21]
	s_delay_alu instid0(VALU_DEP_1) | instskip(SKIP_2) | instid1(VALU_DEP_3)
	v_fma_f64 v[73:74], v[73:74], v[77:78], s[8:9]
	v_ldexp_f64 v[77:78], v[71:72], 1
	v_add_f64_e64 v[71:72], v[71:72], -v[75:76]
	v_mul_f64_e32 v[73:74], v[79:80], v[73:74]
	v_cvt_f64_i32_e32 v[79:80], v109
	s_delay_alu instid0(VALU_DEP_3) | instskip(NEXT) | instid1(VALU_DEP_3)
	v_add_f64_e64 v[69:70], v[69:70], -v[71:72]
	v_add_f64_e32 v[75:76], v[77:78], v[73:74]
	s_delay_alu instid0(VALU_DEP_3) | instskip(NEXT) | instid1(VALU_DEP_3)
	v_mul_f64_e32 v[81:82], s[4:5], v[79:80]
	v_ldexp_f64 v[69:70], v[69:70], 1
	s_delay_alu instid0(VALU_DEP_3) | instskip(NEXT) | instid1(VALU_DEP_3)
	v_add_f64_e64 v[71:72], v[75:76], -v[77:78]
	v_fma_f64 v[77:78], v[79:80], s[4:5], -v[81:82]
	v_cmp_ngt_f64_e64 s4, -1.0, v[19:20]
	s_delay_alu instid0(VALU_DEP_3) | instskip(NEXT) | instid1(VALU_DEP_3)
	v_add_f64_e64 v[71:72], v[73:74], -v[71:72]
	v_fma_f64 v[73:74], v[79:80], s[6:7], v[77:78]
	s_delay_alu instid0(VALU_DEP_2) | instskip(NEXT) | instid1(VALU_DEP_2)
	v_add_f64_e32 v[69:70], v[69:70], v[71:72]
	v_add_f64_e32 v[71:72], v[81:82], v[73:74]
	s_delay_alu instid0(VALU_DEP_2) | instskip(NEXT) | instid1(VALU_DEP_2)
	v_add_f64_e32 v[77:78], v[75:76], v[69:70]
	v_add_f64_e64 v[81:82], v[71:72], -v[81:82]
	s_delay_alu instid0(VALU_DEP_2) | instskip(SKIP_1) | instid1(VALU_DEP_3)
	v_add_f64_e32 v[79:80], v[71:72], v[77:78]
	v_add_f64_e64 v[75:76], v[77:78], -v[75:76]
	v_add_f64_e64 v[73:74], v[73:74], -v[81:82]
	s_delay_alu instid0(VALU_DEP_3) | instskip(NEXT) | instid1(VALU_DEP_3)
	v_add_f64_e64 v[101:102], v[79:80], -v[71:72]
	v_add_f64_e64 v[69:70], v[69:70], -v[75:76]
	s_delay_alu instid0(VALU_DEP_2) | instskip(SKIP_1) | instid1(VALU_DEP_3)
	v_add_f64_e64 v[103:104], v[79:80], -v[101:102]
	v_add_f64_e64 v[75:76], v[77:78], -v[101:102]
	v_add_f64_e32 v[77:78], v[73:74], v[69:70]
	s_delay_alu instid0(VALU_DEP_3) | instskip(NEXT) | instid1(VALU_DEP_1)
	v_add_f64_e64 v[71:72], v[71:72], -v[103:104]
	v_add_f64_e32 v[71:72], v[75:76], v[71:72]
	s_delay_alu instid0(VALU_DEP_3) | instskip(NEXT) | instid1(VALU_DEP_2)
	v_add_f64_e64 v[75:76], v[77:78], -v[73:74]
	v_add_f64_e32 v[71:72], v[77:78], v[71:72]
	s_delay_alu instid0(VALU_DEP_2) | instskip(SKIP_1) | instid1(VALU_DEP_3)
	v_add_f64_e64 v[77:78], v[77:78], -v[75:76]
	v_add_f64_e64 v[69:70], v[69:70], -v[75:76]
	v_add_f64_e32 v[81:82], v[79:80], v[71:72]
	s_delay_alu instid0(VALU_DEP_3) | instskip(NEXT) | instid1(VALU_DEP_2)
	v_add_f64_e64 v[73:74], v[73:74], -v[77:78]
	v_add_f64_e64 v[75:76], v[81:82], -v[79:80]
	s_delay_alu instid0(VALU_DEP_2) | instskip(NEXT) | instid1(VALU_DEP_2)
	v_add_f64_e32 v[69:70], v[69:70], v[73:74]
	v_add_f64_e64 v[71:72], v[71:72], -v[75:76]
	s_delay_alu instid0(VALU_DEP_1) | instskip(NEXT) | instid1(VALU_DEP_1)
	v_add_f64_e32 v[69:70], v[69:70], v[71:72]
	v_add_f64_e32 v[69:70], v[81:82], v[69:70]
	s_delay_alu instid0(VALU_DEP_1) | instskip(SKIP_1) | instid1(VALU_DEP_3)
	v_cndmask_b32_e32 v69, 0, v69, vcc_lo
	v_cmp_neq_f64_e32 vcc_lo, -1.0, v[19:20]
	v_cndmask_b32_e64 v70, 0x7ff00000, v70, s1
	s_wait_alu 0xf1ff
	s_delay_alu instid0(VALU_DEP_1) | instskip(SKIP_1) | instid1(VALU_DEP_1)
	v_cndmask_b32_e64 v70, 0x7ff80000, v70, s4
	s_wait_alu 0xfffd
	v_cndmask_b32_e32 v70, 0xfff00000, v70, vcc_lo
	s_delay_alu instid0(VALU_DEP_1)
	v_add_f64_e32 v[19:20], v[21:22], v[69:70]
.LBB71_179:
	s_wait_alu 0xfffe
	s_or_b32 exec_lo, exec_lo, s18
	s_delay_alu instid0(VALU_DEP_1) | instskip(SKIP_1) | instid1(VALU_DEP_2)
	v_max_num_f64_e32 v[21:22], v[19:20], v[19:20]
	v_cmp_u_f64_e32 vcc_lo, v[19:20], v[19:20]
	v_min_num_f64_e32 v[69:70], v[21:22], v[23:24]
	v_max_num_f64_e32 v[21:22], v[21:22], v[23:24]
	s_wait_alu 0xfffd
	s_delay_alu instid0(VALU_DEP_2) | instskip(NEXT) | instid1(VALU_DEP_2)
	v_dual_cndmask_b32 v23, v69, v19 :: v_dual_cndmask_b32 v24, v70, v20
	v_dual_cndmask_b32 v22, v22, v20 :: v_dual_cndmask_b32 v21, v21, v19
	s_delay_alu instid0(VALU_DEP_2) | instskip(NEXT) | instid1(VALU_DEP_3)
	v_cndmask_b32_e64 v69, v23, v49, s10
	v_cndmask_b32_e64 v70, v24, v50, s10
	s_delay_alu instid0(VALU_DEP_3) | instskip(NEXT) | instid1(VALU_DEP_4)
	v_cndmask_b32_e64 v24, v22, v50, s10
	v_cndmask_b32_e64 v23, v21, v49, s10
	v_dual_mov_b32 v22, v20 :: v_dual_mov_b32 v21, v19
	s_delay_alu instid0(VALU_DEP_4) | instskip(NEXT) | instid1(VALU_DEP_3)
	v_cmp_class_f64_e64 s1, v[69:70], 0x1f8
	v_cmp_neq_f64_e32 vcc_lo, v[69:70], v[23:24]
	s_or_b32 s1, vcc_lo, s1
	s_wait_alu 0xfffe
	s_and_saveexec_b32 s10, s1
	s_cbranch_execz .LBB71_181
; %bb.180:
	v_add_f64_e64 v[21:22], v[69:70], -v[23:24]
	s_mov_b32 s4, 0x652b82fe
	s_mov_b32 s5, 0x3ff71547
	;; [unrolled: 1-line block ×10, first 2 shown]
	s_wait_alu 0xfffe
	s_delay_alu instid0(VALU_DEP_1) | instskip(SKIP_4) | instid1(VALU_DEP_3)
	v_mul_f64_e32 v[69:70], s[4:5], v[21:22]
	s_mov_b32 s5, 0xbfe62e42
	s_mov_b32 s4, 0xfefa39ef
	v_cmp_nlt_f64_e32 vcc_lo, 0x40900000, v[21:22]
	v_cmp_ngt_f64_e64 s1, 0xc090cc00, v[21:22]
	v_rndne_f64_e32 v[69:70], v[69:70]
	s_wait_alu 0xfffe
	s_delay_alu instid0(VALU_DEP_1) | instskip(SKIP_2) | instid1(VALU_DEP_2)
	v_fma_f64 v[71:72], v[69:70], s[4:5], v[21:22]
	v_cvt_i32_f64_e32 v75, v[69:70]
	s_mov_b32 s5, 0x3fe62e42
	v_fma_f64 v[71:72], v[69:70], s[6:7], v[71:72]
	s_mov_b32 s7, 0x3c7abc9e
	s_delay_alu instid0(VALU_DEP_1)
	v_fma_f64 v[73:74], v[71:72], s[18:19], s[8:9]
	s_mov_b32 s8, 0x623fde64
	s_mov_b32 s9, 0x3ec71dee
	;; [unrolled: 1-line block ×4, first 2 shown]
	s_wait_alu 0xfffe
	s_delay_alu instid0(VALU_DEP_1) | instskip(SKIP_3) | instid1(VALU_DEP_1)
	v_fma_f64 v[73:74], v[71:72], v[73:74], s[8:9]
	s_mov_b32 s8, 0x7c89e6b0
	s_mov_b32 s9, 0x3efa0199
	s_wait_alu 0xfffe
	v_fma_f64 v[73:74], v[71:72], v[73:74], s[8:9]
	s_mov_b32 s8, 0x14761f6e
	s_mov_b32 s9, 0x3f2a01a0
	s_wait_alu 0xfffe
	s_delay_alu instid0(VALU_DEP_1) | instskip(SKIP_3) | instid1(VALU_DEP_1)
	v_fma_f64 v[73:74], v[71:72], v[73:74], s[8:9]
	s_mov_b32 s8, 0x1852b7b0
	s_mov_b32 s9, 0x3f56c16c
	s_wait_alu 0xfffe
	v_fma_f64 v[73:74], v[71:72], v[73:74], s[8:9]
	s_mov_b32 s8, 0x11122322
	s_mov_b32 s9, 0x3f811111
	;; [unrolled: 9-line block ×4, first 2 shown]
	s_delay_alu instid0(VALU_DEP_1) | instskip(NEXT) | instid1(VALU_DEP_1)
	v_fma_f64 v[73:74], v[71:72], v[73:74], 1.0
	v_fma_f64 v[69:70], v[71:72], v[73:74], 1.0
	s_delay_alu instid0(VALU_DEP_1) | instskip(SKIP_1) | instid1(VALU_DEP_1)
	v_ldexp_f64 v[69:70], v[69:70], v75
	s_wait_alu 0xfffd
	v_cndmask_b32_e32 v70, 0x7ff00000, v70, vcc_lo
	s_and_b32 vcc_lo, s1, vcc_lo
	s_wait_alu 0xfffe
	s_delay_alu instid0(VALU_DEP_2) | instskip(NEXT) | instid1(VALU_DEP_2)
	v_cndmask_b32_e32 v21, 0, v69, vcc_lo
	v_cndmask_b32_e64 v22, 0, v70, s1
	s_delay_alu instid0(VALU_DEP_1) | instskip(SKIP_1) | instid1(VALU_DEP_2)
	v_add_f64_e32 v[69:70], 1.0, v[21:22]
	v_cmp_neq_f64_e64 s1, 0x7ff00000, v[21:22]
	v_frexp_mant_f64_e32 v[71:72], v[69:70]
	v_frexp_exp_i32_f64_e32 v75, v[69:70]
	v_add_f64_e32 v[73:74], -1.0, v[69:70]
	s_delay_alu instid0(VALU_DEP_3) | instskip(SKIP_1) | instid1(VALU_DEP_2)
	v_cmp_gt_f64_e32 vcc_lo, s[8:9], v[71:72]
	s_mov_b32 s8, 0x55555780
	v_add_f64_e64 v[71:72], v[73:74], -v[69:70]
	v_add_f64_e64 v[73:74], v[21:22], -v[73:74]
	s_wait_alu 0xfffd
	v_subrev_co_ci_u32_e64 v109, null, 0, v75, vcc_lo
	s_delay_alu instid0(VALU_DEP_3) | instskip(SKIP_1) | instid1(VALU_DEP_3)
	v_add_f64_e32 v[71:72], 1.0, v[71:72]
	v_cmp_nge_f64_e32 vcc_lo, -1.0, v[21:22]
	v_sub_nc_u32_e32 v77, 0, v109
	s_delay_alu instid0(VALU_DEP_1) | instskip(NEXT) | instid1(VALU_DEP_4)
	v_ldexp_f64 v[69:70], v[69:70], v77
	v_add_f64_e32 v[71:72], v[73:74], v[71:72]
	s_and_b32 vcc_lo, vcc_lo, s1
	s_delay_alu instid0(VALU_DEP_2) | instskip(SKIP_1) | instid1(VALU_DEP_3)
	v_add_f64_e32 v[75:76], 1.0, v[69:70]
	v_add_f64_e32 v[81:82], -1.0, v[69:70]
	v_ldexp_f64 v[71:72], v[71:72], v77
	s_delay_alu instid0(VALU_DEP_3) | instskip(NEXT) | instid1(VALU_DEP_3)
	v_add_f64_e32 v[73:74], -1.0, v[75:76]
	v_add_f64_e32 v[101:102], 1.0, v[81:82]
	s_delay_alu instid0(VALU_DEP_2) | instskip(NEXT) | instid1(VALU_DEP_2)
	v_add_f64_e64 v[73:74], v[69:70], -v[73:74]
	v_add_f64_e64 v[69:70], v[69:70], -v[101:102]
	s_delay_alu instid0(VALU_DEP_2) | instskip(NEXT) | instid1(VALU_DEP_2)
	v_add_f64_e32 v[73:74], v[71:72], v[73:74]
	v_add_f64_e32 v[69:70], v[71:72], v[69:70]
	s_delay_alu instid0(VALU_DEP_2) | instskip(NEXT) | instid1(VALU_DEP_2)
	v_add_f64_e32 v[77:78], v[75:76], v[73:74]
	v_add_f64_e32 v[101:102], v[81:82], v[69:70]
	s_delay_alu instid0(VALU_DEP_2) | instskip(SKIP_1) | instid1(VALU_DEP_2)
	v_rcp_f64_e32 v[79:80], v[77:78]
	v_add_f64_e64 v[75:76], v[77:78], -v[75:76]
	v_add_f64_e64 v[81:82], v[101:102], -v[81:82]
	s_delay_alu instid0(VALU_DEP_2) | instskip(NEXT) | instid1(TRANS32_DEP_1)
	v_add_f64_e64 v[73:74], v[73:74], -v[75:76]
	v_fma_f64 v[103:104], -v[77:78], v[79:80], 1.0
	s_delay_alu instid0(VALU_DEP_3) | instskip(NEXT) | instid1(VALU_DEP_2)
	v_add_f64_e64 v[69:70], v[69:70], -v[81:82]
	v_fma_f64 v[79:80], v[103:104], v[79:80], v[79:80]
	s_delay_alu instid0(VALU_DEP_1) | instskip(NEXT) | instid1(VALU_DEP_1)
	v_fma_f64 v[71:72], -v[77:78], v[79:80], 1.0
	v_fma_f64 v[71:72], v[71:72], v[79:80], v[79:80]
	s_delay_alu instid0(VALU_DEP_1) | instskip(NEXT) | instid1(VALU_DEP_1)
	v_mul_f64_e32 v[79:80], v[101:102], v[71:72]
	v_mul_f64_e32 v[103:104], v[77:78], v[79:80]
	s_delay_alu instid0(VALU_DEP_1) | instskip(NEXT) | instid1(VALU_DEP_1)
	v_fma_f64 v[75:76], v[79:80], v[77:78], -v[103:104]
	v_fma_f64 v[75:76], v[79:80], v[73:74], v[75:76]
	s_delay_alu instid0(VALU_DEP_1) | instskip(NEXT) | instid1(VALU_DEP_1)
	v_add_f64_e32 v[105:106], v[103:104], v[75:76]
	v_add_f64_e64 v[107:108], v[101:102], -v[105:106]
	v_add_f64_e64 v[81:82], v[105:106], -v[103:104]
	s_delay_alu instid0(VALU_DEP_2) | instskip(NEXT) | instid1(VALU_DEP_2)
	v_add_f64_e64 v[101:102], v[101:102], -v[107:108]
	v_add_f64_e64 v[75:76], v[81:82], -v[75:76]
	s_delay_alu instid0(VALU_DEP_2) | instskip(NEXT) | instid1(VALU_DEP_1)
	v_add_f64_e64 v[101:102], v[101:102], -v[105:106]
	v_add_f64_e32 v[69:70], v[69:70], v[101:102]
	s_delay_alu instid0(VALU_DEP_1) | instskip(NEXT) | instid1(VALU_DEP_1)
	v_add_f64_e32 v[69:70], v[75:76], v[69:70]
	v_add_f64_e32 v[75:76], v[107:108], v[69:70]
	s_delay_alu instid0(VALU_DEP_1) | instskip(SKIP_1) | instid1(VALU_DEP_2)
	v_mul_f64_e32 v[81:82], v[71:72], v[75:76]
	v_add_f64_e64 v[105:106], v[107:108], -v[75:76]
	v_mul_f64_e32 v[101:102], v[77:78], v[81:82]
	s_delay_alu instid0(VALU_DEP_2) | instskip(NEXT) | instid1(VALU_DEP_2)
	v_add_f64_e32 v[69:70], v[69:70], v[105:106]
	v_fma_f64 v[77:78], v[81:82], v[77:78], -v[101:102]
	s_delay_alu instid0(VALU_DEP_1) | instskip(NEXT) | instid1(VALU_DEP_1)
	v_fma_f64 v[73:74], v[81:82], v[73:74], v[77:78]
	v_add_f64_e32 v[77:78], v[101:102], v[73:74]
	s_delay_alu instid0(VALU_DEP_1) | instskip(SKIP_1) | instid1(VALU_DEP_2)
	v_add_f64_e64 v[103:104], v[75:76], -v[77:78]
	v_add_f64_e64 v[101:102], v[77:78], -v[101:102]
	;; [unrolled: 1-line block ×3, first 2 shown]
	s_delay_alu instid0(VALU_DEP_2) | instskip(NEXT) | instid1(VALU_DEP_2)
	v_add_f64_e64 v[73:74], v[101:102], -v[73:74]
	v_add_f64_e64 v[75:76], v[75:76], -v[77:78]
	s_delay_alu instid0(VALU_DEP_1) | instskip(SKIP_1) | instid1(VALU_DEP_2)
	v_add_f64_e32 v[69:70], v[69:70], v[75:76]
	v_add_f64_e32 v[75:76], v[79:80], v[81:82]
	;; [unrolled: 1-line block ×3, first 2 shown]
	s_delay_alu instid0(VALU_DEP_2) | instskip(NEXT) | instid1(VALU_DEP_2)
	v_add_f64_e64 v[73:74], v[75:76], -v[79:80]
	v_add_f64_e32 v[69:70], v[103:104], v[69:70]
	s_delay_alu instid0(VALU_DEP_2) | instskip(NEXT) | instid1(VALU_DEP_2)
	v_add_f64_e64 v[73:74], v[81:82], -v[73:74]
	v_mul_f64_e32 v[69:70], v[71:72], v[69:70]
	s_delay_alu instid0(VALU_DEP_1) | instskip(NEXT) | instid1(VALU_DEP_1)
	v_add_f64_e32 v[69:70], v[73:74], v[69:70]
	v_add_f64_e32 v[71:72], v[75:76], v[69:70]
	s_delay_alu instid0(VALU_DEP_1) | instskip(NEXT) | instid1(VALU_DEP_1)
	v_mul_f64_e32 v[73:74], v[71:72], v[71:72]
	v_fma_f64 v[77:78], v[73:74], s[20:21], s[18:19]
	s_mov_b32 s18, 0xd7f4df2e
	s_mov_b32 s19, 0x3fc7474d
	v_mul_f64_e32 v[79:80], v[71:72], v[73:74]
	s_wait_alu 0xfffe
	s_delay_alu instid0(VALU_DEP_2) | instskip(SKIP_3) | instid1(VALU_DEP_1)
	v_fma_f64 v[77:78], v[73:74], v[77:78], s[18:19]
	s_mov_b32 s18, 0x16291751
	s_mov_b32 s19, 0x3fcc71c0
	s_wait_alu 0xfffe
	v_fma_f64 v[77:78], v[73:74], v[77:78], s[18:19]
	s_mov_b32 s18, 0x9b27acf1
	s_mov_b32 s19, 0x3fd24924
	s_wait_alu 0xfffe
	s_delay_alu instid0(VALU_DEP_1) | instskip(SKIP_3) | instid1(VALU_DEP_1)
	v_fma_f64 v[77:78], v[73:74], v[77:78], s[18:19]
	s_mov_b32 s18, 0x998ef7b6
	s_mov_b32 s19, 0x3fd99999
	s_wait_alu 0xfffe
	v_fma_f64 v[77:78], v[73:74], v[77:78], s[18:19]
	s_delay_alu instid0(VALU_DEP_1) | instskip(SKIP_2) | instid1(VALU_DEP_3)
	v_fma_f64 v[73:74], v[73:74], v[77:78], s[8:9]
	v_ldexp_f64 v[77:78], v[71:72], 1
	v_add_f64_e64 v[71:72], v[71:72], -v[75:76]
	v_mul_f64_e32 v[73:74], v[79:80], v[73:74]
	v_cvt_f64_i32_e32 v[79:80], v109
	s_delay_alu instid0(VALU_DEP_3) | instskip(NEXT) | instid1(VALU_DEP_3)
	v_add_f64_e64 v[69:70], v[69:70], -v[71:72]
	v_add_f64_e32 v[75:76], v[77:78], v[73:74]
	s_delay_alu instid0(VALU_DEP_3) | instskip(NEXT) | instid1(VALU_DEP_3)
	v_mul_f64_e32 v[81:82], s[4:5], v[79:80]
	v_ldexp_f64 v[69:70], v[69:70], 1
	s_delay_alu instid0(VALU_DEP_3) | instskip(NEXT) | instid1(VALU_DEP_3)
	v_add_f64_e64 v[71:72], v[75:76], -v[77:78]
	v_fma_f64 v[77:78], v[79:80], s[4:5], -v[81:82]
	v_cmp_ngt_f64_e64 s4, -1.0, v[21:22]
	s_delay_alu instid0(VALU_DEP_3) | instskip(NEXT) | instid1(VALU_DEP_3)
	v_add_f64_e64 v[71:72], v[73:74], -v[71:72]
	v_fma_f64 v[73:74], v[79:80], s[6:7], v[77:78]
	s_delay_alu instid0(VALU_DEP_2) | instskip(NEXT) | instid1(VALU_DEP_2)
	v_add_f64_e32 v[69:70], v[69:70], v[71:72]
	v_add_f64_e32 v[71:72], v[81:82], v[73:74]
	s_delay_alu instid0(VALU_DEP_2) | instskip(NEXT) | instid1(VALU_DEP_2)
	v_add_f64_e32 v[77:78], v[75:76], v[69:70]
	v_add_f64_e64 v[81:82], v[71:72], -v[81:82]
	s_delay_alu instid0(VALU_DEP_2) | instskip(SKIP_1) | instid1(VALU_DEP_3)
	v_add_f64_e32 v[79:80], v[71:72], v[77:78]
	v_add_f64_e64 v[75:76], v[77:78], -v[75:76]
	v_add_f64_e64 v[73:74], v[73:74], -v[81:82]
	s_delay_alu instid0(VALU_DEP_3) | instskip(NEXT) | instid1(VALU_DEP_3)
	v_add_f64_e64 v[101:102], v[79:80], -v[71:72]
	v_add_f64_e64 v[69:70], v[69:70], -v[75:76]
	s_delay_alu instid0(VALU_DEP_2) | instskip(SKIP_1) | instid1(VALU_DEP_3)
	v_add_f64_e64 v[103:104], v[79:80], -v[101:102]
	v_add_f64_e64 v[75:76], v[77:78], -v[101:102]
	v_add_f64_e32 v[77:78], v[73:74], v[69:70]
	s_delay_alu instid0(VALU_DEP_3) | instskip(NEXT) | instid1(VALU_DEP_1)
	v_add_f64_e64 v[71:72], v[71:72], -v[103:104]
	v_add_f64_e32 v[71:72], v[75:76], v[71:72]
	s_delay_alu instid0(VALU_DEP_3) | instskip(NEXT) | instid1(VALU_DEP_2)
	v_add_f64_e64 v[75:76], v[77:78], -v[73:74]
	v_add_f64_e32 v[71:72], v[77:78], v[71:72]
	s_delay_alu instid0(VALU_DEP_2) | instskip(SKIP_1) | instid1(VALU_DEP_3)
	v_add_f64_e64 v[77:78], v[77:78], -v[75:76]
	v_add_f64_e64 v[69:70], v[69:70], -v[75:76]
	v_add_f64_e32 v[81:82], v[79:80], v[71:72]
	s_delay_alu instid0(VALU_DEP_3) | instskip(NEXT) | instid1(VALU_DEP_2)
	v_add_f64_e64 v[73:74], v[73:74], -v[77:78]
	v_add_f64_e64 v[75:76], v[81:82], -v[79:80]
	s_delay_alu instid0(VALU_DEP_2) | instskip(NEXT) | instid1(VALU_DEP_2)
	v_add_f64_e32 v[69:70], v[69:70], v[73:74]
	v_add_f64_e64 v[71:72], v[71:72], -v[75:76]
	s_delay_alu instid0(VALU_DEP_1) | instskip(NEXT) | instid1(VALU_DEP_1)
	v_add_f64_e32 v[69:70], v[69:70], v[71:72]
	v_add_f64_e32 v[69:70], v[81:82], v[69:70]
	s_delay_alu instid0(VALU_DEP_1) | instskip(SKIP_1) | instid1(VALU_DEP_3)
	v_cndmask_b32_e32 v69, 0, v69, vcc_lo
	v_cmp_neq_f64_e32 vcc_lo, -1.0, v[21:22]
	v_cndmask_b32_e64 v70, 0x7ff00000, v70, s1
	s_wait_alu 0xf1ff
	s_delay_alu instid0(VALU_DEP_1) | instskip(SKIP_1) | instid1(VALU_DEP_1)
	v_cndmask_b32_e64 v70, 0x7ff80000, v70, s4
	s_wait_alu 0xfffd
	v_cndmask_b32_e32 v70, 0xfff00000, v70, vcc_lo
	s_delay_alu instid0(VALU_DEP_1)
	v_add_f64_e32 v[21:22], v[23:24], v[69:70]
.LBB71_181:
	s_wait_alu 0xfffe
	s_or_b32 exec_lo, exec_lo, s10
	s_delay_alu instid0(VALU_DEP_1) | instskip(SKIP_1) | instid1(VALU_DEP_2)
	v_max_num_f64_e32 v[23:24], v[21:22], v[21:22]
	v_cmp_u_f64_e32 vcc_lo, v[21:22], v[21:22]
	v_min_num_f64_e32 v[69:70], v[23:24], v[25:26]
	v_max_num_f64_e32 v[23:24], v[23:24], v[25:26]
	s_wait_alu 0xfffd
	s_delay_alu instid0(VALU_DEP_2) | instskip(NEXT) | instid1(VALU_DEP_2)
	v_dual_cndmask_b32 v25, v69, v21 :: v_dual_cndmask_b32 v26, v70, v22
	v_dual_cndmask_b32 v24, v24, v22 :: v_dual_cndmask_b32 v23, v23, v21
	s_delay_alu instid0(VALU_DEP_2) | instskip(NEXT) | instid1(VALU_DEP_3)
	v_cndmask_b32_e64 v69, v25, v51, s11
	v_cndmask_b32_e64 v70, v26, v52, s11
	s_delay_alu instid0(VALU_DEP_3) | instskip(NEXT) | instid1(VALU_DEP_4)
	v_cndmask_b32_e64 v26, v24, v52, s11
	v_cndmask_b32_e64 v25, v23, v51, s11
	v_dual_mov_b32 v24, v22 :: v_dual_mov_b32 v23, v21
	s_delay_alu instid0(VALU_DEP_4) | instskip(NEXT) | instid1(VALU_DEP_3)
	v_cmp_class_f64_e64 s1, v[69:70], 0x1f8
	v_cmp_neq_f64_e32 vcc_lo, v[69:70], v[25:26]
	s_or_b32 s1, vcc_lo, s1
	s_wait_alu 0xfffe
	s_and_saveexec_b32 s10, s1
	s_cbranch_execz .LBB71_183
; %bb.182:
	v_add_f64_e64 v[23:24], v[69:70], -v[25:26]
	s_mov_b32 s4, 0x652b82fe
	s_mov_b32 s5, 0x3ff71547
	;; [unrolled: 1-line block ×10, first 2 shown]
	s_wait_alu 0xfffe
	s_delay_alu instid0(VALU_DEP_1) | instskip(SKIP_4) | instid1(VALU_DEP_3)
	v_mul_f64_e32 v[69:70], s[4:5], v[23:24]
	s_mov_b32 s5, 0xbfe62e42
	s_mov_b32 s4, 0xfefa39ef
	v_cmp_nlt_f64_e32 vcc_lo, 0x40900000, v[23:24]
	v_cmp_ngt_f64_e64 s1, 0xc090cc00, v[23:24]
	v_rndne_f64_e32 v[69:70], v[69:70]
	s_wait_alu 0xfffe
	s_delay_alu instid0(VALU_DEP_1) | instskip(SKIP_2) | instid1(VALU_DEP_2)
	v_fma_f64 v[71:72], v[69:70], s[4:5], v[23:24]
	v_cvt_i32_f64_e32 v75, v[69:70]
	s_mov_b32 s5, 0x3fe62e42
	v_fma_f64 v[71:72], v[69:70], s[6:7], v[71:72]
	s_mov_b32 s7, 0x3c7abc9e
	s_delay_alu instid0(VALU_DEP_1)
	v_fma_f64 v[73:74], v[71:72], s[18:19], s[8:9]
	s_mov_b32 s8, 0x623fde64
	s_mov_b32 s9, 0x3ec71dee
	;; [unrolled: 1-line block ×4, first 2 shown]
	s_wait_alu 0xfffe
	s_delay_alu instid0(VALU_DEP_1) | instskip(SKIP_3) | instid1(VALU_DEP_1)
	v_fma_f64 v[73:74], v[71:72], v[73:74], s[8:9]
	s_mov_b32 s8, 0x7c89e6b0
	s_mov_b32 s9, 0x3efa0199
	s_wait_alu 0xfffe
	v_fma_f64 v[73:74], v[71:72], v[73:74], s[8:9]
	s_mov_b32 s8, 0x14761f6e
	s_mov_b32 s9, 0x3f2a01a0
	s_wait_alu 0xfffe
	s_delay_alu instid0(VALU_DEP_1) | instskip(SKIP_3) | instid1(VALU_DEP_1)
	v_fma_f64 v[73:74], v[71:72], v[73:74], s[8:9]
	s_mov_b32 s8, 0x1852b7b0
	s_mov_b32 s9, 0x3f56c16c
	s_wait_alu 0xfffe
	v_fma_f64 v[73:74], v[71:72], v[73:74], s[8:9]
	s_mov_b32 s8, 0x11122322
	s_mov_b32 s9, 0x3f811111
	;; [unrolled: 9-line block ×4, first 2 shown]
	s_delay_alu instid0(VALU_DEP_1) | instskip(NEXT) | instid1(VALU_DEP_1)
	v_fma_f64 v[73:74], v[71:72], v[73:74], 1.0
	v_fma_f64 v[69:70], v[71:72], v[73:74], 1.0
	s_delay_alu instid0(VALU_DEP_1) | instskip(SKIP_1) | instid1(VALU_DEP_1)
	v_ldexp_f64 v[69:70], v[69:70], v75
	s_wait_alu 0xfffd
	v_cndmask_b32_e32 v70, 0x7ff00000, v70, vcc_lo
	s_and_b32 vcc_lo, s1, vcc_lo
	s_wait_alu 0xfffe
	s_delay_alu instid0(VALU_DEP_2) | instskip(NEXT) | instid1(VALU_DEP_2)
	v_cndmask_b32_e32 v23, 0, v69, vcc_lo
	v_cndmask_b32_e64 v24, 0, v70, s1
	s_delay_alu instid0(VALU_DEP_1) | instskip(SKIP_1) | instid1(VALU_DEP_2)
	v_add_f64_e32 v[69:70], 1.0, v[23:24]
	v_cmp_neq_f64_e64 s1, 0x7ff00000, v[23:24]
	v_frexp_mant_f64_e32 v[71:72], v[69:70]
	v_frexp_exp_i32_f64_e32 v75, v[69:70]
	v_add_f64_e32 v[73:74], -1.0, v[69:70]
	s_delay_alu instid0(VALU_DEP_3) | instskip(SKIP_1) | instid1(VALU_DEP_2)
	v_cmp_gt_f64_e32 vcc_lo, s[8:9], v[71:72]
	s_mov_b32 s8, 0x55555780
	v_add_f64_e64 v[71:72], v[73:74], -v[69:70]
	v_add_f64_e64 v[73:74], v[23:24], -v[73:74]
	s_wait_alu 0xfffd
	v_subrev_co_ci_u32_e64 v109, null, 0, v75, vcc_lo
	s_delay_alu instid0(VALU_DEP_3) | instskip(SKIP_1) | instid1(VALU_DEP_3)
	v_add_f64_e32 v[71:72], 1.0, v[71:72]
	v_cmp_nge_f64_e32 vcc_lo, -1.0, v[23:24]
	v_sub_nc_u32_e32 v77, 0, v109
	s_delay_alu instid0(VALU_DEP_1) | instskip(NEXT) | instid1(VALU_DEP_4)
	v_ldexp_f64 v[69:70], v[69:70], v77
	v_add_f64_e32 v[71:72], v[73:74], v[71:72]
	s_and_b32 vcc_lo, vcc_lo, s1
	s_delay_alu instid0(VALU_DEP_2) | instskip(SKIP_1) | instid1(VALU_DEP_3)
	v_add_f64_e32 v[75:76], 1.0, v[69:70]
	v_add_f64_e32 v[81:82], -1.0, v[69:70]
	v_ldexp_f64 v[71:72], v[71:72], v77
	s_delay_alu instid0(VALU_DEP_3) | instskip(NEXT) | instid1(VALU_DEP_3)
	v_add_f64_e32 v[73:74], -1.0, v[75:76]
	v_add_f64_e32 v[101:102], 1.0, v[81:82]
	s_delay_alu instid0(VALU_DEP_2) | instskip(NEXT) | instid1(VALU_DEP_2)
	v_add_f64_e64 v[73:74], v[69:70], -v[73:74]
	v_add_f64_e64 v[69:70], v[69:70], -v[101:102]
	s_delay_alu instid0(VALU_DEP_2) | instskip(NEXT) | instid1(VALU_DEP_2)
	v_add_f64_e32 v[73:74], v[71:72], v[73:74]
	v_add_f64_e32 v[69:70], v[71:72], v[69:70]
	s_delay_alu instid0(VALU_DEP_2) | instskip(NEXT) | instid1(VALU_DEP_2)
	v_add_f64_e32 v[77:78], v[75:76], v[73:74]
	v_add_f64_e32 v[101:102], v[81:82], v[69:70]
	s_delay_alu instid0(VALU_DEP_2) | instskip(SKIP_1) | instid1(VALU_DEP_2)
	v_rcp_f64_e32 v[79:80], v[77:78]
	v_add_f64_e64 v[75:76], v[77:78], -v[75:76]
	v_add_f64_e64 v[81:82], v[101:102], -v[81:82]
	s_delay_alu instid0(VALU_DEP_2) | instskip(NEXT) | instid1(TRANS32_DEP_1)
	v_add_f64_e64 v[73:74], v[73:74], -v[75:76]
	v_fma_f64 v[103:104], -v[77:78], v[79:80], 1.0
	s_delay_alu instid0(VALU_DEP_3) | instskip(NEXT) | instid1(VALU_DEP_2)
	v_add_f64_e64 v[69:70], v[69:70], -v[81:82]
	v_fma_f64 v[79:80], v[103:104], v[79:80], v[79:80]
	s_delay_alu instid0(VALU_DEP_1) | instskip(NEXT) | instid1(VALU_DEP_1)
	v_fma_f64 v[71:72], -v[77:78], v[79:80], 1.0
	v_fma_f64 v[71:72], v[71:72], v[79:80], v[79:80]
	s_delay_alu instid0(VALU_DEP_1) | instskip(NEXT) | instid1(VALU_DEP_1)
	v_mul_f64_e32 v[79:80], v[101:102], v[71:72]
	v_mul_f64_e32 v[103:104], v[77:78], v[79:80]
	s_delay_alu instid0(VALU_DEP_1) | instskip(NEXT) | instid1(VALU_DEP_1)
	v_fma_f64 v[75:76], v[79:80], v[77:78], -v[103:104]
	v_fma_f64 v[75:76], v[79:80], v[73:74], v[75:76]
	s_delay_alu instid0(VALU_DEP_1) | instskip(NEXT) | instid1(VALU_DEP_1)
	v_add_f64_e32 v[105:106], v[103:104], v[75:76]
	v_add_f64_e64 v[107:108], v[101:102], -v[105:106]
	v_add_f64_e64 v[81:82], v[105:106], -v[103:104]
	s_delay_alu instid0(VALU_DEP_2) | instskip(NEXT) | instid1(VALU_DEP_2)
	v_add_f64_e64 v[101:102], v[101:102], -v[107:108]
	v_add_f64_e64 v[75:76], v[81:82], -v[75:76]
	s_delay_alu instid0(VALU_DEP_2) | instskip(NEXT) | instid1(VALU_DEP_1)
	v_add_f64_e64 v[101:102], v[101:102], -v[105:106]
	v_add_f64_e32 v[69:70], v[69:70], v[101:102]
	s_delay_alu instid0(VALU_DEP_1) | instskip(NEXT) | instid1(VALU_DEP_1)
	v_add_f64_e32 v[69:70], v[75:76], v[69:70]
	v_add_f64_e32 v[75:76], v[107:108], v[69:70]
	s_delay_alu instid0(VALU_DEP_1) | instskip(SKIP_1) | instid1(VALU_DEP_2)
	v_mul_f64_e32 v[81:82], v[71:72], v[75:76]
	v_add_f64_e64 v[105:106], v[107:108], -v[75:76]
	v_mul_f64_e32 v[101:102], v[77:78], v[81:82]
	s_delay_alu instid0(VALU_DEP_2) | instskip(NEXT) | instid1(VALU_DEP_2)
	v_add_f64_e32 v[69:70], v[69:70], v[105:106]
	v_fma_f64 v[77:78], v[81:82], v[77:78], -v[101:102]
	s_delay_alu instid0(VALU_DEP_1) | instskip(NEXT) | instid1(VALU_DEP_1)
	v_fma_f64 v[73:74], v[81:82], v[73:74], v[77:78]
	v_add_f64_e32 v[77:78], v[101:102], v[73:74]
	s_delay_alu instid0(VALU_DEP_1) | instskip(SKIP_1) | instid1(VALU_DEP_2)
	v_add_f64_e64 v[103:104], v[75:76], -v[77:78]
	v_add_f64_e64 v[101:102], v[77:78], -v[101:102]
	;; [unrolled: 1-line block ×3, first 2 shown]
	s_delay_alu instid0(VALU_DEP_2) | instskip(NEXT) | instid1(VALU_DEP_2)
	v_add_f64_e64 v[73:74], v[101:102], -v[73:74]
	v_add_f64_e64 v[75:76], v[75:76], -v[77:78]
	s_delay_alu instid0(VALU_DEP_1) | instskip(SKIP_1) | instid1(VALU_DEP_2)
	v_add_f64_e32 v[69:70], v[69:70], v[75:76]
	v_add_f64_e32 v[75:76], v[79:80], v[81:82]
	v_add_f64_e32 v[69:70], v[73:74], v[69:70]
	s_delay_alu instid0(VALU_DEP_2) | instskip(NEXT) | instid1(VALU_DEP_2)
	v_add_f64_e64 v[73:74], v[75:76], -v[79:80]
	v_add_f64_e32 v[69:70], v[103:104], v[69:70]
	s_delay_alu instid0(VALU_DEP_2) | instskip(NEXT) | instid1(VALU_DEP_2)
	v_add_f64_e64 v[73:74], v[81:82], -v[73:74]
	v_mul_f64_e32 v[69:70], v[71:72], v[69:70]
	s_delay_alu instid0(VALU_DEP_1) | instskip(NEXT) | instid1(VALU_DEP_1)
	v_add_f64_e32 v[69:70], v[73:74], v[69:70]
	v_add_f64_e32 v[71:72], v[75:76], v[69:70]
	s_delay_alu instid0(VALU_DEP_1) | instskip(NEXT) | instid1(VALU_DEP_1)
	v_mul_f64_e32 v[73:74], v[71:72], v[71:72]
	v_fma_f64 v[77:78], v[73:74], s[20:21], s[18:19]
	s_mov_b32 s18, 0xd7f4df2e
	s_mov_b32 s19, 0x3fc7474d
	v_mul_f64_e32 v[79:80], v[71:72], v[73:74]
	s_wait_alu 0xfffe
	s_delay_alu instid0(VALU_DEP_2) | instskip(SKIP_3) | instid1(VALU_DEP_1)
	v_fma_f64 v[77:78], v[73:74], v[77:78], s[18:19]
	s_mov_b32 s18, 0x16291751
	s_mov_b32 s19, 0x3fcc71c0
	s_wait_alu 0xfffe
	v_fma_f64 v[77:78], v[73:74], v[77:78], s[18:19]
	s_mov_b32 s18, 0x9b27acf1
	s_mov_b32 s19, 0x3fd24924
	s_wait_alu 0xfffe
	s_delay_alu instid0(VALU_DEP_1) | instskip(SKIP_3) | instid1(VALU_DEP_1)
	v_fma_f64 v[77:78], v[73:74], v[77:78], s[18:19]
	s_mov_b32 s18, 0x998ef7b6
	s_mov_b32 s19, 0x3fd99999
	s_wait_alu 0xfffe
	v_fma_f64 v[77:78], v[73:74], v[77:78], s[18:19]
	s_delay_alu instid0(VALU_DEP_1) | instskip(SKIP_2) | instid1(VALU_DEP_3)
	v_fma_f64 v[73:74], v[73:74], v[77:78], s[8:9]
	v_ldexp_f64 v[77:78], v[71:72], 1
	v_add_f64_e64 v[71:72], v[71:72], -v[75:76]
	v_mul_f64_e32 v[73:74], v[79:80], v[73:74]
	v_cvt_f64_i32_e32 v[79:80], v109
	s_delay_alu instid0(VALU_DEP_3) | instskip(NEXT) | instid1(VALU_DEP_3)
	v_add_f64_e64 v[69:70], v[69:70], -v[71:72]
	v_add_f64_e32 v[75:76], v[77:78], v[73:74]
	s_delay_alu instid0(VALU_DEP_3) | instskip(NEXT) | instid1(VALU_DEP_3)
	v_mul_f64_e32 v[81:82], s[4:5], v[79:80]
	v_ldexp_f64 v[69:70], v[69:70], 1
	s_delay_alu instid0(VALU_DEP_3) | instskip(NEXT) | instid1(VALU_DEP_3)
	v_add_f64_e64 v[71:72], v[75:76], -v[77:78]
	v_fma_f64 v[77:78], v[79:80], s[4:5], -v[81:82]
	v_cmp_ngt_f64_e64 s4, -1.0, v[23:24]
	s_delay_alu instid0(VALU_DEP_3) | instskip(NEXT) | instid1(VALU_DEP_3)
	v_add_f64_e64 v[71:72], v[73:74], -v[71:72]
	v_fma_f64 v[73:74], v[79:80], s[6:7], v[77:78]
	s_delay_alu instid0(VALU_DEP_2) | instskip(NEXT) | instid1(VALU_DEP_2)
	v_add_f64_e32 v[69:70], v[69:70], v[71:72]
	v_add_f64_e32 v[71:72], v[81:82], v[73:74]
	s_delay_alu instid0(VALU_DEP_2) | instskip(NEXT) | instid1(VALU_DEP_2)
	v_add_f64_e32 v[77:78], v[75:76], v[69:70]
	v_add_f64_e64 v[81:82], v[71:72], -v[81:82]
	s_delay_alu instid0(VALU_DEP_2) | instskip(SKIP_1) | instid1(VALU_DEP_3)
	v_add_f64_e32 v[79:80], v[71:72], v[77:78]
	v_add_f64_e64 v[75:76], v[77:78], -v[75:76]
	v_add_f64_e64 v[73:74], v[73:74], -v[81:82]
	s_delay_alu instid0(VALU_DEP_3) | instskip(NEXT) | instid1(VALU_DEP_3)
	v_add_f64_e64 v[101:102], v[79:80], -v[71:72]
	v_add_f64_e64 v[69:70], v[69:70], -v[75:76]
	s_delay_alu instid0(VALU_DEP_2) | instskip(SKIP_1) | instid1(VALU_DEP_3)
	v_add_f64_e64 v[103:104], v[79:80], -v[101:102]
	v_add_f64_e64 v[75:76], v[77:78], -v[101:102]
	v_add_f64_e32 v[77:78], v[73:74], v[69:70]
	s_delay_alu instid0(VALU_DEP_3) | instskip(NEXT) | instid1(VALU_DEP_1)
	v_add_f64_e64 v[71:72], v[71:72], -v[103:104]
	v_add_f64_e32 v[71:72], v[75:76], v[71:72]
	s_delay_alu instid0(VALU_DEP_3) | instskip(NEXT) | instid1(VALU_DEP_2)
	v_add_f64_e64 v[75:76], v[77:78], -v[73:74]
	v_add_f64_e32 v[71:72], v[77:78], v[71:72]
	s_delay_alu instid0(VALU_DEP_2) | instskip(SKIP_1) | instid1(VALU_DEP_3)
	v_add_f64_e64 v[77:78], v[77:78], -v[75:76]
	v_add_f64_e64 v[69:70], v[69:70], -v[75:76]
	v_add_f64_e32 v[81:82], v[79:80], v[71:72]
	s_delay_alu instid0(VALU_DEP_3) | instskip(NEXT) | instid1(VALU_DEP_2)
	v_add_f64_e64 v[73:74], v[73:74], -v[77:78]
	v_add_f64_e64 v[75:76], v[81:82], -v[79:80]
	s_delay_alu instid0(VALU_DEP_2) | instskip(NEXT) | instid1(VALU_DEP_2)
	v_add_f64_e32 v[69:70], v[69:70], v[73:74]
	v_add_f64_e64 v[71:72], v[71:72], -v[75:76]
	s_delay_alu instid0(VALU_DEP_1) | instskip(NEXT) | instid1(VALU_DEP_1)
	v_add_f64_e32 v[69:70], v[69:70], v[71:72]
	v_add_f64_e32 v[69:70], v[81:82], v[69:70]
	s_delay_alu instid0(VALU_DEP_1) | instskip(SKIP_1) | instid1(VALU_DEP_3)
	v_cndmask_b32_e32 v69, 0, v69, vcc_lo
	v_cmp_neq_f64_e32 vcc_lo, -1.0, v[23:24]
	v_cndmask_b32_e64 v70, 0x7ff00000, v70, s1
	s_wait_alu 0xf1ff
	s_delay_alu instid0(VALU_DEP_1) | instskip(SKIP_1) | instid1(VALU_DEP_1)
	v_cndmask_b32_e64 v70, 0x7ff80000, v70, s4
	s_wait_alu 0xfffd
	v_cndmask_b32_e32 v70, 0xfff00000, v70, vcc_lo
	s_delay_alu instid0(VALU_DEP_1)
	v_add_f64_e32 v[23:24], v[25:26], v[69:70]
.LBB71_183:
	s_wait_alu 0xfffe
	s_or_b32 exec_lo, exec_lo, s10
	s_delay_alu instid0(VALU_DEP_1) | instskip(SKIP_1) | instid1(VALU_DEP_2)
	v_max_num_f64_e32 v[25:26], v[23:24], v[23:24]
	v_cmp_u_f64_e32 vcc_lo, v[23:24], v[23:24]
	v_min_num_f64_e32 v[69:70], v[25:26], v[27:28]
	v_max_num_f64_e32 v[25:26], v[25:26], v[27:28]
	s_wait_alu 0xfffd
	s_delay_alu instid0(VALU_DEP_2) | instskip(NEXT) | instid1(VALU_DEP_2)
	v_dual_cndmask_b32 v27, v69, v23 :: v_dual_cndmask_b32 v28, v70, v24
	v_dual_cndmask_b32 v26, v26, v24 :: v_dual_cndmask_b32 v25, v25, v23
	s_delay_alu instid0(VALU_DEP_2) | instskip(NEXT) | instid1(VALU_DEP_3)
	v_cndmask_b32_e64 v69, v27, v45, s12
	v_cndmask_b32_e64 v70, v28, v46, s12
	s_delay_alu instid0(VALU_DEP_3) | instskip(NEXT) | instid1(VALU_DEP_4)
	v_cndmask_b32_e64 v28, v26, v46, s12
	v_cndmask_b32_e64 v27, v25, v45, s12
	v_dual_mov_b32 v26, v24 :: v_dual_mov_b32 v25, v23
	s_delay_alu instid0(VALU_DEP_4) | instskip(NEXT) | instid1(VALU_DEP_3)
	v_cmp_class_f64_e64 s1, v[69:70], 0x1f8
	v_cmp_neq_f64_e32 vcc_lo, v[69:70], v[27:28]
	s_or_b32 s1, vcc_lo, s1
	s_wait_alu 0xfffe
	s_and_saveexec_b32 s10, s1
	s_cbranch_execz .LBB71_185
; %bb.184:
	v_add_f64_e64 v[25:26], v[69:70], -v[27:28]
	s_mov_b32 s4, 0x652b82fe
	s_mov_b32 s5, 0x3ff71547
	;; [unrolled: 1-line block ×10, first 2 shown]
	s_wait_alu 0xfffe
	s_delay_alu instid0(VALU_DEP_1) | instskip(SKIP_4) | instid1(VALU_DEP_3)
	v_mul_f64_e32 v[69:70], s[4:5], v[25:26]
	s_mov_b32 s5, 0xbfe62e42
	s_mov_b32 s4, 0xfefa39ef
	v_cmp_nlt_f64_e32 vcc_lo, 0x40900000, v[25:26]
	v_cmp_ngt_f64_e64 s1, 0xc090cc00, v[25:26]
	v_rndne_f64_e32 v[69:70], v[69:70]
	s_wait_alu 0xfffe
	s_delay_alu instid0(VALU_DEP_1) | instskip(SKIP_2) | instid1(VALU_DEP_2)
	v_fma_f64 v[71:72], v[69:70], s[4:5], v[25:26]
	v_cvt_i32_f64_e32 v75, v[69:70]
	s_mov_b32 s5, 0x3fe62e42
	v_fma_f64 v[71:72], v[69:70], s[6:7], v[71:72]
	s_mov_b32 s7, 0x3c7abc9e
	s_delay_alu instid0(VALU_DEP_1)
	v_fma_f64 v[73:74], v[71:72], s[18:19], s[8:9]
	s_mov_b32 s8, 0x623fde64
	s_mov_b32 s9, 0x3ec71dee
	;; [unrolled: 1-line block ×4, first 2 shown]
	s_wait_alu 0xfffe
	s_delay_alu instid0(VALU_DEP_1) | instskip(SKIP_3) | instid1(VALU_DEP_1)
	v_fma_f64 v[73:74], v[71:72], v[73:74], s[8:9]
	s_mov_b32 s8, 0x7c89e6b0
	s_mov_b32 s9, 0x3efa0199
	s_wait_alu 0xfffe
	v_fma_f64 v[73:74], v[71:72], v[73:74], s[8:9]
	s_mov_b32 s8, 0x14761f6e
	s_mov_b32 s9, 0x3f2a01a0
	s_wait_alu 0xfffe
	s_delay_alu instid0(VALU_DEP_1) | instskip(SKIP_3) | instid1(VALU_DEP_1)
	v_fma_f64 v[73:74], v[71:72], v[73:74], s[8:9]
	s_mov_b32 s8, 0x1852b7b0
	s_mov_b32 s9, 0x3f56c16c
	s_wait_alu 0xfffe
	v_fma_f64 v[73:74], v[71:72], v[73:74], s[8:9]
	s_mov_b32 s8, 0x11122322
	s_mov_b32 s9, 0x3f811111
	;; [unrolled: 9-line block ×4, first 2 shown]
	s_delay_alu instid0(VALU_DEP_1) | instskip(NEXT) | instid1(VALU_DEP_1)
	v_fma_f64 v[73:74], v[71:72], v[73:74], 1.0
	v_fma_f64 v[69:70], v[71:72], v[73:74], 1.0
	s_delay_alu instid0(VALU_DEP_1) | instskip(SKIP_1) | instid1(VALU_DEP_1)
	v_ldexp_f64 v[69:70], v[69:70], v75
	s_wait_alu 0xfffd
	v_cndmask_b32_e32 v70, 0x7ff00000, v70, vcc_lo
	s_and_b32 vcc_lo, s1, vcc_lo
	s_wait_alu 0xfffe
	s_delay_alu instid0(VALU_DEP_2) | instskip(NEXT) | instid1(VALU_DEP_2)
	v_cndmask_b32_e32 v25, 0, v69, vcc_lo
	v_cndmask_b32_e64 v26, 0, v70, s1
	s_delay_alu instid0(VALU_DEP_1) | instskip(SKIP_1) | instid1(VALU_DEP_2)
	v_add_f64_e32 v[69:70], 1.0, v[25:26]
	v_cmp_neq_f64_e64 s1, 0x7ff00000, v[25:26]
	v_frexp_mant_f64_e32 v[71:72], v[69:70]
	v_frexp_exp_i32_f64_e32 v75, v[69:70]
	v_add_f64_e32 v[73:74], -1.0, v[69:70]
	s_delay_alu instid0(VALU_DEP_3) | instskip(SKIP_1) | instid1(VALU_DEP_2)
	v_cmp_gt_f64_e32 vcc_lo, s[8:9], v[71:72]
	s_mov_b32 s8, 0x55555780
	v_add_f64_e64 v[71:72], v[73:74], -v[69:70]
	v_add_f64_e64 v[73:74], v[25:26], -v[73:74]
	s_wait_alu 0xfffd
	v_subrev_co_ci_u32_e64 v109, null, 0, v75, vcc_lo
	s_delay_alu instid0(VALU_DEP_3) | instskip(SKIP_1) | instid1(VALU_DEP_3)
	v_add_f64_e32 v[71:72], 1.0, v[71:72]
	v_cmp_nge_f64_e32 vcc_lo, -1.0, v[25:26]
	v_sub_nc_u32_e32 v77, 0, v109
	s_delay_alu instid0(VALU_DEP_1) | instskip(NEXT) | instid1(VALU_DEP_4)
	v_ldexp_f64 v[69:70], v[69:70], v77
	v_add_f64_e32 v[71:72], v[73:74], v[71:72]
	s_and_b32 vcc_lo, vcc_lo, s1
	s_delay_alu instid0(VALU_DEP_2) | instskip(SKIP_1) | instid1(VALU_DEP_3)
	v_add_f64_e32 v[75:76], 1.0, v[69:70]
	v_add_f64_e32 v[81:82], -1.0, v[69:70]
	v_ldexp_f64 v[71:72], v[71:72], v77
	s_delay_alu instid0(VALU_DEP_3) | instskip(NEXT) | instid1(VALU_DEP_3)
	v_add_f64_e32 v[73:74], -1.0, v[75:76]
	v_add_f64_e32 v[101:102], 1.0, v[81:82]
	s_delay_alu instid0(VALU_DEP_2) | instskip(NEXT) | instid1(VALU_DEP_2)
	v_add_f64_e64 v[73:74], v[69:70], -v[73:74]
	v_add_f64_e64 v[69:70], v[69:70], -v[101:102]
	s_delay_alu instid0(VALU_DEP_2) | instskip(NEXT) | instid1(VALU_DEP_2)
	v_add_f64_e32 v[73:74], v[71:72], v[73:74]
	v_add_f64_e32 v[69:70], v[71:72], v[69:70]
	s_delay_alu instid0(VALU_DEP_2) | instskip(NEXT) | instid1(VALU_DEP_2)
	v_add_f64_e32 v[77:78], v[75:76], v[73:74]
	v_add_f64_e32 v[101:102], v[81:82], v[69:70]
	s_delay_alu instid0(VALU_DEP_2) | instskip(SKIP_1) | instid1(VALU_DEP_2)
	v_rcp_f64_e32 v[79:80], v[77:78]
	v_add_f64_e64 v[75:76], v[77:78], -v[75:76]
	v_add_f64_e64 v[81:82], v[101:102], -v[81:82]
	s_delay_alu instid0(VALU_DEP_2) | instskip(NEXT) | instid1(TRANS32_DEP_1)
	v_add_f64_e64 v[73:74], v[73:74], -v[75:76]
	v_fma_f64 v[103:104], -v[77:78], v[79:80], 1.0
	s_delay_alu instid0(VALU_DEP_3) | instskip(NEXT) | instid1(VALU_DEP_2)
	v_add_f64_e64 v[69:70], v[69:70], -v[81:82]
	v_fma_f64 v[79:80], v[103:104], v[79:80], v[79:80]
	s_delay_alu instid0(VALU_DEP_1) | instskip(NEXT) | instid1(VALU_DEP_1)
	v_fma_f64 v[71:72], -v[77:78], v[79:80], 1.0
	v_fma_f64 v[71:72], v[71:72], v[79:80], v[79:80]
	s_delay_alu instid0(VALU_DEP_1) | instskip(NEXT) | instid1(VALU_DEP_1)
	v_mul_f64_e32 v[79:80], v[101:102], v[71:72]
	v_mul_f64_e32 v[103:104], v[77:78], v[79:80]
	s_delay_alu instid0(VALU_DEP_1) | instskip(NEXT) | instid1(VALU_DEP_1)
	v_fma_f64 v[75:76], v[79:80], v[77:78], -v[103:104]
	v_fma_f64 v[75:76], v[79:80], v[73:74], v[75:76]
	s_delay_alu instid0(VALU_DEP_1) | instskip(NEXT) | instid1(VALU_DEP_1)
	v_add_f64_e32 v[105:106], v[103:104], v[75:76]
	v_add_f64_e64 v[107:108], v[101:102], -v[105:106]
	v_add_f64_e64 v[81:82], v[105:106], -v[103:104]
	s_delay_alu instid0(VALU_DEP_2) | instskip(NEXT) | instid1(VALU_DEP_2)
	v_add_f64_e64 v[101:102], v[101:102], -v[107:108]
	v_add_f64_e64 v[75:76], v[81:82], -v[75:76]
	s_delay_alu instid0(VALU_DEP_2) | instskip(NEXT) | instid1(VALU_DEP_1)
	v_add_f64_e64 v[101:102], v[101:102], -v[105:106]
	v_add_f64_e32 v[69:70], v[69:70], v[101:102]
	s_delay_alu instid0(VALU_DEP_1) | instskip(NEXT) | instid1(VALU_DEP_1)
	v_add_f64_e32 v[69:70], v[75:76], v[69:70]
	v_add_f64_e32 v[75:76], v[107:108], v[69:70]
	s_delay_alu instid0(VALU_DEP_1) | instskip(SKIP_1) | instid1(VALU_DEP_2)
	v_mul_f64_e32 v[81:82], v[71:72], v[75:76]
	v_add_f64_e64 v[105:106], v[107:108], -v[75:76]
	v_mul_f64_e32 v[101:102], v[77:78], v[81:82]
	s_delay_alu instid0(VALU_DEP_2) | instskip(NEXT) | instid1(VALU_DEP_2)
	v_add_f64_e32 v[69:70], v[69:70], v[105:106]
	v_fma_f64 v[77:78], v[81:82], v[77:78], -v[101:102]
	s_delay_alu instid0(VALU_DEP_1) | instskip(NEXT) | instid1(VALU_DEP_1)
	v_fma_f64 v[73:74], v[81:82], v[73:74], v[77:78]
	v_add_f64_e32 v[77:78], v[101:102], v[73:74]
	s_delay_alu instid0(VALU_DEP_1) | instskip(SKIP_1) | instid1(VALU_DEP_2)
	v_add_f64_e64 v[103:104], v[75:76], -v[77:78]
	v_add_f64_e64 v[101:102], v[77:78], -v[101:102]
	;; [unrolled: 1-line block ×3, first 2 shown]
	s_delay_alu instid0(VALU_DEP_2) | instskip(NEXT) | instid1(VALU_DEP_2)
	v_add_f64_e64 v[73:74], v[101:102], -v[73:74]
	v_add_f64_e64 v[75:76], v[75:76], -v[77:78]
	s_delay_alu instid0(VALU_DEP_1) | instskip(SKIP_1) | instid1(VALU_DEP_2)
	v_add_f64_e32 v[69:70], v[69:70], v[75:76]
	v_add_f64_e32 v[75:76], v[79:80], v[81:82]
	;; [unrolled: 1-line block ×3, first 2 shown]
	s_delay_alu instid0(VALU_DEP_2) | instskip(NEXT) | instid1(VALU_DEP_2)
	v_add_f64_e64 v[73:74], v[75:76], -v[79:80]
	v_add_f64_e32 v[69:70], v[103:104], v[69:70]
	s_delay_alu instid0(VALU_DEP_2) | instskip(NEXT) | instid1(VALU_DEP_2)
	v_add_f64_e64 v[73:74], v[81:82], -v[73:74]
	v_mul_f64_e32 v[69:70], v[71:72], v[69:70]
	s_delay_alu instid0(VALU_DEP_1) | instskip(NEXT) | instid1(VALU_DEP_1)
	v_add_f64_e32 v[69:70], v[73:74], v[69:70]
	v_add_f64_e32 v[71:72], v[75:76], v[69:70]
	s_delay_alu instid0(VALU_DEP_1) | instskip(NEXT) | instid1(VALU_DEP_1)
	v_mul_f64_e32 v[73:74], v[71:72], v[71:72]
	v_fma_f64 v[77:78], v[73:74], s[20:21], s[18:19]
	s_mov_b32 s18, 0xd7f4df2e
	s_mov_b32 s19, 0x3fc7474d
	v_mul_f64_e32 v[79:80], v[71:72], v[73:74]
	s_wait_alu 0xfffe
	s_delay_alu instid0(VALU_DEP_2) | instskip(SKIP_3) | instid1(VALU_DEP_1)
	v_fma_f64 v[77:78], v[73:74], v[77:78], s[18:19]
	s_mov_b32 s18, 0x16291751
	s_mov_b32 s19, 0x3fcc71c0
	s_wait_alu 0xfffe
	v_fma_f64 v[77:78], v[73:74], v[77:78], s[18:19]
	s_mov_b32 s18, 0x9b27acf1
	s_mov_b32 s19, 0x3fd24924
	s_wait_alu 0xfffe
	s_delay_alu instid0(VALU_DEP_1) | instskip(SKIP_3) | instid1(VALU_DEP_1)
	v_fma_f64 v[77:78], v[73:74], v[77:78], s[18:19]
	s_mov_b32 s18, 0x998ef7b6
	s_mov_b32 s19, 0x3fd99999
	s_wait_alu 0xfffe
	v_fma_f64 v[77:78], v[73:74], v[77:78], s[18:19]
	s_delay_alu instid0(VALU_DEP_1) | instskip(SKIP_2) | instid1(VALU_DEP_3)
	v_fma_f64 v[73:74], v[73:74], v[77:78], s[8:9]
	v_ldexp_f64 v[77:78], v[71:72], 1
	v_add_f64_e64 v[71:72], v[71:72], -v[75:76]
	v_mul_f64_e32 v[73:74], v[79:80], v[73:74]
	v_cvt_f64_i32_e32 v[79:80], v109
	s_delay_alu instid0(VALU_DEP_3) | instskip(NEXT) | instid1(VALU_DEP_3)
	v_add_f64_e64 v[69:70], v[69:70], -v[71:72]
	v_add_f64_e32 v[75:76], v[77:78], v[73:74]
	s_delay_alu instid0(VALU_DEP_3) | instskip(NEXT) | instid1(VALU_DEP_3)
	v_mul_f64_e32 v[81:82], s[4:5], v[79:80]
	v_ldexp_f64 v[69:70], v[69:70], 1
	s_delay_alu instid0(VALU_DEP_3) | instskip(NEXT) | instid1(VALU_DEP_3)
	v_add_f64_e64 v[71:72], v[75:76], -v[77:78]
	v_fma_f64 v[77:78], v[79:80], s[4:5], -v[81:82]
	v_cmp_ngt_f64_e64 s4, -1.0, v[25:26]
	s_delay_alu instid0(VALU_DEP_3) | instskip(NEXT) | instid1(VALU_DEP_3)
	v_add_f64_e64 v[71:72], v[73:74], -v[71:72]
	v_fma_f64 v[73:74], v[79:80], s[6:7], v[77:78]
	s_delay_alu instid0(VALU_DEP_2) | instskip(NEXT) | instid1(VALU_DEP_2)
	v_add_f64_e32 v[69:70], v[69:70], v[71:72]
	v_add_f64_e32 v[71:72], v[81:82], v[73:74]
	s_delay_alu instid0(VALU_DEP_2) | instskip(NEXT) | instid1(VALU_DEP_2)
	v_add_f64_e32 v[77:78], v[75:76], v[69:70]
	v_add_f64_e64 v[81:82], v[71:72], -v[81:82]
	s_delay_alu instid0(VALU_DEP_2) | instskip(SKIP_1) | instid1(VALU_DEP_3)
	v_add_f64_e32 v[79:80], v[71:72], v[77:78]
	v_add_f64_e64 v[75:76], v[77:78], -v[75:76]
	v_add_f64_e64 v[73:74], v[73:74], -v[81:82]
	s_delay_alu instid0(VALU_DEP_3) | instskip(NEXT) | instid1(VALU_DEP_3)
	v_add_f64_e64 v[101:102], v[79:80], -v[71:72]
	v_add_f64_e64 v[69:70], v[69:70], -v[75:76]
	s_delay_alu instid0(VALU_DEP_2) | instskip(SKIP_1) | instid1(VALU_DEP_3)
	v_add_f64_e64 v[103:104], v[79:80], -v[101:102]
	v_add_f64_e64 v[75:76], v[77:78], -v[101:102]
	v_add_f64_e32 v[77:78], v[73:74], v[69:70]
	s_delay_alu instid0(VALU_DEP_3) | instskip(NEXT) | instid1(VALU_DEP_1)
	v_add_f64_e64 v[71:72], v[71:72], -v[103:104]
	v_add_f64_e32 v[71:72], v[75:76], v[71:72]
	s_delay_alu instid0(VALU_DEP_3) | instskip(NEXT) | instid1(VALU_DEP_2)
	v_add_f64_e64 v[75:76], v[77:78], -v[73:74]
	v_add_f64_e32 v[71:72], v[77:78], v[71:72]
	s_delay_alu instid0(VALU_DEP_2) | instskip(SKIP_1) | instid1(VALU_DEP_3)
	v_add_f64_e64 v[77:78], v[77:78], -v[75:76]
	v_add_f64_e64 v[69:70], v[69:70], -v[75:76]
	v_add_f64_e32 v[81:82], v[79:80], v[71:72]
	s_delay_alu instid0(VALU_DEP_3) | instskip(NEXT) | instid1(VALU_DEP_2)
	v_add_f64_e64 v[73:74], v[73:74], -v[77:78]
	v_add_f64_e64 v[75:76], v[81:82], -v[79:80]
	s_delay_alu instid0(VALU_DEP_2) | instskip(NEXT) | instid1(VALU_DEP_2)
	v_add_f64_e32 v[69:70], v[69:70], v[73:74]
	v_add_f64_e64 v[71:72], v[71:72], -v[75:76]
	s_delay_alu instid0(VALU_DEP_1) | instskip(NEXT) | instid1(VALU_DEP_1)
	v_add_f64_e32 v[69:70], v[69:70], v[71:72]
	v_add_f64_e32 v[69:70], v[81:82], v[69:70]
	s_delay_alu instid0(VALU_DEP_1) | instskip(SKIP_1) | instid1(VALU_DEP_3)
	v_cndmask_b32_e32 v69, 0, v69, vcc_lo
	v_cmp_neq_f64_e32 vcc_lo, -1.0, v[25:26]
	v_cndmask_b32_e64 v70, 0x7ff00000, v70, s1
	s_wait_alu 0xf1ff
	s_delay_alu instid0(VALU_DEP_1) | instskip(SKIP_1) | instid1(VALU_DEP_1)
	v_cndmask_b32_e64 v70, 0x7ff80000, v70, s4
	s_wait_alu 0xfffd
	v_cndmask_b32_e32 v70, 0xfff00000, v70, vcc_lo
	s_delay_alu instid0(VALU_DEP_1)
	v_add_f64_e32 v[25:26], v[27:28], v[69:70]
.LBB71_185:
	s_wait_alu 0xfffe
	s_or_b32 exec_lo, exec_lo, s10
	s_delay_alu instid0(VALU_DEP_1) | instskip(SKIP_1) | instid1(VALU_DEP_2)
	v_max_num_f64_e32 v[27:28], v[25:26], v[25:26]
	v_cmp_u_f64_e32 vcc_lo, v[25:26], v[25:26]
	v_min_num_f64_e32 v[69:70], v[27:28], v[29:30]
	v_max_num_f64_e32 v[27:28], v[27:28], v[29:30]
	s_wait_alu 0xfffd
	s_delay_alu instid0(VALU_DEP_2) | instskip(NEXT) | instid1(VALU_DEP_2)
	v_dual_cndmask_b32 v29, v69, v25 :: v_dual_cndmask_b32 v30, v70, v26
	v_dual_cndmask_b32 v28, v28, v26 :: v_dual_cndmask_b32 v27, v27, v25
	s_delay_alu instid0(VALU_DEP_2) | instskip(NEXT) | instid1(VALU_DEP_3)
	v_cndmask_b32_e64 v69, v29, v47, s13
	v_cndmask_b32_e64 v70, v30, v48, s13
	s_delay_alu instid0(VALU_DEP_3) | instskip(NEXT) | instid1(VALU_DEP_4)
	v_cndmask_b32_e64 v30, v28, v48, s13
	v_cndmask_b32_e64 v29, v27, v47, s13
	v_dual_mov_b32 v28, v26 :: v_dual_mov_b32 v27, v25
	s_delay_alu instid0(VALU_DEP_4) | instskip(NEXT) | instid1(VALU_DEP_3)
	v_cmp_class_f64_e64 s1, v[69:70], 0x1f8
	v_cmp_neq_f64_e32 vcc_lo, v[69:70], v[29:30]
	s_or_b32 s1, vcc_lo, s1
	s_wait_alu 0xfffe
	s_and_saveexec_b32 s10, s1
	s_cbranch_execz .LBB71_187
; %bb.186:
	v_add_f64_e64 v[27:28], v[69:70], -v[29:30]
	s_mov_b32 s4, 0x652b82fe
	s_mov_b32 s5, 0x3ff71547
	;; [unrolled: 1-line block ×10, first 2 shown]
	s_wait_alu 0xfffe
	s_delay_alu instid0(VALU_DEP_1) | instskip(SKIP_4) | instid1(VALU_DEP_3)
	v_mul_f64_e32 v[69:70], s[4:5], v[27:28]
	s_mov_b32 s5, 0xbfe62e42
	s_mov_b32 s4, 0xfefa39ef
	v_cmp_nlt_f64_e32 vcc_lo, 0x40900000, v[27:28]
	v_cmp_ngt_f64_e64 s1, 0xc090cc00, v[27:28]
	v_rndne_f64_e32 v[69:70], v[69:70]
	s_wait_alu 0xfffe
	s_delay_alu instid0(VALU_DEP_1) | instskip(SKIP_2) | instid1(VALU_DEP_2)
	v_fma_f64 v[71:72], v[69:70], s[4:5], v[27:28]
	v_cvt_i32_f64_e32 v75, v[69:70]
	s_mov_b32 s5, 0x3fe62e42
	v_fma_f64 v[71:72], v[69:70], s[6:7], v[71:72]
	s_mov_b32 s7, 0x3c7abc9e
	s_delay_alu instid0(VALU_DEP_1)
	v_fma_f64 v[73:74], v[71:72], s[12:13], s[8:9]
	s_mov_b32 s8, 0x623fde64
	s_mov_b32 s9, 0x3ec71dee
	s_mov_b32 s12, 0x6b47b09a
	s_mov_b32 s13, 0x3fc38538
	s_wait_alu 0xfffe
	s_delay_alu instid0(VALU_DEP_1) | instskip(SKIP_3) | instid1(VALU_DEP_1)
	v_fma_f64 v[73:74], v[71:72], v[73:74], s[8:9]
	s_mov_b32 s8, 0x7c89e6b0
	s_mov_b32 s9, 0x3efa0199
	s_wait_alu 0xfffe
	v_fma_f64 v[73:74], v[71:72], v[73:74], s[8:9]
	s_mov_b32 s8, 0x14761f6e
	s_mov_b32 s9, 0x3f2a01a0
	s_wait_alu 0xfffe
	s_delay_alu instid0(VALU_DEP_1) | instskip(SKIP_3) | instid1(VALU_DEP_1)
	v_fma_f64 v[73:74], v[71:72], v[73:74], s[8:9]
	s_mov_b32 s8, 0x1852b7b0
	s_mov_b32 s9, 0x3f56c16c
	s_wait_alu 0xfffe
	v_fma_f64 v[73:74], v[71:72], v[73:74], s[8:9]
	s_mov_b32 s8, 0x11122322
	s_mov_b32 s9, 0x3f811111
	;; [unrolled: 9-line block ×4, first 2 shown]
	s_delay_alu instid0(VALU_DEP_1) | instskip(NEXT) | instid1(VALU_DEP_1)
	v_fma_f64 v[73:74], v[71:72], v[73:74], 1.0
	v_fma_f64 v[69:70], v[71:72], v[73:74], 1.0
	s_delay_alu instid0(VALU_DEP_1) | instskip(SKIP_1) | instid1(VALU_DEP_1)
	v_ldexp_f64 v[69:70], v[69:70], v75
	s_wait_alu 0xfffd
	v_cndmask_b32_e32 v70, 0x7ff00000, v70, vcc_lo
	s_and_b32 vcc_lo, s1, vcc_lo
	s_wait_alu 0xfffe
	s_delay_alu instid0(VALU_DEP_2) | instskip(NEXT) | instid1(VALU_DEP_2)
	v_cndmask_b32_e32 v27, 0, v69, vcc_lo
	v_cndmask_b32_e64 v28, 0, v70, s1
	s_delay_alu instid0(VALU_DEP_1) | instskip(SKIP_1) | instid1(VALU_DEP_2)
	v_add_f64_e32 v[69:70], 1.0, v[27:28]
	v_cmp_neq_f64_e64 s1, 0x7ff00000, v[27:28]
	v_frexp_mant_f64_e32 v[71:72], v[69:70]
	v_frexp_exp_i32_f64_e32 v75, v[69:70]
	v_add_f64_e32 v[73:74], -1.0, v[69:70]
	s_delay_alu instid0(VALU_DEP_3) | instskip(SKIP_1) | instid1(VALU_DEP_2)
	v_cmp_gt_f64_e32 vcc_lo, s[8:9], v[71:72]
	s_mov_b32 s8, 0x55555780
	v_add_f64_e64 v[71:72], v[73:74], -v[69:70]
	v_add_f64_e64 v[73:74], v[27:28], -v[73:74]
	s_wait_alu 0xfffd
	v_subrev_co_ci_u32_e64 v109, null, 0, v75, vcc_lo
	s_delay_alu instid0(VALU_DEP_3) | instskip(SKIP_1) | instid1(VALU_DEP_3)
	v_add_f64_e32 v[71:72], 1.0, v[71:72]
	v_cmp_nge_f64_e32 vcc_lo, -1.0, v[27:28]
	v_sub_nc_u32_e32 v77, 0, v109
	s_delay_alu instid0(VALU_DEP_1) | instskip(NEXT) | instid1(VALU_DEP_4)
	v_ldexp_f64 v[69:70], v[69:70], v77
	v_add_f64_e32 v[71:72], v[73:74], v[71:72]
	s_and_b32 vcc_lo, vcc_lo, s1
	s_delay_alu instid0(VALU_DEP_2) | instskip(SKIP_1) | instid1(VALU_DEP_3)
	v_add_f64_e32 v[75:76], 1.0, v[69:70]
	v_add_f64_e32 v[81:82], -1.0, v[69:70]
	v_ldexp_f64 v[71:72], v[71:72], v77
	s_delay_alu instid0(VALU_DEP_3) | instskip(NEXT) | instid1(VALU_DEP_3)
	v_add_f64_e32 v[73:74], -1.0, v[75:76]
	v_add_f64_e32 v[101:102], 1.0, v[81:82]
	s_delay_alu instid0(VALU_DEP_2) | instskip(NEXT) | instid1(VALU_DEP_2)
	v_add_f64_e64 v[73:74], v[69:70], -v[73:74]
	v_add_f64_e64 v[69:70], v[69:70], -v[101:102]
	s_delay_alu instid0(VALU_DEP_2) | instskip(NEXT) | instid1(VALU_DEP_2)
	v_add_f64_e32 v[73:74], v[71:72], v[73:74]
	v_add_f64_e32 v[69:70], v[71:72], v[69:70]
	s_delay_alu instid0(VALU_DEP_2) | instskip(NEXT) | instid1(VALU_DEP_2)
	v_add_f64_e32 v[77:78], v[75:76], v[73:74]
	v_add_f64_e32 v[101:102], v[81:82], v[69:70]
	s_delay_alu instid0(VALU_DEP_2) | instskip(SKIP_1) | instid1(VALU_DEP_2)
	v_rcp_f64_e32 v[79:80], v[77:78]
	v_add_f64_e64 v[75:76], v[77:78], -v[75:76]
	v_add_f64_e64 v[81:82], v[101:102], -v[81:82]
	s_delay_alu instid0(VALU_DEP_2) | instskip(NEXT) | instid1(TRANS32_DEP_1)
	v_add_f64_e64 v[73:74], v[73:74], -v[75:76]
	v_fma_f64 v[103:104], -v[77:78], v[79:80], 1.0
	s_delay_alu instid0(VALU_DEP_3) | instskip(NEXT) | instid1(VALU_DEP_2)
	v_add_f64_e64 v[69:70], v[69:70], -v[81:82]
	v_fma_f64 v[79:80], v[103:104], v[79:80], v[79:80]
	s_delay_alu instid0(VALU_DEP_1) | instskip(NEXT) | instid1(VALU_DEP_1)
	v_fma_f64 v[71:72], -v[77:78], v[79:80], 1.0
	v_fma_f64 v[71:72], v[71:72], v[79:80], v[79:80]
	s_delay_alu instid0(VALU_DEP_1) | instskip(NEXT) | instid1(VALU_DEP_1)
	v_mul_f64_e32 v[79:80], v[101:102], v[71:72]
	v_mul_f64_e32 v[103:104], v[77:78], v[79:80]
	s_delay_alu instid0(VALU_DEP_1) | instskip(NEXT) | instid1(VALU_DEP_1)
	v_fma_f64 v[75:76], v[79:80], v[77:78], -v[103:104]
	v_fma_f64 v[75:76], v[79:80], v[73:74], v[75:76]
	s_delay_alu instid0(VALU_DEP_1) | instskip(NEXT) | instid1(VALU_DEP_1)
	v_add_f64_e32 v[105:106], v[103:104], v[75:76]
	v_add_f64_e64 v[107:108], v[101:102], -v[105:106]
	v_add_f64_e64 v[81:82], v[105:106], -v[103:104]
	s_delay_alu instid0(VALU_DEP_2) | instskip(NEXT) | instid1(VALU_DEP_2)
	v_add_f64_e64 v[101:102], v[101:102], -v[107:108]
	v_add_f64_e64 v[75:76], v[81:82], -v[75:76]
	s_delay_alu instid0(VALU_DEP_2) | instskip(NEXT) | instid1(VALU_DEP_1)
	v_add_f64_e64 v[101:102], v[101:102], -v[105:106]
	v_add_f64_e32 v[69:70], v[69:70], v[101:102]
	s_delay_alu instid0(VALU_DEP_1) | instskip(NEXT) | instid1(VALU_DEP_1)
	v_add_f64_e32 v[69:70], v[75:76], v[69:70]
	v_add_f64_e32 v[75:76], v[107:108], v[69:70]
	s_delay_alu instid0(VALU_DEP_1) | instskip(SKIP_1) | instid1(VALU_DEP_2)
	v_mul_f64_e32 v[81:82], v[71:72], v[75:76]
	v_add_f64_e64 v[105:106], v[107:108], -v[75:76]
	v_mul_f64_e32 v[101:102], v[77:78], v[81:82]
	s_delay_alu instid0(VALU_DEP_2) | instskip(NEXT) | instid1(VALU_DEP_2)
	v_add_f64_e32 v[69:70], v[69:70], v[105:106]
	v_fma_f64 v[77:78], v[81:82], v[77:78], -v[101:102]
	s_delay_alu instid0(VALU_DEP_1) | instskip(NEXT) | instid1(VALU_DEP_1)
	v_fma_f64 v[73:74], v[81:82], v[73:74], v[77:78]
	v_add_f64_e32 v[77:78], v[101:102], v[73:74]
	s_delay_alu instid0(VALU_DEP_1) | instskip(SKIP_1) | instid1(VALU_DEP_2)
	v_add_f64_e64 v[103:104], v[75:76], -v[77:78]
	v_add_f64_e64 v[101:102], v[77:78], -v[101:102]
	;; [unrolled: 1-line block ×3, first 2 shown]
	s_delay_alu instid0(VALU_DEP_2) | instskip(NEXT) | instid1(VALU_DEP_2)
	v_add_f64_e64 v[73:74], v[101:102], -v[73:74]
	v_add_f64_e64 v[75:76], v[75:76], -v[77:78]
	s_delay_alu instid0(VALU_DEP_1) | instskip(SKIP_1) | instid1(VALU_DEP_2)
	v_add_f64_e32 v[69:70], v[69:70], v[75:76]
	v_add_f64_e32 v[75:76], v[79:80], v[81:82]
	v_add_f64_e32 v[69:70], v[73:74], v[69:70]
	s_delay_alu instid0(VALU_DEP_2) | instskip(NEXT) | instid1(VALU_DEP_2)
	v_add_f64_e64 v[73:74], v[75:76], -v[79:80]
	v_add_f64_e32 v[69:70], v[103:104], v[69:70]
	s_delay_alu instid0(VALU_DEP_2) | instskip(NEXT) | instid1(VALU_DEP_2)
	v_add_f64_e64 v[73:74], v[81:82], -v[73:74]
	v_mul_f64_e32 v[69:70], v[71:72], v[69:70]
	s_delay_alu instid0(VALU_DEP_1) | instskip(NEXT) | instid1(VALU_DEP_1)
	v_add_f64_e32 v[69:70], v[73:74], v[69:70]
	v_add_f64_e32 v[71:72], v[75:76], v[69:70]
	s_delay_alu instid0(VALU_DEP_1) | instskip(NEXT) | instid1(VALU_DEP_1)
	v_mul_f64_e32 v[73:74], v[71:72], v[71:72]
	v_fma_f64 v[77:78], v[73:74], s[18:19], s[12:13]
	s_mov_b32 s12, 0xd7f4df2e
	s_mov_b32 s13, 0x3fc7474d
	v_mul_f64_e32 v[79:80], v[71:72], v[73:74]
	s_wait_alu 0xfffe
	s_delay_alu instid0(VALU_DEP_2) | instskip(SKIP_3) | instid1(VALU_DEP_1)
	v_fma_f64 v[77:78], v[73:74], v[77:78], s[12:13]
	s_mov_b32 s12, 0x16291751
	s_mov_b32 s13, 0x3fcc71c0
	s_wait_alu 0xfffe
	v_fma_f64 v[77:78], v[73:74], v[77:78], s[12:13]
	s_mov_b32 s12, 0x9b27acf1
	s_mov_b32 s13, 0x3fd24924
	s_wait_alu 0xfffe
	s_delay_alu instid0(VALU_DEP_1) | instskip(SKIP_3) | instid1(VALU_DEP_1)
	v_fma_f64 v[77:78], v[73:74], v[77:78], s[12:13]
	s_mov_b32 s12, 0x998ef7b6
	s_mov_b32 s13, 0x3fd99999
	s_wait_alu 0xfffe
	v_fma_f64 v[77:78], v[73:74], v[77:78], s[12:13]
	s_delay_alu instid0(VALU_DEP_1) | instskip(SKIP_2) | instid1(VALU_DEP_3)
	v_fma_f64 v[73:74], v[73:74], v[77:78], s[8:9]
	v_ldexp_f64 v[77:78], v[71:72], 1
	v_add_f64_e64 v[71:72], v[71:72], -v[75:76]
	v_mul_f64_e32 v[73:74], v[79:80], v[73:74]
	v_cvt_f64_i32_e32 v[79:80], v109
	s_delay_alu instid0(VALU_DEP_3) | instskip(NEXT) | instid1(VALU_DEP_3)
	v_add_f64_e64 v[69:70], v[69:70], -v[71:72]
	v_add_f64_e32 v[75:76], v[77:78], v[73:74]
	s_delay_alu instid0(VALU_DEP_3) | instskip(NEXT) | instid1(VALU_DEP_3)
	v_mul_f64_e32 v[81:82], s[4:5], v[79:80]
	v_ldexp_f64 v[69:70], v[69:70], 1
	s_delay_alu instid0(VALU_DEP_3) | instskip(NEXT) | instid1(VALU_DEP_3)
	v_add_f64_e64 v[71:72], v[75:76], -v[77:78]
	v_fma_f64 v[77:78], v[79:80], s[4:5], -v[81:82]
	v_cmp_ngt_f64_e64 s4, -1.0, v[27:28]
	s_delay_alu instid0(VALU_DEP_3) | instskip(NEXT) | instid1(VALU_DEP_3)
	v_add_f64_e64 v[71:72], v[73:74], -v[71:72]
	v_fma_f64 v[73:74], v[79:80], s[6:7], v[77:78]
	s_delay_alu instid0(VALU_DEP_2) | instskip(NEXT) | instid1(VALU_DEP_2)
	v_add_f64_e32 v[69:70], v[69:70], v[71:72]
	v_add_f64_e32 v[71:72], v[81:82], v[73:74]
	s_delay_alu instid0(VALU_DEP_2) | instskip(NEXT) | instid1(VALU_DEP_2)
	v_add_f64_e32 v[77:78], v[75:76], v[69:70]
	v_add_f64_e64 v[81:82], v[71:72], -v[81:82]
	s_delay_alu instid0(VALU_DEP_2) | instskip(SKIP_1) | instid1(VALU_DEP_3)
	v_add_f64_e32 v[79:80], v[71:72], v[77:78]
	v_add_f64_e64 v[75:76], v[77:78], -v[75:76]
	v_add_f64_e64 v[73:74], v[73:74], -v[81:82]
	s_delay_alu instid0(VALU_DEP_3) | instskip(NEXT) | instid1(VALU_DEP_3)
	v_add_f64_e64 v[101:102], v[79:80], -v[71:72]
	v_add_f64_e64 v[69:70], v[69:70], -v[75:76]
	s_delay_alu instid0(VALU_DEP_2) | instskip(SKIP_1) | instid1(VALU_DEP_3)
	v_add_f64_e64 v[103:104], v[79:80], -v[101:102]
	v_add_f64_e64 v[75:76], v[77:78], -v[101:102]
	v_add_f64_e32 v[77:78], v[73:74], v[69:70]
	s_delay_alu instid0(VALU_DEP_3) | instskip(NEXT) | instid1(VALU_DEP_1)
	v_add_f64_e64 v[71:72], v[71:72], -v[103:104]
	v_add_f64_e32 v[71:72], v[75:76], v[71:72]
	s_delay_alu instid0(VALU_DEP_3) | instskip(NEXT) | instid1(VALU_DEP_2)
	v_add_f64_e64 v[75:76], v[77:78], -v[73:74]
	v_add_f64_e32 v[71:72], v[77:78], v[71:72]
	s_delay_alu instid0(VALU_DEP_2) | instskip(SKIP_1) | instid1(VALU_DEP_3)
	v_add_f64_e64 v[77:78], v[77:78], -v[75:76]
	v_add_f64_e64 v[69:70], v[69:70], -v[75:76]
	v_add_f64_e32 v[81:82], v[79:80], v[71:72]
	s_delay_alu instid0(VALU_DEP_3) | instskip(NEXT) | instid1(VALU_DEP_2)
	v_add_f64_e64 v[73:74], v[73:74], -v[77:78]
	v_add_f64_e64 v[75:76], v[81:82], -v[79:80]
	s_delay_alu instid0(VALU_DEP_2) | instskip(NEXT) | instid1(VALU_DEP_2)
	v_add_f64_e32 v[69:70], v[69:70], v[73:74]
	v_add_f64_e64 v[71:72], v[71:72], -v[75:76]
	s_delay_alu instid0(VALU_DEP_1) | instskip(NEXT) | instid1(VALU_DEP_1)
	v_add_f64_e32 v[69:70], v[69:70], v[71:72]
	v_add_f64_e32 v[69:70], v[81:82], v[69:70]
	s_delay_alu instid0(VALU_DEP_1) | instskip(SKIP_1) | instid1(VALU_DEP_3)
	v_cndmask_b32_e32 v69, 0, v69, vcc_lo
	v_cmp_neq_f64_e32 vcc_lo, -1.0, v[27:28]
	v_cndmask_b32_e64 v70, 0x7ff00000, v70, s1
	s_wait_alu 0xf1ff
	s_delay_alu instid0(VALU_DEP_1) | instskip(SKIP_1) | instid1(VALU_DEP_1)
	v_cndmask_b32_e64 v70, 0x7ff80000, v70, s4
	s_wait_alu 0xfffd
	v_cndmask_b32_e32 v70, 0xfff00000, v70, vcc_lo
	s_delay_alu instid0(VALU_DEP_1)
	v_add_f64_e32 v[27:28], v[29:30], v[69:70]
.LBB71_187:
	s_wait_alu 0xfffe
	s_or_b32 exec_lo, exec_lo, s10
	s_delay_alu instid0(VALU_DEP_1) | instskip(SKIP_1) | instid1(VALU_DEP_2)
	v_max_num_f64_e32 v[29:30], v[27:28], v[27:28]
	v_cmp_u_f64_e32 vcc_lo, v[27:28], v[27:28]
	v_min_num_f64_e32 v[69:70], v[29:30], v[31:32]
	v_max_num_f64_e32 v[29:30], v[29:30], v[31:32]
	s_wait_alu 0xfffd
	s_delay_alu instid0(VALU_DEP_2) | instskip(NEXT) | instid1(VALU_DEP_2)
	v_dual_cndmask_b32 v31, v69, v27 :: v_dual_cndmask_b32 v32, v70, v28
	v_dual_cndmask_b32 v30, v30, v28 :: v_dual_cndmask_b32 v29, v29, v27
	s_delay_alu instid0(VALU_DEP_2) | instskip(NEXT) | instid1(VALU_DEP_3)
	v_cndmask_b32_e64 v69, v31, v41, s14
	v_cndmask_b32_e64 v70, v32, v42, s14
	s_delay_alu instid0(VALU_DEP_3) | instskip(NEXT) | instid1(VALU_DEP_4)
	v_cndmask_b32_e64 v32, v30, v42, s14
	v_cndmask_b32_e64 v31, v29, v41, s14
	v_dual_mov_b32 v30, v28 :: v_dual_mov_b32 v29, v27
	s_delay_alu instid0(VALU_DEP_4) | instskip(NEXT) | instid1(VALU_DEP_3)
	v_cmp_class_f64_e64 s1, v[69:70], 0x1f8
	v_cmp_neq_f64_e32 vcc_lo, v[69:70], v[31:32]
	s_or_b32 s1, vcc_lo, s1
	s_wait_alu 0xfffe
	s_and_saveexec_b32 s10, s1
	s_cbranch_execz .LBB71_189
; %bb.188:
	v_add_f64_e64 v[29:30], v[69:70], -v[31:32]
	s_mov_b32 s4, 0x652b82fe
	s_mov_b32 s5, 0x3ff71547
	;; [unrolled: 1-line block ×10, first 2 shown]
	s_wait_alu 0xfffe
	s_delay_alu instid0(VALU_DEP_1) | instskip(SKIP_4) | instid1(VALU_DEP_3)
	v_mul_f64_e32 v[69:70], s[4:5], v[29:30]
	s_mov_b32 s5, 0xbfe62e42
	s_mov_b32 s4, 0xfefa39ef
	v_cmp_nlt_f64_e32 vcc_lo, 0x40900000, v[29:30]
	v_cmp_ngt_f64_e64 s1, 0xc090cc00, v[29:30]
	v_rndne_f64_e32 v[69:70], v[69:70]
	s_wait_alu 0xfffe
	s_delay_alu instid0(VALU_DEP_1) | instskip(SKIP_2) | instid1(VALU_DEP_2)
	v_fma_f64 v[71:72], v[69:70], s[4:5], v[29:30]
	v_cvt_i32_f64_e32 v75, v[69:70]
	s_mov_b32 s5, 0x3fe62e42
	v_fma_f64 v[71:72], v[69:70], s[6:7], v[71:72]
	s_mov_b32 s7, 0x3c7abc9e
	s_delay_alu instid0(VALU_DEP_1)
	v_fma_f64 v[73:74], v[71:72], s[12:13], s[8:9]
	s_mov_b32 s8, 0x623fde64
	s_mov_b32 s9, 0x3ec71dee
	;; [unrolled: 1-line block ×4, first 2 shown]
	s_wait_alu 0xfffe
	s_delay_alu instid0(VALU_DEP_1) | instskip(SKIP_3) | instid1(VALU_DEP_1)
	v_fma_f64 v[73:74], v[71:72], v[73:74], s[8:9]
	s_mov_b32 s8, 0x7c89e6b0
	s_mov_b32 s9, 0x3efa0199
	s_wait_alu 0xfffe
	v_fma_f64 v[73:74], v[71:72], v[73:74], s[8:9]
	s_mov_b32 s8, 0x14761f6e
	s_mov_b32 s9, 0x3f2a01a0
	s_wait_alu 0xfffe
	s_delay_alu instid0(VALU_DEP_1) | instskip(SKIP_3) | instid1(VALU_DEP_1)
	v_fma_f64 v[73:74], v[71:72], v[73:74], s[8:9]
	s_mov_b32 s8, 0x1852b7b0
	s_mov_b32 s9, 0x3f56c16c
	s_wait_alu 0xfffe
	v_fma_f64 v[73:74], v[71:72], v[73:74], s[8:9]
	s_mov_b32 s8, 0x11122322
	s_mov_b32 s9, 0x3f811111
	;; [unrolled: 9-line block ×4, first 2 shown]
	s_delay_alu instid0(VALU_DEP_1) | instskip(NEXT) | instid1(VALU_DEP_1)
	v_fma_f64 v[73:74], v[71:72], v[73:74], 1.0
	v_fma_f64 v[69:70], v[71:72], v[73:74], 1.0
	s_delay_alu instid0(VALU_DEP_1) | instskip(SKIP_1) | instid1(VALU_DEP_1)
	v_ldexp_f64 v[69:70], v[69:70], v75
	s_wait_alu 0xfffd
	v_cndmask_b32_e32 v70, 0x7ff00000, v70, vcc_lo
	s_and_b32 vcc_lo, s1, vcc_lo
	s_wait_alu 0xfffe
	s_delay_alu instid0(VALU_DEP_2) | instskip(NEXT) | instid1(VALU_DEP_2)
	v_cndmask_b32_e32 v29, 0, v69, vcc_lo
	v_cndmask_b32_e64 v30, 0, v70, s1
	s_delay_alu instid0(VALU_DEP_1) | instskip(SKIP_1) | instid1(VALU_DEP_2)
	v_add_f64_e32 v[69:70], 1.0, v[29:30]
	v_cmp_neq_f64_e64 s1, 0x7ff00000, v[29:30]
	v_frexp_mant_f64_e32 v[71:72], v[69:70]
	v_frexp_exp_i32_f64_e32 v75, v[69:70]
	v_add_f64_e32 v[73:74], -1.0, v[69:70]
	s_delay_alu instid0(VALU_DEP_3) | instskip(SKIP_1) | instid1(VALU_DEP_2)
	v_cmp_gt_f64_e32 vcc_lo, s[8:9], v[71:72]
	s_mov_b32 s8, 0x55555780
	v_add_f64_e64 v[71:72], v[73:74], -v[69:70]
	v_add_f64_e64 v[73:74], v[29:30], -v[73:74]
	s_wait_alu 0xfffd
	v_subrev_co_ci_u32_e64 v109, null, 0, v75, vcc_lo
	s_delay_alu instid0(VALU_DEP_3) | instskip(SKIP_1) | instid1(VALU_DEP_3)
	v_add_f64_e32 v[71:72], 1.0, v[71:72]
	v_cmp_nge_f64_e32 vcc_lo, -1.0, v[29:30]
	v_sub_nc_u32_e32 v77, 0, v109
	s_delay_alu instid0(VALU_DEP_1) | instskip(NEXT) | instid1(VALU_DEP_4)
	v_ldexp_f64 v[69:70], v[69:70], v77
	v_add_f64_e32 v[71:72], v[73:74], v[71:72]
	s_and_b32 vcc_lo, vcc_lo, s1
	s_delay_alu instid0(VALU_DEP_2) | instskip(SKIP_1) | instid1(VALU_DEP_3)
	v_add_f64_e32 v[75:76], 1.0, v[69:70]
	v_add_f64_e32 v[81:82], -1.0, v[69:70]
	v_ldexp_f64 v[71:72], v[71:72], v77
	s_delay_alu instid0(VALU_DEP_3) | instskip(NEXT) | instid1(VALU_DEP_3)
	v_add_f64_e32 v[73:74], -1.0, v[75:76]
	v_add_f64_e32 v[101:102], 1.0, v[81:82]
	s_delay_alu instid0(VALU_DEP_2) | instskip(NEXT) | instid1(VALU_DEP_2)
	v_add_f64_e64 v[73:74], v[69:70], -v[73:74]
	v_add_f64_e64 v[69:70], v[69:70], -v[101:102]
	s_delay_alu instid0(VALU_DEP_2) | instskip(NEXT) | instid1(VALU_DEP_2)
	v_add_f64_e32 v[73:74], v[71:72], v[73:74]
	v_add_f64_e32 v[69:70], v[71:72], v[69:70]
	s_delay_alu instid0(VALU_DEP_2) | instskip(NEXT) | instid1(VALU_DEP_2)
	v_add_f64_e32 v[77:78], v[75:76], v[73:74]
	v_add_f64_e32 v[101:102], v[81:82], v[69:70]
	s_delay_alu instid0(VALU_DEP_2) | instskip(SKIP_1) | instid1(VALU_DEP_2)
	v_rcp_f64_e32 v[79:80], v[77:78]
	v_add_f64_e64 v[75:76], v[77:78], -v[75:76]
	v_add_f64_e64 v[81:82], v[101:102], -v[81:82]
	s_delay_alu instid0(VALU_DEP_2) | instskip(NEXT) | instid1(TRANS32_DEP_1)
	v_add_f64_e64 v[73:74], v[73:74], -v[75:76]
	v_fma_f64 v[103:104], -v[77:78], v[79:80], 1.0
	s_delay_alu instid0(VALU_DEP_3) | instskip(NEXT) | instid1(VALU_DEP_2)
	v_add_f64_e64 v[69:70], v[69:70], -v[81:82]
	v_fma_f64 v[79:80], v[103:104], v[79:80], v[79:80]
	s_delay_alu instid0(VALU_DEP_1) | instskip(NEXT) | instid1(VALU_DEP_1)
	v_fma_f64 v[71:72], -v[77:78], v[79:80], 1.0
	v_fma_f64 v[71:72], v[71:72], v[79:80], v[79:80]
	s_delay_alu instid0(VALU_DEP_1) | instskip(NEXT) | instid1(VALU_DEP_1)
	v_mul_f64_e32 v[79:80], v[101:102], v[71:72]
	v_mul_f64_e32 v[103:104], v[77:78], v[79:80]
	s_delay_alu instid0(VALU_DEP_1) | instskip(NEXT) | instid1(VALU_DEP_1)
	v_fma_f64 v[75:76], v[79:80], v[77:78], -v[103:104]
	v_fma_f64 v[75:76], v[79:80], v[73:74], v[75:76]
	s_delay_alu instid0(VALU_DEP_1) | instskip(NEXT) | instid1(VALU_DEP_1)
	v_add_f64_e32 v[105:106], v[103:104], v[75:76]
	v_add_f64_e64 v[107:108], v[101:102], -v[105:106]
	v_add_f64_e64 v[81:82], v[105:106], -v[103:104]
	s_delay_alu instid0(VALU_DEP_2) | instskip(NEXT) | instid1(VALU_DEP_2)
	v_add_f64_e64 v[101:102], v[101:102], -v[107:108]
	v_add_f64_e64 v[75:76], v[81:82], -v[75:76]
	s_delay_alu instid0(VALU_DEP_2) | instskip(NEXT) | instid1(VALU_DEP_1)
	v_add_f64_e64 v[101:102], v[101:102], -v[105:106]
	v_add_f64_e32 v[69:70], v[69:70], v[101:102]
	s_delay_alu instid0(VALU_DEP_1) | instskip(NEXT) | instid1(VALU_DEP_1)
	v_add_f64_e32 v[69:70], v[75:76], v[69:70]
	v_add_f64_e32 v[75:76], v[107:108], v[69:70]
	s_delay_alu instid0(VALU_DEP_1) | instskip(SKIP_1) | instid1(VALU_DEP_2)
	v_mul_f64_e32 v[81:82], v[71:72], v[75:76]
	v_add_f64_e64 v[105:106], v[107:108], -v[75:76]
	v_mul_f64_e32 v[101:102], v[77:78], v[81:82]
	s_delay_alu instid0(VALU_DEP_2) | instskip(NEXT) | instid1(VALU_DEP_2)
	v_add_f64_e32 v[69:70], v[69:70], v[105:106]
	v_fma_f64 v[77:78], v[81:82], v[77:78], -v[101:102]
	s_delay_alu instid0(VALU_DEP_1) | instskip(NEXT) | instid1(VALU_DEP_1)
	v_fma_f64 v[73:74], v[81:82], v[73:74], v[77:78]
	v_add_f64_e32 v[77:78], v[101:102], v[73:74]
	s_delay_alu instid0(VALU_DEP_1) | instskip(SKIP_1) | instid1(VALU_DEP_2)
	v_add_f64_e64 v[103:104], v[75:76], -v[77:78]
	v_add_f64_e64 v[101:102], v[77:78], -v[101:102]
	;; [unrolled: 1-line block ×3, first 2 shown]
	s_delay_alu instid0(VALU_DEP_2) | instskip(NEXT) | instid1(VALU_DEP_2)
	v_add_f64_e64 v[73:74], v[101:102], -v[73:74]
	v_add_f64_e64 v[75:76], v[75:76], -v[77:78]
	s_delay_alu instid0(VALU_DEP_1) | instskip(SKIP_1) | instid1(VALU_DEP_2)
	v_add_f64_e32 v[69:70], v[69:70], v[75:76]
	v_add_f64_e32 v[75:76], v[79:80], v[81:82]
	;; [unrolled: 1-line block ×3, first 2 shown]
	s_delay_alu instid0(VALU_DEP_2) | instskip(NEXT) | instid1(VALU_DEP_2)
	v_add_f64_e64 v[73:74], v[75:76], -v[79:80]
	v_add_f64_e32 v[69:70], v[103:104], v[69:70]
	s_delay_alu instid0(VALU_DEP_2) | instskip(NEXT) | instid1(VALU_DEP_2)
	v_add_f64_e64 v[73:74], v[81:82], -v[73:74]
	v_mul_f64_e32 v[69:70], v[71:72], v[69:70]
	s_delay_alu instid0(VALU_DEP_1) | instskip(NEXT) | instid1(VALU_DEP_1)
	v_add_f64_e32 v[69:70], v[73:74], v[69:70]
	v_add_f64_e32 v[71:72], v[75:76], v[69:70]
	s_delay_alu instid0(VALU_DEP_1) | instskip(NEXT) | instid1(VALU_DEP_1)
	v_mul_f64_e32 v[73:74], v[71:72], v[71:72]
	v_fma_f64 v[77:78], v[73:74], s[18:19], s[12:13]
	s_mov_b32 s12, 0xd7f4df2e
	s_mov_b32 s13, 0x3fc7474d
	v_mul_f64_e32 v[79:80], v[71:72], v[73:74]
	s_wait_alu 0xfffe
	s_delay_alu instid0(VALU_DEP_2) | instskip(SKIP_3) | instid1(VALU_DEP_1)
	v_fma_f64 v[77:78], v[73:74], v[77:78], s[12:13]
	s_mov_b32 s12, 0x16291751
	s_mov_b32 s13, 0x3fcc71c0
	s_wait_alu 0xfffe
	v_fma_f64 v[77:78], v[73:74], v[77:78], s[12:13]
	s_mov_b32 s12, 0x9b27acf1
	s_mov_b32 s13, 0x3fd24924
	s_wait_alu 0xfffe
	s_delay_alu instid0(VALU_DEP_1) | instskip(SKIP_3) | instid1(VALU_DEP_1)
	v_fma_f64 v[77:78], v[73:74], v[77:78], s[12:13]
	s_mov_b32 s12, 0x998ef7b6
	s_mov_b32 s13, 0x3fd99999
	s_wait_alu 0xfffe
	v_fma_f64 v[77:78], v[73:74], v[77:78], s[12:13]
	s_delay_alu instid0(VALU_DEP_1) | instskip(SKIP_2) | instid1(VALU_DEP_3)
	v_fma_f64 v[73:74], v[73:74], v[77:78], s[8:9]
	v_ldexp_f64 v[77:78], v[71:72], 1
	v_add_f64_e64 v[71:72], v[71:72], -v[75:76]
	v_mul_f64_e32 v[73:74], v[79:80], v[73:74]
	v_cvt_f64_i32_e32 v[79:80], v109
	s_delay_alu instid0(VALU_DEP_3) | instskip(NEXT) | instid1(VALU_DEP_3)
	v_add_f64_e64 v[69:70], v[69:70], -v[71:72]
	v_add_f64_e32 v[75:76], v[77:78], v[73:74]
	s_delay_alu instid0(VALU_DEP_3) | instskip(NEXT) | instid1(VALU_DEP_3)
	v_mul_f64_e32 v[81:82], s[4:5], v[79:80]
	v_ldexp_f64 v[69:70], v[69:70], 1
	s_delay_alu instid0(VALU_DEP_3) | instskip(NEXT) | instid1(VALU_DEP_3)
	v_add_f64_e64 v[71:72], v[75:76], -v[77:78]
	v_fma_f64 v[77:78], v[79:80], s[4:5], -v[81:82]
	v_cmp_ngt_f64_e64 s4, -1.0, v[29:30]
	s_delay_alu instid0(VALU_DEP_3) | instskip(NEXT) | instid1(VALU_DEP_3)
	v_add_f64_e64 v[71:72], v[73:74], -v[71:72]
	v_fma_f64 v[73:74], v[79:80], s[6:7], v[77:78]
	s_delay_alu instid0(VALU_DEP_2) | instskip(NEXT) | instid1(VALU_DEP_2)
	v_add_f64_e32 v[69:70], v[69:70], v[71:72]
	v_add_f64_e32 v[71:72], v[81:82], v[73:74]
	s_delay_alu instid0(VALU_DEP_2) | instskip(NEXT) | instid1(VALU_DEP_2)
	v_add_f64_e32 v[77:78], v[75:76], v[69:70]
	v_add_f64_e64 v[81:82], v[71:72], -v[81:82]
	s_delay_alu instid0(VALU_DEP_2) | instskip(SKIP_1) | instid1(VALU_DEP_3)
	v_add_f64_e32 v[79:80], v[71:72], v[77:78]
	v_add_f64_e64 v[75:76], v[77:78], -v[75:76]
	v_add_f64_e64 v[73:74], v[73:74], -v[81:82]
	s_delay_alu instid0(VALU_DEP_3) | instskip(NEXT) | instid1(VALU_DEP_3)
	v_add_f64_e64 v[101:102], v[79:80], -v[71:72]
	v_add_f64_e64 v[69:70], v[69:70], -v[75:76]
	s_delay_alu instid0(VALU_DEP_2) | instskip(SKIP_1) | instid1(VALU_DEP_3)
	v_add_f64_e64 v[103:104], v[79:80], -v[101:102]
	v_add_f64_e64 v[75:76], v[77:78], -v[101:102]
	v_add_f64_e32 v[77:78], v[73:74], v[69:70]
	s_delay_alu instid0(VALU_DEP_3) | instskip(NEXT) | instid1(VALU_DEP_1)
	v_add_f64_e64 v[71:72], v[71:72], -v[103:104]
	v_add_f64_e32 v[71:72], v[75:76], v[71:72]
	s_delay_alu instid0(VALU_DEP_3) | instskip(NEXT) | instid1(VALU_DEP_2)
	v_add_f64_e64 v[75:76], v[77:78], -v[73:74]
	v_add_f64_e32 v[71:72], v[77:78], v[71:72]
	s_delay_alu instid0(VALU_DEP_2) | instskip(SKIP_1) | instid1(VALU_DEP_3)
	v_add_f64_e64 v[77:78], v[77:78], -v[75:76]
	v_add_f64_e64 v[69:70], v[69:70], -v[75:76]
	v_add_f64_e32 v[81:82], v[79:80], v[71:72]
	s_delay_alu instid0(VALU_DEP_3) | instskip(NEXT) | instid1(VALU_DEP_2)
	v_add_f64_e64 v[73:74], v[73:74], -v[77:78]
	v_add_f64_e64 v[75:76], v[81:82], -v[79:80]
	s_delay_alu instid0(VALU_DEP_2) | instskip(NEXT) | instid1(VALU_DEP_2)
	v_add_f64_e32 v[69:70], v[69:70], v[73:74]
	v_add_f64_e64 v[71:72], v[71:72], -v[75:76]
	s_delay_alu instid0(VALU_DEP_1) | instskip(NEXT) | instid1(VALU_DEP_1)
	v_add_f64_e32 v[69:70], v[69:70], v[71:72]
	v_add_f64_e32 v[69:70], v[81:82], v[69:70]
	s_delay_alu instid0(VALU_DEP_1) | instskip(SKIP_1) | instid1(VALU_DEP_3)
	v_cndmask_b32_e32 v69, 0, v69, vcc_lo
	v_cmp_neq_f64_e32 vcc_lo, -1.0, v[29:30]
	v_cndmask_b32_e64 v70, 0x7ff00000, v70, s1
	s_wait_alu 0xf1ff
	s_delay_alu instid0(VALU_DEP_1) | instskip(SKIP_1) | instid1(VALU_DEP_1)
	v_cndmask_b32_e64 v70, 0x7ff80000, v70, s4
	s_wait_alu 0xfffd
	v_cndmask_b32_e32 v70, 0xfff00000, v70, vcc_lo
	s_delay_alu instid0(VALU_DEP_1)
	v_add_f64_e32 v[29:30], v[31:32], v[69:70]
.LBB71_189:
	s_wait_alu 0xfffe
	s_or_b32 exec_lo, exec_lo, s10
	s_delay_alu instid0(VALU_DEP_1) | instskip(SKIP_1) | instid1(VALU_DEP_2)
	v_max_num_f64_e32 v[31:32], v[29:30], v[29:30]
	v_cmp_u_f64_e32 vcc_lo, v[29:30], v[29:30]
	v_min_num_f64_e32 v[69:70], v[31:32], v[33:34]
	v_max_num_f64_e32 v[31:32], v[31:32], v[33:34]
	s_wait_alu 0xfffd
	s_delay_alu instid0(VALU_DEP_2) | instskip(NEXT) | instid1(VALU_DEP_2)
	v_dual_cndmask_b32 v33, v69, v29 :: v_dual_cndmask_b32 v34, v70, v30
	v_dual_cndmask_b32 v32, v32, v30 :: v_dual_cndmask_b32 v31, v31, v29
	s_delay_alu instid0(VALU_DEP_2) | instskip(NEXT) | instid1(VALU_DEP_3)
	v_cndmask_b32_e64 v69, v33, v43, s15
	v_cndmask_b32_e64 v70, v34, v44, s15
	s_delay_alu instid0(VALU_DEP_3) | instskip(NEXT) | instid1(VALU_DEP_4)
	v_cndmask_b32_e64 v34, v32, v44, s15
	v_cndmask_b32_e64 v33, v31, v43, s15
	v_dual_mov_b32 v32, v30 :: v_dual_mov_b32 v31, v29
	s_delay_alu instid0(VALU_DEP_4) | instskip(NEXT) | instid1(VALU_DEP_3)
	v_cmp_class_f64_e64 s1, v[69:70], 0x1f8
	v_cmp_neq_f64_e32 vcc_lo, v[69:70], v[33:34]
	s_or_b32 s1, vcc_lo, s1
	s_wait_alu 0xfffe
	s_and_saveexec_b32 s10, s1
	s_cbranch_execz .LBB71_191
; %bb.190:
	v_add_f64_e64 v[31:32], v[69:70], -v[33:34]
	s_mov_b32 s4, 0x652b82fe
	s_mov_b32 s5, 0x3ff71547
	;; [unrolled: 1-line block ×10, first 2 shown]
	s_wait_alu 0xfffe
	s_delay_alu instid0(VALU_DEP_1) | instskip(SKIP_4) | instid1(VALU_DEP_3)
	v_mul_f64_e32 v[69:70], s[4:5], v[31:32]
	s_mov_b32 s5, 0xbfe62e42
	s_mov_b32 s4, 0xfefa39ef
	v_cmp_nlt_f64_e32 vcc_lo, 0x40900000, v[31:32]
	v_cmp_ngt_f64_e64 s1, 0xc090cc00, v[31:32]
	v_rndne_f64_e32 v[69:70], v[69:70]
	s_wait_alu 0xfffe
	s_delay_alu instid0(VALU_DEP_1) | instskip(SKIP_2) | instid1(VALU_DEP_2)
	v_fma_f64 v[71:72], v[69:70], s[4:5], v[31:32]
	v_cvt_i32_f64_e32 v75, v[69:70]
	s_mov_b32 s5, 0x3fe62e42
	v_fma_f64 v[71:72], v[69:70], s[6:7], v[71:72]
	s_mov_b32 s7, 0x3c7abc9e
	s_delay_alu instid0(VALU_DEP_1)
	v_fma_f64 v[73:74], v[71:72], s[12:13], s[8:9]
	s_mov_b32 s8, 0x623fde64
	s_mov_b32 s9, 0x3ec71dee
	;; [unrolled: 1-line block ×4, first 2 shown]
	s_wait_alu 0xfffe
	s_delay_alu instid0(VALU_DEP_1) | instskip(SKIP_3) | instid1(VALU_DEP_1)
	v_fma_f64 v[73:74], v[71:72], v[73:74], s[8:9]
	s_mov_b32 s8, 0x7c89e6b0
	s_mov_b32 s9, 0x3efa0199
	s_wait_alu 0xfffe
	v_fma_f64 v[73:74], v[71:72], v[73:74], s[8:9]
	s_mov_b32 s8, 0x14761f6e
	s_mov_b32 s9, 0x3f2a01a0
	s_wait_alu 0xfffe
	s_delay_alu instid0(VALU_DEP_1) | instskip(SKIP_3) | instid1(VALU_DEP_1)
	v_fma_f64 v[73:74], v[71:72], v[73:74], s[8:9]
	s_mov_b32 s8, 0x1852b7b0
	s_mov_b32 s9, 0x3f56c16c
	s_wait_alu 0xfffe
	v_fma_f64 v[73:74], v[71:72], v[73:74], s[8:9]
	s_mov_b32 s8, 0x11122322
	s_mov_b32 s9, 0x3f811111
	;; [unrolled: 9-line block ×4, first 2 shown]
	s_delay_alu instid0(VALU_DEP_1) | instskip(NEXT) | instid1(VALU_DEP_1)
	v_fma_f64 v[73:74], v[71:72], v[73:74], 1.0
	v_fma_f64 v[69:70], v[71:72], v[73:74], 1.0
	s_delay_alu instid0(VALU_DEP_1) | instskip(SKIP_1) | instid1(VALU_DEP_1)
	v_ldexp_f64 v[69:70], v[69:70], v75
	s_wait_alu 0xfffd
	v_cndmask_b32_e32 v70, 0x7ff00000, v70, vcc_lo
	s_and_b32 vcc_lo, s1, vcc_lo
	s_wait_alu 0xfffe
	s_delay_alu instid0(VALU_DEP_2) | instskip(NEXT) | instid1(VALU_DEP_2)
	v_cndmask_b32_e32 v31, 0, v69, vcc_lo
	v_cndmask_b32_e64 v32, 0, v70, s1
	s_delay_alu instid0(VALU_DEP_1) | instskip(SKIP_1) | instid1(VALU_DEP_2)
	v_add_f64_e32 v[69:70], 1.0, v[31:32]
	v_cmp_neq_f64_e64 s1, 0x7ff00000, v[31:32]
	v_frexp_mant_f64_e32 v[71:72], v[69:70]
	v_frexp_exp_i32_f64_e32 v75, v[69:70]
	v_add_f64_e32 v[73:74], -1.0, v[69:70]
	s_delay_alu instid0(VALU_DEP_3) | instskip(SKIP_1) | instid1(VALU_DEP_2)
	v_cmp_gt_f64_e32 vcc_lo, s[8:9], v[71:72]
	s_mov_b32 s8, 0x55555780
	v_add_f64_e64 v[71:72], v[73:74], -v[69:70]
	v_add_f64_e64 v[73:74], v[31:32], -v[73:74]
	s_wait_alu 0xfffd
	v_subrev_co_ci_u32_e64 v109, null, 0, v75, vcc_lo
	s_delay_alu instid0(VALU_DEP_3) | instskip(SKIP_1) | instid1(VALU_DEP_3)
	v_add_f64_e32 v[71:72], 1.0, v[71:72]
	v_cmp_nge_f64_e32 vcc_lo, -1.0, v[31:32]
	v_sub_nc_u32_e32 v77, 0, v109
	s_delay_alu instid0(VALU_DEP_1) | instskip(NEXT) | instid1(VALU_DEP_4)
	v_ldexp_f64 v[69:70], v[69:70], v77
	v_add_f64_e32 v[71:72], v[73:74], v[71:72]
	s_and_b32 vcc_lo, vcc_lo, s1
	s_delay_alu instid0(VALU_DEP_2) | instskip(SKIP_1) | instid1(VALU_DEP_3)
	v_add_f64_e32 v[75:76], 1.0, v[69:70]
	v_add_f64_e32 v[81:82], -1.0, v[69:70]
	v_ldexp_f64 v[71:72], v[71:72], v77
	s_delay_alu instid0(VALU_DEP_3) | instskip(NEXT) | instid1(VALU_DEP_3)
	v_add_f64_e32 v[73:74], -1.0, v[75:76]
	v_add_f64_e32 v[101:102], 1.0, v[81:82]
	s_delay_alu instid0(VALU_DEP_2) | instskip(NEXT) | instid1(VALU_DEP_2)
	v_add_f64_e64 v[73:74], v[69:70], -v[73:74]
	v_add_f64_e64 v[69:70], v[69:70], -v[101:102]
	s_delay_alu instid0(VALU_DEP_2) | instskip(NEXT) | instid1(VALU_DEP_2)
	v_add_f64_e32 v[73:74], v[71:72], v[73:74]
	v_add_f64_e32 v[69:70], v[71:72], v[69:70]
	s_delay_alu instid0(VALU_DEP_2) | instskip(NEXT) | instid1(VALU_DEP_2)
	v_add_f64_e32 v[77:78], v[75:76], v[73:74]
	v_add_f64_e32 v[101:102], v[81:82], v[69:70]
	s_delay_alu instid0(VALU_DEP_2) | instskip(SKIP_1) | instid1(VALU_DEP_2)
	v_rcp_f64_e32 v[79:80], v[77:78]
	v_add_f64_e64 v[75:76], v[77:78], -v[75:76]
	v_add_f64_e64 v[81:82], v[101:102], -v[81:82]
	s_delay_alu instid0(VALU_DEP_2) | instskip(NEXT) | instid1(TRANS32_DEP_1)
	v_add_f64_e64 v[73:74], v[73:74], -v[75:76]
	v_fma_f64 v[103:104], -v[77:78], v[79:80], 1.0
	s_delay_alu instid0(VALU_DEP_3) | instskip(NEXT) | instid1(VALU_DEP_2)
	v_add_f64_e64 v[69:70], v[69:70], -v[81:82]
	v_fma_f64 v[79:80], v[103:104], v[79:80], v[79:80]
	s_delay_alu instid0(VALU_DEP_1) | instskip(NEXT) | instid1(VALU_DEP_1)
	v_fma_f64 v[71:72], -v[77:78], v[79:80], 1.0
	v_fma_f64 v[71:72], v[71:72], v[79:80], v[79:80]
	s_delay_alu instid0(VALU_DEP_1) | instskip(NEXT) | instid1(VALU_DEP_1)
	v_mul_f64_e32 v[79:80], v[101:102], v[71:72]
	v_mul_f64_e32 v[103:104], v[77:78], v[79:80]
	s_delay_alu instid0(VALU_DEP_1) | instskip(NEXT) | instid1(VALU_DEP_1)
	v_fma_f64 v[75:76], v[79:80], v[77:78], -v[103:104]
	v_fma_f64 v[75:76], v[79:80], v[73:74], v[75:76]
	s_delay_alu instid0(VALU_DEP_1) | instskip(NEXT) | instid1(VALU_DEP_1)
	v_add_f64_e32 v[105:106], v[103:104], v[75:76]
	v_add_f64_e64 v[107:108], v[101:102], -v[105:106]
	v_add_f64_e64 v[81:82], v[105:106], -v[103:104]
	s_delay_alu instid0(VALU_DEP_2) | instskip(NEXT) | instid1(VALU_DEP_2)
	v_add_f64_e64 v[101:102], v[101:102], -v[107:108]
	v_add_f64_e64 v[75:76], v[81:82], -v[75:76]
	s_delay_alu instid0(VALU_DEP_2) | instskip(NEXT) | instid1(VALU_DEP_1)
	v_add_f64_e64 v[101:102], v[101:102], -v[105:106]
	v_add_f64_e32 v[69:70], v[69:70], v[101:102]
	s_delay_alu instid0(VALU_DEP_1) | instskip(NEXT) | instid1(VALU_DEP_1)
	v_add_f64_e32 v[69:70], v[75:76], v[69:70]
	v_add_f64_e32 v[75:76], v[107:108], v[69:70]
	s_delay_alu instid0(VALU_DEP_1) | instskip(SKIP_1) | instid1(VALU_DEP_2)
	v_mul_f64_e32 v[81:82], v[71:72], v[75:76]
	v_add_f64_e64 v[105:106], v[107:108], -v[75:76]
	v_mul_f64_e32 v[101:102], v[77:78], v[81:82]
	s_delay_alu instid0(VALU_DEP_2) | instskip(NEXT) | instid1(VALU_DEP_2)
	v_add_f64_e32 v[69:70], v[69:70], v[105:106]
	v_fma_f64 v[77:78], v[81:82], v[77:78], -v[101:102]
	s_delay_alu instid0(VALU_DEP_1) | instskip(NEXT) | instid1(VALU_DEP_1)
	v_fma_f64 v[73:74], v[81:82], v[73:74], v[77:78]
	v_add_f64_e32 v[77:78], v[101:102], v[73:74]
	s_delay_alu instid0(VALU_DEP_1) | instskip(SKIP_1) | instid1(VALU_DEP_2)
	v_add_f64_e64 v[103:104], v[75:76], -v[77:78]
	v_add_f64_e64 v[101:102], v[77:78], -v[101:102]
	;; [unrolled: 1-line block ×3, first 2 shown]
	s_delay_alu instid0(VALU_DEP_2) | instskip(NEXT) | instid1(VALU_DEP_2)
	v_add_f64_e64 v[73:74], v[101:102], -v[73:74]
	v_add_f64_e64 v[75:76], v[75:76], -v[77:78]
	s_delay_alu instid0(VALU_DEP_1) | instskip(SKIP_1) | instid1(VALU_DEP_2)
	v_add_f64_e32 v[69:70], v[69:70], v[75:76]
	v_add_f64_e32 v[75:76], v[79:80], v[81:82]
	;; [unrolled: 1-line block ×3, first 2 shown]
	s_delay_alu instid0(VALU_DEP_2) | instskip(NEXT) | instid1(VALU_DEP_2)
	v_add_f64_e64 v[73:74], v[75:76], -v[79:80]
	v_add_f64_e32 v[69:70], v[103:104], v[69:70]
	s_delay_alu instid0(VALU_DEP_2) | instskip(NEXT) | instid1(VALU_DEP_2)
	v_add_f64_e64 v[73:74], v[81:82], -v[73:74]
	v_mul_f64_e32 v[69:70], v[71:72], v[69:70]
	s_delay_alu instid0(VALU_DEP_1) | instskip(NEXT) | instid1(VALU_DEP_1)
	v_add_f64_e32 v[69:70], v[73:74], v[69:70]
	v_add_f64_e32 v[71:72], v[75:76], v[69:70]
	s_delay_alu instid0(VALU_DEP_1) | instskip(NEXT) | instid1(VALU_DEP_1)
	v_mul_f64_e32 v[73:74], v[71:72], v[71:72]
	v_fma_f64 v[77:78], v[73:74], s[14:15], s[12:13]
	s_mov_b32 s12, 0xd7f4df2e
	s_mov_b32 s13, 0x3fc7474d
	v_mul_f64_e32 v[79:80], v[71:72], v[73:74]
	s_wait_alu 0xfffe
	s_delay_alu instid0(VALU_DEP_2) | instskip(SKIP_3) | instid1(VALU_DEP_1)
	v_fma_f64 v[77:78], v[73:74], v[77:78], s[12:13]
	s_mov_b32 s12, 0x16291751
	s_mov_b32 s13, 0x3fcc71c0
	s_wait_alu 0xfffe
	v_fma_f64 v[77:78], v[73:74], v[77:78], s[12:13]
	s_mov_b32 s12, 0x9b27acf1
	s_mov_b32 s13, 0x3fd24924
	s_wait_alu 0xfffe
	s_delay_alu instid0(VALU_DEP_1) | instskip(SKIP_3) | instid1(VALU_DEP_1)
	v_fma_f64 v[77:78], v[73:74], v[77:78], s[12:13]
	s_mov_b32 s12, 0x998ef7b6
	s_mov_b32 s13, 0x3fd99999
	s_wait_alu 0xfffe
	v_fma_f64 v[77:78], v[73:74], v[77:78], s[12:13]
	s_delay_alu instid0(VALU_DEP_1) | instskip(SKIP_2) | instid1(VALU_DEP_3)
	v_fma_f64 v[73:74], v[73:74], v[77:78], s[8:9]
	v_ldexp_f64 v[77:78], v[71:72], 1
	v_add_f64_e64 v[71:72], v[71:72], -v[75:76]
	v_mul_f64_e32 v[73:74], v[79:80], v[73:74]
	v_cvt_f64_i32_e32 v[79:80], v109
	s_delay_alu instid0(VALU_DEP_3) | instskip(NEXT) | instid1(VALU_DEP_3)
	v_add_f64_e64 v[69:70], v[69:70], -v[71:72]
	v_add_f64_e32 v[75:76], v[77:78], v[73:74]
	s_delay_alu instid0(VALU_DEP_3) | instskip(NEXT) | instid1(VALU_DEP_3)
	v_mul_f64_e32 v[81:82], s[4:5], v[79:80]
	v_ldexp_f64 v[69:70], v[69:70], 1
	s_delay_alu instid0(VALU_DEP_3) | instskip(NEXT) | instid1(VALU_DEP_3)
	v_add_f64_e64 v[71:72], v[75:76], -v[77:78]
	v_fma_f64 v[77:78], v[79:80], s[4:5], -v[81:82]
	v_cmp_ngt_f64_e64 s4, -1.0, v[31:32]
	s_delay_alu instid0(VALU_DEP_3) | instskip(NEXT) | instid1(VALU_DEP_3)
	v_add_f64_e64 v[71:72], v[73:74], -v[71:72]
	v_fma_f64 v[73:74], v[79:80], s[6:7], v[77:78]
	s_delay_alu instid0(VALU_DEP_2) | instskip(NEXT) | instid1(VALU_DEP_2)
	v_add_f64_e32 v[69:70], v[69:70], v[71:72]
	v_add_f64_e32 v[71:72], v[81:82], v[73:74]
	s_delay_alu instid0(VALU_DEP_2) | instskip(NEXT) | instid1(VALU_DEP_2)
	v_add_f64_e32 v[77:78], v[75:76], v[69:70]
	v_add_f64_e64 v[81:82], v[71:72], -v[81:82]
	s_delay_alu instid0(VALU_DEP_2) | instskip(SKIP_1) | instid1(VALU_DEP_3)
	v_add_f64_e32 v[79:80], v[71:72], v[77:78]
	v_add_f64_e64 v[75:76], v[77:78], -v[75:76]
	v_add_f64_e64 v[73:74], v[73:74], -v[81:82]
	s_delay_alu instid0(VALU_DEP_3) | instskip(NEXT) | instid1(VALU_DEP_3)
	v_add_f64_e64 v[101:102], v[79:80], -v[71:72]
	v_add_f64_e64 v[69:70], v[69:70], -v[75:76]
	s_delay_alu instid0(VALU_DEP_2) | instskip(SKIP_1) | instid1(VALU_DEP_3)
	v_add_f64_e64 v[103:104], v[79:80], -v[101:102]
	v_add_f64_e64 v[75:76], v[77:78], -v[101:102]
	v_add_f64_e32 v[77:78], v[73:74], v[69:70]
	s_delay_alu instid0(VALU_DEP_3) | instskip(NEXT) | instid1(VALU_DEP_1)
	v_add_f64_e64 v[71:72], v[71:72], -v[103:104]
	v_add_f64_e32 v[71:72], v[75:76], v[71:72]
	s_delay_alu instid0(VALU_DEP_3) | instskip(NEXT) | instid1(VALU_DEP_2)
	v_add_f64_e64 v[75:76], v[77:78], -v[73:74]
	v_add_f64_e32 v[71:72], v[77:78], v[71:72]
	s_delay_alu instid0(VALU_DEP_2) | instskip(SKIP_1) | instid1(VALU_DEP_3)
	v_add_f64_e64 v[77:78], v[77:78], -v[75:76]
	v_add_f64_e64 v[69:70], v[69:70], -v[75:76]
	v_add_f64_e32 v[81:82], v[79:80], v[71:72]
	s_delay_alu instid0(VALU_DEP_3) | instskip(NEXT) | instid1(VALU_DEP_2)
	v_add_f64_e64 v[73:74], v[73:74], -v[77:78]
	v_add_f64_e64 v[75:76], v[81:82], -v[79:80]
	s_delay_alu instid0(VALU_DEP_2) | instskip(NEXT) | instid1(VALU_DEP_2)
	v_add_f64_e32 v[69:70], v[69:70], v[73:74]
	v_add_f64_e64 v[71:72], v[71:72], -v[75:76]
	s_delay_alu instid0(VALU_DEP_1) | instskip(NEXT) | instid1(VALU_DEP_1)
	v_add_f64_e32 v[69:70], v[69:70], v[71:72]
	v_add_f64_e32 v[69:70], v[81:82], v[69:70]
	s_delay_alu instid0(VALU_DEP_1) | instskip(SKIP_1) | instid1(VALU_DEP_3)
	v_cndmask_b32_e32 v69, 0, v69, vcc_lo
	v_cmp_neq_f64_e32 vcc_lo, -1.0, v[31:32]
	v_cndmask_b32_e64 v70, 0x7ff00000, v70, s1
	s_wait_alu 0xf1ff
	s_delay_alu instid0(VALU_DEP_1) | instskip(SKIP_1) | instid1(VALU_DEP_1)
	v_cndmask_b32_e64 v70, 0x7ff80000, v70, s4
	s_wait_alu 0xfffd
	v_cndmask_b32_e32 v70, 0xfff00000, v70, vcc_lo
	s_delay_alu instid0(VALU_DEP_1)
	v_add_f64_e32 v[31:32], v[33:34], v[69:70]
.LBB71_191:
	s_wait_alu 0xfffe
	s_or_b32 exec_lo, exec_lo, s10
	s_delay_alu instid0(VALU_DEP_1) | instskip(SKIP_1) | instid1(VALU_DEP_2)
	v_max_num_f64_e32 v[33:34], v[31:32], v[31:32]
	v_cmp_u_f64_e32 vcc_lo, v[31:32], v[31:32]
	v_min_num_f64_e32 v[69:70], v[33:34], v[35:36]
	v_max_num_f64_e32 v[33:34], v[33:34], v[35:36]
	s_wait_alu 0xfffd
	s_delay_alu instid0(VALU_DEP_2) | instskip(NEXT) | instid1(VALU_DEP_2)
	v_dual_cndmask_b32 v35, v69, v31 :: v_dual_cndmask_b32 v36, v70, v32
	v_dual_cndmask_b32 v34, v34, v32 :: v_dual_cndmask_b32 v33, v33, v31
	s_delay_alu instid0(VALU_DEP_2) | instskip(NEXT) | instid1(VALU_DEP_3)
	v_cndmask_b32_e64 v69, v35, v37, s16
	v_cndmask_b32_e64 v70, v36, v38, s16
	s_delay_alu instid0(VALU_DEP_3) | instskip(NEXT) | instid1(VALU_DEP_4)
	v_cndmask_b32_e64 v36, v34, v38, s16
	v_cndmask_b32_e64 v35, v33, v37, s16
	v_dual_mov_b32 v34, v32 :: v_dual_mov_b32 v33, v31
	s_delay_alu instid0(VALU_DEP_4) | instskip(NEXT) | instid1(VALU_DEP_3)
	v_cmp_class_f64_e64 s1, v[69:70], 0x1f8
	v_cmp_neq_f64_e32 vcc_lo, v[69:70], v[35:36]
	s_or_b32 s1, vcc_lo, s1
	s_wait_alu 0xfffe
	s_and_saveexec_b32 s10, s1
	s_cbranch_execz .LBB71_193
; %bb.192:
	v_add_f64_e64 v[33:34], v[69:70], -v[35:36]
	s_mov_b32 s4, 0x652b82fe
	s_mov_b32 s5, 0x3ff71547
	;; [unrolled: 1-line block ×10, first 2 shown]
	s_wait_alu 0xfffe
	s_delay_alu instid0(VALU_DEP_1) | instskip(SKIP_4) | instid1(VALU_DEP_3)
	v_mul_f64_e32 v[69:70], s[4:5], v[33:34]
	s_mov_b32 s5, 0xbfe62e42
	s_mov_b32 s4, 0xfefa39ef
	v_cmp_nlt_f64_e32 vcc_lo, 0x40900000, v[33:34]
	v_cmp_ngt_f64_e64 s1, 0xc090cc00, v[33:34]
	v_rndne_f64_e32 v[69:70], v[69:70]
	s_wait_alu 0xfffe
	s_delay_alu instid0(VALU_DEP_1) | instskip(SKIP_2) | instid1(VALU_DEP_2)
	v_fma_f64 v[71:72], v[69:70], s[4:5], v[33:34]
	v_cvt_i32_f64_e32 v75, v[69:70]
	s_mov_b32 s5, 0x3fe62e42
	v_fma_f64 v[71:72], v[69:70], s[6:7], v[71:72]
	s_mov_b32 s7, 0x3c7abc9e
	s_delay_alu instid0(VALU_DEP_1)
	v_fma_f64 v[73:74], v[71:72], s[12:13], s[8:9]
	s_mov_b32 s8, 0x623fde64
	s_mov_b32 s9, 0x3ec71dee
	;; [unrolled: 1-line block ×4, first 2 shown]
	s_wait_alu 0xfffe
	s_delay_alu instid0(VALU_DEP_1) | instskip(SKIP_3) | instid1(VALU_DEP_1)
	v_fma_f64 v[73:74], v[71:72], v[73:74], s[8:9]
	s_mov_b32 s8, 0x7c89e6b0
	s_mov_b32 s9, 0x3efa0199
	s_wait_alu 0xfffe
	v_fma_f64 v[73:74], v[71:72], v[73:74], s[8:9]
	s_mov_b32 s8, 0x14761f6e
	s_mov_b32 s9, 0x3f2a01a0
	s_wait_alu 0xfffe
	s_delay_alu instid0(VALU_DEP_1) | instskip(SKIP_3) | instid1(VALU_DEP_1)
	v_fma_f64 v[73:74], v[71:72], v[73:74], s[8:9]
	s_mov_b32 s8, 0x1852b7b0
	s_mov_b32 s9, 0x3f56c16c
	s_wait_alu 0xfffe
	v_fma_f64 v[73:74], v[71:72], v[73:74], s[8:9]
	s_mov_b32 s8, 0x11122322
	s_mov_b32 s9, 0x3f811111
	;; [unrolled: 9-line block ×4, first 2 shown]
	s_delay_alu instid0(VALU_DEP_1) | instskip(NEXT) | instid1(VALU_DEP_1)
	v_fma_f64 v[73:74], v[71:72], v[73:74], 1.0
	v_fma_f64 v[69:70], v[71:72], v[73:74], 1.0
	s_delay_alu instid0(VALU_DEP_1) | instskip(SKIP_1) | instid1(VALU_DEP_1)
	v_ldexp_f64 v[69:70], v[69:70], v75
	s_wait_alu 0xfffd
	v_cndmask_b32_e32 v70, 0x7ff00000, v70, vcc_lo
	s_and_b32 vcc_lo, s1, vcc_lo
	s_wait_alu 0xfffe
	s_delay_alu instid0(VALU_DEP_2) | instskip(NEXT) | instid1(VALU_DEP_2)
	v_cndmask_b32_e32 v33, 0, v69, vcc_lo
	v_cndmask_b32_e64 v34, 0, v70, s1
	s_delay_alu instid0(VALU_DEP_1) | instskip(SKIP_1) | instid1(VALU_DEP_2)
	v_add_f64_e32 v[69:70], 1.0, v[33:34]
	v_cmp_neq_f64_e64 s1, 0x7ff00000, v[33:34]
	v_frexp_mant_f64_e32 v[71:72], v[69:70]
	v_frexp_exp_i32_f64_e32 v75, v[69:70]
	v_add_f64_e32 v[73:74], -1.0, v[69:70]
	s_delay_alu instid0(VALU_DEP_3) | instskip(SKIP_1) | instid1(VALU_DEP_2)
	v_cmp_gt_f64_e32 vcc_lo, s[8:9], v[71:72]
	s_mov_b32 s8, 0x55555780
	v_add_f64_e64 v[71:72], v[73:74], -v[69:70]
	v_add_f64_e64 v[73:74], v[33:34], -v[73:74]
	s_wait_alu 0xfffd
	v_subrev_co_ci_u32_e64 v109, null, 0, v75, vcc_lo
	s_delay_alu instid0(VALU_DEP_3) | instskip(SKIP_1) | instid1(VALU_DEP_3)
	v_add_f64_e32 v[71:72], 1.0, v[71:72]
	v_cmp_nge_f64_e32 vcc_lo, -1.0, v[33:34]
	v_sub_nc_u32_e32 v77, 0, v109
	s_delay_alu instid0(VALU_DEP_1) | instskip(NEXT) | instid1(VALU_DEP_4)
	v_ldexp_f64 v[69:70], v[69:70], v77
	v_add_f64_e32 v[71:72], v[73:74], v[71:72]
	s_and_b32 vcc_lo, vcc_lo, s1
	s_delay_alu instid0(VALU_DEP_2) | instskip(SKIP_1) | instid1(VALU_DEP_3)
	v_add_f64_e32 v[75:76], 1.0, v[69:70]
	v_add_f64_e32 v[81:82], -1.0, v[69:70]
	v_ldexp_f64 v[71:72], v[71:72], v77
	s_delay_alu instid0(VALU_DEP_3) | instskip(NEXT) | instid1(VALU_DEP_3)
	v_add_f64_e32 v[73:74], -1.0, v[75:76]
	v_add_f64_e32 v[101:102], 1.0, v[81:82]
	s_delay_alu instid0(VALU_DEP_2) | instskip(NEXT) | instid1(VALU_DEP_2)
	v_add_f64_e64 v[73:74], v[69:70], -v[73:74]
	v_add_f64_e64 v[69:70], v[69:70], -v[101:102]
	s_delay_alu instid0(VALU_DEP_2) | instskip(NEXT) | instid1(VALU_DEP_2)
	v_add_f64_e32 v[73:74], v[71:72], v[73:74]
	v_add_f64_e32 v[69:70], v[71:72], v[69:70]
	s_delay_alu instid0(VALU_DEP_2) | instskip(NEXT) | instid1(VALU_DEP_2)
	v_add_f64_e32 v[77:78], v[75:76], v[73:74]
	v_add_f64_e32 v[101:102], v[81:82], v[69:70]
	s_delay_alu instid0(VALU_DEP_2) | instskip(SKIP_1) | instid1(VALU_DEP_2)
	v_rcp_f64_e32 v[79:80], v[77:78]
	v_add_f64_e64 v[75:76], v[77:78], -v[75:76]
	v_add_f64_e64 v[81:82], v[101:102], -v[81:82]
	s_delay_alu instid0(VALU_DEP_2) | instskip(NEXT) | instid1(TRANS32_DEP_1)
	v_add_f64_e64 v[73:74], v[73:74], -v[75:76]
	v_fma_f64 v[103:104], -v[77:78], v[79:80], 1.0
	s_delay_alu instid0(VALU_DEP_3) | instskip(NEXT) | instid1(VALU_DEP_2)
	v_add_f64_e64 v[69:70], v[69:70], -v[81:82]
	v_fma_f64 v[79:80], v[103:104], v[79:80], v[79:80]
	s_delay_alu instid0(VALU_DEP_1) | instskip(NEXT) | instid1(VALU_DEP_1)
	v_fma_f64 v[71:72], -v[77:78], v[79:80], 1.0
	v_fma_f64 v[71:72], v[71:72], v[79:80], v[79:80]
	s_delay_alu instid0(VALU_DEP_1) | instskip(NEXT) | instid1(VALU_DEP_1)
	v_mul_f64_e32 v[79:80], v[101:102], v[71:72]
	v_mul_f64_e32 v[103:104], v[77:78], v[79:80]
	s_delay_alu instid0(VALU_DEP_1) | instskip(NEXT) | instid1(VALU_DEP_1)
	v_fma_f64 v[75:76], v[79:80], v[77:78], -v[103:104]
	v_fma_f64 v[75:76], v[79:80], v[73:74], v[75:76]
	s_delay_alu instid0(VALU_DEP_1) | instskip(NEXT) | instid1(VALU_DEP_1)
	v_add_f64_e32 v[105:106], v[103:104], v[75:76]
	v_add_f64_e64 v[107:108], v[101:102], -v[105:106]
	v_add_f64_e64 v[81:82], v[105:106], -v[103:104]
	s_delay_alu instid0(VALU_DEP_2) | instskip(NEXT) | instid1(VALU_DEP_2)
	v_add_f64_e64 v[101:102], v[101:102], -v[107:108]
	v_add_f64_e64 v[75:76], v[81:82], -v[75:76]
	s_delay_alu instid0(VALU_DEP_2) | instskip(NEXT) | instid1(VALU_DEP_1)
	v_add_f64_e64 v[101:102], v[101:102], -v[105:106]
	v_add_f64_e32 v[69:70], v[69:70], v[101:102]
	s_delay_alu instid0(VALU_DEP_1) | instskip(NEXT) | instid1(VALU_DEP_1)
	v_add_f64_e32 v[69:70], v[75:76], v[69:70]
	v_add_f64_e32 v[75:76], v[107:108], v[69:70]
	s_delay_alu instid0(VALU_DEP_1) | instskip(SKIP_1) | instid1(VALU_DEP_2)
	v_mul_f64_e32 v[81:82], v[71:72], v[75:76]
	v_add_f64_e64 v[105:106], v[107:108], -v[75:76]
	v_mul_f64_e32 v[101:102], v[77:78], v[81:82]
	s_delay_alu instid0(VALU_DEP_2) | instskip(NEXT) | instid1(VALU_DEP_2)
	v_add_f64_e32 v[69:70], v[69:70], v[105:106]
	v_fma_f64 v[77:78], v[81:82], v[77:78], -v[101:102]
	s_delay_alu instid0(VALU_DEP_1) | instskip(NEXT) | instid1(VALU_DEP_1)
	v_fma_f64 v[73:74], v[81:82], v[73:74], v[77:78]
	v_add_f64_e32 v[77:78], v[101:102], v[73:74]
	s_delay_alu instid0(VALU_DEP_1) | instskip(SKIP_1) | instid1(VALU_DEP_2)
	v_add_f64_e64 v[103:104], v[75:76], -v[77:78]
	v_add_f64_e64 v[101:102], v[77:78], -v[101:102]
	;; [unrolled: 1-line block ×3, first 2 shown]
	s_delay_alu instid0(VALU_DEP_2) | instskip(NEXT) | instid1(VALU_DEP_2)
	v_add_f64_e64 v[73:74], v[101:102], -v[73:74]
	v_add_f64_e64 v[75:76], v[75:76], -v[77:78]
	s_delay_alu instid0(VALU_DEP_1) | instskip(SKIP_1) | instid1(VALU_DEP_2)
	v_add_f64_e32 v[69:70], v[69:70], v[75:76]
	v_add_f64_e32 v[75:76], v[79:80], v[81:82]
	;; [unrolled: 1-line block ×3, first 2 shown]
	s_delay_alu instid0(VALU_DEP_2) | instskip(NEXT) | instid1(VALU_DEP_2)
	v_add_f64_e64 v[73:74], v[75:76], -v[79:80]
	v_add_f64_e32 v[69:70], v[103:104], v[69:70]
	s_delay_alu instid0(VALU_DEP_2) | instskip(NEXT) | instid1(VALU_DEP_2)
	v_add_f64_e64 v[73:74], v[81:82], -v[73:74]
	v_mul_f64_e32 v[69:70], v[71:72], v[69:70]
	s_delay_alu instid0(VALU_DEP_1) | instskip(NEXT) | instid1(VALU_DEP_1)
	v_add_f64_e32 v[69:70], v[73:74], v[69:70]
	v_add_f64_e32 v[71:72], v[75:76], v[69:70]
	s_delay_alu instid0(VALU_DEP_1) | instskip(NEXT) | instid1(VALU_DEP_1)
	v_mul_f64_e32 v[73:74], v[71:72], v[71:72]
	v_fma_f64 v[77:78], v[73:74], s[14:15], s[12:13]
	s_mov_b32 s12, 0xd7f4df2e
	s_mov_b32 s13, 0x3fc7474d
	v_mul_f64_e32 v[79:80], v[71:72], v[73:74]
	s_wait_alu 0xfffe
	s_delay_alu instid0(VALU_DEP_2) | instskip(SKIP_3) | instid1(VALU_DEP_1)
	v_fma_f64 v[77:78], v[73:74], v[77:78], s[12:13]
	s_mov_b32 s12, 0x16291751
	s_mov_b32 s13, 0x3fcc71c0
	s_wait_alu 0xfffe
	v_fma_f64 v[77:78], v[73:74], v[77:78], s[12:13]
	s_mov_b32 s12, 0x9b27acf1
	s_mov_b32 s13, 0x3fd24924
	s_wait_alu 0xfffe
	s_delay_alu instid0(VALU_DEP_1) | instskip(SKIP_3) | instid1(VALU_DEP_1)
	v_fma_f64 v[77:78], v[73:74], v[77:78], s[12:13]
	s_mov_b32 s12, 0x998ef7b6
	s_mov_b32 s13, 0x3fd99999
	s_wait_alu 0xfffe
	v_fma_f64 v[77:78], v[73:74], v[77:78], s[12:13]
	s_delay_alu instid0(VALU_DEP_1) | instskip(SKIP_2) | instid1(VALU_DEP_3)
	v_fma_f64 v[73:74], v[73:74], v[77:78], s[8:9]
	v_ldexp_f64 v[77:78], v[71:72], 1
	v_add_f64_e64 v[71:72], v[71:72], -v[75:76]
	v_mul_f64_e32 v[73:74], v[79:80], v[73:74]
	v_cvt_f64_i32_e32 v[79:80], v109
	s_delay_alu instid0(VALU_DEP_3) | instskip(NEXT) | instid1(VALU_DEP_3)
	v_add_f64_e64 v[69:70], v[69:70], -v[71:72]
	v_add_f64_e32 v[75:76], v[77:78], v[73:74]
	s_delay_alu instid0(VALU_DEP_3) | instskip(NEXT) | instid1(VALU_DEP_3)
	v_mul_f64_e32 v[81:82], s[4:5], v[79:80]
	v_ldexp_f64 v[69:70], v[69:70], 1
	s_delay_alu instid0(VALU_DEP_3) | instskip(NEXT) | instid1(VALU_DEP_3)
	v_add_f64_e64 v[71:72], v[75:76], -v[77:78]
	v_fma_f64 v[77:78], v[79:80], s[4:5], -v[81:82]
	v_cmp_ngt_f64_e64 s4, -1.0, v[33:34]
	s_delay_alu instid0(VALU_DEP_3) | instskip(NEXT) | instid1(VALU_DEP_3)
	v_add_f64_e64 v[71:72], v[73:74], -v[71:72]
	v_fma_f64 v[73:74], v[79:80], s[6:7], v[77:78]
	s_delay_alu instid0(VALU_DEP_2) | instskip(NEXT) | instid1(VALU_DEP_2)
	v_add_f64_e32 v[69:70], v[69:70], v[71:72]
	v_add_f64_e32 v[71:72], v[81:82], v[73:74]
	s_delay_alu instid0(VALU_DEP_2) | instskip(NEXT) | instid1(VALU_DEP_2)
	v_add_f64_e32 v[77:78], v[75:76], v[69:70]
	v_add_f64_e64 v[81:82], v[71:72], -v[81:82]
	s_delay_alu instid0(VALU_DEP_2) | instskip(SKIP_1) | instid1(VALU_DEP_3)
	v_add_f64_e32 v[79:80], v[71:72], v[77:78]
	v_add_f64_e64 v[75:76], v[77:78], -v[75:76]
	v_add_f64_e64 v[73:74], v[73:74], -v[81:82]
	s_delay_alu instid0(VALU_DEP_3) | instskip(NEXT) | instid1(VALU_DEP_3)
	v_add_f64_e64 v[101:102], v[79:80], -v[71:72]
	v_add_f64_e64 v[69:70], v[69:70], -v[75:76]
	s_delay_alu instid0(VALU_DEP_2) | instskip(SKIP_1) | instid1(VALU_DEP_3)
	v_add_f64_e64 v[103:104], v[79:80], -v[101:102]
	v_add_f64_e64 v[75:76], v[77:78], -v[101:102]
	v_add_f64_e32 v[77:78], v[73:74], v[69:70]
	s_delay_alu instid0(VALU_DEP_3) | instskip(NEXT) | instid1(VALU_DEP_1)
	v_add_f64_e64 v[71:72], v[71:72], -v[103:104]
	v_add_f64_e32 v[71:72], v[75:76], v[71:72]
	s_delay_alu instid0(VALU_DEP_3) | instskip(NEXT) | instid1(VALU_DEP_2)
	v_add_f64_e64 v[75:76], v[77:78], -v[73:74]
	v_add_f64_e32 v[71:72], v[77:78], v[71:72]
	s_delay_alu instid0(VALU_DEP_2) | instskip(SKIP_1) | instid1(VALU_DEP_3)
	v_add_f64_e64 v[77:78], v[77:78], -v[75:76]
	v_add_f64_e64 v[69:70], v[69:70], -v[75:76]
	v_add_f64_e32 v[81:82], v[79:80], v[71:72]
	s_delay_alu instid0(VALU_DEP_3) | instskip(NEXT) | instid1(VALU_DEP_2)
	v_add_f64_e64 v[73:74], v[73:74], -v[77:78]
	v_add_f64_e64 v[75:76], v[81:82], -v[79:80]
	s_delay_alu instid0(VALU_DEP_2) | instskip(NEXT) | instid1(VALU_DEP_2)
	v_add_f64_e32 v[69:70], v[69:70], v[73:74]
	v_add_f64_e64 v[71:72], v[71:72], -v[75:76]
	s_delay_alu instid0(VALU_DEP_1) | instskip(NEXT) | instid1(VALU_DEP_1)
	v_add_f64_e32 v[69:70], v[69:70], v[71:72]
	v_add_f64_e32 v[69:70], v[81:82], v[69:70]
	s_delay_alu instid0(VALU_DEP_1) | instskip(SKIP_1) | instid1(VALU_DEP_3)
	v_cndmask_b32_e32 v69, 0, v69, vcc_lo
	v_cmp_neq_f64_e32 vcc_lo, -1.0, v[33:34]
	v_cndmask_b32_e64 v70, 0x7ff00000, v70, s1
	s_wait_alu 0xf1ff
	s_delay_alu instid0(VALU_DEP_1) | instskip(SKIP_1) | instid1(VALU_DEP_1)
	v_cndmask_b32_e64 v70, 0x7ff80000, v70, s4
	s_wait_alu 0xfffd
	v_cndmask_b32_e32 v70, 0xfff00000, v70, vcc_lo
	s_delay_alu instid0(VALU_DEP_1)
	v_add_f64_e32 v[33:34], v[35:36], v[69:70]
.LBB71_193:
	s_wait_alu 0xfffe
	s_or_b32 exec_lo, exec_lo, s10
	s_delay_alu instid0(VALU_DEP_1) | instskip(SKIP_1) | instid1(VALU_DEP_2)
	v_max_num_f64_e32 v[35:36], v[33:34], v[33:34]
	v_cmp_u_f64_e32 vcc_lo, v[33:34], v[33:34]
	v_min_num_f64_e32 v[69:70], v[35:36], v[67:68]
	v_max_num_f64_e32 v[35:36], v[35:36], v[67:68]
	s_wait_alu 0xfffd
	s_delay_alu instid0(VALU_DEP_2) | instskip(NEXT) | instid1(VALU_DEP_2)
	v_dual_cndmask_b32 v67, v69, v33 :: v_dual_cndmask_b32 v68, v70, v34
	v_dual_cndmask_b32 v36, v36, v34 :: v_dual_cndmask_b32 v35, v35, v33
	s_delay_alu instid0(VALU_DEP_2) | instskip(NEXT) | instid1(VALU_DEP_3)
	v_cndmask_b32_e64 v69, v67, v39, s17
	v_cndmask_b32_e64 v70, v68, v40, s17
	s_delay_alu instid0(VALU_DEP_3) | instskip(NEXT) | instid1(VALU_DEP_4)
	v_cndmask_b32_e64 v68, v36, v40, s17
	v_cndmask_b32_e64 v67, v35, v39, s17
	v_dual_mov_b32 v36, v34 :: v_dual_mov_b32 v35, v33
	s_delay_alu instid0(VALU_DEP_4) | instskip(NEXT) | instid1(VALU_DEP_3)
	v_cmp_class_f64_e64 s1, v[69:70], 0x1f8
	v_cmp_neq_f64_e32 vcc_lo, v[69:70], v[67:68]
	s_or_b32 s1, vcc_lo, s1
	s_wait_alu 0xfffe
	s_and_saveexec_b32 s10, s1
	s_cbranch_execz .LBB71_195
; %bb.194:
	v_add_f64_e64 v[35:36], v[69:70], -v[67:68]
	s_mov_b32 s4, 0x652b82fe
	s_mov_b32 s5, 0x3ff71547
	;; [unrolled: 1-line block ×10, first 2 shown]
	s_wait_alu 0xfffe
	s_delay_alu instid0(VALU_DEP_1) | instskip(SKIP_4) | instid1(VALU_DEP_3)
	v_mul_f64_e32 v[69:70], s[4:5], v[35:36]
	s_mov_b32 s5, 0xbfe62e42
	s_mov_b32 s4, 0xfefa39ef
	v_cmp_nlt_f64_e32 vcc_lo, 0x40900000, v[35:36]
	v_cmp_ngt_f64_e64 s1, 0xc090cc00, v[35:36]
	v_rndne_f64_e32 v[69:70], v[69:70]
	s_wait_alu 0xfffe
	s_delay_alu instid0(VALU_DEP_1) | instskip(SKIP_2) | instid1(VALU_DEP_2)
	v_fma_f64 v[71:72], v[69:70], s[4:5], v[35:36]
	v_cvt_i32_f64_e32 v75, v[69:70]
	s_mov_b32 s5, 0x3fe62e42
	v_fma_f64 v[71:72], v[69:70], s[6:7], v[71:72]
	s_mov_b32 s7, 0x3c7abc9e
	s_delay_alu instid0(VALU_DEP_1)
	v_fma_f64 v[73:74], v[71:72], s[12:13], s[8:9]
	s_mov_b32 s8, 0x623fde64
	s_mov_b32 s9, 0x3ec71dee
	;; [unrolled: 1-line block ×4, first 2 shown]
	s_wait_alu 0xfffe
	s_delay_alu instid0(VALU_DEP_1) | instskip(SKIP_3) | instid1(VALU_DEP_1)
	v_fma_f64 v[73:74], v[71:72], v[73:74], s[8:9]
	s_mov_b32 s8, 0x7c89e6b0
	s_mov_b32 s9, 0x3efa0199
	s_wait_alu 0xfffe
	v_fma_f64 v[73:74], v[71:72], v[73:74], s[8:9]
	s_mov_b32 s8, 0x14761f6e
	s_mov_b32 s9, 0x3f2a01a0
	s_wait_alu 0xfffe
	s_delay_alu instid0(VALU_DEP_1) | instskip(SKIP_3) | instid1(VALU_DEP_1)
	v_fma_f64 v[73:74], v[71:72], v[73:74], s[8:9]
	s_mov_b32 s8, 0x1852b7b0
	s_mov_b32 s9, 0x3f56c16c
	s_wait_alu 0xfffe
	v_fma_f64 v[73:74], v[71:72], v[73:74], s[8:9]
	s_mov_b32 s8, 0x11122322
	s_mov_b32 s9, 0x3f811111
	;; [unrolled: 9-line block ×4, first 2 shown]
	s_delay_alu instid0(VALU_DEP_1) | instskip(NEXT) | instid1(VALU_DEP_1)
	v_fma_f64 v[73:74], v[71:72], v[73:74], 1.0
	v_fma_f64 v[69:70], v[71:72], v[73:74], 1.0
	s_delay_alu instid0(VALU_DEP_1) | instskip(SKIP_1) | instid1(VALU_DEP_1)
	v_ldexp_f64 v[69:70], v[69:70], v75
	s_wait_alu 0xfffd
	v_cndmask_b32_e32 v70, 0x7ff00000, v70, vcc_lo
	s_and_b32 vcc_lo, s1, vcc_lo
	s_wait_alu 0xfffe
	s_delay_alu instid0(VALU_DEP_2) | instskip(NEXT) | instid1(VALU_DEP_2)
	v_cndmask_b32_e32 v35, 0, v69, vcc_lo
	v_cndmask_b32_e64 v36, 0, v70, s1
	s_delay_alu instid0(VALU_DEP_1) | instskip(SKIP_1) | instid1(VALU_DEP_2)
	v_add_f64_e32 v[69:70], 1.0, v[35:36]
	v_cmp_neq_f64_e64 s1, 0x7ff00000, v[35:36]
	v_frexp_mant_f64_e32 v[71:72], v[69:70]
	v_frexp_exp_i32_f64_e32 v75, v[69:70]
	v_add_f64_e32 v[73:74], -1.0, v[69:70]
	s_delay_alu instid0(VALU_DEP_3) | instskip(SKIP_1) | instid1(VALU_DEP_2)
	v_cmp_gt_f64_e32 vcc_lo, s[8:9], v[71:72]
	s_mov_b32 s8, 0x55555780
	v_add_f64_e64 v[71:72], v[73:74], -v[69:70]
	v_add_f64_e64 v[73:74], v[35:36], -v[73:74]
	s_wait_alu 0xfffd
	v_subrev_co_ci_u32_e64 v109, null, 0, v75, vcc_lo
	s_delay_alu instid0(VALU_DEP_3) | instskip(SKIP_1) | instid1(VALU_DEP_3)
	v_add_f64_e32 v[71:72], 1.0, v[71:72]
	v_cmp_nge_f64_e32 vcc_lo, -1.0, v[35:36]
	v_sub_nc_u32_e32 v77, 0, v109
	s_delay_alu instid0(VALU_DEP_1) | instskip(NEXT) | instid1(VALU_DEP_4)
	v_ldexp_f64 v[69:70], v[69:70], v77
	v_add_f64_e32 v[71:72], v[73:74], v[71:72]
	s_and_b32 vcc_lo, vcc_lo, s1
	s_delay_alu instid0(VALU_DEP_2) | instskip(SKIP_1) | instid1(VALU_DEP_3)
	v_add_f64_e32 v[75:76], 1.0, v[69:70]
	v_add_f64_e32 v[81:82], -1.0, v[69:70]
	v_ldexp_f64 v[71:72], v[71:72], v77
	s_delay_alu instid0(VALU_DEP_3) | instskip(NEXT) | instid1(VALU_DEP_3)
	v_add_f64_e32 v[73:74], -1.0, v[75:76]
	v_add_f64_e32 v[101:102], 1.0, v[81:82]
	s_delay_alu instid0(VALU_DEP_2) | instskip(NEXT) | instid1(VALU_DEP_2)
	v_add_f64_e64 v[73:74], v[69:70], -v[73:74]
	v_add_f64_e64 v[69:70], v[69:70], -v[101:102]
	s_delay_alu instid0(VALU_DEP_2) | instskip(NEXT) | instid1(VALU_DEP_2)
	v_add_f64_e32 v[73:74], v[71:72], v[73:74]
	v_add_f64_e32 v[69:70], v[71:72], v[69:70]
	s_delay_alu instid0(VALU_DEP_2) | instskip(NEXT) | instid1(VALU_DEP_2)
	v_add_f64_e32 v[77:78], v[75:76], v[73:74]
	v_add_f64_e32 v[101:102], v[81:82], v[69:70]
	s_delay_alu instid0(VALU_DEP_2) | instskip(SKIP_1) | instid1(VALU_DEP_2)
	v_rcp_f64_e32 v[79:80], v[77:78]
	v_add_f64_e64 v[75:76], v[77:78], -v[75:76]
	v_add_f64_e64 v[81:82], v[101:102], -v[81:82]
	s_delay_alu instid0(VALU_DEP_2) | instskip(NEXT) | instid1(TRANS32_DEP_1)
	v_add_f64_e64 v[73:74], v[73:74], -v[75:76]
	v_fma_f64 v[103:104], -v[77:78], v[79:80], 1.0
	s_delay_alu instid0(VALU_DEP_3) | instskip(NEXT) | instid1(VALU_DEP_2)
	v_add_f64_e64 v[69:70], v[69:70], -v[81:82]
	v_fma_f64 v[79:80], v[103:104], v[79:80], v[79:80]
	s_delay_alu instid0(VALU_DEP_1) | instskip(NEXT) | instid1(VALU_DEP_1)
	v_fma_f64 v[71:72], -v[77:78], v[79:80], 1.0
	v_fma_f64 v[71:72], v[71:72], v[79:80], v[79:80]
	s_delay_alu instid0(VALU_DEP_1) | instskip(NEXT) | instid1(VALU_DEP_1)
	v_mul_f64_e32 v[79:80], v[101:102], v[71:72]
	v_mul_f64_e32 v[103:104], v[77:78], v[79:80]
	s_delay_alu instid0(VALU_DEP_1) | instskip(NEXT) | instid1(VALU_DEP_1)
	v_fma_f64 v[75:76], v[79:80], v[77:78], -v[103:104]
	v_fma_f64 v[75:76], v[79:80], v[73:74], v[75:76]
	s_delay_alu instid0(VALU_DEP_1) | instskip(NEXT) | instid1(VALU_DEP_1)
	v_add_f64_e32 v[105:106], v[103:104], v[75:76]
	v_add_f64_e64 v[107:108], v[101:102], -v[105:106]
	v_add_f64_e64 v[81:82], v[105:106], -v[103:104]
	s_delay_alu instid0(VALU_DEP_2) | instskip(NEXT) | instid1(VALU_DEP_2)
	v_add_f64_e64 v[101:102], v[101:102], -v[107:108]
	v_add_f64_e64 v[75:76], v[81:82], -v[75:76]
	s_delay_alu instid0(VALU_DEP_2) | instskip(NEXT) | instid1(VALU_DEP_1)
	v_add_f64_e64 v[101:102], v[101:102], -v[105:106]
	v_add_f64_e32 v[69:70], v[69:70], v[101:102]
	s_delay_alu instid0(VALU_DEP_1) | instskip(NEXT) | instid1(VALU_DEP_1)
	v_add_f64_e32 v[69:70], v[75:76], v[69:70]
	v_add_f64_e32 v[75:76], v[107:108], v[69:70]
	s_delay_alu instid0(VALU_DEP_1) | instskip(SKIP_1) | instid1(VALU_DEP_2)
	v_mul_f64_e32 v[81:82], v[71:72], v[75:76]
	v_add_f64_e64 v[105:106], v[107:108], -v[75:76]
	v_mul_f64_e32 v[101:102], v[77:78], v[81:82]
	s_delay_alu instid0(VALU_DEP_2) | instskip(NEXT) | instid1(VALU_DEP_2)
	v_add_f64_e32 v[69:70], v[69:70], v[105:106]
	v_fma_f64 v[77:78], v[81:82], v[77:78], -v[101:102]
	s_delay_alu instid0(VALU_DEP_1) | instskip(NEXT) | instid1(VALU_DEP_1)
	v_fma_f64 v[73:74], v[81:82], v[73:74], v[77:78]
	v_add_f64_e32 v[77:78], v[101:102], v[73:74]
	s_delay_alu instid0(VALU_DEP_1) | instskip(SKIP_1) | instid1(VALU_DEP_2)
	v_add_f64_e64 v[103:104], v[75:76], -v[77:78]
	v_add_f64_e64 v[101:102], v[77:78], -v[101:102]
	;; [unrolled: 1-line block ×3, first 2 shown]
	s_delay_alu instid0(VALU_DEP_2) | instskip(NEXT) | instid1(VALU_DEP_2)
	v_add_f64_e64 v[73:74], v[101:102], -v[73:74]
	v_add_f64_e64 v[75:76], v[75:76], -v[77:78]
	s_delay_alu instid0(VALU_DEP_1) | instskip(SKIP_1) | instid1(VALU_DEP_2)
	v_add_f64_e32 v[69:70], v[69:70], v[75:76]
	v_add_f64_e32 v[75:76], v[79:80], v[81:82]
	;; [unrolled: 1-line block ×3, first 2 shown]
	s_delay_alu instid0(VALU_DEP_2) | instskip(NEXT) | instid1(VALU_DEP_2)
	v_add_f64_e64 v[73:74], v[75:76], -v[79:80]
	v_add_f64_e32 v[69:70], v[103:104], v[69:70]
	s_delay_alu instid0(VALU_DEP_2) | instskip(NEXT) | instid1(VALU_DEP_2)
	v_add_f64_e64 v[73:74], v[81:82], -v[73:74]
	v_mul_f64_e32 v[69:70], v[71:72], v[69:70]
	s_delay_alu instid0(VALU_DEP_1) | instskip(NEXT) | instid1(VALU_DEP_1)
	v_add_f64_e32 v[69:70], v[73:74], v[69:70]
	v_add_f64_e32 v[71:72], v[75:76], v[69:70]
	s_delay_alu instid0(VALU_DEP_1) | instskip(NEXT) | instid1(VALU_DEP_1)
	v_mul_f64_e32 v[73:74], v[71:72], v[71:72]
	v_fma_f64 v[77:78], v[73:74], s[14:15], s[12:13]
	s_mov_b32 s12, 0xd7f4df2e
	s_mov_b32 s13, 0x3fc7474d
	v_mul_f64_e32 v[79:80], v[71:72], v[73:74]
	s_wait_alu 0xfffe
	s_delay_alu instid0(VALU_DEP_2) | instskip(SKIP_3) | instid1(VALU_DEP_1)
	v_fma_f64 v[77:78], v[73:74], v[77:78], s[12:13]
	s_mov_b32 s12, 0x16291751
	s_mov_b32 s13, 0x3fcc71c0
	s_wait_alu 0xfffe
	v_fma_f64 v[77:78], v[73:74], v[77:78], s[12:13]
	s_mov_b32 s12, 0x9b27acf1
	s_mov_b32 s13, 0x3fd24924
	s_wait_alu 0xfffe
	s_delay_alu instid0(VALU_DEP_1) | instskip(SKIP_3) | instid1(VALU_DEP_1)
	v_fma_f64 v[77:78], v[73:74], v[77:78], s[12:13]
	s_mov_b32 s12, 0x998ef7b6
	s_mov_b32 s13, 0x3fd99999
	s_wait_alu 0xfffe
	v_fma_f64 v[77:78], v[73:74], v[77:78], s[12:13]
	s_delay_alu instid0(VALU_DEP_1) | instskip(SKIP_2) | instid1(VALU_DEP_3)
	v_fma_f64 v[73:74], v[73:74], v[77:78], s[8:9]
	v_ldexp_f64 v[77:78], v[71:72], 1
	v_add_f64_e64 v[71:72], v[71:72], -v[75:76]
	v_mul_f64_e32 v[73:74], v[79:80], v[73:74]
	v_cvt_f64_i32_e32 v[79:80], v109
	s_delay_alu instid0(VALU_DEP_3) | instskip(NEXT) | instid1(VALU_DEP_3)
	v_add_f64_e64 v[69:70], v[69:70], -v[71:72]
	v_add_f64_e32 v[75:76], v[77:78], v[73:74]
	s_delay_alu instid0(VALU_DEP_3) | instskip(NEXT) | instid1(VALU_DEP_3)
	v_mul_f64_e32 v[81:82], s[4:5], v[79:80]
	v_ldexp_f64 v[69:70], v[69:70], 1
	s_delay_alu instid0(VALU_DEP_3) | instskip(NEXT) | instid1(VALU_DEP_3)
	v_add_f64_e64 v[71:72], v[75:76], -v[77:78]
	v_fma_f64 v[77:78], v[79:80], s[4:5], -v[81:82]
	v_cmp_ngt_f64_e64 s4, -1.0, v[35:36]
	s_delay_alu instid0(VALU_DEP_3) | instskip(NEXT) | instid1(VALU_DEP_3)
	v_add_f64_e64 v[71:72], v[73:74], -v[71:72]
	v_fma_f64 v[73:74], v[79:80], s[6:7], v[77:78]
	s_delay_alu instid0(VALU_DEP_2) | instskip(NEXT) | instid1(VALU_DEP_2)
	v_add_f64_e32 v[69:70], v[69:70], v[71:72]
	v_add_f64_e32 v[71:72], v[81:82], v[73:74]
	s_delay_alu instid0(VALU_DEP_2) | instskip(NEXT) | instid1(VALU_DEP_2)
	v_add_f64_e32 v[77:78], v[75:76], v[69:70]
	v_add_f64_e64 v[81:82], v[71:72], -v[81:82]
	s_delay_alu instid0(VALU_DEP_2) | instskip(SKIP_1) | instid1(VALU_DEP_3)
	v_add_f64_e32 v[79:80], v[71:72], v[77:78]
	v_add_f64_e64 v[75:76], v[77:78], -v[75:76]
	v_add_f64_e64 v[73:74], v[73:74], -v[81:82]
	s_delay_alu instid0(VALU_DEP_3) | instskip(NEXT) | instid1(VALU_DEP_3)
	v_add_f64_e64 v[101:102], v[79:80], -v[71:72]
	v_add_f64_e64 v[69:70], v[69:70], -v[75:76]
	s_delay_alu instid0(VALU_DEP_2) | instskip(SKIP_1) | instid1(VALU_DEP_3)
	v_add_f64_e64 v[103:104], v[79:80], -v[101:102]
	v_add_f64_e64 v[75:76], v[77:78], -v[101:102]
	v_add_f64_e32 v[77:78], v[73:74], v[69:70]
	s_delay_alu instid0(VALU_DEP_3) | instskip(NEXT) | instid1(VALU_DEP_1)
	v_add_f64_e64 v[71:72], v[71:72], -v[103:104]
	v_add_f64_e32 v[71:72], v[75:76], v[71:72]
	s_delay_alu instid0(VALU_DEP_3) | instskip(NEXT) | instid1(VALU_DEP_2)
	v_add_f64_e64 v[75:76], v[77:78], -v[73:74]
	v_add_f64_e32 v[71:72], v[77:78], v[71:72]
	s_delay_alu instid0(VALU_DEP_2) | instskip(SKIP_1) | instid1(VALU_DEP_3)
	v_add_f64_e64 v[77:78], v[77:78], -v[75:76]
	v_add_f64_e64 v[69:70], v[69:70], -v[75:76]
	v_add_f64_e32 v[81:82], v[79:80], v[71:72]
	s_delay_alu instid0(VALU_DEP_3) | instskip(NEXT) | instid1(VALU_DEP_2)
	v_add_f64_e64 v[73:74], v[73:74], -v[77:78]
	v_add_f64_e64 v[75:76], v[81:82], -v[79:80]
	s_delay_alu instid0(VALU_DEP_2) | instskip(NEXT) | instid1(VALU_DEP_2)
	v_add_f64_e32 v[69:70], v[69:70], v[73:74]
	v_add_f64_e64 v[71:72], v[71:72], -v[75:76]
	s_delay_alu instid0(VALU_DEP_1) | instskip(NEXT) | instid1(VALU_DEP_1)
	v_add_f64_e32 v[69:70], v[69:70], v[71:72]
	v_add_f64_e32 v[69:70], v[81:82], v[69:70]
	s_delay_alu instid0(VALU_DEP_1) | instskip(SKIP_1) | instid1(VALU_DEP_3)
	v_cndmask_b32_e32 v69, 0, v69, vcc_lo
	v_cmp_neq_f64_e32 vcc_lo, -1.0, v[35:36]
	v_cndmask_b32_e64 v70, 0x7ff00000, v70, s1
	s_wait_alu 0xf1ff
	s_delay_alu instid0(VALU_DEP_1) | instskip(SKIP_1) | instid1(VALU_DEP_1)
	v_cndmask_b32_e64 v70, 0x7ff80000, v70, s4
	s_wait_alu 0xfffd
	v_cndmask_b32_e32 v70, 0xfff00000, v70, vcc_lo
	s_delay_alu instid0(VALU_DEP_1)
	v_add_f64_e32 v[35:36], v[67:68], v[69:70]
.LBB71_195:
	s_wait_alu 0xfffe
	s_or_b32 exec_lo, exec_lo, s10
	s_branch .LBB71_307
.LBB71_196:
	s_cmp_lg_u64 s[28:29], 0
	s_cselect_b32 s1, -1, 0
	s_wait_alu 0xfffe
	s_and_b32 s1, s3, s1
	s_wait_alu 0xfffe
	s_and_saveexec_b32 s10, s1
	s_cbranch_execz .LBB71_200
; %bb.197:
	v_mov_b32_e32 v5, 0
	v_max_num_f64_e32 v[7:8], v[1:2], v[1:2]
	v_cmp_u_f64_e64 s1, v[1:2], v[1:2]
	global_load_b64 v[5:6], v5, s[24:25]
	s_wait_loadcnt 0x0
	v_max_num_f64_e32 v[9:10], v[5:6], v[5:6]
	v_cmp_u_f64_e32 vcc_lo, v[5:6], v[5:6]
	s_delay_alu instid0(VALU_DEP_2) | instskip(SKIP_1) | instid1(VALU_DEP_2)
	v_min_num_f64_e32 v[11:12], v[9:10], v[7:8]
	v_max_num_f64_e32 v[7:8], v[9:10], v[7:8]
	v_dual_cndmask_b32 v9, v11, v5 :: v_dual_cndmask_b32 v10, v12, v6
	s_delay_alu instid0(VALU_DEP_2) | instskip(SKIP_1) | instid1(VALU_DEP_2)
	v_dual_cndmask_b32 v11, v8, v6 :: v_dual_cndmask_b32 v12, v7, v5
	s_wait_alu 0xf1ff
	v_cndmask_b32_e64 v7, v9, v1, s1
	s_delay_alu instid0(VALU_DEP_3) | instskip(NEXT) | instid1(VALU_DEP_3)
	v_cndmask_b32_e64 v8, v10, v2, s1
	v_cndmask_b32_e64 v2, v11, v2, s1
	;; [unrolled: 1-line block ×3, first 2 shown]
	s_delay_alu instid0(VALU_DEP_3) | instskip(NEXT) | instid1(VALU_DEP_2)
	v_cmp_class_f64_e64 s1, v[7:8], 0x1f8
	v_cmp_neq_f64_e32 vcc_lo, v[7:8], v[1:2]
	s_or_b32 s1, vcc_lo, s1
	s_wait_alu 0xfffe
	s_and_saveexec_b32 s11, s1
	s_cbranch_execz .LBB71_199
; %bb.198:
	v_add_f64_e64 v[5:6], v[7:8], -v[1:2]
	s_mov_b32 s4, 0x652b82fe
	s_mov_b32 s5, 0x3ff71547
	;; [unrolled: 1-line block ×10, first 2 shown]
	s_wait_alu 0xfffe
	s_delay_alu instid0(VALU_DEP_1) | instskip(SKIP_4) | instid1(VALU_DEP_3)
	v_mul_f64_e32 v[7:8], s[4:5], v[5:6]
	s_mov_b32 s5, 0xbfe62e42
	s_mov_b32 s4, 0xfefa39ef
	v_cmp_nlt_f64_e32 vcc_lo, 0x40900000, v[5:6]
	v_cmp_ngt_f64_e64 s1, 0xc090cc00, v[5:6]
	v_rndne_f64_e32 v[7:8], v[7:8]
	s_wait_alu 0xfffe
	s_delay_alu instid0(VALU_DEP_1) | instskip(SKIP_2) | instid1(VALU_DEP_2)
	v_fma_f64 v[9:10], v[7:8], s[4:5], v[5:6]
	v_cvt_i32_f64_e32 v13, v[7:8]
	s_mov_b32 s5, 0x3fe62e42
	v_fma_f64 v[9:10], v[7:8], s[6:7], v[9:10]
	s_mov_b32 s7, 0x3c7abc9e
	s_delay_alu instid0(VALU_DEP_1)
	v_fma_f64 v[11:12], v[9:10], s[12:13], s[8:9]
	s_mov_b32 s8, 0x623fde64
	s_mov_b32 s9, 0x3ec71dee
	s_mov_b32 s12, 0x6b47b09a
	s_mov_b32 s13, 0x3fc38538
	s_wait_alu 0xfffe
	s_delay_alu instid0(VALU_DEP_1) | instskip(SKIP_3) | instid1(VALU_DEP_1)
	v_fma_f64 v[11:12], v[9:10], v[11:12], s[8:9]
	s_mov_b32 s8, 0x7c89e6b0
	s_mov_b32 s9, 0x3efa0199
	s_wait_alu 0xfffe
	v_fma_f64 v[11:12], v[9:10], v[11:12], s[8:9]
	s_mov_b32 s8, 0x14761f6e
	s_mov_b32 s9, 0x3f2a01a0
	s_wait_alu 0xfffe
	s_delay_alu instid0(VALU_DEP_1) | instskip(SKIP_3) | instid1(VALU_DEP_1)
	v_fma_f64 v[11:12], v[9:10], v[11:12], s[8:9]
	s_mov_b32 s8, 0x1852b7b0
	s_mov_b32 s9, 0x3f56c16c
	s_wait_alu 0xfffe
	v_fma_f64 v[11:12], v[9:10], v[11:12], s[8:9]
	s_mov_b32 s8, 0x11122322
	s_mov_b32 s9, 0x3f811111
	;; [unrolled: 9-line block ×4, first 2 shown]
	s_delay_alu instid0(VALU_DEP_1) | instskip(NEXT) | instid1(VALU_DEP_1)
	v_fma_f64 v[11:12], v[9:10], v[11:12], 1.0
	v_fma_f64 v[7:8], v[9:10], v[11:12], 1.0
	s_delay_alu instid0(VALU_DEP_1) | instskip(SKIP_1) | instid1(VALU_DEP_1)
	v_ldexp_f64 v[7:8], v[7:8], v13
	s_wait_alu 0xfffd
	v_cndmask_b32_e32 v8, 0x7ff00000, v8, vcc_lo
	s_and_b32 vcc_lo, s1, vcc_lo
	s_wait_alu 0xfffe
	s_delay_alu instid0(VALU_DEP_2) | instskip(NEXT) | instid1(VALU_DEP_2)
	v_cndmask_b32_e32 v5, 0, v7, vcc_lo
	v_cndmask_b32_e64 v6, 0, v8, s1
	s_delay_alu instid0(VALU_DEP_1) | instskip(SKIP_2) | instid1(VALU_DEP_3)
	v_add_f64_e32 v[7:8], 1.0, v[5:6]
	v_cmp_neq_f64_e64 s1, 0x7ff00000, v[5:6]
	v_cmp_ngt_f64_e64 s3, -1.0, v[5:6]
	v_frexp_mant_f64_e32 v[9:10], v[7:8]
	v_frexp_exp_i32_f64_e32 v13, v[7:8]
	v_add_f64_e32 v[11:12], -1.0, v[7:8]
	s_delay_alu instid0(VALU_DEP_3) | instskip(SKIP_1) | instid1(VALU_DEP_2)
	v_cmp_gt_f64_e32 vcc_lo, s[8:9], v[9:10]
	s_mov_b32 s8, 0x55555780
	v_add_f64_e64 v[9:10], v[11:12], -v[7:8]
	v_add_f64_e64 v[11:12], v[5:6], -v[11:12]
	s_wait_alu 0xfffd
	v_subrev_co_ci_u32_e64 v29, null, 0, v13, vcc_lo
	s_delay_alu instid0(VALU_DEP_3) | instskip(SKIP_1) | instid1(VALU_DEP_3)
	v_add_f64_e32 v[9:10], 1.0, v[9:10]
	v_cmp_nge_f64_e32 vcc_lo, -1.0, v[5:6]
	v_sub_nc_u32_e32 v15, 0, v29
	s_delay_alu instid0(VALU_DEP_1) | instskip(NEXT) | instid1(VALU_DEP_4)
	v_ldexp_f64 v[7:8], v[7:8], v15
	v_add_f64_e32 v[9:10], v[11:12], v[9:10]
	s_and_b32 vcc_lo, vcc_lo, s1
	s_delay_alu instid0(VALU_DEP_2) | instskip(SKIP_1) | instid1(VALU_DEP_3)
	v_add_f64_e32 v[13:14], 1.0, v[7:8]
	v_add_f64_e32 v[19:20], -1.0, v[7:8]
	v_ldexp_f64 v[9:10], v[9:10], v15
	s_delay_alu instid0(VALU_DEP_3) | instskip(NEXT) | instid1(VALU_DEP_3)
	v_add_f64_e32 v[11:12], -1.0, v[13:14]
	v_add_f64_e32 v[21:22], 1.0, v[19:20]
	s_delay_alu instid0(VALU_DEP_2) | instskip(NEXT) | instid1(VALU_DEP_2)
	v_add_f64_e64 v[11:12], v[7:8], -v[11:12]
	v_add_f64_e64 v[7:8], v[7:8], -v[21:22]
	s_delay_alu instid0(VALU_DEP_2) | instskip(NEXT) | instid1(VALU_DEP_2)
	v_add_f64_e32 v[11:12], v[9:10], v[11:12]
	v_add_f64_e32 v[7:8], v[9:10], v[7:8]
	s_delay_alu instid0(VALU_DEP_2) | instskip(NEXT) | instid1(VALU_DEP_2)
	v_add_f64_e32 v[15:16], v[13:14], v[11:12]
	v_add_f64_e32 v[21:22], v[19:20], v[7:8]
	s_delay_alu instid0(VALU_DEP_2) | instskip(SKIP_1) | instid1(VALU_DEP_2)
	v_rcp_f64_e32 v[17:18], v[15:16]
	v_add_f64_e64 v[13:14], v[15:16], -v[13:14]
	v_add_f64_e64 v[19:20], v[21:22], -v[19:20]
	s_delay_alu instid0(VALU_DEP_2) | instskip(NEXT) | instid1(TRANS32_DEP_1)
	v_add_f64_e64 v[11:12], v[11:12], -v[13:14]
	v_fma_f64 v[23:24], -v[15:16], v[17:18], 1.0
	s_delay_alu instid0(VALU_DEP_3) | instskip(NEXT) | instid1(VALU_DEP_2)
	v_add_f64_e64 v[7:8], v[7:8], -v[19:20]
	v_fma_f64 v[17:18], v[23:24], v[17:18], v[17:18]
	s_delay_alu instid0(VALU_DEP_1) | instskip(NEXT) | instid1(VALU_DEP_1)
	v_fma_f64 v[9:10], -v[15:16], v[17:18], 1.0
	v_fma_f64 v[9:10], v[9:10], v[17:18], v[17:18]
	s_delay_alu instid0(VALU_DEP_1) | instskip(NEXT) | instid1(VALU_DEP_1)
	v_mul_f64_e32 v[17:18], v[21:22], v[9:10]
	v_mul_f64_e32 v[23:24], v[15:16], v[17:18]
	s_delay_alu instid0(VALU_DEP_1) | instskip(NEXT) | instid1(VALU_DEP_1)
	v_fma_f64 v[13:14], v[17:18], v[15:16], -v[23:24]
	v_fma_f64 v[13:14], v[17:18], v[11:12], v[13:14]
	s_delay_alu instid0(VALU_DEP_1) | instskip(NEXT) | instid1(VALU_DEP_1)
	v_add_f64_e32 v[25:26], v[23:24], v[13:14]
	v_add_f64_e64 v[27:28], v[21:22], -v[25:26]
	v_add_f64_e64 v[19:20], v[25:26], -v[23:24]
	s_delay_alu instid0(VALU_DEP_2) | instskip(NEXT) | instid1(VALU_DEP_2)
	v_add_f64_e64 v[21:22], v[21:22], -v[27:28]
	v_add_f64_e64 v[13:14], v[19:20], -v[13:14]
	s_delay_alu instid0(VALU_DEP_2) | instskip(NEXT) | instid1(VALU_DEP_1)
	v_add_f64_e64 v[21:22], v[21:22], -v[25:26]
	v_add_f64_e32 v[7:8], v[7:8], v[21:22]
	s_delay_alu instid0(VALU_DEP_1) | instskip(NEXT) | instid1(VALU_DEP_1)
	v_add_f64_e32 v[7:8], v[13:14], v[7:8]
	v_add_f64_e32 v[13:14], v[27:28], v[7:8]
	s_delay_alu instid0(VALU_DEP_1) | instskip(SKIP_1) | instid1(VALU_DEP_2)
	v_mul_f64_e32 v[19:20], v[9:10], v[13:14]
	v_add_f64_e64 v[25:26], v[27:28], -v[13:14]
	v_mul_f64_e32 v[21:22], v[15:16], v[19:20]
	s_delay_alu instid0(VALU_DEP_2) | instskip(NEXT) | instid1(VALU_DEP_2)
	v_add_f64_e32 v[7:8], v[7:8], v[25:26]
	v_fma_f64 v[15:16], v[19:20], v[15:16], -v[21:22]
	s_delay_alu instid0(VALU_DEP_1) | instskip(NEXT) | instid1(VALU_DEP_1)
	v_fma_f64 v[11:12], v[19:20], v[11:12], v[15:16]
	v_add_f64_e32 v[15:16], v[21:22], v[11:12]
	s_delay_alu instid0(VALU_DEP_1) | instskip(SKIP_1) | instid1(VALU_DEP_2)
	v_add_f64_e64 v[23:24], v[13:14], -v[15:16]
	v_add_f64_e64 v[21:22], v[15:16], -v[21:22]
	;; [unrolled: 1-line block ×3, first 2 shown]
	s_delay_alu instid0(VALU_DEP_2) | instskip(NEXT) | instid1(VALU_DEP_2)
	v_add_f64_e64 v[11:12], v[21:22], -v[11:12]
	v_add_f64_e64 v[13:14], v[13:14], -v[15:16]
	s_delay_alu instid0(VALU_DEP_1) | instskip(SKIP_1) | instid1(VALU_DEP_2)
	v_add_f64_e32 v[7:8], v[7:8], v[13:14]
	v_add_f64_e32 v[13:14], v[17:18], v[19:20]
	;; [unrolled: 1-line block ×3, first 2 shown]
	s_delay_alu instid0(VALU_DEP_2) | instskip(NEXT) | instid1(VALU_DEP_2)
	v_add_f64_e64 v[11:12], v[13:14], -v[17:18]
	v_add_f64_e32 v[7:8], v[23:24], v[7:8]
	s_delay_alu instid0(VALU_DEP_2) | instskip(NEXT) | instid1(VALU_DEP_2)
	v_add_f64_e64 v[11:12], v[19:20], -v[11:12]
	v_mul_f64_e32 v[7:8], v[9:10], v[7:8]
	s_delay_alu instid0(VALU_DEP_1) | instskip(NEXT) | instid1(VALU_DEP_1)
	v_add_f64_e32 v[7:8], v[11:12], v[7:8]
	v_add_f64_e32 v[9:10], v[13:14], v[7:8]
	s_delay_alu instid0(VALU_DEP_1) | instskip(NEXT) | instid1(VALU_DEP_1)
	v_mul_f64_e32 v[11:12], v[9:10], v[9:10]
	v_fma_f64 v[15:16], v[11:12], s[14:15], s[12:13]
	s_mov_b32 s12, 0xd7f4df2e
	s_mov_b32 s13, 0x3fc7474d
	v_mul_f64_e32 v[17:18], v[9:10], v[11:12]
	s_wait_alu 0xfffe
	s_delay_alu instid0(VALU_DEP_2) | instskip(SKIP_3) | instid1(VALU_DEP_1)
	v_fma_f64 v[15:16], v[11:12], v[15:16], s[12:13]
	s_mov_b32 s12, 0x16291751
	s_mov_b32 s13, 0x3fcc71c0
	s_wait_alu 0xfffe
	v_fma_f64 v[15:16], v[11:12], v[15:16], s[12:13]
	s_mov_b32 s12, 0x9b27acf1
	s_mov_b32 s13, 0x3fd24924
	s_wait_alu 0xfffe
	s_delay_alu instid0(VALU_DEP_1) | instskip(SKIP_3) | instid1(VALU_DEP_1)
	v_fma_f64 v[15:16], v[11:12], v[15:16], s[12:13]
	s_mov_b32 s12, 0x998ef7b6
	s_mov_b32 s13, 0x3fd99999
	s_wait_alu 0xfffe
	v_fma_f64 v[15:16], v[11:12], v[15:16], s[12:13]
	s_delay_alu instid0(VALU_DEP_1) | instskip(SKIP_2) | instid1(VALU_DEP_3)
	v_fma_f64 v[11:12], v[11:12], v[15:16], s[8:9]
	v_ldexp_f64 v[15:16], v[9:10], 1
	v_add_f64_e64 v[9:10], v[9:10], -v[13:14]
	v_mul_f64_e32 v[11:12], v[17:18], v[11:12]
	v_cvt_f64_i32_e32 v[17:18], v29
	s_delay_alu instid0(VALU_DEP_3) | instskip(NEXT) | instid1(VALU_DEP_3)
	v_add_f64_e64 v[7:8], v[7:8], -v[9:10]
	v_add_f64_e32 v[13:14], v[15:16], v[11:12]
	s_delay_alu instid0(VALU_DEP_3) | instskip(NEXT) | instid1(VALU_DEP_3)
	v_mul_f64_e32 v[19:20], s[4:5], v[17:18]
	v_ldexp_f64 v[7:8], v[7:8], 1
	s_delay_alu instid0(VALU_DEP_3) | instskip(NEXT) | instid1(VALU_DEP_3)
	v_add_f64_e64 v[9:10], v[13:14], -v[15:16]
	v_fma_f64 v[15:16], v[17:18], s[4:5], -v[19:20]
	s_delay_alu instid0(VALU_DEP_2) | instskip(NEXT) | instid1(VALU_DEP_2)
	v_add_f64_e64 v[9:10], v[11:12], -v[9:10]
	v_fma_f64 v[11:12], v[17:18], s[6:7], v[15:16]
	s_delay_alu instid0(VALU_DEP_2) | instskip(NEXT) | instid1(VALU_DEP_2)
	v_add_f64_e32 v[7:8], v[7:8], v[9:10]
	v_add_f64_e32 v[9:10], v[19:20], v[11:12]
	s_delay_alu instid0(VALU_DEP_2) | instskip(NEXT) | instid1(VALU_DEP_2)
	v_add_f64_e32 v[15:16], v[13:14], v[7:8]
	v_add_f64_e64 v[19:20], v[9:10], -v[19:20]
	s_delay_alu instid0(VALU_DEP_2) | instskip(SKIP_1) | instid1(VALU_DEP_3)
	v_add_f64_e32 v[17:18], v[9:10], v[15:16]
	v_add_f64_e64 v[13:14], v[15:16], -v[13:14]
	v_add_f64_e64 v[11:12], v[11:12], -v[19:20]
	s_delay_alu instid0(VALU_DEP_3) | instskip(NEXT) | instid1(VALU_DEP_3)
	v_add_f64_e64 v[21:22], v[17:18], -v[9:10]
	v_add_f64_e64 v[7:8], v[7:8], -v[13:14]
	s_delay_alu instid0(VALU_DEP_2) | instskip(SKIP_1) | instid1(VALU_DEP_3)
	v_add_f64_e64 v[23:24], v[17:18], -v[21:22]
	v_add_f64_e64 v[13:14], v[15:16], -v[21:22]
	v_add_f64_e32 v[15:16], v[11:12], v[7:8]
	s_delay_alu instid0(VALU_DEP_3) | instskip(NEXT) | instid1(VALU_DEP_1)
	v_add_f64_e64 v[9:10], v[9:10], -v[23:24]
	v_add_f64_e32 v[9:10], v[13:14], v[9:10]
	s_delay_alu instid0(VALU_DEP_3) | instskip(NEXT) | instid1(VALU_DEP_2)
	v_add_f64_e64 v[13:14], v[15:16], -v[11:12]
	v_add_f64_e32 v[9:10], v[15:16], v[9:10]
	s_delay_alu instid0(VALU_DEP_2) | instskip(SKIP_1) | instid1(VALU_DEP_3)
	v_add_f64_e64 v[15:16], v[15:16], -v[13:14]
	v_add_f64_e64 v[7:8], v[7:8], -v[13:14]
	v_add_f64_e32 v[19:20], v[17:18], v[9:10]
	s_delay_alu instid0(VALU_DEP_3) | instskip(NEXT) | instid1(VALU_DEP_2)
	v_add_f64_e64 v[11:12], v[11:12], -v[15:16]
	v_add_f64_e64 v[13:14], v[19:20], -v[17:18]
	s_delay_alu instid0(VALU_DEP_2) | instskip(NEXT) | instid1(VALU_DEP_2)
	v_add_f64_e32 v[7:8], v[7:8], v[11:12]
	v_add_f64_e64 v[9:10], v[9:10], -v[13:14]
	s_delay_alu instid0(VALU_DEP_1) | instskip(NEXT) | instid1(VALU_DEP_1)
	v_add_f64_e32 v[7:8], v[7:8], v[9:10]
	v_add_f64_e32 v[7:8], v[19:20], v[7:8]
	s_delay_alu instid0(VALU_DEP_1) | instskip(SKIP_1) | instid1(VALU_DEP_3)
	v_cndmask_b32_e32 v7, 0, v7, vcc_lo
	v_cmp_neq_f64_e32 vcc_lo, -1.0, v[5:6]
	v_cndmask_b32_e64 v8, 0x7ff00000, v8, s1
	s_delay_alu instid0(VALU_DEP_1) | instskip(SKIP_1) | instid1(VALU_DEP_1)
	v_cndmask_b32_e64 v8, 0x7ff80000, v8, s3
	s_wait_alu 0xfffd
	v_cndmask_b32_e32 v8, 0xfff00000, v8, vcc_lo
	s_delay_alu instid0(VALU_DEP_1)
	v_add_f64_e32 v[5:6], v[1:2], v[7:8]
.LBB71_199:
	s_or_b32 exec_lo, exec_lo, s11
	s_delay_alu instid0(VALU_DEP_1)
	v_dual_mov_b32 v1, v5 :: v_dual_mov_b32 v2, v6
.LBB71_200:
	s_or_b32 exec_lo, exec_lo, s10
	s_delay_alu instid0(VALU_DEP_1) | instskip(SKIP_3) | instid1(VALU_DEP_4)
	v_max_num_f64_e32 v[33:34], v[1:2], v[1:2]
	v_cmp_u_f64_e64 s16, v[1:2], v[1:2]
	v_cmp_u_f64_e32 vcc_lo, v[3:4], v[3:4]
	v_dual_mov_b32 v70, v2 :: v_dual_mov_b32 v69, v1
	v_min_num_f64_e32 v[35:36], v[33:34], v[65:66]
	v_max_num_f64_e32 v[67:68], v[33:34], v[65:66]
	s_delay_alu instid0(VALU_DEP_2) | instskip(NEXT) | instid1(VALU_DEP_3)
	v_cndmask_b32_e64 v5, v35, v1, s16
	v_cndmask_b32_e64 v6, v36, v2, s16
	s_delay_alu instid0(VALU_DEP_3) | instskip(NEXT) | instid1(VALU_DEP_4)
	v_cndmask_b32_e64 v9, v68, v2, s16
	v_cndmask_b32_e64 v10, v67, v1, s16
	s_wait_alu 0xfffd
	s_delay_alu instid0(VALU_DEP_3) | instskip(NEXT) | instid1(VALU_DEP_2)
	v_dual_cndmask_b32 v7, v5, v3 :: v_dual_cndmask_b32 v8, v6, v4
	v_dual_cndmask_b32 v6, v9, v4 :: v_dual_cndmask_b32 v5, v10, v3
	s_delay_alu instid0(VALU_DEP_2) | instskip(NEXT) | instid1(VALU_DEP_2)
	v_cmp_class_f64_e64 s3, v[7:8], 0x1f8
	v_cmp_neq_f64_e64 s1, v[7:8], v[5:6]
	s_or_b32 s1, s1, s3
	s_wait_alu 0xfffe
	s_and_saveexec_b32 s10, s1
	s_cbranch_execz .LBB71_202
; %bb.201:
	v_add_f64_e64 v[7:8], v[7:8], -v[5:6]
	s_mov_b32 s4, 0x652b82fe
	s_mov_b32 s5, 0x3ff71547
	;; [unrolled: 1-line block ×10, first 2 shown]
	s_wait_alu 0xfffe
	s_delay_alu instid0(VALU_DEP_1) | instskip(SKIP_4) | instid1(VALU_DEP_3)
	v_mul_f64_e32 v[9:10], s[4:5], v[7:8]
	s_mov_b32 s5, 0xbfe62e42
	s_mov_b32 s4, 0xfefa39ef
	v_cmp_nlt_f64_e64 s1, 0x40900000, v[7:8]
	v_cmp_ngt_f64_e64 s3, 0xc090cc00, v[7:8]
	v_rndne_f64_e32 v[9:10], v[9:10]
	s_wait_alu 0xfffe
	s_delay_alu instid0(VALU_DEP_1) | instskip(SKIP_2) | instid1(VALU_DEP_2)
	v_fma_f64 v[11:12], v[9:10], s[4:5], v[7:8]
	v_cvt_i32_f64_e32 v15, v[9:10]
	s_mov_b32 s5, 0x3fe62e42
	v_fma_f64 v[11:12], v[9:10], s[6:7], v[11:12]
	s_mov_b32 s7, 0x3c7abc9e
	s_delay_alu instid0(VALU_DEP_1)
	v_fma_f64 v[13:14], v[11:12], s[12:13], s[8:9]
	s_mov_b32 s8, 0x623fde64
	s_mov_b32 s9, 0x3ec71dee
	;; [unrolled: 1-line block ×4, first 2 shown]
	s_wait_alu 0xfffe
	s_delay_alu instid0(VALU_DEP_1) | instskip(SKIP_3) | instid1(VALU_DEP_1)
	v_fma_f64 v[13:14], v[11:12], v[13:14], s[8:9]
	s_mov_b32 s8, 0x7c89e6b0
	s_mov_b32 s9, 0x3efa0199
	s_wait_alu 0xfffe
	v_fma_f64 v[13:14], v[11:12], v[13:14], s[8:9]
	s_mov_b32 s8, 0x14761f6e
	s_mov_b32 s9, 0x3f2a01a0
	s_wait_alu 0xfffe
	s_delay_alu instid0(VALU_DEP_1) | instskip(SKIP_3) | instid1(VALU_DEP_1)
	v_fma_f64 v[13:14], v[11:12], v[13:14], s[8:9]
	s_mov_b32 s8, 0x1852b7b0
	s_mov_b32 s9, 0x3f56c16c
	s_wait_alu 0xfffe
	v_fma_f64 v[13:14], v[11:12], v[13:14], s[8:9]
	s_mov_b32 s8, 0x11122322
	s_mov_b32 s9, 0x3f811111
	;; [unrolled: 9-line block ×4, first 2 shown]
	s_delay_alu instid0(VALU_DEP_1) | instskip(NEXT) | instid1(VALU_DEP_1)
	v_fma_f64 v[13:14], v[11:12], v[13:14], 1.0
	v_fma_f64 v[9:10], v[11:12], v[13:14], 1.0
	s_delay_alu instid0(VALU_DEP_1) | instskip(SKIP_1) | instid1(VALU_DEP_1)
	v_ldexp_f64 v[9:10], v[9:10], v15
	s_wait_alu 0xf1ff
	v_cndmask_b32_e64 v10, 0x7ff00000, v10, s1
	s_and_b32 s1, s3, s1
	s_wait_alu 0xfffe
	s_delay_alu instid0(VALU_DEP_2) | instskip(NEXT) | instid1(VALU_DEP_2)
	v_cndmask_b32_e64 v7, 0, v9, s1
	v_cndmask_b32_e64 v8, 0, v10, s3
	s_delay_alu instid0(VALU_DEP_1) | instskip(SKIP_1) | instid1(VALU_DEP_2)
	v_add_f64_e32 v[9:10], 1.0, v[7:8]
	v_cmp_neq_f64_e64 s3, 0x7ff00000, v[7:8]
	v_frexp_mant_f64_e32 v[11:12], v[9:10]
	v_frexp_exp_i32_f64_e32 v15, v[9:10]
	v_add_f64_e32 v[13:14], -1.0, v[9:10]
	s_delay_alu instid0(VALU_DEP_3)
	v_cmp_gt_f64_e64 s1, s[8:9], v[11:12]
	s_mov_b32 s8, 0x55555780
	v_add_f64_e64 v[11:12], v[13:14], -v[9:10]
	v_add_f64_e64 v[13:14], v[7:8], -v[13:14]
	s_wait_alu 0xf1ff
	v_subrev_co_ci_u32_e64 v31, null, 0, v15, s1
	s_delay_alu instid0(VALU_DEP_3) | instskip(SKIP_1) | instid1(VALU_DEP_3)
	v_add_f64_e32 v[11:12], 1.0, v[11:12]
	v_cmp_nge_f64_e64 s1, -1.0, v[7:8]
	v_sub_nc_u32_e32 v17, 0, v31
	s_delay_alu instid0(VALU_DEP_1) | instskip(NEXT) | instid1(VALU_DEP_4)
	v_ldexp_f64 v[9:10], v[9:10], v17
	v_add_f64_e32 v[11:12], v[13:14], v[11:12]
	s_and_b32 s1, s1, s3
	s_delay_alu instid0(VALU_DEP_2) | instskip(SKIP_1) | instid1(VALU_DEP_3)
	v_add_f64_e32 v[15:16], 1.0, v[9:10]
	v_add_f64_e32 v[21:22], -1.0, v[9:10]
	v_ldexp_f64 v[11:12], v[11:12], v17
	s_delay_alu instid0(VALU_DEP_3) | instskip(NEXT) | instid1(VALU_DEP_3)
	v_add_f64_e32 v[13:14], -1.0, v[15:16]
	v_add_f64_e32 v[23:24], 1.0, v[21:22]
	s_delay_alu instid0(VALU_DEP_2) | instskip(NEXT) | instid1(VALU_DEP_2)
	v_add_f64_e64 v[13:14], v[9:10], -v[13:14]
	v_add_f64_e64 v[9:10], v[9:10], -v[23:24]
	s_delay_alu instid0(VALU_DEP_2) | instskip(NEXT) | instid1(VALU_DEP_2)
	v_add_f64_e32 v[13:14], v[11:12], v[13:14]
	v_add_f64_e32 v[9:10], v[11:12], v[9:10]
	s_delay_alu instid0(VALU_DEP_2) | instskip(NEXT) | instid1(VALU_DEP_2)
	v_add_f64_e32 v[17:18], v[15:16], v[13:14]
	v_add_f64_e32 v[23:24], v[21:22], v[9:10]
	s_delay_alu instid0(VALU_DEP_2) | instskip(SKIP_1) | instid1(VALU_DEP_2)
	v_rcp_f64_e32 v[19:20], v[17:18]
	v_add_f64_e64 v[15:16], v[17:18], -v[15:16]
	v_add_f64_e64 v[21:22], v[23:24], -v[21:22]
	s_delay_alu instid0(VALU_DEP_2) | instskip(NEXT) | instid1(TRANS32_DEP_1)
	v_add_f64_e64 v[13:14], v[13:14], -v[15:16]
	v_fma_f64 v[25:26], -v[17:18], v[19:20], 1.0
	s_delay_alu instid0(VALU_DEP_3) | instskip(NEXT) | instid1(VALU_DEP_2)
	v_add_f64_e64 v[9:10], v[9:10], -v[21:22]
	v_fma_f64 v[19:20], v[25:26], v[19:20], v[19:20]
	s_delay_alu instid0(VALU_DEP_1) | instskip(NEXT) | instid1(VALU_DEP_1)
	v_fma_f64 v[11:12], -v[17:18], v[19:20], 1.0
	v_fma_f64 v[11:12], v[11:12], v[19:20], v[19:20]
	s_delay_alu instid0(VALU_DEP_1) | instskip(NEXT) | instid1(VALU_DEP_1)
	v_mul_f64_e32 v[19:20], v[23:24], v[11:12]
	v_mul_f64_e32 v[25:26], v[17:18], v[19:20]
	s_delay_alu instid0(VALU_DEP_1) | instskip(NEXT) | instid1(VALU_DEP_1)
	v_fma_f64 v[15:16], v[19:20], v[17:18], -v[25:26]
	v_fma_f64 v[15:16], v[19:20], v[13:14], v[15:16]
	s_delay_alu instid0(VALU_DEP_1) | instskip(NEXT) | instid1(VALU_DEP_1)
	v_add_f64_e32 v[27:28], v[25:26], v[15:16]
	v_add_f64_e64 v[29:30], v[23:24], -v[27:28]
	v_add_f64_e64 v[21:22], v[27:28], -v[25:26]
	s_delay_alu instid0(VALU_DEP_2) | instskip(NEXT) | instid1(VALU_DEP_2)
	v_add_f64_e64 v[23:24], v[23:24], -v[29:30]
	v_add_f64_e64 v[15:16], v[21:22], -v[15:16]
	s_delay_alu instid0(VALU_DEP_2) | instskip(NEXT) | instid1(VALU_DEP_1)
	v_add_f64_e64 v[23:24], v[23:24], -v[27:28]
	v_add_f64_e32 v[9:10], v[9:10], v[23:24]
	s_delay_alu instid0(VALU_DEP_1) | instskip(NEXT) | instid1(VALU_DEP_1)
	v_add_f64_e32 v[9:10], v[15:16], v[9:10]
	v_add_f64_e32 v[15:16], v[29:30], v[9:10]
	s_delay_alu instid0(VALU_DEP_1) | instskip(SKIP_1) | instid1(VALU_DEP_2)
	v_mul_f64_e32 v[21:22], v[11:12], v[15:16]
	v_add_f64_e64 v[27:28], v[29:30], -v[15:16]
	v_mul_f64_e32 v[23:24], v[17:18], v[21:22]
	s_delay_alu instid0(VALU_DEP_2) | instskip(NEXT) | instid1(VALU_DEP_2)
	v_add_f64_e32 v[9:10], v[9:10], v[27:28]
	v_fma_f64 v[17:18], v[21:22], v[17:18], -v[23:24]
	s_delay_alu instid0(VALU_DEP_1) | instskip(NEXT) | instid1(VALU_DEP_1)
	v_fma_f64 v[13:14], v[21:22], v[13:14], v[17:18]
	v_add_f64_e32 v[17:18], v[23:24], v[13:14]
	s_delay_alu instid0(VALU_DEP_1) | instskip(SKIP_1) | instid1(VALU_DEP_2)
	v_add_f64_e64 v[25:26], v[15:16], -v[17:18]
	v_add_f64_e64 v[23:24], v[17:18], -v[23:24]
	v_add_f64_e64 v[15:16], v[15:16], -v[25:26]
	s_delay_alu instid0(VALU_DEP_2) | instskip(NEXT) | instid1(VALU_DEP_2)
	v_add_f64_e64 v[13:14], v[23:24], -v[13:14]
	v_add_f64_e64 v[15:16], v[15:16], -v[17:18]
	s_delay_alu instid0(VALU_DEP_1) | instskip(SKIP_1) | instid1(VALU_DEP_2)
	v_add_f64_e32 v[9:10], v[9:10], v[15:16]
	v_add_f64_e32 v[15:16], v[19:20], v[21:22]
	;; [unrolled: 1-line block ×3, first 2 shown]
	s_delay_alu instid0(VALU_DEP_2) | instskip(NEXT) | instid1(VALU_DEP_2)
	v_add_f64_e64 v[13:14], v[15:16], -v[19:20]
	v_add_f64_e32 v[9:10], v[25:26], v[9:10]
	s_delay_alu instid0(VALU_DEP_2) | instskip(NEXT) | instid1(VALU_DEP_2)
	v_add_f64_e64 v[13:14], v[21:22], -v[13:14]
	v_mul_f64_e32 v[9:10], v[11:12], v[9:10]
	s_delay_alu instid0(VALU_DEP_1) | instskip(NEXT) | instid1(VALU_DEP_1)
	v_add_f64_e32 v[9:10], v[13:14], v[9:10]
	v_add_f64_e32 v[11:12], v[15:16], v[9:10]
	s_delay_alu instid0(VALU_DEP_1) | instskip(NEXT) | instid1(VALU_DEP_1)
	v_mul_f64_e32 v[13:14], v[11:12], v[11:12]
	v_fma_f64 v[17:18], v[13:14], s[14:15], s[12:13]
	s_mov_b32 s12, 0xd7f4df2e
	s_mov_b32 s13, 0x3fc7474d
	v_mul_f64_e32 v[19:20], v[11:12], v[13:14]
	s_wait_alu 0xfffe
	s_delay_alu instid0(VALU_DEP_2) | instskip(SKIP_3) | instid1(VALU_DEP_1)
	v_fma_f64 v[17:18], v[13:14], v[17:18], s[12:13]
	s_mov_b32 s12, 0x16291751
	s_mov_b32 s13, 0x3fcc71c0
	s_wait_alu 0xfffe
	v_fma_f64 v[17:18], v[13:14], v[17:18], s[12:13]
	s_mov_b32 s12, 0x9b27acf1
	s_mov_b32 s13, 0x3fd24924
	s_wait_alu 0xfffe
	s_delay_alu instid0(VALU_DEP_1) | instskip(SKIP_3) | instid1(VALU_DEP_1)
	v_fma_f64 v[17:18], v[13:14], v[17:18], s[12:13]
	s_mov_b32 s12, 0x998ef7b6
	s_mov_b32 s13, 0x3fd99999
	s_wait_alu 0xfffe
	v_fma_f64 v[17:18], v[13:14], v[17:18], s[12:13]
	s_delay_alu instid0(VALU_DEP_1) | instskip(SKIP_2) | instid1(VALU_DEP_3)
	v_fma_f64 v[13:14], v[13:14], v[17:18], s[8:9]
	v_ldexp_f64 v[17:18], v[11:12], 1
	v_add_f64_e64 v[11:12], v[11:12], -v[15:16]
	v_mul_f64_e32 v[13:14], v[19:20], v[13:14]
	v_cvt_f64_i32_e32 v[19:20], v31
	s_delay_alu instid0(VALU_DEP_3) | instskip(NEXT) | instid1(VALU_DEP_3)
	v_add_f64_e64 v[9:10], v[9:10], -v[11:12]
	v_add_f64_e32 v[15:16], v[17:18], v[13:14]
	s_delay_alu instid0(VALU_DEP_3) | instskip(NEXT) | instid1(VALU_DEP_3)
	v_mul_f64_e32 v[21:22], s[4:5], v[19:20]
	v_ldexp_f64 v[9:10], v[9:10], 1
	s_delay_alu instid0(VALU_DEP_3) | instskip(NEXT) | instid1(VALU_DEP_3)
	v_add_f64_e64 v[11:12], v[15:16], -v[17:18]
	v_fma_f64 v[17:18], v[19:20], s[4:5], -v[21:22]
	v_cmp_ngt_f64_e64 s4, -1.0, v[7:8]
	s_delay_alu instid0(VALU_DEP_3) | instskip(NEXT) | instid1(VALU_DEP_3)
	v_add_f64_e64 v[11:12], v[13:14], -v[11:12]
	v_fma_f64 v[13:14], v[19:20], s[6:7], v[17:18]
	s_delay_alu instid0(VALU_DEP_2) | instskip(NEXT) | instid1(VALU_DEP_2)
	v_add_f64_e32 v[9:10], v[9:10], v[11:12]
	v_add_f64_e32 v[11:12], v[21:22], v[13:14]
	s_delay_alu instid0(VALU_DEP_2) | instskip(NEXT) | instid1(VALU_DEP_2)
	v_add_f64_e32 v[17:18], v[15:16], v[9:10]
	v_add_f64_e64 v[21:22], v[11:12], -v[21:22]
	s_delay_alu instid0(VALU_DEP_2) | instskip(SKIP_1) | instid1(VALU_DEP_3)
	v_add_f64_e32 v[19:20], v[11:12], v[17:18]
	v_add_f64_e64 v[15:16], v[17:18], -v[15:16]
	v_add_f64_e64 v[13:14], v[13:14], -v[21:22]
	s_delay_alu instid0(VALU_DEP_3) | instskip(NEXT) | instid1(VALU_DEP_3)
	v_add_f64_e64 v[23:24], v[19:20], -v[11:12]
	v_add_f64_e64 v[9:10], v[9:10], -v[15:16]
	s_delay_alu instid0(VALU_DEP_2) | instskip(SKIP_1) | instid1(VALU_DEP_3)
	v_add_f64_e64 v[25:26], v[19:20], -v[23:24]
	v_add_f64_e64 v[15:16], v[17:18], -v[23:24]
	v_add_f64_e32 v[17:18], v[13:14], v[9:10]
	s_delay_alu instid0(VALU_DEP_3) | instskip(NEXT) | instid1(VALU_DEP_1)
	v_add_f64_e64 v[11:12], v[11:12], -v[25:26]
	v_add_f64_e32 v[11:12], v[15:16], v[11:12]
	s_delay_alu instid0(VALU_DEP_3) | instskip(NEXT) | instid1(VALU_DEP_2)
	v_add_f64_e64 v[15:16], v[17:18], -v[13:14]
	v_add_f64_e32 v[11:12], v[17:18], v[11:12]
	s_delay_alu instid0(VALU_DEP_2) | instskip(SKIP_1) | instid1(VALU_DEP_3)
	v_add_f64_e64 v[17:18], v[17:18], -v[15:16]
	v_add_f64_e64 v[9:10], v[9:10], -v[15:16]
	v_add_f64_e32 v[21:22], v[19:20], v[11:12]
	s_delay_alu instid0(VALU_DEP_3) | instskip(NEXT) | instid1(VALU_DEP_2)
	v_add_f64_e64 v[13:14], v[13:14], -v[17:18]
	v_add_f64_e64 v[15:16], v[21:22], -v[19:20]
	s_delay_alu instid0(VALU_DEP_2) | instskip(NEXT) | instid1(VALU_DEP_2)
	v_add_f64_e32 v[9:10], v[9:10], v[13:14]
	v_add_f64_e64 v[11:12], v[11:12], -v[15:16]
	s_delay_alu instid0(VALU_DEP_1) | instskip(NEXT) | instid1(VALU_DEP_1)
	v_add_f64_e32 v[9:10], v[9:10], v[11:12]
	v_add_f64_e32 v[9:10], v[21:22], v[9:10]
	s_delay_alu instid0(VALU_DEP_1) | instskip(SKIP_1) | instid1(VALU_DEP_3)
	v_cndmask_b32_e64 v9, 0, v9, s1
	v_cmp_neq_f64_e64 s1, -1.0, v[7:8]
	v_cndmask_b32_e64 v10, 0x7ff00000, v10, s3
	s_wait_alu 0xf1ff
	s_delay_alu instid0(VALU_DEP_1) | instskip(NEXT) | instid1(VALU_DEP_1)
	v_cndmask_b32_e64 v10, 0x7ff80000, v10, s4
	v_cndmask_b32_e64 v10, 0xfff00000, v10, s1
	s_delay_alu instid0(VALU_DEP_1)
	v_add_f64_e32 v[69:70], v[5:6], v[9:10]
.LBB71_202:
	s_or_b32 exec_lo, exec_lo, s10
	v_max_num_f64_e32 v[5:6], v[61:62], v[61:62]
	s_delay_alu instid0(VALU_DEP_2) | instskip(SKIP_2) | instid1(VALU_DEP_3)
	v_max_num_f64_e32 v[7:8], v[69:70], v[69:70]
	v_cmp_u_f64_e64 s3, v[69:70], v[69:70]
	v_cmp_u_f64_e64 s1, v[61:62], v[61:62]
	v_min_num_f64_e32 v[9:10], v[7:8], v[5:6]
	v_max_num_f64_e32 v[7:8], v[7:8], v[5:6]
	s_wait_alu 0xf1ff
	s_delay_alu instid0(VALU_DEP_2) | instskip(NEXT) | instid1(VALU_DEP_3)
	v_cndmask_b32_e64 v9, v9, v69, s3
	v_cndmask_b32_e64 v10, v10, v70, s3
	s_delay_alu instid0(VALU_DEP_3) | instskip(NEXT) | instid1(VALU_DEP_4)
	v_cndmask_b32_e64 v8, v8, v70, s3
	v_cndmask_b32_e64 v7, v7, v69, s3
	s_delay_alu instid0(VALU_DEP_4) | instskip(NEXT) | instid1(VALU_DEP_4)
	v_cndmask_b32_e64 v9, v9, v61, s1
	v_cndmask_b32_e64 v10, v10, v62, s1
	s_delay_alu instid0(VALU_DEP_4) | instskip(NEXT) | instid1(VALU_DEP_4)
	v_cndmask_b32_e64 v8, v8, v62, s1
	v_cndmask_b32_e64 v7, v7, v61, s1
	s_delay_alu instid0(VALU_DEP_3) | instskip(NEXT) | instid1(VALU_DEP_2)
	v_cmp_class_f64_e64 s4, v[9:10], 0x1f8
	v_cmp_neq_f64_e64 s3, v[9:10], v[7:8]
	s_or_b32 s3, s3, s4
	s_wait_alu 0xfffe
	s_and_saveexec_b32 s10, s3
	s_cbranch_execz .LBB71_204
; %bb.203:
	v_add_f64_e64 v[9:10], v[9:10], -v[7:8]
	s_mov_b32 s4, 0x652b82fe
	s_mov_b32 s5, 0x3ff71547
	;; [unrolled: 1-line block ×10, first 2 shown]
	s_wait_alu 0xfffe
	s_delay_alu instid0(VALU_DEP_1) | instskip(SKIP_3) | instid1(VALU_DEP_2)
	v_mul_f64_e32 v[11:12], s[4:5], v[9:10]
	s_mov_b32 s4, 0xfca7ab0c
	s_mov_b32 s5, 0x3e928af3
	v_cmp_nlt_f64_e64 s3, 0x40900000, v[9:10]
	v_rndne_f64_e32 v[11:12], v[11:12]
	s_delay_alu instid0(VALU_DEP_1) | instskip(SKIP_2) | instid1(VALU_DEP_2)
	v_fma_f64 v[13:14], v[11:12], s[6:7], v[9:10]
	v_cvt_i32_f64_e32 v17, v[11:12]
	s_mov_b32 s7, 0x3fe62e42
	v_fma_f64 v[13:14], v[11:12], s[8:9], v[13:14]
	s_mov_b32 s9, 0x3c7abc9e
	s_wait_alu 0xfffe
	s_delay_alu instid0(VALU_DEP_1)
	v_fma_f64 v[15:16], v[13:14], s[12:13], s[4:5]
	s_mov_b32 s4, 0x623fde64
	s_mov_b32 s5, 0x3ec71dee
	;; [unrolled: 1-line block ×4, first 2 shown]
	s_wait_alu 0xfffe
	s_delay_alu instid0(VALU_DEP_1) | instskip(SKIP_3) | instid1(VALU_DEP_1)
	v_fma_f64 v[15:16], v[13:14], v[15:16], s[4:5]
	s_mov_b32 s4, 0x7c89e6b0
	s_mov_b32 s5, 0x3efa0199
	s_wait_alu 0xfffe
	v_fma_f64 v[15:16], v[13:14], v[15:16], s[4:5]
	s_mov_b32 s4, 0x14761f6e
	s_mov_b32 s5, 0x3f2a01a0
	s_wait_alu 0xfffe
	s_delay_alu instid0(VALU_DEP_1) | instskip(SKIP_3) | instid1(VALU_DEP_1)
	v_fma_f64 v[15:16], v[13:14], v[15:16], s[4:5]
	s_mov_b32 s4, 0x1852b7b0
	s_mov_b32 s5, 0x3f56c16c
	s_wait_alu 0xfffe
	v_fma_f64 v[15:16], v[13:14], v[15:16], s[4:5]
	s_mov_b32 s4, 0x11122322
	s_mov_b32 s5, 0x3f811111
	;; [unrolled: 9-line block ×3, first 2 shown]
	s_wait_alu 0xfffe
	s_delay_alu instid0(VALU_DEP_1) | instskip(SKIP_3) | instid1(VALU_DEP_1)
	v_fma_f64 v[15:16], v[13:14], v[15:16], s[4:5]
	s_mov_b32 s4, 11
	s_mov_b32 s5, 0x3fe00000
	s_wait_alu 0xfffe
	v_fma_f64 v[15:16], v[13:14], v[15:16], s[4:5]
	v_cmp_ngt_f64_e64 s4, 0xc090cc00, v[9:10]
	s_mov_b32 s5, 0x3fe55555
	v_fma_f64 v[15:16], v[13:14], v[15:16], 1.0
	s_delay_alu instid0(VALU_DEP_1) | instskip(NEXT) | instid1(VALU_DEP_1)
	v_fma_f64 v[11:12], v[13:14], v[15:16], 1.0
	v_ldexp_f64 v[11:12], v[11:12], v17
	s_wait_alu 0xf1ff
	s_delay_alu instid0(VALU_DEP_1) | instskip(SKIP_2) | instid1(VALU_DEP_2)
	v_cndmask_b32_e64 v12, 0x7ff00000, v12, s3
	s_and_b32 s3, s4, s3
	s_wait_alu 0xfffe
	v_cndmask_b32_e64 v9, 0, v11, s3
	s_delay_alu instid0(VALU_DEP_2) | instskip(SKIP_1) | instid1(VALU_DEP_1)
	v_cndmask_b32_e64 v10, 0, v12, s4
	s_mov_b32 s4, 0x55555555
	v_add_f64_e32 v[11:12], 1.0, v[9:10]
	s_delay_alu instid0(VALU_DEP_1) | instskip(SKIP_3) | instid1(VALU_DEP_3)
	v_frexp_mant_f64_e32 v[13:14], v[11:12]
	v_frexp_exp_i32_f64_e32 v17, v[11:12]
	v_add_f64_e32 v[15:16], -1.0, v[11:12]
	s_wait_alu 0xfffe
	v_cmp_gt_f64_e64 s3, s[4:5], v[13:14]
	s_mov_b32 s4, 0x55555780
	v_add_f64_e64 v[13:14], v[15:16], -v[11:12]
	v_add_f64_e64 v[15:16], v[9:10], -v[15:16]
	s_wait_alu 0xf1ff
	v_subrev_co_ci_u32_e64 v69, null, 0, v17, s3
	s_delay_alu instid0(VALU_DEP_3) | instskip(SKIP_1) | instid1(VALU_DEP_3)
	v_add_f64_e32 v[13:14], 1.0, v[13:14]
	v_cmp_nge_f64_e64 s3, -1.0, v[9:10]
	v_sub_nc_u32_e32 v19, 0, v69
	s_delay_alu instid0(VALU_DEP_1) | instskip(NEXT) | instid1(VALU_DEP_4)
	v_ldexp_f64 v[11:12], v[11:12], v19
	v_add_f64_e32 v[13:14], v[15:16], v[13:14]
	s_delay_alu instid0(VALU_DEP_2) | instskip(SKIP_1) | instid1(VALU_DEP_3)
	v_add_f64_e32 v[17:18], 1.0, v[11:12]
	v_add_f64_e32 v[23:24], -1.0, v[11:12]
	v_ldexp_f64 v[13:14], v[13:14], v19
	s_delay_alu instid0(VALU_DEP_3) | instskip(NEXT) | instid1(VALU_DEP_3)
	v_add_f64_e32 v[15:16], -1.0, v[17:18]
	v_add_f64_e32 v[25:26], 1.0, v[23:24]
	s_delay_alu instid0(VALU_DEP_2) | instskip(NEXT) | instid1(VALU_DEP_2)
	v_add_f64_e64 v[15:16], v[11:12], -v[15:16]
	v_add_f64_e64 v[11:12], v[11:12], -v[25:26]
	s_delay_alu instid0(VALU_DEP_2) | instskip(NEXT) | instid1(VALU_DEP_2)
	v_add_f64_e32 v[15:16], v[13:14], v[15:16]
	v_add_f64_e32 v[11:12], v[13:14], v[11:12]
	s_delay_alu instid0(VALU_DEP_2) | instskip(NEXT) | instid1(VALU_DEP_2)
	v_add_f64_e32 v[19:20], v[17:18], v[15:16]
	v_add_f64_e32 v[25:26], v[23:24], v[11:12]
	s_delay_alu instid0(VALU_DEP_2) | instskip(SKIP_1) | instid1(VALU_DEP_2)
	v_rcp_f64_e32 v[21:22], v[19:20]
	v_add_f64_e64 v[17:18], v[19:20], -v[17:18]
	v_add_f64_e64 v[23:24], v[25:26], -v[23:24]
	s_delay_alu instid0(VALU_DEP_2) | instskip(NEXT) | instid1(TRANS32_DEP_1)
	v_add_f64_e64 v[15:16], v[15:16], -v[17:18]
	v_fma_f64 v[27:28], -v[19:20], v[21:22], 1.0
	s_delay_alu instid0(VALU_DEP_3) | instskip(NEXT) | instid1(VALU_DEP_2)
	v_add_f64_e64 v[11:12], v[11:12], -v[23:24]
	v_fma_f64 v[21:22], v[27:28], v[21:22], v[21:22]
	s_delay_alu instid0(VALU_DEP_1) | instskip(NEXT) | instid1(VALU_DEP_1)
	v_fma_f64 v[13:14], -v[19:20], v[21:22], 1.0
	v_fma_f64 v[13:14], v[13:14], v[21:22], v[21:22]
	s_delay_alu instid0(VALU_DEP_1) | instskip(NEXT) | instid1(VALU_DEP_1)
	v_mul_f64_e32 v[21:22], v[25:26], v[13:14]
	v_mul_f64_e32 v[27:28], v[19:20], v[21:22]
	s_delay_alu instid0(VALU_DEP_1) | instskip(NEXT) | instid1(VALU_DEP_1)
	v_fma_f64 v[17:18], v[21:22], v[19:20], -v[27:28]
	v_fma_f64 v[17:18], v[21:22], v[15:16], v[17:18]
	s_delay_alu instid0(VALU_DEP_1) | instskip(NEXT) | instid1(VALU_DEP_1)
	v_add_f64_e32 v[29:30], v[27:28], v[17:18]
	v_add_f64_e64 v[31:32], v[25:26], -v[29:30]
	v_add_f64_e64 v[23:24], v[29:30], -v[27:28]
	s_delay_alu instid0(VALU_DEP_2) | instskip(NEXT) | instid1(VALU_DEP_2)
	v_add_f64_e64 v[25:26], v[25:26], -v[31:32]
	v_add_f64_e64 v[17:18], v[23:24], -v[17:18]
	s_delay_alu instid0(VALU_DEP_2) | instskip(NEXT) | instid1(VALU_DEP_1)
	v_add_f64_e64 v[25:26], v[25:26], -v[29:30]
	v_add_f64_e32 v[11:12], v[11:12], v[25:26]
	s_delay_alu instid0(VALU_DEP_1) | instskip(NEXT) | instid1(VALU_DEP_1)
	v_add_f64_e32 v[11:12], v[17:18], v[11:12]
	v_add_f64_e32 v[17:18], v[31:32], v[11:12]
	s_delay_alu instid0(VALU_DEP_1) | instskip(SKIP_1) | instid1(VALU_DEP_2)
	v_mul_f64_e32 v[23:24], v[13:14], v[17:18]
	v_add_f64_e64 v[29:30], v[31:32], -v[17:18]
	v_mul_f64_e32 v[25:26], v[19:20], v[23:24]
	s_delay_alu instid0(VALU_DEP_2) | instskip(NEXT) | instid1(VALU_DEP_2)
	v_add_f64_e32 v[11:12], v[11:12], v[29:30]
	v_fma_f64 v[19:20], v[23:24], v[19:20], -v[25:26]
	s_delay_alu instid0(VALU_DEP_1) | instskip(NEXT) | instid1(VALU_DEP_1)
	v_fma_f64 v[15:16], v[23:24], v[15:16], v[19:20]
	v_add_f64_e32 v[19:20], v[25:26], v[15:16]
	s_delay_alu instid0(VALU_DEP_1) | instskip(SKIP_1) | instid1(VALU_DEP_2)
	v_add_f64_e64 v[27:28], v[17:18], -v[19:20]
	v_add_f64_e64 v[25:26], v[19:20], -v[25:26]
	;; [unrolled: 1-line block ×3, first 2 shown]
	s_delay_alu instid0(VALU_DEP_2) | instskip(NEXT) | instid1(VALU_DEP_2)
	v_add_f64_e64 v[15:16], v[25:26], -v[15:16]
	v_add_f64_e64 v[17:18], v[17:18], -v[19:20]
	s_delay_alu instid0(VALU_DEP_1) | instskip(SKIP_1) | instid1(VALU_DEP_2)
	v_add_f64_e32 v[11:12], v[11:12], v[17:18]
	v_add_f64_e32 v[17:18], v[21:22], v[23:24]
	;; [unrolled: 1-line block ×3, first 2 shown]
	s_delay_alu instid0(VALU_DEP_2) | instskip(NEXT) | instid1(VALU_DEP_2)
	v_add_f64_e64 v[15:16], v[17:18], -v[21:22]
	v_add_f64_e32 v[11:12], v[27:28], v[11:12]
	s_delay_alu instid0(VALU_DEP_2) | instskip(NEXT) | instid1(VALU_DEP_2)
	v_add_f64_e64 v[15:16], v[23:24], -v[15:16]
	v_mul_f64_e32 v[11:12], v[13:14], v[11:12]
	s_delay_alu instid0(VALU_DEP_1) | instskip(NEXT) | instid1(VALU_DEP_1)
	v_add_f64_e32 v[11:12], v[15:16], v[11:12]
	v_add_f64_e32 v[13:14], v[17:18], v[11:12]
	s_delay_alu instid0(VALU_DEP_1) | instskip(NEXT) | instid1(VALU_DEP_1)
	v_mul_f64_e32 v[15:16], v[13:14], v[13:14]
	v_fma_f64 v[19:20], v[15:16], s[14:15], s[12:13]
	s_mov_b32 s12, 0xd7f4df2e
	s_mov_b32 s13, 0x3fc7474d
	v_mul_f64_e32 v[21:22], v[13:14], v[15:16]
	s_wait_alu 0xfffe
	s_delay_alu instid0(VALU_DEP_2) | instskip(SKIP_3) | instid1(VALU_DEP_1)
	v_fma_f64 v[19:20], v[15:16], v[19:20], s[12:13]
	s_mov_b32 s12, 0x16291751
	s_mov_b32 s13, 0x3fcc71c0
	s_wait_alu 0xfffe
	v_fma_f64 v[19:20], v[15:16], v[19:20], s[12:13]
	s_mov_b32 s12, 0x9b27acf1
	s_mov_b32 s13, 0x3fd24924
	s_wait_alu 0xfffe
	s_delay_alu instid0(VALU_DEP_1) | instskip(SKIP_3) | instid1(VALU_DEP_1)
	v_fma_f64 v[19:20], v[15:16], v[19:20], s[12:13]
	s_mov_b32 s12, 0x998ef7b6
	s_mov_b32 s13, 0x3fd99999
	s_wait_alu 0xfffe
	v_fma_f64 v[19:20], v[15:16], v[19:20], s[12:13]
	s_delay_alu instid0(VALU_DEP_1)
	v_fma_f64 v[15:16], v[15:16], v[19:20], s[4:5]
	v_ldexp_f64 v[19:20], v[13:14], 1
	v_add_f64_e64 v[13:14], v[13:14], -v[17:18]
	v_cmp_neq_f64_e64 s4, 0x7ff00000, v[9:10]
	v_cmp_ngt_f64_e64 s5, -1.0, v[9:10]
	v_mul_f64_e32 v[15:16], v[21:22], v[15:16]
	v_cvt_f64_i32_e32 v[21:22], v69
	v_add_f64_e64 v[11:12], v[11:12], -v[13:14]
	s_and_b32 s3, s3, s4
	s_delay_alu instid0(VALU_DEP_3) | instskip(NEXT) | instid1(VALU_DEP_3)
	v_add_f64_e32 v[17:18], v[19:20], v[15:16]
	v_mul_f64_e32 v[23:24], s[6:7], v[21:22]
	s_delay_alu instid0(VALU_DEP_3) | instskip(NEXT) | instid1(VALU_DEP_3)
	v_ldexp_f64 v[11:12], v[11:12], 1
	v_add_f64_e64 v[13:14], v[17:18], -v[19:20]
	s_delay_alu instid0(VALU_DEP_3) | instskip(NEXT) | instid1(VALU_DEP_2)
	v_fma_f64 v[19:20], v[21:22], s[6:7], -v[23:24]
	v_add_f64_e64 v[13:14], v[15:16], -v[13:14]
	s_delay_alu instid0(VALU_DEP_2) | instskip(NEXT) | instid1(VALU_DEP_2)
	v_fma_f64 v[15:16], v[21:22], s[8:9], v[19:20]
	v_add_f64_e32 v[11:12], v[11:12], v[13:14]
	s_delay_alu instid0(VALU_DEP_2) | instskip(NEXT) | instid1(VALU_DEP_2)
	v_add_f64_e32 v[13:14], v[23:24], v[15:16]
	v_add_f64_e32 v[19:20], v[17:18], v[11:12]
	s_delay_alu instid0(VALU_DEP_2) | instskip(NEXT) | instid1(VALU_DEP_2)
	v_add_f64_e64 v[23:24], v[13:14], -v[23:24]
	v_add_f64_e32 v[21:22], v[13:14], v[19:20]
	v_add_f64_e64 v[17:18], v[19:20], -v[17:18]
	s_delay_alu instid0(VALU_DEP_3) | instskip(NEXT) | instid1(VALU_DEP_3)
	v_add_f64_e64 v[15:16], v[15:16], -v[23:24]
	v_add_f64_e64 v[25:26], v[21:22], -v[13:14]
	s_delay_alu instid0(VALU_DEP_3) | instskip(NEXT) | instid1(VALU_DEP_2)
	v_add_f64_e64 v[11:12], v[11:12], -v[17:18]
	v_add_f64_e64 v[27:28], v[21:22], -v[25:26]
	;; [unrolled: 1-line block ×3, first 2 shown]
	s_delay_alu instid0(VALU_DEP_3) | instskip(NEXT) | instid1(VALU_DEP_3)
	v_add_f64_e32 v[19:20], v[15:16], v[11:12]
	v_add_f64_e64 v[13:14], v[13:14], -v[27:28]
	s_delay_alu instid0(VALU_DEP_1) | instskip(NEXT) | instid1(VALU_DEP_3)
	v_add_f64_e32 v[13:14], v[17:18], v[13:14]
	v_add_f64_e64 v[17:18], v[19:20], -v[15:16]
	s_delay_alu instid0(VALU_DEP_2) | instskip(NEXT) | instid1(VALU_DEP_2)
	v_add_f64_e32 v[13:14], v[19:20], v[13:14]
	v_add_f64_e64 v[19:20], v[19:20], -v[17:18]
	v_add_f64_e64 v[11:12], v[11:12], -v[17:18]
	s_delay_alu instid0(VALU_DEP_3) | instskip(NEXT) | instid1(VALU_DEP_3)
	v_add_f64_e32 v[23:24], v[21:22], v[13:14]
	v_add_f64_e64 v[15:16], v[15:16], -v[19:20]
	s_delay_alu instid0(VALU_DEP_2) | instskip(NEXT) | instid1(VALU_DEP_2)
	v_add_f64_e64 v[17:18], v[23:24], -v[21:22]
	v_add_f64_e32 v[11:12], v[11:12], v[15:16]
	s_delay_alu instid0(VALU_DEP_2) | instskip(NEXT) | instid1(VALU_DEP_1)
	v_add_f64_e64 v[13:14], v[13:14], -v[17:18]
	v_add_f64_e32 v[11:12], v[11:12], v[13:14]
	s_delay_alu instid0(VALU_DEP_1) | instskip(SKIP_1) | instid1(VALU_DEP_1)
	v_add_f64_e32 v[11:12], v[23:24], v[11:12]
	s_wait_alu 0xfffe
	v_cndmask_b32_e64 v11, 0, v11, s3
	v_cmp_neq_f64_e64 s3, -1.0, v[9:10]
	s_delay_alu instid0(VALU_DEP_3) | instskip(NEXT) | instid1(VALU_DEP_1)
	v_cndmask_b32_e64 v12, 0x7ff00000, v12, s4
	v_cndmask_b32_e64 v12, 0x7ff80000, v12, s5
	s_wait_alu 0xf1ff
	s_delay_alu instid0(VALU_DEP_1) | instskip(NEXT) | instid1(VALU_DEP_1)
	v_cndmask_b32_e64 v12, 0xfff00000, v12, s3
	v_add_f64_e32 v[69:70], v[7:8], v[11:12]
.LBB71_204:
	s_or_b32 exec_lo, exec_lo, s10
	v_max_num_f64_e32 v[7:8], v[63:64], v[63:64]
	s_delay_alu instid0(VALU_DEP_2) | instskip(SKIP_2) | instid1(VALU_DEP_3)
	v_max_num_f64_e32 v[9:10], v[69:70], v[69:70]
	v_cmp_u_f64_e64 s4, v[69:70], v[69:70]
	v_cmp_u_f64_e64 s3, v[63:64], v[63:64]
	v_min_num_f64_e32 v[11:12], v[9:10], v[7:8]
	v_max_num_f64_e32 v[9:10], v[9:10], v[7:8]
	s_wait_alu 0xf1ff
	s_delay_alu instid0(VALU_DEP_2) | instskip(NEXT) | instid1(VALU_DEP_3)
	v_cndmask_b32_e64 v11, v11, v69, s4
	v_cndmask_b32_e64 v12, v12, v70, s4
	s_delay_alu instid0(VALU_DEP_3) | instskip(NEXT) | instid1(VALU_DEP_4)
	v_cndmask_b32_e64 v10, v10, v70, s4
	v_cndmask_b32_e64 v9, v9, v69, s4
	s_delay_alu instid0(VALU_DEP_4) | instskip(NEXT) | instid1(VALU_DEP_4)
	v_cndmask_b32_e64 v11, v11, v63, s3
	v_cndmask_b32_e64 v12, v12, v64, s3
	s_delay_alu instid0(VALU_DEP_4) | instskip(NEXT) | instid1(VALU_DEP_4)
	v_cndmask_b32_e64 v10, v10, v64, s3
	v_cndmask_b32_e64 v9, v9, v63, s3
	s_delay_alu instid0(VALU_DEP_3) | instskip(NEXT) | instid1(VALU_DEP_2)
	v_cmp_class_f64_e64 s5, v[11:12], 0x1f8
	v_cmp_neq_f64_e64 s4, v[11:12], v[9:10]
	s_or_b32 s4, s4, s5
	s_wait_alu 0xfffe
	s_and_saveexec_b32 s10, s4
	s_cbranch_execz .LBB71_206
; %bb.205:
	v_add_f64_e64 v[11:12], v[11:12], -v[9:10]
	s_mov_b32 s4, 0x652b82fe
	s_mov_b32 s5, 0x3ff71547
	;; [unrolled: 1-line block ×10, first 2 shown]
	s_wait_alu 0xfffe
	s_delay_alu instid0(VALU_DEP_1) | instskip(SKIP_2) | instid1(VALU_DEP_1)
	v_mul_f64_e32 v[13:14], s[4:5], v[11:12]
	s_mov_b32 s4, 0xfca7ab0c
	s_mov_b32 s5, 0x3e928af3
	v_rndne_f64_e32 v[13:14], v[13:14]
	s_delay_alu instid0(VALU_DEP_1) | instskip(SKIP_2) | instid1(VALU_DEP_2)
	v_fma_f64 v[15:16], v[13:14], s[6:7], v[11:12]
	v_cvt_i32_f64_e32 v19, v[13:14]
	s_mov_b32 s7, 0x3fe62e42
	v_fma_f64 v[15:16], v[13:14], s[8:9], v[15:16]
	s_mov_b32 s9, 0x3c7abc9e
	s_wait_alu 0xfffe
	s_delay_alu instid0(VALU_DEP_1)
	v_fma_f64 v[17:18], v[15:16], s[12:13], s[4:5]
	s_mov_b32 s4, 0x623fde64
	s_mov_b32 s5, 0x3ec71dee
	;; [unrolled: 1-line block ×4, first 2 shown]
	s_wait_alu 0xfffe
	s_delay_alu instid0(VALU_DEP_1) | instskip(SKIP_3) | instid1(VALU_DEP_1)
	v_fma_f64 v[17:18], v[15:16], v[17:18], s[4:5]
	s_mov_b32 s4, 0x7c89e6b0
	s_mov_b32 s5, 0x3efa0199
	s_wait_alu 0xfffe
	v_fma_f64 v[17:18], v[15:16], v[17:18], s[4:5]
	s_mov_b32 s4, 0x14761f6e
	s_mov_b32 s5, 0x3f2a01a0
	s_wait_alu 0xfffe
	s_delay_alu instid0(VALU_DEP_1) | instskip(SKIP_3) | instid1(VALU_DEP_1)
	v_fma_f64 v[17:18], v[15:16], v[17:18], s[4:5]
	s_mov_b32 s4, 0x1852b7b0
	s_mov_b32 s5, 0x3f56c16c
	s_wait_alu 0xfffe
	v_fma_f64 v[17:18], v[15:16], v[17:18], s[4:5]
	s_mov_b32 s4, 0x11122322
	s_mov_b32 s5, 0x3f811111
	;; [unrolled: 9-line block ×3, first 2 shown]
	s_wait_alu 0xfffe
	s_delay_alu instid0(VALU_DEP_1) | instskip(SKIP_3) | instid1(VALU_DEP_1)
	v_fma_f64 v[17:18], v[15:16], v[17:18], s[4:5]
	s_mov_b32 s4, 11
	s_mov_b32 s5, 0x3fe00000
	s_wait_alu 0xfffe
	v_fma_f64 v[17:18], v[15:16], v[17:18], s[4:5]
	v_cmp_nlt_f64_e64 s4, 0x40900000, v[11:12]
	v_cmp_ngt_f64_e64 s5, 0xc090cc00, v[11:12]
	s_delay_alu instid0(VALU_DEP_3) | instskip(NEXT) | instid1(VALU_DEP_1)
	v_fma_f64 v[17:18], v[15:16], v[17:18], 1.0
	v_fma_f64 v[13:14], v[15:16], v[17:18], 1.0
	s_delay_alu instid0(VALU_DEP_1) | instskip(SKIP_1) | instid1(VALU_DEP_1)
	v_ldexp_f64 v[13:14], v[13:14], v19
	s_wait_alu 0xf1ff
	v_cndmask_b32_e64 v14, 0x7ff00000, v14, s4
	s_and_b32 s4, s5, s4
	s_wait_alu 0xfffe
	s_delay_alu instid0(VALU_DEP_2) | instskip(SKIP_3) | instid1(VALU_DEP_1)
	v_cndmask_b32_e64 v11, 0, v13, s4
	s_mov_b32 s4, 0x55555555
	v_cndmask_b32_e64 v12, 0, v14, s5
	s_mov_b32 s5, 0x3fe55555
	v_add_f64_e32 v[13:14], 1.0, v[11:12]
	s_delay_alu instid0(VALU_DEP_1) | instskip(SKIP_3) | instid1(VALU_DEP_3)
	v_frexp_mant_f64_e32 v[15:16], v[13:14]
	v_frexp_exp_i32_f64_e32 v19, v[13:14]
	v_add_f64_e32 v[17:18], -1.0, v[13:14]
	s_wait_alu 0xfffe
	v_cmp_gt_f64_e64 s4, s[4:5], v[15:16]
	s_delay_alu instid0(VALU_DEP_2) | instskip(SKIP_2) | instid1(VALU_DEP_3)
	v_add_f64_e64 v[15:16], v[17:18], -v[13:14]
	v_add_f64_e64 v[17:18], v[11:12], -v[17:18]
	s_wait_alu 0xf1ff
	v_subrev_co_ci_u32_e64 v71, null, 0, v19, s4
	s_delay_alu instid0(VALU_DEP_3) | instskip(SKIP_1) | instid1(VALU_DEP_2)
	v_add_f64_e32 v[15:16], 1.0, v[15:16]
	s_mov_b32 s4, 0x55555780
	v_sub_nc_u32_e32 v21, 0, v71
	s_delay_alu instid0(VALU_DEP_1) | instskip(NEXT) | instid1(VALU_DEP_3)
	v_ldexp_f64 v[13:14], v[13:14], v21
	v_add_f64_e32 v[15:16], v[17:18], v[15:16]
	s_delay_alu instid0(VALU_DEP_2) | instskip(SKIP_1) | instid1(VALU_DEP_3)
	v_add_f64_e32 v[19:20], 1.0, v[13:14]
	v_add_f64_e32 v[25:26], -1.0, v[13:14]
	v_ldexp_f64 v[15:16], v[15:16], v21
	s_delay_alu instid0(VALU_DEP_3) | instskip(NEXT) | instid1(VALU_DEP_3)
	v_add_f64_e32 v[17:18], -1.0, v[19:20]
	v_add_f64_e32 v[27:28], 1.0, v[25:26]
	s_delay_alu instid0(VALU_DEP_2) | instskip(NEXT) | instid1(VALU_DEP_2)
	v_add_f64_e64 v[17:18], v[13:14], -v[17:18]
	v_add_f64_e64 v[13:14], v[13:14], -v[27:28]
	s_delay_alu instid0(VALU_DEP_2) | instskip(NEXT) | instid1(VALU_DEP_2)
	v_add_f64_e32 v[17:18], v[15:16], v[17:18]
	v_add_f64_e32 v[13:14], v[15:16], v[13:14]
	s_delay_alu instid0(VALU_DEP_2) | instskip(NEXT) | instid1(VALU_DEP_2)
	v_add_f64_e32 v[21:22], v[19:20], v[17:18]
	v_add_f64_e32 v[27:28], v[25:26], v[13:14]
	s_delay_alu instid0(VALU_DEP_2) | instskip(SKIP_1) | instid1(VALU_DEP_2)
	v_rcp_f64_e32 v[23:24], v[21:22]
	v_add_f64_e64 v[19:20], v[21:22], -v[19:20]
	v_add_f64_e64 v[25:26], v[27:28], -v[25:26]
	s_delay_alu instid0(VALU_DEP_2) | instskip(NEXT) | instid1(TRANS32_DEP_1)
	v_add_f64_e64 v[17:18], v[17:18], -v[19:20]
	v_fma_f64 v[29:30], -v[21:22], v[23:24], 1.0
	s_delay_alu instid0(VALU_DEP_3) | instskip(NEXT) | instid1(VALU_DEP_2)
	v_add_f64_e64 v[13:14], v[13:14], -v[25:26]
	v_fma_f64 v[23:24], v[29:30], v[23:24], v[23:24]
	s_delay_alu instid0(VALU_DEP_1) | instskip(NEXT) | instid1(VALU_DEP_1)
	v_fma_f64 v[15:16], -v[21:22], v[23:24], 1.0
	v_fma_f64 v[15:16], v[15:16], v[23:24], v[23:24]
	s_delay_alu instid0(VALU_DEP_1) | instskip(NEXT) | instid1(VALU_DEP_1)
	v_mul_f64_e32 v[23:24], v[27:28], v[15:16]
	v_mul_f64_e32 v[29:30], v[21:22], v[23:24]
	s_delay_alu instid0(VALU_DEP_1) | instskip(NEXT) | instid1(VALU_DEP_1)
	v_fma_f64 v[19:20], v[23:24], v[21:22], -v[29:30]
	v_fma_f64 v[19:20], v[23:24], v[17:18], v[19:20]
	s_delay_alu instid0(VALU_DEP_1) | instskip(NEXT) | instid1(VALU_DEP_1)
	v_add_f64_e32 v[31:32], v[29:30], v[19:20]
	v_add_f64_e64 v[69:70], v[27:28], -v[31:32]
	v_add_f64_e64 v[25:26], v[31:32], -v[29:30]
	s_delay_alu instid0(VALU_DEP_2) | instskip(NEXT) | instid1(VALU_DEP_2)
	v_add_f64_e64 v[27:28], v[27:28], -v[69:70]
	v_add_f64_e64 v[19:20], v[25:26], -v[19:20]
	s_delay_alu instid0(VALU_DEP_2) | instskip(NEXT) | instid1(VALU_DEP_1)
	v_add_f64_e64 v[27:28], v[27:28], -v[31:32]
	v_add_f64_e32 v[13:14], v[13:14], v[27:28]
	s_delay_alu instid0(VALU_DEP_1) | instskip(NEXT) | instid1(VALU_DEP_1)
	v_add_f64_e32 v[13:14], v[19:20], v[13:14]
	v_add_f64_e32 v[19:20], v[69:70], v[13:14]
	s_delay_alu instid0(VALU_DEP_1) | instskip(SKIP_1) | instid1(VALU_DEP_2)
	v_mul_f64_e32 v[25:26], v[15:16], v[19:20]
	v_add_f64_e64 v[31:32], v[69:70], -v[19:20]
	v_mul_f64_e32 v[27:28], v[21:22], v[25:26]
	s_delay_alu instid0(VALU_DEP_2) | instskip(NEXT) | instid1(VALU_DEP_2)
	v_add_f64_e32 v[13:14], v[13:14], v[31:32]
	v_fma_f64 v[21:22], v[25:26], v[21:22], -v[27:28]
	s_delay_alu instid0(VALU_DEP_1) | instskip(NEXT) | instid1(VALU_DEP_1)
	v_fma_f64 v[17:18], v[25:26], v[17:18], v[21:22]
	v_add_f64_e32 v[21:22], v[27:28], v[17:18]
	s_delay_alu instid0(VALU_DEP_1) | instskip(SKIP_1) | instid1(VALU_DEP_2)
	v_add_f64_e64 v[29:30], v[19:20], -v[21:22]
	v_add_f64_e64 v[27:28], v[21:22], -v[27:28]
	;; [unrolled: 1-line block ×3, first 2 shown]
	s_delay_alu instid0(VALU_DEP_2) | instskip(NEXT) | instid1(VALU_DEP_2)
	v_add_f64_e64 v[17:18], v[27:28], -v[17:18]
	v_add_f64_e64 v[19:20], v[19:20], -v[21:22]
	s_delay_alu instid0(VALU_DEP_1) | instskip(SKIP_1) | instid1(VALU_DEP_2)
	v_add_f64_e32 v[13:14], v[13:14], v[19:20]
	v_add_f64_e32 v[19:20], v[23:24], v[25:26]
	;; [unrolled: 1-line block ×3, first 2 shown]
	s_delay_alu instid0(VALU_DEP_2) | instskip(NEXT) | instid1(VALU_DEP_2)
	v_add_f64_e64 v[17:18], v[19:20], -v[23:24]
	v_add_f64_e32 v[13:14], v[29:30], v[13:14]
	s_delay_alu instid0(VALU_DEP_2) | instskip(NEXT) | instid1(VALU_DEP_2)
	v_add_f64_e64 v[17:18], v[25:26], -v[17:18]
	v_mul_f64_e32 v[13:14], v[15:16], v[13:14]
	s_delay_alu instid0(VALU_DEP_1) | instskip(NEXT) | instid1(VALU_DEP_1)
	v_add_f64_e32 v[13:14], v[17:18], v[13:14]
	v_add_f64_e32 v[15:16], v[19:20], v[13:14]
	s_delay_alu instid0(VALU_DEP_1) | instskip(NEXT) | instid1(VALU_DEP_1)
	v_mul_f64_e32 v[17:18], v[15:16], v[15:16]
	v_fma_f64 v[21:22], v[17:18], s[14:15], s[12:13]
	s_mov_b32 s12, 0xd7f4df2e
	s_mov_b32 s13, 0x3fc7474d
	v_mul_f64_e32 v[23:24], v[15:16], v[17:18]
	s_wait_alu 0xfffe
	s_delay_alu instid0(VALU_DEP_2) | instskip(SKIP_3) | instid1(VALU_DEP_1)
	v_fma_f64 v[21:22], v[17:18], v[21:22], s[12:13]
	s_mov_b32 s12, 0x16291751
	s_mov_b32 s13, 0x3fcc71c0
	s_wait_alu 0xfffe
	v_fma_f64 v[21:22], v[17:18], v[21:22], s[12:13]
	s_mov_b32 s12, 0x9b27acf1
	s_mov_b32 s13, 0x3fd24924
	s_wait_alu 0xfffe
	s_delay_alu instid0(VALU_DEP_1) | instskip(SKIP_3) | instid1(VALU_DEP_1)
	v_fma_f64 v[21:22], v[17:18], v[21:22], s[12:13]
	s_mov_b32 s12, 0x998ef7b6
	s_mov_b32 s13, 0x3fd99999
	s_wait_alu 0xfffe
	v_fma_f64 v[21:22], v[17:18], v[21:22], s[12:13]
	s_delay_alu instid0(VALU_DEP_1)
	v_fma_f64 v[17:18], v[17:18], v[21:22], s[4:5]
	v_ldexp_f64 v[21:22], v[15:16], 1
	v_add_f64_e64 v[15:16], v[15:16], -v[19:20]
	v_cmp_nge_f64_e64 s4, -1.0, v[11:12]
	v_cmp_neq_f64_e64 s5, 0x7ff00000, v[11:12]
	v_mul_f64_e32 v[17:18], v[23:24], v[17:18]
	v_cvt_f64_i32_e32 v[23:24], v71
	v_add_f64_e64 v[13:14], v[13:14], -v[15:16]
	s_and_b32 s4, s4, s5
	s_delay_alu instid0(VALU_DEP_3) | instskip(NEXT) | instid1(VALU_DEP_3)
	v_add_f64_e32 v[19:20], v[21:22], v[17:18]
	v_mul_f64_e32 v[25:26], s[6:7], v[23:24]
	s_delay_alu instid0(VALU_DEP_3) | instskip(NEXT) | instid1(VALU_DEP_3)
	v_ldexp_f64 v[13:14], v[13:14], 1
	v_add_f64_e64 v[15:16], v[19:20], -v[21:22]
	s_delay_alu instid0(VALU_DEP_3) | instskip(SKIP_1) | instid1(VALU_DEP_3)
	v_fma_f64 v[21:22], v[23:24], s[6:7], -v[25:26]
	v_cmp_ngt_f64_e64 s6, -1.0, v[11:12]
	v_add_f64_e64 v[15:16], v[17:18], -v[15:16]
	s_delay_alu instid0(VALU_DEP_3) | instskip(NEXT) | instid1(VALU_DEP_2)
	v_fma_f64 v[17:18], v[23:24], s[8:9], v[21:22]
	v_add_f64_e32 v[13:14], v[13:14], v[15:16]
	s_delay_alu instid0(VALU_DEP_2) | instskip(NEXT) | instid1(VALU_DEP_2)
	v_add_f64_e32 v[15:16], v[25:26], v[17:18]
	v_add_f64_e32 v[21:22], v[19:20], v[13:14]
	s_delay_alu instid0(VALU_DEP_2) | instskip(NEXT) | instid1(VALU_DEP_2)
	v_add_f64_e64 v[25:26], v[15:16], -v[25:26]
	v_add_f64_e32 v[23:24], v[15:16], v[21:22]
	v_add_f64_e64 v[19:20], v[21:22], -v[19:20]
	s_delay_alu instid0(VALU_DEP_3) | instskip(NEXT) | instid1(VALU_DEP_3)
	v_add_f64_e64 v[17:18], v[17:18], -v[25:26]
	v_add_f64_e64 v[27:28], v[23:24], -v[15:16]
	s_delay_alu instid0(VALU_DEP_3) | instskip(NEXT) | instid1(VALU_DEP_2)
	v_add_f64_e64 v[13:14], v[13:14], -v[19:20]
	v_add_f64_e64 v[29:30], v[23:24], -v[27:28]
	v_add_f64_e64 v[19:20], v[21:22], -v[27:28]
	s_delay_alu instid0(VALU_DEP_3) | instskip(NEXT) | instid1(VALU_DEP_3)
	v_add_f64_e32 v[21:22], v[17:18], v[13:14]
	v_add_f64_e64 v[15:16], v[15:16], -v[29:30]
	s_delay_alu instid0(VALU_DEP_1) | instskip(NEXT) | instid1(VALU_DEP_3)
	v_add_f64_e32 v[15:16], v[19:20], v[15:16]
	v_add_f64_e64 v[19:20], v[21:22], -v[17:18]
	s_delay_alu instid0(VALU_DEP_2) | instskip(NEXT) | instid1(VALU_DEP_2)
	v_add_f64_e32 v[15:16], v[21:22], v[15:16]
	v_add_f64_e64 v[21:22], v[21:22], -v[19:20]
	v_add_f64_e64 v[13:14], v[13:14], -v[19:20]
	s_delay_alu instid0(VALU_DEP_3) | instskip(NEXT) | instid1(VALU_DEP_3)
	v_add_f64_e32 v[25:26], v[23:24], v[15:16]
	v_add_f64_e64 v[17:18], v[17:18], -v[21:22]
	s_delay_alu instid0(VALU_DEP_2) | instskip(NEXT) | instid1(VALU_DEP_2)
	v_add_f64_e64 v[19:20], v[25:26], -v[23:24]
	v_add_f64_e32 v[13:14], v[13:14], v[17:18]
	s_delay_alu instid0(VALU_DEP_2) | instskip(NEXT) | instid1(VALU_DEP_1)
	v_add_f64_e64 v[15:16], v[15:16], -v[19:20]
	v_add_f64_e32 v[13:14], v[13:14], v[15:16]
	s_delay_alu instid0(VALU_DEP_1) | instskip(SKIP_1) | instid1(VALU_DEP_1)
	v_add_f64_e32 v[13:14], v[25:26], v[13:14]
	s_wait_alu 0xfffe
	v_cndmask_b32_e64 v13, 0, v13, s4
	v_cmp_neq_f64_e64 s4, -1.0, v[11:12]
	s_delay_alu instid0(VALU_DEP_3) | instskip(SKIP_1) | instid1(VALU_DEP_1)
	v_cndmask_b32_e64 v14, 0x7ff00000, v14, s5
	s_wait_alu 0xf1ff
	v_cndmask_b32_e64 v14, 0x7ff80000, v14, s6
	s_delay_alu instid0(VALU_DEP_1) | instskip(NEXT) | instid1(VALU_DEP_1)
	v_cndmask_b32_e64 v14, 0xfff00000, v14, s4
	v_add_f64_e32 v[69:70], v[9:10], v[13:14]
.LBB71_206:
	s_or_b32 exec_lo, exec_lo, s10
	v_max_num_f64_e32 v[9:10], v[57:58], v[57:58]
	s_delay_alu instid0(VALU_DEP_2) | instskip(SKIP_2) | instid1(VALU_DEP_3)
	v_max_num_f64_e32 v[11:12], v[69:70], v[69:70]
	v_cmp_u_f64_e64 s5, v[69:70], v[69:70]
	v_cmp_u_f64_e64 s4, v[57:58], v[57:58]
	v_min_num_f64_e32 v[13:14], v[11:12], v[9:10]
	v_max_num_f64_e32 v[11:12], v[11:12], v[9:10]
	s_wait_alu 0xf1ff
	s_delay_alu instid0(VALU_DEP_2) | instskip(NEXT) | instid1(VALU_DEP_3)
	v_cndmask_b32_e64 v13, v13, v69, s5
	v_cndmask_b32_e64 v14, v14, v70, s5
	s_delay_alu instid0(VALU_DEP_3) | instskip(NEXT) | instid1(VALU_DEP_4)
	v_cndmask_b32_e64 v12, v12, v70, s5
	v_cndmask_b32_e64 v11, v11, v69, s5
	s_delay_alu instid0(VALU_DEP_4) | instskip(NEXT) | instid1(VALU_DEP_4)
	v_cndmask_b32_e64 v13, v13, v57, s4
	v_cndmask_b32_e64 v14, v14, v58, s4
	s_delay_alu instid0(VALU_DEP_4) | instskip(NEXT) | instid1(VALU_DEP_4)
	v_cndmask_b32_e64 v12, v12, v58, s4
	v_cndmask_b32_e64 v11, v11, v57, s4
	s_delay_alu instid0(VALU_DEP_3) | instskip(NEXT) | instid1(VALU_DEP_2)
	v_cmp_class_f64_e64 s6, v[13:14], 0x1f8
	v_cmp_neq_f64_e64 s5, v[13:14], v[11:12]
	s_or_b32 s5, s5, s6
	s_wait_alu 0xfffe
	s_and_saveexec_b32 s12, s5
	s_cbranch_execz .LBB71_208
; %bb.207:
	v_add_f64_e64 v[13:14], v[13:14], -v[11:12]
	s_mov_b32 s6, 0x652b82fe
	s_mov_b32 s7, 0x3ff71547
	;; [unrolled: 1-line block ×10, first 2 shown]
	s_wait_alu 0xfffe
	s_delay_alu instid0(VALU_DEP_1) | instskip(SKIP_3) | instid1(VALU_DEP_2)
	v_mul_f64_e32 v[15:16], s[6:7], v[13:14]
	s_mov_b32 s6, 0xfca7ab0c
	s_mov_b32 s7, 0x3e928af3
	v_cmp_nlt_f64_e64 s5, 0x40900000, v[13:14]
	v_rndne_f64_e32 v[15:16], v[15:16]
	s_delay_alu instid0(VALU_DEP_1) | instskip(SKIP_2) | instid1(VALU_DEP_2)
	v_fma_f64 v[17:18], v[15:16], s[8:9], v[13:14]
	v_cvt_i32_f64_e32 v21, v[15:16]
	s_mov_b32 s9, 0x3fe62e42
	v_fma_f64 v[17:18], v[15:16], s[10:11], v[17:18]
	s_mov_b32 s11, 0x3c7abc9e
	s_wait_alu 0xfffe
	s_delay_alu instid0(VALU_DEP_1)
	v_fma_f64 v[19:20], v[17:18], s[14:15], s[6:7]
	s_mov_b32 s6, 0x623fde64
	s_mov_b32 s7, 0x3ec71dee
	;; [unrolled: 1-line block ×4, first 2 shown]
	s_wait_alu 0xfffe
	s_delay_alu instid0(VALU_DEP_1) | instskip(SKIP_3) | instid1(VALU_DEP_1)
	v_fma_f64 v[19:20], v[17:18], v[19:20], s[6:7]
	s_mov_b32 s6, 0x7c89e6b0
	s_mov_b32 s7, 0x3efa0199
	s_wait_alu 0xfffe
	v_fma_f64 v[19:20], v[17:18], v[19:20], s[6:7]
	s_mov_b32 s6, 0x14761f6e
	s_mov_b32 s7, 0x3f2a01a0
	s_wait_alu 0xfffe
	s_delay_alu instid0(VALU_DEP_1) | instskip(SKIP_3) | instid1(VALU_DEP_1)
	v_fma_f64 v[19:20], v[17:18], v[19:20], s[6:7]
	s_mov_b32 s6, 0x1852b7b0
	s_mov_b32 s7, 0x3f56c16c
	s_wait_alu 0xfffe
	v_fma_f64 v[19:20], v[17:18], v[19:20], s[6:7]
	s_mov_b32 s6, 0x11122322
	s_mov_b32 s7, 0x3f811111
	;; [unrolled: 9-line block ×3, first 2 shown]
	s_wait_alu 0xfffe
	s_delay_alu instid0(VALU_DEP_1) | instskip(SKIP_3) | instid1(VALU_DEP_1)
	v_fma_f64 v[19:20], v[17:18], v[19:20], s[6:7]
	s_mov_b32 s6, 11
	s_mov_b32 s7, 0x3fe00000
	s_wait_alu 0xfffe
	v_fma_f64 v[19:20], v[17:18], v[19:20], s[6:7]
	v_cmp_ngt_f64_e64 s6, 0xc090cc00, v[13:14]
	s_mov_b32 s7, 0x3fe55555
	v_fma_f64 v[19:20], v[17:18], v[19:20], 1.0
	s_delay_alu instid0(VALU_DEP_1) | instskip(NEXT) | instid1(VALU_DEP_1)
	v_fma_f64 v[15:16], v[17:18], v[19:20], 1.0
	v_ldexp_f64 v[15:16], v[15:16], v21
	s_wait_alu 0xf1ff
	s_delay_alu instid0(VALU_DEP_1) | instskip(SKIP_2) | instid1(VALU_DEP_2)
	v_cndmask_b32_e64 v16, 0x7ff00000, v16, s5
	s_and_b32 s5, s6, s5
	s_wait_alu 0xfffe
	v_cndmask_b32_e64 v13, 0, v15, s5
	s_delay_alu instid0(VALU_DEP_2) | instskip(SKIP_1) | instid1(VALU_DEP_1)
	v_cndmask_b32_e64 v14, 0, v16, s6
	s_mov_b32 s6, 0x55555555
	v_add_f64_e32 v[15:16], 1.0, v[13:14]
	s_delay_alu instid0(VALU_DEP_1) | instskip(SKIP_3) | instid1(VALU_DEP_3)
	v_frexp_mant_f64_e32 v[17:18], v[15:16]
	v_frexp_exp_i32_f64_e32 v21, v[15:16]
	v_add_f64_e32 v[19:20], -1.0, v[15:16]
	s_wait_alu 0xfffe
	v_cmp_gt_f64_e64 s5, s[6:7], v[17:18]
	s_mov_b32 s6, 0x55555780
	v_add_f64_e64 v[17:18], v[19:20], -v[15:16]
	v_add_f64_e64 v[19:20], v[13:14], -v[19:20]
	s_wait_alu 0xf1ff
	v_subrev_co_ci_u32_e64 v73, null, 0, v21, s5
	s_delay_alu instid0(VALU_DEP_3) | instskip(SKIP_1) | instid1(VALU_DEP_3)
	v_add_f64_e32 v[17:18], 1.0, v[17:18]
	v_cmp_nge_f64_e64 s5, -1.0, v[13:14]
	v_sub_nc_u32_e32 v23, 0, v73
	s_delay_alu instid0(VALU_DEP_1) | instskip(NEXT) | instid1(VALU_DEP_4)
	v_ldexp_f64 v[15:16], v[15:16], v23
	v_add_f64_e32 v[17:18], v[19:20], v[17:18]
	s_delay_alu instid0(VALU_DEP_2) | instskip(SKIP_1) | instid1(VALU_DEP_3)
	v_add_f64_e32 v[21:22], 1.0, v[15:16]
	v_add_f64_e32 v[27:28], -1.0, v[15:16]
	v_ldexp_f64 v[17:18], v[17:18], v23
	s_delay_alu instid0(VALU_DEP_3) | instskip(NEXT) | instid1(VALU_DEP_3)
	v_add_f64_e32 v[19:20], -1.0, v[21:22]
	v_add_f64_e32 v[29:30], 1.0, v[27:28]
	s_delay_alu instid0(VALU_DEP_2) | instskip(NEXT) | instid1(VALU_DEP_2)
	v_add_f64_e64 v[19:20], v[15:16], -v[19:20]
	v_add_f64_e64 v[15:16], v[15:16], -v[29:30]
	s_delay_alu instid0(VALU_DEP_2) | instskip(NEXT) | instid1(VALU_DEP_2)
	v_add_f64_e32 v[19:20], v[17:18], v[19:20]
	v_add_f64_e32 v[15:16], v[17:18], v[15:16]
	s_delay_alu instid0(VALU_DEP_2) | instskip(NEXT) | instid1(VALU_DEP_2)
	v_add_f64_e32 v[23:24], v[21:22], v[19:20]
	v_add_f64_e32 v[29:30], v[27:28], v[15:16]
	s_delay_alu instid0(VALU_DEP_2) | instskip(SKIP_1) | instid1(VALU_DEP_2)
	v_rcp_f64_e32 v[25:26], v[23:24]
	v_add_f64_e64 v[21:22], v[23:24], -v[21:22]
	v_add_f64_e64 v[27:28], v[29:30], -v[27:28]
	s_delay_alu instid0(VALU_DEP_2) | instskip(NEXT) | instid1(TRANS32_DEP_1)
	v_add_f64_e64 v[19:20], v[19:20], -v[21:22]
	v_fma_f64 v[31:32], -v[23:24], v[25:26], 1.0
	s_delay_alu instid0(VALU_DEP_3) | instskip(NEXT) | instid1(VALU_DEP_2)
	v_add_f64_e64 v[15:16], v[15:16], -v[27:28]
	v_fma_f64 v[25:26], v[31:32], v[25:26], v[25:26]
	s_delay_alu instid0(VALU_DEP_1) | instskip(NEXT) | instid1(VALU_DEP_1)
	v_fma_f64 v[17:18], -v[23:24], v[25:26], 1.0
	v_fma_f64 v[17:18], v[17:18], v[25:26], v[25:26]
	s_delay_alu instid0(VALU_DEP_1) | instskip(NEXT) | instid1(VALU_DEP_1)
	v_mul_f64_e32 v[25:26], v[29:30], v[17:18]
	v_mul_f64_e32 v[31:32], v[23:24], v[25:26]
	s_delay_alu instid0(VALU_DEP_1) | instskip(NEXT) | instid1(VALU_DEP_1)
	v_fma_f64 v[21:22], v[25:26], v[23:24], -v[31:32]
	v_fma_f64 v[21:22], v[25:26], v[19:20], v[21:22]
	s_delay_alu instid0(VALU_DEP_1) | instskip(NEXT) | instid1(VALU_DEP_1)
	v_add_f64_e32 v[69:70], v[31:32], v[21:22]
	v_add_f64_e64 v[71:72], v[29:30], -v[69:70]
	v_add_f64_e64 v[27:28], v[69:70], -v[31:32]
	s_delay_alu instid0(VALU_DEP_2) | instskip(NEXT) | instid1(VALU_DEP_2)
	v_add_f64_e64 v[29:30], v[29:30], -v[71:72]
	v_add_f64_e64 v[21:22], v[27:28], -v[21:22]
	s_delay_alu instid0(VALU_DEP_2) | instskip(NEXT) | instid1(VALU_DEP_1)
	v_add_f64_e64 v[29:30], v[29:30], -v[69:70]
	v_add_f64_e32 v[15:16], v[15:16], v[29:30]
	s_delay_alu instid0(VALU_DEP_1) | instskip(NEXT) | instid1(VALU_DEP_1)
	v_add_f64_e32 v[15:16], v[21:22], v[15:16]
	v_add_f64_e32 v[21:22], v[71:72], v[15:16]
	s_delay_alu instid0(VALU_DEP_1) | instskip(SKIP_1) | instid1(VALU_DEP_2)
	v_mul_f64_e32 v[27:28], v[17:18], v[21:22]
	v_add_f64_e64 v[69:70], v[71:72], -v[21:22]
	v_mul_f64_e32 v[29:30], v[23:24], v[27:28]
	s_delay_alu instid0(VALU_DEP_2) | instskip(NEXT) | instid1(VALU_DEP_2)
	v_add_f64_e32 v[15:16], v[15:16], v[69:70]
	v_fma_f64 v[23:24], v[27:28], v[23:24], -v[29:30]
	s_delay_alu instid0(VALU_DEP_1) | instskip(NEXT) | instid1(VALU_DEP_1)
	v_fma_f64 v[19:20], v[27:28], v[19:20], v[23:24]
	v_add_f64_e32 v[23:24], v[29:30], v[19:20]
	s_delay_alu instid0(VALU_DEP_1) | instskip(SKIP_1) | instid1(VALU_DEP_2)
	v_add_f64_e64 v[31:32], v[21:22], -v[23:24]
	v_add_f64_e64 v[29:30], v[23:24], -v[29:30]
	;; [unrolled: 1-line block ×3, first 2 shown]
	s_delay_alu instid0(VALU_DEP_2) | instskip(NEXT) | instid1(VALU_DEP_2)
	v_add_f64_e64 v[19:20], v[29:30], -v[19:20]
	v_add_f64_e64 v[21:22], v[21:22], -v[23:24]
	s_delay_alu instid0(VALU_DEP_1) | instskip(SKIP_1) | instid1(VALU_DEP_2)
	v_add_f64_e32 v[15:16], v[15:16], v[21:22]
	v_add_f64_e32 v[21:22], v[25:26], v[27:28]
	;; [unrolled: 1-line block ×3, first 2 shown]
	s_delay_alu instid0(VALU_DEP_2) | instskip(NEXT) | instid1(VALU_DEP_2)
	v_add_f64_e64 v[19:20], v[21:22], -v[25:26]
	v_add_f64_e32 v[15:16], v[31:32], v[15:16]
	s_delay_alu instid0(VALU_DEP_2) | instskip(NEXT) | instid1(VALU_DEP_2)
	v_add_f64_e64 v[19:20], v[27:28], -v[19:20]
	v_mul_f64_e32 v[15:16], v[17:18], v[15:16]
	s_delay_alu instid0(VALU_DEP_1) | instskip(NEXT) | instid1(VALU_DEP_1)
	v_add_f64_e32 v[15:16], v[19:20], v[15:16]
	v_add_f64_e32 v[17:18], v[21:22], v[15:16]
	s_delay_alu instid0(VALU_DEP_1) | instskip(NEXT) | instid1(VALU_DEP_1)
	v_mul_f64_e32 v[19:20], v[17:18], v[17:18]
	v_fma_f64 v[23:24], v[19:20], s[18:19], s[14:15]
	s_mov_b32 s14, 0xd7f4df2e
	s_mov_b32 s15, 0x3fc7474d
	v_mul_f64_e32 v[25:26], v[17:18], v[19:20]
	s_wait_alu 0xfffe
	s_delay_alu instid0(VALU_DEP_2) | instskip(SKIP_3) | instid1(VALU_DEP_1)
	v_fma_f64 v[23:24], v[19:20], v[23:24], s[14:15]
	s_mov_b32 s14, 0x16291751
	s_mov_b32 s15, 0x3fcc71c0
	s_wait_alu 0xfffe
	v_fma_f64 v[23:24], v[19:20], v[23:24], s[14:15]
	s_mov_b32 s14, 0x9b27acf1
	s_mov_b32 s15, 0x3fd24924
	s_wait_alu 0xfffe
	s_delay_alu instid0(VALU_DEP_1) | instskip(SKIP_3) | instid1(VALU_DEP_1)
	v_fma_f64 v[23:24], v[19:20], v[23:24], s[14:15]
	s_mov_b32 s14, 0x998ef7b6
	s_mov_b32 s15, 0x3fd99999
	s_wait_alu 0xfffe
	v_fma_f64 v[23:24], v[19:20], v[23:24], s[14:15]
	s_delay_alu instid0(VALU_DEP_1)
	v_fma_f64 v[19:20], v[19:20], v[23:24], s[6:7]
	v_ldexp_f64 v[23:24], v[17:18], 1
	v_add_f64_e64 v[17:18], v[17:18], -v[21:22]
	v_cmp_neq_f64_e64 s6, 0x7ff00000, v[13:14]
	v_cmp_ngt_f64_e64 s7, -1.0, v[13:14]
	v_mul_f64_e32 v[19:20], v[25:26], v[19:20]
	v_cvt_f64_i32_e32 v[25:26], v73
	v_add_f64_e64 v[15:16], v[15:16], -v[17:18]
	s_and_b32 s5, s5, s6
	s_delay_alu instid0(VALU_DEP_3) | instskip(NEXT) | instid1(VALU_DEP_3)
	v_add_f64_e32 v[21:22], v[23:24], v[19:20]
	v_mul_f64_e32 v[27:28], s[8:9], v[25:26]
	s_delay_alu instid0(VALU_DEP_3) | instskip(NEXT) | instid1(VALU_DEP_3)
	v_ldexp_f64 v[15:16], v[15:16], 1
	v_add_f64_e64 v[17:18], v[21:22], -v[23:24]
	s_delay_alu instid0(VALU_DEP_3) | instskip(NEXT) | instid1(VALU_DEP_2)
	v_fma_f64 v[23:24], v[25:26], s[8:9], -v[27:28]
	v_add_f64_e64 v[17:18], v[19:20], -v[17:18]
	s_delay_alu instid0(VALU_DEP_2) | instskip(NEXT) | instid1(VALU_DEP_2)
	v_fma_f64 v[19:20], v[25:26], s[10:11], v[23:24]
	v_add_f64_e32 v[15:16], v[15:16], v[17:18]
	s_delay_alu instid0(VALU_DEP_2) | instskip(NEXT) | instid1(VALU_DEP_2)
	v_add_f64_e32 v[17:18], v[27:28], v[19:20]
	v_add_f64_e32 v[23:24], v[21:22], v[15:16]
	s_delay_alu instid0(VALU_DEP_2) | instskip(NEXT) | instid1(VALU_DEP_2)
	v_add_f64_e64 v[27:28], v[17:18], -v[27:28]
	v_add_f64_e32 v[25:26], v[17:18], v[23:24]
	v_add_f64_e64 v[21:22], v[23:24], -v[21:22]
	s_delay_alu instid0(VALU_DEP_3) | instskip(NEXT) | instid1(VALU_DEP_3)
	v_add_f64_e64 v[19:20], v[19:20], -v[27:28]
	v_add_f64_e64 v[29:30], v[25:26], -v[17:18]
	s_delay_alu instid0(VALU_DEP_3) | instskip(NEXT) | instid1(VALU_DEP_2)
	v_add_f64_e64 v[15:16], v[15:16], -v[21:22]
	v_add_f64_e64 v[31:32], v[25:26], -v[29:30]
	;; [unrolled: 1-line block ×3, first 2 shown]
	s_delay_alu instid0(VALU_DEP_3) | instskip(NEXT) | instid1(VALU_DEP_3)
	v_add_f64_e32 v[23:24], v[19:20], v[15:16]
	v_add_f64_e64 v[17:18], v[17:18], -v[31:32]
	s_delay_alu instid0(VALU_DEP_1) | instskip(NEXT) | instid1(VALU_DEP_3)
	v_add_f64_e32 v[17:18], v[21:22], v[17:18]
	v_add_f64_e64 v[21:22], v[23:24], -v[19:20]
	s_delay_alu instid0(VALU_DEP_2) | instskip(NEXT) | instid1(VALU_DEP_2)
	v_add_f64_e32 v[17:18], v[23:24], v[17:18]
	v_add_f64_e64 v[23:24], v[23:24], -v[21:22]
	v_add_f64_e64 v[15:16], v[15:16], -v[21:22]
	s_delay_alu instid0(VALU_DEP_3) | instskip(NEXT) | instid1(VALU_DEP_3)
	v_add_f64_e32 v[27:28], v[25:26], v[17:18]
	v_add_f64_e64 v[19:20], v[19:20], -v[23:24]
	s_delay_alu instid0(VALU_DEP_2) | instskip(NEXT) | instid1(VALU_DEP_2)
	v_add_f64_e64 v[21:22], v[27:28], -v[25:26]
	v_add_f64_e32 v[15:16], v[15:16], v[19:20]
	s_delay_alu instid0(VALU_DEP_2) | instskip(NEXT) | instid1(VALU_DEP_1)
	v_add_f64_e64 v[17:18], v[17:18], -v[21:22]
	v_add_f64_e32 v[15:16], v[15:16], v[17:18]
	s_delay_alu instid0(VALU_DEP_1) | instskip(SKIP_1) | instid1(VALU_DEP_1)
	v_add_f64_e32 v[15:16], v[27:28], v[15:16]
	s_wait_alu 0xfffe
	v_cndmask_b32_e64 v15, 0, v15, s5
	v_cmp_neq_f64_e64 s5, -1.0, v[13:14]
	s_delay_alu instid0(VALU_DEP_3) | instskip(NEXT) | instid1(VALU_DEP_1)
	v_cndmask_b32_e64 v16, 0x7ff00000, v16, s6
	v_cndmask_b32_e64 v16, 0x7ff80000, v16, s7
	s_wait_alu 0xf1ff
	s_delay_alu instid0(VALU_DEP_1) | instskip(NEXT) | instid1(VALU_DEP_1)
	v_cndmask_b32_e64 v16, 0xfff00000, v16, s5
	v_add_f64_e32 v[69:70], v[11:12], v[15:16]
.LBB71_208:
	s_wait_alu 0xfffe
	s_or_b32 exec_lo, exec_lo, s12
	v_max_num_f64_e32 v[11:12], v[59:60], v[59:60]
	s_delay_alu instid0(VALU_DEP_2) | instskip(SKIP_2) | instid1(VALU_DEP_3)
	v_max_num_f64_e32 v[13:14], v[69:70], v[69:70]
	v_cmp_u_f64_e64 s6, v[69:70], v[69:70]
	v_cmp_u_f64_e64 s5, v[59:60], v[59:60]
	v_min_num_f64_e32 v[15:16], v[13:14], v[11:12]
	v_max_num_f64_e32 v[13:14], v[13:14], v[11:12]
	s_wait_alu 0xf1ff
	s_delay_alu instid0(VALU_DEP_2) | instskip(NEXT) | instid1(VALU_DEP_3)
	v_cndmask_b32_e64 v15, v15, v69, s6
	v_cndmask_b32_e64 v16, v16, v70, s6
	s_delay_alu instid0(VALU_DEP_3) | instskip(NEXT) | instid1(VALU_DEP_4)
	v_cndmask_b32_e64 v14, v14, v70, s6
	v_cndmask_b32_e64 v13, v13, v69, s6
	s_delay_alu instid0(VALU_DEP_4) | instskip(NEXT) | instid1(VALU_DEP_4)
	v_cndmask_b32_e64 v15, v15, v59, s5
	v_cndmask_b32_e64 v16, v16, v60, s5
	s_delay_alu instid0(VALU_DEP_4) | instskip(NEXT) | instid1(VALU_DEP_4)
	v_cndmask_b32_e64 v14, v14, v60, s5
	v_cndmask_b32_e64 v13, v13, v59, s5
	s_delay_alu instid0(VALU_DEP_3) | instskip(NEXT) | instid1(VALU_DEP_2)
	v_cmp_class_f64_e64 s7, v[15:16], 0x1f8
	v_cmp_neq_f64_e64 s6, v[15:16], v[13:14]
	s_or_b32 s6, s6, s7
	s_wait_alu 0xfffe
	s_and_saveexec_b32 s12, s6
	s_cbranch_execz .LBB71_210
; %bb.209:
	v_add_f64_e64 v[15:16], v[15:16], -v[13:14]
	s_mov_b32 s6, 0x652b82fe
	s_mov_b32 s7, 0x3ff71547
	;; [unrolled: 1-line block ×10, first 2 shown]
	s_wait_alu 0xfffe
	s_delay_alu instid0(VALU_DEP_1) | instskip(SKIP_2) | instid1(VALU_DEP_1)
	v_mul_f64_e32 v[17:18], s[6:7], v[15:16]
	s_mov_b32 s6, 0xfca7ab0c
	s_mov_b32 s7, 0x3e928af3
	v_rndne_f64_e32 v[17:18], v[17:18]
	s_delay_alu instid0(VALU_DEP_1) | instskip(SKIP_2) | instid1(VALU_DEP_2)
	v_fma_f64 v[19:20], v[17:18], s[8:9], v[15:16]
	v_cvt_i32_f64_e32 v23, v[17:18]
	s_mov_b32 s9, 0x3fe62e42
	v_fma_f64 v[19:20], v[17:18], s[10:11], v[19:20]
	s_mov_b32 s11, 0x3c7abc9e
	s_wait_alu 0xfffe
	s_delay_alu instid0(VALU_DEP_1)
	v_fma_f64 v[21:22], v[19:20], s[14:15], s[6:7]
	s_mov_b32 s6, 0x623fde64
	s_mov_b32 s7, 0x3ec71dee
	;; [unrolled: 1-line block ×4, first 2 shown]
	s_wait_alu 0xfffe
	s_delay_alu instid0(VALU_DEP_1) | instskip(SKIP_3) | instid1(VALU_DEP_1)
	v_fma_f64 v[21:22], v[19:20], v[21:22], s[6:7]
	s_mov_b32 s6, 0x7c89e6b0
	s_mov_b32 s7, 0x3efa0199
	s_wait_alu 0xfffe
	v_fma_f64 v[21:22], v[19:20], v[21:22], s[6:7]
	s_mov_b32 s6, 0x14761f6e
	s_mov_b32 s7, 0x3f2a01a0
	s_wait_alu 0xfffe
	s_delay_alu instid0(VALU_DEP_1) | instskip(SKIP_3) | instid1(VALU_DEP_1)
	v_fma_f64 v[21:22], v[19:20], v[21:22], s[6:7]
	s_mov_b32 s6, 0x1852b7b0
	s_mov_b32 s7, 0x3f56c16c
	s_wait_alu 0xfffe
	v_fma_f64 v[21:22], v[19:20], v[21:22], s[6:7]
	s_mov_b32 s6, 0x11122322
	s_mov_b32 s7, 0x3f811111
	;; [unrolled: 9-line block ×3, first 2 shown]
	s_wait_alu 0xfffe
	s_delay_alu instid0(VALU_DEP_1) | instskip(SKIP_3) | instid1(VALU_DEP_1)
	v_fma_f64 v[21:22], v[19:20], v[21:22], s[6:7]
	s_mov_b32 s6, 11
	s_mov_b32 s7, 0x3fe00000
	s_wait_alu 0xfffe
	v_fma_f64 v[21:22], v[19:20], v[21:22], s[6:7]
	v_cmp_nlt_f64_e64 s6, 0x40900000, v[15:16]
	v_cmp_ngt_f64_e64 s7, 0xc090cc00, v[15:16]
	s_delay_alu instid0(VALU_DEP_3) | instskip(NEXT) | instid1(VALU_DEP_1)
	v_fma_f64 v[21:22], v[19:20], v[21:22], 1.0
	v_fma_f64 v[17:18], v[19:20], v[21:22], 1.0
	s_delay_alu instid0(VALU_DEP_1) | instskip(SKIP_1) | instid1(VALU_DEP_1)
	v_ldexp_f64 v[17:18], v[17:18], v23
	s_wait_alu 0xf1ff
	v_cndmask_b32_e64 v18, 0x7ff00000, v18, s6
	s_and_b32 s6, s7, s6
	s_wait_alu 0xfffe
	s_delay_alu instid0(VALU_DEP_2) | instskip(SKIP_3) | instid1(VALU_DEP_1)
	v_cndmask_b32_e64 v15, 0, v17, s6
	s_mov_b32 s6, 0x55555555
	v_cndmask_b32_e64 v16, 0, v18, s7
	s_mov_b32 s7, 0x3fe55555
	v_add_f64_e32 v[17:18], 1.0, v[15:16]
	s_delay_alu instid0(VALU_DEP_1) | instskip(SKIP_3) | instid1(VALU_DEP_3)
	v_frexp_mant_f64_e32 v[19:20], v[17:18]
	v_frexp_exp_i32_f64_e32 v23, v[17:18]
	v_add_f64_e32 v[21:22], -1.0, v[17:18]
	s_wait_alu 0xfffe
	v_cmp_gt_f64_e64 s6, s[6:7], v[19:20]
	s_delay_alu instid0(VALU_DEP_2) | instskip(SKIP_2) | instid1(VALU_DEP_3)
	v_add_f64_e64 v[19:20], v[21:22], -v[17:18]
	v_add_f64_e64 v[21:22], v[15:16], -v[21:22]
	s_wait_alu 0xf1ff
	v_subrev_co_ci_u32_e64 v75, null, 0, v23, s6
	s_delay_alu instid0(VALU_DEP_3) | instskip(SKIP_1) | instid1(VALU_DEP_2)
	v_add_f64_e32 v[19:20], 1.0, v[19:20]
	s_mov_b32 s6, 0x55555780
	v_sub_nc_u32_e32 v25, 0, v75
	s_delay_alu instid0(VALU_DEP_1) | instskip(NEXT) | instid1(VALU_DEP_3)
	v_ldexp_f64 v[17:18], v[17:18], v25
	v_add_f64_e32 v[19:20], v[21:22], v[19:20]
	s_delay_alu instid0(VALU_DEP_2) | instskip(SKIP_1) | instid1(VALU_DEP_3)
	v_add_f64_e32 v[23:24], 1.0, v[17:18]
	v_add_f64_e32 v[29:30], -1.0, v[17:18]
	v_ldexp_f64 v[19:20], v[19:20], v25
	s_delay_alu instid0(VALU_DEP_3) | instskip(NEXT) | instid1(VALU_DEP_3)
	v_add_f64_e32 v[21:22], -1.0, v[23:24]
	v_add_f64_e32 v[31:32], 1.0, v[29:30]
	s_delay_alu instid0(VALU_DEP_2) | instskip(NEXT) | instid1(VALU_DEP_2)
	v_add_f64_e64 v[21:22], v[17:18], -v[21:22]
	v_add_f64_e64 v[17:18], v[17:18], -v[31:32]
	s_delay_alu instid0(VALU_DEP_2) | instskip(NEXT) | instid1(VALU_DEP_2)
	v_add_f64_e32 v[21:22], v[19:20], v[21:22]
	v_add_f64_e32 v[17:18], v[19:20], v[17:18]
	s_delay_alu instid0(VALU_DEP_2) | instskip(NEXT) | instid1(VALU_DEP_2)
	v_add_f64_e32 v[25:26], v[23:24], v[21:22]
	v_add_f64_e32 v[31:32], v[29:30], v[17:18]
	s_delay_alu instid0(VALU_DEP_2) | instskip(SKIP_1) | instid1(VALU_DEP_2)
	v_rcp_f64_e32 v[27:28], v[25:26]
	v_add_f64_e64 v[23:24], v[25:26], -v[23:24]
	v_add_f64_e64 v[29:30], v[31:32], -v[29:30]
	s_delay_alu instid0(VALU_DEP_2) | instskip(NEXT) | instid1(TRANS32_DEP_1)
	v_add_f64_e64 v[21:22], v[21:22], -v[23:24]
	v_fma_f64 v[69:70], -v[25:26], v[27:28], 1.0
	s_delay_alu instid0(VALU_DEP_3) | instskip(NEXT) | instid1(VALU_DEP_2)
	v_add_f64_e64 v[17:18], v[17:18], -v[29:30]
	v_fma_f64 v[27:28], v[69:70], v[27:28], v[27:28]
	s_delay_alu instid0(VALU_DEP_1) | instskip(NEXT) | instid1(VALU_DEP_1)
	v_fma_f64 v[19:20], -v[25:26], v[27:28], 1.0
	v_fma_f64 v[19:20], v[19:20], v[27:28], v[27:28]
	s_delay_alu instid0(VALU_DEP_1) | instskip(NEXT) | instid1(VALU_DEP_1)
	v_mul_f64_e32 v[27:28], v[31:32], v[19:20]
	v_mul_f64_e32 v[69:70], v[25:26], v[27:28]
	s_delay_alu instid0(VALU_DEP_1) | instskip(NEXT) | instid1(VALU_DEP_1)
	v_fma_f64 v[23:24], v[27:28], v[25:26], -v[69:70]
	v_fma_f64 v[23:24], v[27:28], v[21:22], v[23:24]
	s_delay_alu instid0(VALU_DEP_1) | instskip(NEXT) | instid1(VALU_DEP_1)
	v_add_f64_e32 v[71:72], v[69:70], v[23:24]
	v_add_f64_e64 v[73:74], v[31:32], -v[71:72]
	v_add_f64_e64 v[29:30], v[71:72], -v[69:70]
	s_delay_alu instid0(VALU_DEP_2) | instskip(NEXT) | instid1(VALU_DEP_2)
	v_add_f64_e64 v[31:32], v[31:32], -v[73:74]
	v_add_f64_e64 v[23:24], v[29:30], -v[23:24]
	s_delay_alu instid0(VALU_DEP_2) | instskip(NEXT) | instid1(VALU_DEP_1)
	v_add_f64_e64 v[31:32], v[31:32], -v[71:72]
	v_add_f64_e32 v[17:18], v[17:18], v[31:32]
	s_delay_alu instid0(VALU_DEP_1) | instskip(NEXT) | instid1(VALU_DEP_1)
	v_add_f64_e32 v[17:18], v[23:24], v[17:18]
	v_add_f64_e32 v[23:24], v[73:74], v[17:18]
	s_delay_alu instid0(VALU_DEP_1) | instskip(SKIP_1) | instid1(VALU_DEP_2)
	v_mul_f64_e32 v[29:30], v[19:20], v[23:24]
	v_add_f64_e64 v[71:72], v[73:74], -v[23:24]
	v_mul_f64_e32 v[31:32], v[25:26], v[29:30]
	s_delay_alu instid0(VALU_DEP_2) | instskip(NEXT) | instid1(VALU_DEP_2)
	v_add_f64_e32 v[17:18], v[17:18], v[71:72]
	v_fma_f64 v[25:26], v[29:30], v[25:26], -v[31:32]
	s_delay_alu instid0(VALU_DEP_1) | instskip(NEXT) | instid1(VALU_DEP_1)
	v_fma_f64 v[21:22], v[29:30], v[21:22], v[25:26]
	v_add_f64_e32 v[25:26], v[31:32], v[21:22]
	s_delay_alu instid0(VALU_DEP_1) | instskip(SKIP_1) | instid1(VALU_DEP_2)
	v_add_f64_e64 v[69:70], v[23:24], -v[25:26]
	v_add_f64_e64 v[31:32], v[25:26], -v[31:32]
	;; [unrolled: 1-line block ×3, first 2 shown]
	s_delay_alu instid0(VALU_DEP_2) | instskip(NEXT) | instid1(VALU_DEP_2)
	v_add_f64_e64 v[21:22], v[31:32], -v[21:22]
	v_add_f64_e64 v[23:24], v[23:24], -v[25:26]
	s_delay_alu instid0(VALU_DEP_1) | instskip(SKIP_1) | instid1(VALU_DEP_2)
	v_add_f64_e32 v[17:18], v[17:18], v[23:24]
	v_add_f64_e32 v[23:24], v[27:28], v[29:30]
	;; [unrolled: 1-line block ×3, first 2 shown]
	s_delay_alu instid0(VALU_DEP_2) | instskip(NEXT) | instid1(VALU_DEP_2)
	v_add_f64_e64 v[21:22], v[23:24], -v[27:28]
	v_add_f64_e32 v[17:18], v[69:70], v[17:18]
	s_delay_alu instid0(VALU_DEP_2) | instskip(NEXT) | instid1(VALU_DEP_2)
	v_add_f64_e64 v[21:22], v[29:30], -v[21:22]
	v_mul_f64_e32 v[17:18], v[19:20], v[17:18]
	s_delay_alu instid0(VALU_DEP_1) | instskip(NEXT) | instid1(VALU_DEP_1)
	v_add_f64_e32 v[17:18], v[21:22], v[17:18]
	v_add_f64_e32 v[19:20], v[23:24], v[17:18]
	s_delay_alu instid0(VALU_DEP_1) | instskip(NEXT) | instid1(VALU_DEP_1)
	v_mul_f64_e32 v[21:22], v[19:20], v[19:20]
	v_fma_f64 v[25:26], v[21:22], s[18:19], s[14:15]
	s_mov_b32 s14, 0xd7f4df2e
	s_mov_b32 s15, 0x3fc7474d
	v_mul_f64_e32 v[27:28], v[19:20], v[21:22]
	s_wait_alu 0xfffe
	s_delay_alu instid0(VALU_DEP_2) | instskip(SKIP_3) | instid1(VALU_DEP_1)
	v_fma_f64 v[25:26], v[21:22], v[25:26], s[14:15]
	s_mov_b32 s14, 0x16291751
	s_mov_b32 s15, 0x3fcc71c0
	s_wait_alu 0xfffe
	v_fma_f64 v[25:26], v[21:22], v[25:26], s[14:15]
	s_mov_b32 s14, 0x9b27acf1
	s_mov_b32 s15, 0x3fd24924
	s_wait_alu 0xfffe
	s_delay_alu instid0(VALU_DEP_1) | instskip(SKIP_3) | instid1(VALU_DEP_1)
	v_fma_f64 v[25:26], v[21:22], v[25:26], s[14:15]
	s_mov_b32 s14, 0x998ef7b6
	s_mov_b32 s15, 0x3fd99999
	s_wait_alu 0xfffe
	v_fma_f64 v[25:26], v[21:22], v[25:26], s[14:15]
	s_delay_alu instid0(VALU_DEP_1)
	v_fma_f64 v[21:22], v[21:22], v[25:26], s[6:7]
	v_ldexp_f64 v[25:26], v[19:20], 1
	v_add_f64_e64 v[19:20], v[19:20], -v[23:24]
	v_cmp_nge_f64_e64 s6, -1.0, v[15:16]
	v_cmp_neq_f64_e64 s7, 0x7ff00000, v[15:16]
	v_mul_f64_e32 v[21:22], v[27:28], v[21:22]
	v_cvt_f64_i32_e32 v[27:28], v75
	v_add_f64_e64 v[17:18], v[17:18], -v[19:20]
	s_and_b32 s6, s6, s7
	s_delay_alu instid0(VALU_DEP_3) | instskip(NEXT) | instid1(VALU_DEP_3)
	v_add_f64_e32 v[23:24], v[25:26], v[21:22]
	v_mul_f64_e32 v[29:30], s[8:9], v[27:28]
	s_delay_alu instid0(VALU_DEP_3) | instskip(NEXT) | instid1(VALU_DEP_3)
	v_ldexp_f64 v[17:18], v[17:18], 1
	v_add_f64_e64 v[19:20], v[23:24], -v[25:26]
	s_delay_alu instid0(VALU_DEP_3) | instskip(SKIP_1) | instid1(VALU_DEP_3)
	v_fma_f64 v[25:26], v[27:28], s[8:9], -v[29:30]
	v_cmp_ngt_f64_e64 s8, -1.0, v[15:16]
	v_add_f64_e64 v[19:20], v[21:22], -v[19:20]
	s_delay_alu instid0(VALU_DEP_3) | instskip(NEXT) | instid1(VALU_DEP_2)
	v_fma_f64 v[21:22], v[27:28], s[10:11], v[25:26]
	v_add_f64_e32 v[17:18], v[17:18], v[19:20]
	s_delay_alu instid0(VALU_DEP_2) | instskip(NEXT) | instid1(VALU_DEP_2)
	v_add_f64_e32 v[19:20], v[29:30], v[21:22]
	v_add_f64_e32 v[25:26], v[23:24], v[17:18]
	s_delay_alu instid0(VALU_DEP_2) | instskip(NEXT) | instid1(VALU_DEP_2)
	v_add_f64_e64 v[29:30], v[19:20], -v[29:30]
	v_add_f64_e32 v[27:28], v[19:20], v[25:26]
	v_add_f64_e64 v[23:24], v[25:26], -v[23:24]
	s_delay_alu instid0(VALU_DEP_3) | instskip(NEXT) | instid1(VALU_DEP_3)
	v_add_f64_e64 v[21:22], v[21:22], -v[29:30]
	v_add_f64_e64 v[31:32], v[27:28], -v[19:20]
	s_delay_alu instid0(VALU_DEP_3) | instskip(NEXT) | instid1(VALU_DEP_2)
	v_add_f64_e64 v[17:18], v[17:18], -v[23:24]
	v_add_f64_e64 v[69:70], v[27:28], -v[31:32]
	;; [unrolled: 1-line block ×3, first 2 shown]
	s_delay_alu instid0(VALU_DEP_3) | instskip(NEXT) | instid1(VALU_DEP_3)
	v_add_f64_e32 v[25:26], v[21:22], v[17:18]
	v_add_f64_e64 v[19:20], v[19:20], -v[69:70]
	s_delay_alu instid0(VALU_DEP_1) | instskip(NEXT) | instid1(VALU_DEP_3)
	v_add_f64_e32 v[19:20], v[23:24], v[19:20]
	v_add_f64_e64 v[23:24], v[25:26], -v[21:22]
	s_delay_alu instid0(VALU_DEP_2) | instskip(NEXT) | instid1(VALU_DEP_2)
	v_add_f64_e32 v[19:20], v[25:26], v[19:20]
	v_add_f64_e64 v[25:26], v[25:26], -v[23:24]
	v_add_f64_e64 v[17:18], v[17:18], -v[23:24]
	s_delay_alu instid0(VALU_DEP_3) | instskip(NEXT) | instid1(VALU_DEP_3)
	v_add_f64_e32 v[29:30], v[27:28], v[19:20]
	v_add_f64_e64 v[21:22], v[21:22], -v[25:26]
	s_delay_alu instid0(VALU_DEP_2) | instskip(NEXT) | instid1(VALU_DEP_2)
	v_add_f64_e64 v[23:24], v[29:30], -v[27:28]
	v_add_f64_e32 v[17:18], v[17:18], v[21:22]
	s_delay_alu instid0(VALU_DEP_2) | instskip(NEXT) | instid1(VALU_DEP_1)
	v_add_f64_e64 v[19:20], v[19:20], -v[23:24]
	v_add_f64_e32 v[17:18], v[17:18], v[19:20]
	s_delay_alu instid0(VALU_DEP_1) | instskip(SKIP_1) | instid1(VALU_DEP_1)
	v_add_f64_e32 v[17:18], v[29:30], v[17:18]
	s_wait_alu 0xfffe
	v_cndmask_b32_e64 v17, 0, v17, s6
	v_cmp_neq_f64_e64 s6, -1.0, v[15:16]
	s_delay_alu instid0(VALU_DEP_3) | instskip(SKIP_1) | instid1(VALU_DEP_1)
	v_cndmask_b32_e64 v18, 0x7ff00000, v18, s7
	s_wait_alu 0xf1ff
	v_cndmask_b32_e64 v18, 0x7ff80000, v18, s8
	s_delay_alu instid0(VALU_DEP_1) | instskip(NEXT) | instid1(VALU_DEP_1)
	v_cndmask_b32_e64 v18, 0xfff00000, v18, s6
	v_add_f64_e32 v[69:70], v[13:14], v[17:18]
.LBB71_210:
	s_wait_alu 0xfffe
	s_or_b32 exec_lo, exec_lo, s12
	v_max_num_f64_e32 v[13:14], v[53:54], v[53:54]
	s_delay_alu instid0(VALU_DEP_2) | instskip(SKIP_2) | instid1(VALU_DEP_3)
	v_max_num_f64_e32 v[15:16], v[69:70], v[69:70]
	v_cmp_u_f64_e64 s7, v[69:70], v[69:70]
	v_cmp_u_f64_e64 s6, v[53:54], v[53:54]
	v_min_num_f64_e32 v[17:18], v[15:16], v[13:14]
	v_max_num_f64_e32 v[15:16], v[15:16], v[13:14]
	s_wait_alu 0xf1ff
	s_delay_alu instid0(VALU_DEP_2) | instskip(NEXT) | instid1(VALU_DEP_3)
	v_cndmask_b32_e64 v17, v17, v69, s7
	v_cndmask_b32_e64 v18, v18, v70, s7
	s_delay_alu instid0(VALU_DEP_3) | instskip(NEXT) | instid1(VALU_DEP_4)
	v_cndmask_b32_e64 v16, v16, v70, s7
	v_cndmask_b32_e64 v15, v15, v69, s7
	s_delay_alu instid0(VALU_DEP_4) | instskip(NEXT) | instid1(VALU_DEP_4)
	v_cndmask_b32_e64 v17, v17, v53, s6
	v_cndmask_b32_e64 v18, v18, v54, s6
	s_delay_alu instid0(VALU_DEP_4) | instskip(NEXT) | instid1(VALU_DEP_4)
	v_cndmask_b32_e64 v16, v16, v54, s6
	v_cndmask_b32_e64 v15, v15, v53, s6
	s_delay_alu instid0(VALU_DEP_3) | instskip(NEXT) | instid1(VALU_DEP_2)
	v_cmp_class_f64_e64 s8, v[17:18], 0x1f8
	v_cmp_neq_f64_e64 s7, v[17:18], v[15:16]
	s_or_b32 s7, s7, s8
	s_wait_alu 0xfffe
	s_and_saveexec_b32 s14, s7
	s_cbranch_execz .LBB71_212
; %bb.211:
	v_add_f64_e64 v[17:18], v[17:18], -v[15:16]
	s_mov_b32 s8, 0x652b82fe
	s_mov_b32 s9, 0x3ff71547
	;; [unrolled: 1-line block ×10, first 2 shown]
	s_wait_alu 0xfffe
	s_delay_alu instid0(VALU_DEP_1) | instskip(SKIP_3) | instid1(VALU_DEP_2)
	v_mul_f64_e32 v[19:20], s[8:9], v[17:18]
	s_mov_b32 s8, 0xfca7ab0c
	s_mov_b32 s9, 0x3e928af3
	v_cmp_nlt_f64_e64 s7, 0x40900000, v[17:18]
	v_rndne_f64_e32 v[19:20], v[19:20]
	s_delay_alu instid0(VALU_DEP_1) | instskip(SKIP_2) | instid1(VALU_DEP_2)
	v_fma_f64 v[21:22], v[19:20], s[10:11], v[17:18]
	v_cvt_i32_f64_e32 v25, v[19:20]
	s_mov_b32 s11, 0x3fe62e42
	v_fma_f64 v[21:22], v[19:20], s[12:13], v[21:22]
	s_mov_b32 s13, 0x3c7abc9e
	s_wait_alu 0xfffe
	s_delay_alu instid0(VALU_DEP_1)
	v_fma_f64 v[23:24], v[21:22], s[18:19], s[8:9]
	s_mov_b32 s8, 0x623fde64
	s_mov_b32 s9, 0x3ec71dee
	s_mov_b32 s18, 0x6b47b09a
	s_mov_b32 s19, 0x3fc38538
	s_wait_alu 0xfffe
	s_delay_alu instid0(VALU_DEP_1) | instskip(SKIP_3) | instid1(VALU_DEP_1)
	v_fma_f64 v[23:24], v[21:22], v[23:24], s[8:9]
	s_mov_b32 s8, 0x7c89e6b0
	s_mov_b32 s9, 0x3efa0199
	s_wait_alu 0xfffe
	v_fma_f64 v[23:24], v[21:22], v[23:24], s[8:9]
	s_mov_b32 s8, 0x14761f6e
	s_mov_b32 s9, 0x3f2a01a0
	s_wait_alu 0xfffe
	s_delay_alu instid0(VALU_DEP_1) | instskip(SKIP_3) | instid1(VALU_DEP_1)
	v_fma_f64 v[23:24], v[21:22], v[23:24], s[8:9]
	s_mov_b32 s8, 0x1852b7b0
	s_mov_b32 s9, 0x3f56c16c
	s_wait_alu 0xfffe
	v_fma_f64 v[23:24], v[21:22], v[23:24], s[8:9]
	s_mov_b32 s8, 0x11122322
	s_mov_b32 s9, 0x3f811111
	;; [unrolled: 9-line block ×3, first 2 shown]
	s_wait_alu 0xfffe
	s_delay_alu instid0(VALU_DEP_1) | instskip(SKIP_3) | instid1(VALU_DEP_1)
	v_fma_f64 v[23:24], v[21:22], v[23:24], s[8:9]
	s_mov_b32 s8, 11
	s_mov_b32 s9, 0x3fe00000
	s_wait_alu 0xfffe
	v_fma_f64 v[23:24], v[21:22], v[23:24], s[8:9]
	v_cmp_ngt_f64_e64 s8, 0xc090cc00, v[17:18]
	s_mov_b32 s9, 0x3fe55555
	v_fma_f64 v[23:24], v[21:22], v[23:24], 1.0
	s_delay_alu instid0(VALU_DEP_1) | instskip(NEXT) | instid1(VALU_DEP_1)
	v_fma_f64 v[19:20], v[21:22], v[23:24], 1.0
	v_ldexp_f64 v[19:20], v[19:20], v25
	s_wait_alu 0xf1ff
	s_delay_alu instid0(VALU_DEP_1) | instskip(SKIP_2) | instid1(VALU_DEP_2)
	v_cndmask_b32_e64 v20, 0x7ff00000, v20, s7
	s_and_b32 s7, s8, s7
	s_wait_alu 0xfffe
	v_cndmask_b32_e64 v17, 0, v19, s7
	s_delay_alu instid0(VALU_DEP_2) | instskip(SKIP_1) | instid1(VALU_DEP_1)
	v_cndmask_b32_e64 v18, 0, v20, s8
	s_mov_b32 s8, 0x55555555
	v_add_f64_e32 v[19:20], 1.0, v[17:18]
	s_delay_alu instid0(VALU_DEP_1) | instskip(SKIP_3) | instid1(VALU_DEP_3)
	v_frexp_mant_f64_e32 v[21:22], v[19:20]
	v_frexp_exp_i32_f64_e32 v25, v[19:20]
	v_add_f64_e32 v[23:24], -1.0, v[19:20]
	s_wait_alu 0xfffe
	v_cmp_gt_f64_e64 s7, s[8:9], v[21:22]
	s_mov_b32 s8, 0x55555780
	v_add_f64_e64 v[21:22], v[23:24], -v[19:20]
	v_add_f64_e64 v[23:24], v[17:18], -v[23:24]
	s_wait_alu 0xf1ff
	v_subrev_co_ci_u32_e64 v77, null, 0, v25, s7
	s_delay_alu instid0(VALU_DEP_3) | instskip(SKIP_1) | instid1(VALU_DEP_3)
	v_add_f64_e32 v[21:22], 1.0, v[21:22]
	v_cmp_nge_f64_e64 s7, -1.0, v[17:18]
	v_sub_nc_u32_e32 v27, 0, v77
	s_delay_alu instid0(VALU_DEP_1) | instskip(NEXT) | instid1(VALU_DEP_4)
	v_ldexp_f64 v[19:20], v[19:20], v27
	v_add_f64_e32 v[21:22], v[23:24], v[21:22]
	s_delay_alu instid0(VALU_DEP_2) | instskip(SKIP_1) | instid1(VALU_DEP_3)
	v_add_f64_e32 v[25:26], 1.0, v[19:20]
	v_add_f64_e32 v[31:32], -1.0, v[19:20]
	v_ldexp_f64 v[21:22], v[21:22], v27
	s_delay_alu instid0(VALU_DEP_3) | instskip(NEXT) | instid1(VALU_DEP_3)
	v_add_f64_e32 v[23:24], -1.0, v[25:26]
	v_add_f64_e32 v[69:70], 1.0, v[31:32]
	s_delay_alu instid0(VALU_DEP_2) | instskip(NEXT) | instid1(VALU_DEP_2)
	v_add_f64_e64 v[23:24], v[19:20], -v[23:24]
	v_add_f64_e64 v[19:20], v[19:20], -v[69:70]
	s_delay_alu instid0(VALU_DEP_2) | instskip(NEXT) | instid1(VALU_DEP_2)
	v_add_f64_e32 v[23:24], v[21:22], v[23:24]
	v_add_f64_e32 v[19:20], v[21:22], v[19:20]
	s_delay_alu instid0(VALU_DEP_2) | instskip(NEXT) | instid1(VALU_DEP_2)
	v_add_f64_e32 v[27:28], v[25:26], v[23:24]
	v_add_f64_e32 v[69:70], v[31:32], v[19:20]
	s_delay_alu instid0(VALU_DEP_2) | instskip(SKIP_1) | instid1(VALU_DEP_2)
	v_rcp_f64_e32 v[29:30], v[27:28]
	v_add_f64_e64 v[25:26], v[27:28], -v[25:26]
	v_add_f64_e64 v[31:32], v[69:70], -v[31:32]
	s_delay_alu instid0(VALU_DEP_2) | instskip(NEXT) | instid1(TRANS32_DEP_1)
	v_add_f64_e64 v[23:24], v[23:24], -v[25:26]
	v_fma_f64 v[71:72], -v[27:28], v[29:30], 1.0
	s_delay_alu instid0(VALU_DEP_3) | instskip(NEXT) | instid1(VALU_DEP_2)
	v_add_f64_e64 v[19:20], v[19:20], -v[31:32]
	v_fma_f64 v[29:30], v[71:72], v[29:30], v[29:30]
	s_delay_alu instid0(VALU_DEP_1) | instskip(NEXT) | instid1(VALU_DEP_1)
	v_fma_f64 v[21:22], -v[27:28], v[29:30], 1.0
	v_fma_f64 v[21:22], v[21:22], v[29:30], v[29:30]
	s_delay_alu instid0(VALU_DEP_1) | instskip(NEXT) | instid1(VALU_DEP_1)
	v_mul_f64_e32 v[29:30], v[69:70], v[21:22]
	v_mul_f64_e32 v[71:72], v[27:28], v[29:30]
	s_delay_alu instid0(VALU_DEP_1) | instskip(NEXT) | instid1(VALU_DEP_1)
	v_fma_f64 v[25:26], v[29:30], v[27:28], -v[71:72]
	v_fma_f64 v[25:26], v[29:30], v[23:24], v[25:26]
	s_delay_alu instid0(VALU_DEP_1) | instskip(NEXT) | instid1(VALU_DEP_1)
	v_add_f64_e32 v[73:74], v[71:72], v[25:26]
	v_add_f64_e64 v[75:76], v[69:70], -v[73:74]
	v_add_f64_e64 v[31:32], v[73:74], -v[71:72]
	s_delay_alu instid0(VALU_DEP_2) | instskip(NEXT) | instid1(VALU_DEP_2)
	v_add_f64_e64 v[69:70], v[69:70], -v[75:76]
	v_add_f64_e64 v[25:26], v[31:32], -v[25:26]
	s_delay_alu instid0(VALU_DEP_2) | instskip(NEXT) | instid1(VALU_DEP_1)
	v_add_f64_e64 v[69:70], v[69:70], -v[73:74]
	v_add_f64_e32 v[19:20], v[19:20], v[69:70]
	s_delay_alu instid0(VALU_DEP_1) | instskip(NEXT) | instid1(VALU_DEP_1)
	v_add_f64_e32 v[19:20], v[25:26], v[19:20]
	v_add_f64_e32 v[25:26], v[75:76], v[19:20]
	s_delay_alu instid0(VALU_DEP_1) | instskip(SKIP_1) | instid1(VALU_DEP_2)
	v_mul_f64_e32 v[31:32], v[21:22], v[25:26]
	v_add_f64_e64 v[73:74], v[75:76], -v[25:26]
	v_mul_f64_e32 v[69:70], v[27:28], v[31:32]
	s_delay_alu instid0(VALU_DEP_2) | instskip(NEXT) | instid1(VALU_DEP_2)
	v_add_f64_e32 v[19:20], v[19:20], v[73:74]
	v_fma_f64 v[27:28], v[31:32], v[27:28], -v[69:70]
	s_delay_alu instid0(VALU_DEP_1) | instskip(NEXT) | instid1(VALU_DEP_1)
	v_fma_f64 v[23:24], v[31:32], v[23:24], v[27:28]
	v_add_f64_e32 v[27:28], v[69:70], v[23:24]
	s_delay_alu instid0(VALU_DEP_1) | instskip(SKIP_1) | instid1(VALU_DEP_2)
	v_add_f64_e64 v[71:72], v[25:26], -v[27:28]
	v_add_f64_e64 v[69:70], v[27:28], -v[69:70]
	;; [unrolled: 1-line block ×3, first 2 shown]
	s_delay_alu instid0(VALU_DEP_2) | instskip(NEXT) | instid1(VALU_DEP_2)
	v_add_f64_e64 v[23:24], v[69:70], -v[23:24]
	v_add_f64_e64 v[25:26], v[25:26], -v[27:28]
	s_delay_alu instid0(VALU_DEP_1) | instskip(SKIP_1) | instid1(VALU_DEP_2)
	v_add_f64_e32 v[19:20], v[19:20], v[25:26]
	v_add_f64_e32 v[25:26], v[29:30], v[31:32]
	;; [unrolled: 1-line block ×3, first 2 shown]
	s_delay_alu instid0(VALU_DEP_2) | instskip(NEXT) | instid1(VALU_DEP_2)
	v_add_f64_e64 v[23:24], v[25:26], -v[29:30]
	v_add_f64_e32 v[19:20], v[71:72], v[19:20]
	s_delay_alu instid0(VALU_DEP_2) | instskip(NEXT) | instid1(VALU_DEP_2)
	v_add_f64_e64 v[23:24], v[31:32], -v[23:24]
	v_mul_f64_e32 v[19:20], v[21:22], v[19:20]
	s_delay_alu instid0(VALU_DEP_1) | instskip(NEXT) | instid1(VALU_DEP_1)
	v_add_f64_e32 v[19:20], v[23:24], v[19:20]
	v_add_f64_e32 v[21:22], v[25:26], v[19:20]
	s_delay_alu instid0(VALU_DEP_1) | instskip(NEXT) | instid1(VALU_DEP_1)
	v_mul_f64_e32 v[23:24], v[21:22], v[21:22]
	v_fma_f64 v[27:28], v[23:24], s[20:21], s[18:19]
	s_mov_b32 s18, 0xd7f4df2e
	s_mov_b32 s19, 0x3fc7474d
	v_mul_f64_e32 v[29:30], v[21:22], v[23:24]
	s_wait_alu 0xfffe
	s_delay_alu instid0(VALU_DEP_2) | instskip(SKIP_3) | instid1(VALU_DEP_1)
	v_fma_f64 v[27:28], v[23:24], v[27:28], s[18:19]
	s_mov_b32 s18, 0x16291751
	s_mov_b32 s19, 0x3fcc71c0
	s_wait_alu 0xfffe
	v_fma_f64 v[27:28], v[23:24], v[27:28], s[18:19]
	s_mov_b32 s18, 0x9b27acf1
	s_mov_b32 s19, 0x3fd24924
	s_wait_alu 0xfffe
	s_delay_alu instid0(VALU_DEP_1) | instskip(SKIP_3) | instid1(VALU_DEP_1)
	v_fma_f64 v[27:28], v[23:24], v[27:28], s[18:19]
	s_mov_b32 s18, 0x998ef7b6
	s_mov_b32 s19, 0x3fd99999
	s_wait_alu 0xfffe
	v_fma_f64 v[27:28], v[23:24], v[27:28], s[18:19]
	s_delay_alu instid0(VALU_DEP_1)
	v_fma_f64 v[23:24], v[23:24], v[27:28], s[8:9]
	v_ldexp_f64 v[27:28], v[21:22], 1
	v_add_f64_e64 v[21:22], v[21:22], -v[25:26]
	v_cmp_neq_f64_e64 s8, 0x7ff00000, v[17:18]
	v_cmp_ngt_f64_e64 s9, -1.0, v[17:18]
	v_mul_f64_e32 v[23:24], v[29:30], v[23:24]
	v_cvt_f64_i32_e32 v[29:30], v77
	v_add_f64_e64 v[19:20], v[19:20], -v[21:22]
	s_and_b32 s7, s7, s8
	s_delay_alu instid0(VALU_DEP_3) | instskip(NEXT) | instid1(VALU_DEP_3)
	v_add_f64_e32 v[25:26], v[27:28], v[23:24]
	v_mul_f64_e32 v[31:32], s[10:11], v[29:30]
	s_delay_alu instid0(VALU_DEP_3) | instskip(NEXT) | instid1(VALU_DEP_3)
	v_ldexp_f64 v[19:20], v[19:20], 1
	v_add_f64_e64 v[21:22], v[25:26], -v[27:28]
	s_delay_alu instid0(VALU_DEP_3) | instskip(NEXT) | instid1(VALU_DEP_2)
	v_fma_f64 v[27:28], v[29:30], s[10:11], -v[31:32]
	v_add_f64_e64 v[21:22], v[23:24], -v[21:22]
	s_delay_alu instid0(VALU_DEP_2) | instskip(NEXT) | instid1(VALU_DEP_2)
	v_fma_f64 v[23:24], v[29:30], s[12:13], v[27:28]
	v_add_f64_e32 v[19:20], v[19:20], v[21:22]
	s_delay_alu instid0(VALU_DEP_2) | instskip(NEXT) | instid1(VALU_DEP_2)
	v_add_f64_e32 v[21:22], v[31:32], v[23:24]
	v_add_f64_e32 v[27:28], v[25:26], v[19:20]
	s_delay_alu instid0(VALU_DEP_2) | instskip(NEXT) | instid1(VALU_DEP_2)
	v_add_f64_e64 v[31:32], v[21:22], -v[31:32]
	v_add_f64_e32 v[29:30], v[21:22], v[27:28]
	v_add_f64_e64 v[25:26], v[27:28], -v[25:26]
	s_delay_alu instid0(VALU_DEP_3) | instskip(NEXT) | instid1(VALU_DEP_3)
	v_add_f64_e64 v[23:24], v[23:24], -v[31:32]
	v_add_f64_e64 v[69:70], v[29:30], -v[21:22]
	s_delay_alu instid0(VALU_DEP_3) | instskip(NEXT) | instid1(VALU_DEP_2)
	v_add_f64_e64 v[19:20], v[19:20], -v[25:26]
	v_add_f64_e64 v[71:72], v[29:30], -v[69:70]
	;; [unrolled: 1-line block ×3, first 2 shown]
	s_delay_alu instid0(VALU_DEP_3) | instskip(NEXT) | instid1(VALU_DEP_3)
	v_add_f64_e32 v[27:28], v[23:24], v[19:20]
	v_add_f64_e64 v[21:22], v[21:22], -v[71:72]
	s_delay_alu instid0(VALU_DEP_1) | instskip(NEXT) | instid1(VALU_DEP_3)
	v_add_f64_e32 v[21:22], v[25:26], v[21:22]
	v_add_f64_e64 v[25:26], v[27:28], -v[23:24]
	s_delay_alu instid0(VALU_DEP_2) | instskip(NEXT) | instid1(VALU_DEP_2)
	v_add_f64_e32 v[21:22], v[27:28], v[21:22]
	v_add_f64_e64 v[27:28], v[27:28], -v[25:26]
	v_add_f64_e64 v[19:20], v[19:20], -v[25:26]
	s_delay_alu instid0(VALU_DEP_3) | instskip(NEXT) | instid1(VALU_DEP_3)
	v_add_f64_e32 v[31:32], v[29:30], v[21:22]
	v_add_f64_e64 v[23:24], v[23:24], -v[27:28]
	s_delay_alu instid0(VALU_DEP_2) | instskip(NEXT) | instid1(VALU_DEP_2)
	v_add_f64_e64 v[25:26], v[31:32], -v[29:30]
	v_add_f64_e32 v[19:20], v[19:20], v[23:24]
	s_delay_alu instid0(VALU_DEP_2) | instskip(NEXT) | instid1(VALU_DEP_1)
	v_add_f64_e64 v[21:22], v[21:22], -v[25:26]
	v_add_f64_e32 v[19:20], v[19:20], v[21:22]
	s_delay_alu instid0(VALU_DEP_1) | instskip(SKIP_1) | instid1(VALU_DEP_1)
	v_add_f64_e32 v[19:20], v[31:32], v[19:20]
	s_wait_alu 0xfffe
	v_cndmask_b32_e64 v19, 0, v19, s7
	v_cmp_neq_f64_e64 s7, -1.0, v[17:18]
	s_delay_alu instid0(VALU_DEP_3) | instskip(NEXT) | instid1(VALU_DEP_1)
	v_cndmask_b32_e64 v20, 0x7ff00000, v20, s8
	v_cndmask_b32_e64 v20, 0x7ff80000, v20, s9
	s_wait_alu 0xf1ff
	s_delay_alu instid0(VALU_DEP_1) | instskip(NEXT) | instid1(VALU_DEP_1)
	v_cndmask_b32_e64 v20, 0xfff00000, v20, s7
	v_add_f64_e32 v[69:70], v[15:16], v[19:20]
.LBB71_212:
	s_wait_alu 0xfffe
	s_or_b32 exec_lo, exec_lo, s14
	v_max_num_f64_e32 v[15:16], v[55:56], v[55:56]
	s_delay_alu instid0(VALU_DEP_2) | instskip(SKIP_2) | instid1(VALU_DEP_3)
	v_max_num_f64_e32 v[17:18], v[69:70], v[69:70]
	v_cmp_u_f64_e64 s8, v[69:70], v[69:70]
	v_cmp_u_f64_e64 s7, v[55:56], v[55:56]
	v_min_num_f64_e32 v[19:20], v[17:18], v[15:16]
	v_max_num_f64_e32 v[17:18], v[17:18], v[15:16]
	s_wait_alu 0xf1ff
	s_delay_alu instid0(VALU_DEP_2) | instskip(NEXT) | instid1(VALU_DEP_3)
	v_cndmask_b32_e64 v19, v19, v69, s8
	v_cndmask_b32_e64 v20, v20, v70, s8
	s_delay_alu instid0(VALU_DEP_3) | instskip(NEXT) | instid1(VALU_DEP_4)
	v_cndmask_b32_e64 v18, v18, v70, s8
	v_cndmask_b32_e64 v17, v17, v69, s8
	s_delay_alu instid0(VALU_DEP_4) | instskip(NEXT) | instid1(VALU_DEP_4)
	v_cndmask_b32_e64 v19, v19, v55, s7
	v_cndmask_b32_e64 v20, v20, v56, s7
	s_delay_alu instid0(VALU_DEP_4) | instskip(NEXT) | instid1(VALU_DEP_4)
	v_cndmask_b32_e64 v18, v18, v56, s7
	v_cndmask_b32_e64 v17, v17, v55, s7
	s_delay_alu instid0(VALU_DEP_3) | instskip(NEXT) | instid1(VALU_DEP_2)
	v_cmp_class_f64_e64 s9, v[19:20], 0x1f8
	v_cmp_neq_f64_e64 s8, v[19:20], v[17:18]
	s_or_b32 s8, s8, s9
	s_wait_alu 0xfffe
	s_and_saveexec_b32 s14, s8
	s_cbranch_execz .LBB71_214
; %bb.213:
	v_add_f64_e64 v[19:20], v[19:20], -v[17:18]
	s_mov_b32 s8, 0x652b82fe
	s_mov_b32 s9, 0x3ff71547
	s_mov_b32 s11, 0xbfe62e42
	s_mov_b32 s10, 0xfefa39ef
	s_mov_b32 s13, 0xbc7abc9e
	s_mov_b32 s12, 0x3b39803f
	s_mov_b32 s18, 0x6a5dcb37
	s_mov_b32 s19, 0x3e5ade15
	s_mov_b32 s20, 0xbf559e2b
	s_mov_b32 s21, 0x3fc3ab76
	s_wait_alu 0xfffe
	s_delay_alu instid0(VALU_DEP_1) | instskip(SKIP_2) | instid1(VALU_DEP_1)
	v_mul_f64_e32 v[21:22], s[8:9], v[19:20]
	s_mov_b32 s8, 0xfca7ab0c
	s_mov_b32 s9, 0x3e928af3
	v_rndne_f64_e32 v[21:22], v[21:22]
	s_delay_alu instid0(VALU_DEP_1) | instskip(SKIP_2) | instid1(VALU_DEP_2)
	v_fma_f64 v[23:24], v[21:22], s[10:11], v[19:20]
	v_cvt_i32_f64_e32 v27, v[21:22]
	s_mov_b32 s11, 0x3fe62e42
	v_fma_f64 v[23:24], v[21:22], s[12:13], v[23:24]
	s_mov_b32 s13, 0x3c7abc9e
	s_wait_alu 0xfffe
	s_delay_alu instid0(VALU_DEP_1)
	v_fma_f64 v[25:26], v[23:24], s[18:19], s[8:9]
	s_mov_b32 s8, 0x623fde64
	s_mov_b32 s9, 0x3ec71dee
	;; [unrolled: 1-line block ×4, first 2 shown]
	s_wait_alu 0xfffe
	s_delay_alu instid0(VALU_DEP_1) | instskip(SKIP_3) | instid1(VALU_DEP_1)
	v_fma_f64 v[25:26], v[23:24], v[25:26], s[8:9]
	s_mov_b32 s8, 0x7c89e6b0
	s_mov_b32 s9, 0x3efa0199
	s_wait_alu 0xfffe
	v_fma_f64 v[25:26], v[23:24], v[25:26], s[8:9]
	s_mov_b32 s8, 0x14761f6e
	s_mov_b32 s9, 0x3f2a01a0
	s_wait_alu 0xfffe
	s_delay_alu instid0(VALU_DEP_1) | instskip(SKIP_3) | instid1(VALU_DEP_1)
	v_fma_f64 v[25:26], v[23:24], v[25:26], s[8:9]
	s_mov_b32 s8, 0x1852b7b0
	s_mov_b32 s9, 0x3f56c16c
	s_wait_alu 0xfffe
	v_fma_f64 v[25:26], v[23:24], v[25:26], s[8:9]
	s_mov_b32 s8, 0x11122322
	s_mov_b32 s9, 0x3f811111
	;; [unrolled: 9-line block ×3, first 2 shown]
	s_wait_alu 0xfffe
	s_delay_alu instid0(VALU_DEP_1) | instskip(SKIP_3) | instid1(VALU_DEP_1)
	v_fma_f64 v[25:26], v[23:24], v[25:26], s[8:9]
	s_mov_b32 s8, 11
	s_mov_b32 s9, 0x3fe00000
	s_wait_alu 0xfffe
	v_fma_f64 v[25:26], v[23:24], v[25:26], s[8:9]
	v_cmp_nlt_f64_e64 s8, 0x40900000, v[19:20]
	v_cmp_ngt_f64_e64 s9, 0xc090cc00, v[19:20]
	s_delay_alu instid0(VALU_DEP_3) | instskip(NEXT) | instid1(VALU_DEP_1)
	v_fma_f64 v[25:26], v[23:24], v[25:26], 1.0
	v_fma_f64 v[21:22], v[23:24], v[25:26], 1.0
	s_delay_alu instid0(VALU_DEP_1) | instskip(SKIP_1) | instid1(VALU_DEP_1)
	v_ldexp_f64 v[21:22], v[21:22], v27
	s_wait_alu 0xf1ff
	v_cndmask_b32_e64 v22, 0x7ff00000, v22, s8
	s_and_b32 s8, s9, s8
	s_wait_alu 0xfffe
	s_delay_alu instid0(VALU_DEP_2) | instskip(SKIP_3) | instid1(VALU_DEP_1)
	v_cndmask_b32_e64 v19, 0, v21, s8
	s_mov_b32 s8, 0x55555555
	v_cndmask_b32_e64 v20, 0, v22, s9
	s_mov_b32 s9, 0x3fe55555
	v_add_f64_e32 v[21:22], 1.0, v[19:20]
	s_delay_alu instid0(VALU_DEP_1) | instskip(SKIP_3) | instid1(VALU_DEP_3)
	v_frexp_mant_f64_e32 v[23:24], v[21:22]
	v_frexp_exp_i32_f64_e32 v27, v[21:22]
	v_add_f64_e32 v[25:26], -1.0, v[21:22]
	s_wait_alu 0xfffe
	v_cmp_gt_f64_e64 s8, s[8:9], v[23:24]
	s_delay_alu instid0(VALU_DEP_2) | instskip(SKIP_2) | instid1(VALU_DEP_3)
	v_add_f64_e64 v[23:24], v[25:26], -v[21:22]
	v_add_f64_e64 v[25:26], v[19:20], -v[25:26]
	s_wait_alu 0xf1ff
	v_subrev_co_ci_u32_e64 v79, null, 0, v27, s8
	s_delay_alu instid0(VALU_DEP_3) | instskip(SKIP_1) | instid1(VALU_DEP_2)
	v_add_f64_e32 v[23:24], 1.0, v[23:24]
	s_mov_b32 s8, 0x55555780
	v_sub_nc_u32_e32 v29, 0, v79
	s_delay_alu instid0(VALU_DEP_1) | instskip(NEXT) | instid1(VALU_DEP_3)
	v_ldexp_f64 v[21:22], v[21:22], v29
	v_add_f64_e32 v[23:24], v[25:26], v[23:24]
	s_delay_alu instid0(VALU_DEP_2) | instskip(SKIP_1) | instid1(VALU_DEP_3)
	v_add_f64_e32 v[27:28], 1.0, v[21:22]
	v_add_f64_e32 v[69:70], -1.0, v[21:22]
	v_ldexp_f64 v[23:24], v[23:24], v29
	s_delay_alu instid0(VALU_DEP_3) | instskip(NEXT) | instid1(VALU_DEP_3)
	v_add_f64_e32 v[25:26], -1.0, v[27:28]
	v_add_f64_e32 v[71:72], 1.0, v[69:70]
	s_delay_alu instid0(VALU_DEP_2) | instskip(NEXT) | instid1(VALU_DEP_2)
	v_add_f64_e64 v[25:26], v[21:22], -v[25:26]
	v_add_f64_e64 v[21:22], v[21:22], -v[71:72]
	s_delay_alu instid0(VALU_DEP_2) | instskip(NEXT) | instid1(VALU_DEP_2)
	v_add_f64_e32 v[25:26], v[23:24], v[25:26]
	v_add_f64_e32 v[21:22], v[23:24], v[21:22]
	s_delay_alu instid0(VALU_DEP_2) | instskip(NEXT) | instid1(VALU_DEP_2)
	v_add_f64_e32 v[29:30], v[27:28], v[25:26]
	v_add_f64_e32 v[71:72], v[69:70], v[21:22]
	s_delay_alu instid0(VALU_DEP_2) | instskip(SKIP_1) | instid1(VALU_DEP_2)
	v_rcp_f64_e32 v[31:32], v[29:30]
	v_add_f64_e64 v[27:28], v[29:30], -v[27:28]
	v_add_f64_e64 v[69:70], v[71:72], -v[69:70]
	s_delay_alu instid0(VALU_DEP_2) | instskip(NEXT) | instid1(TRANS32_DEP_1)
	v_add_f64_e64 v[25:26], v[25:26], -v[27:28]
	v_fma_f64 v[73:74], -v[29:30], v[31:32], 1.0
	s_delay_alu instid0(VALU_DEP_3) | instskip(NEXT) | instid1(VALU_DEP_2)
	v_add_f64_e64 v[21:22], v[21:22], -v[69:70]
	v_fma_f64 v[31:32], v[73:74], v[31:32], v[31:32]
	s_delay_alu instid0(VALU_DEP_1) | instskip(NEXT) | instid1(VALU_DEP_1)
	v_fma_f64 v[23:24], -v[29:30], v[31:32], 1.0
	v_fma_f64 v[23:24], v[23:24], v[31:32], v[31:32]
	s_delay_alu instid0(VALU_DEP_1) | instskip(NEXT) | instid1(VALU_DEP_1)
	v_mul_f64_e32 v[31:32], v[71:72], v[23:24]
	v_mul_f64_e32 v[73:74], v[29:30], v[31:32]
	s_delay_alu instid0(VALU_DEP_1) | instskip(NEXT) | instid1(VALU_DEP_1)
	v_fma_f64 v[27:28], v[31:32], v[29:30], -v[73:74]
	v_fma_f64 v[27:28], v[31:32], v[25:26], v[27:28]
	s_delay_alu instid0(VALU_DEP_1) | instskip(NEXT) | instid1(VALU_DEP_1)
	v_add_f64_e32 v[75:76], v[73:74], v[27:28]
	v_add_f64_e64 v[77:78], v[71:72], -v[75:76]
	v_add_f64_e64 v[69:70], v[75:76], -v[73:74]
	s_delay_alu instid0(VALU_DEP_2) | instskip(NEXT) | instid1(VALU_DEP_2)
	v_add_f64_e64 v[71:72], v[71:72], -v[77:78]
	v_add_f64_e64 v[27:28], v[69:70], -v[27:28]
	s_delay_alu instid0(VALU_DEP_2) | instskip(NEXT) | instid1(VALU_DEP_1)
	v_add_f64_e64 v[71:72], v[71:72], -v[75:76]
	v_add_f64_e32 v[21:22], v[21:22], v[71:72]
	s_delay_alu instid0(VALU_DEP_1) | instskip(NEXT) | instid1(VALU_DEP_1)
	v_add_f64_e32 v[21:22], v[27:28], v[21:22]
	v_add_f64_e32 v[27:28], v[77:78], v[21:22]
	s_delay_alu instid0(VALU_DEP_1) | instskip(SKIP_1) | instid1(VALU_DEP_2)
	v_mul_f64_e32 v[69:70], v[23:24], v[27:28]
	v_add_f64_e64 v[75:76], v[77:78], -v[27:28]
	v_mul_f64_e32 v[71:72], v[29:30], v[69:70]
	s_delay_alu instid0(VALU_DEP_2) | instskip(NEXT) | instid1(VALU_DEP_2)
	v_add_f64_e32 v[21:22], v[21:22], v[75:76]
	v_fma_f64 v[29:30], v[69:70], v[29:30], -v[71:72]
	s_delay_alu instid0(VALU_DEP_1) | instskip(NEXT) | instid1(VALU_DEP_1)
	v_fma_f64 v[25:26], v[69:70], v[25:26], v[29:30]
	v_add_f64_e32 v[29:30], v[71:72], v[25:26]
	s_delay_alu instid0(VALU_DEP_1) | instskip(SKIP_1) | instid1(VALU_DEP_2)
	v_add_f64_e64 v[73:74], v[27:28], -v[29:30]
	v_add_f64_e64 v[71:72], v[29:30], -v[71:72]
	;; [unrolled: 1-line block ×3, first 2 shown]
	s_delay_alu instid0(VALU_DEP_2) | instskip(NEXT) | instid1(VALU_DEP_2)
	v_add_f64_e64 v[25:26], v[71:72], -v[25:26]
	v_add_f64_e64 v[27:28], v[27:28], -v[29:30]
	s_delay_alu instid0(VALU_DEP_1) | instskip(SKIP_1) | instid1(VALU_DEP_2)
	v_add_f64_e32 v[21:22], v[21:22], v[27:28]
	v_add_f64_e32 v[27:28], v[31:32], v[69:70]
	;; [unrolled: 1-line block ×3, first 2 shown]
	s_delay_alu instid0(VALU_DEP_2) | instskip(NEXT) | instid1(VALU_DEP_2)
	v_add_f64_e64 v[25:26], v[27:28], -v[31:32]
	v_add_f64_e32 v[21:22], v[73:74], v[21:22]
	s_delay_alu instid0(VALU_DEP_2) | instskip(NEXT) | instid1(VALU_DEP_2)
	v_add_f64_e64 v[25:26], v[69:70], -v[25:26]
	v_mul_f64_e32 v[21:22], v[23:24], v[21:22]
	s_delay_alu instid0(VALU_DEP_1) | instskip(NEXT) | instid1(VALU_DEP_1)
	v_add_f64_e32 v[21:22], v[25:26], v[21:22]
	v_add_f64_e32 v[23:24], v[27:28], v[21:22]
	s_delay_alu instid0(VALU_DEP_1) | instskip(NEXT) | instid1(VALU_DEP_1)
	v_mul_f64_e32 v[25:26], v[23:24], v[23:24]
	v_fma_f64 v[29:30], v[25:26], s[20:21], s[18:19]
	s_mov_b32 s18, 0xd7f4df2e
	s_mov_b32 s19, 0x3fc7474d
	v_mul_f64_e32 v[31:32], v[23:24], v[25:26]
	s_wait_alu 0xfffe
	s_delay_alu instid0(VALU_DEP_2) | instskip(SKIP_3) | instid1(VALU_DEP_1)
	v_fma_f64 v[29:30], v[25:26], v[29:30], s[18:19]
	s_mov_b32 s18, 0x16291751
	s_mov_b32 s19, 0x3fcc71c0
	s_wait_alu 0xfffe
	v_fma_f64 v[29:30], v[25:26], v[29:30], s[18:19]
	s_mov_b32 s18, 0x9b27acf1
	s_mov_b32 s19, 0x3fd24924
	s_wait_alu 0xfffe
	s_delay_alu instid0(VALU_DEP_1) | instskip(SKIP_3) | instid1(VALU_DEP_1)
	v_fma_f64 v[29:30], v[25:26], v[29:30], s[18:19]
	s_mov_b32 s18, 0x998ef7b6
	s_mov_b32 s19, 0x3fd99999
	s_wait_alu 0xfffe
	v_fma_f64 v[29:30], v[25:26], v[29:30], s[18:19]
	s_delay_alu instid0(VALU_DEP_1)
	v_fma_f64 v[25:26], v[25:26], v[29:30], s[8:9]
	v_ldexp_f64 v[29:30], v[23:24], 1
	v_add_f64_e64 v[23:24], v[23:24], -v[27:28]
	v_cmp_nge_f64_e64 s8, -1.0, v[19:20]
	v_cmp_neq_f64_e64 s9, 0x7ff00000, v[19:20]
	v_mul_f64_e32 v[25:26], v[31:32], v[25:26]
	v_cvt_f64_i32_e32 v[31:32], v79
	v_add_f64_e64 v[21:22], v[21:22], -v[23:24]
	s_and_b32 s8, s8, s9
	s_delay_alu instid0(VALU_DEP_3) | instskip(NEXT) | instid1(VALU_DEP_3)
	v_add_f64_e32 v[27:28], v[29:30], v[25:26]
	v_mul_f64_e32 v[69:70], s[10:11], v[31:32]
	s_delay_alu instid0(VALU_DEP_3) | instskip(NEXT) | instid1(VALU_DEP_3)
	v_ldexp_f64 v[21:22], v[21:22], 1
	v_add_f64_e64 v[23:24], v[27:28], -v[29:30]
	s_delay_alu instid0(VALU_DEP_3) | instskip(SKIP_1) | instid1(VALU_DEP_3)
	v_fma_f64 v[29:30], v[31:32], s[10:11], -v[69:70]
	v_cmp_ngt_f64_e64 s10, -1.0, v[19:20]
	v_add_f64_e64 v[23:24], v[25:26], -v[23:24]
	s_delay_alu instid0(VALU_DEP_3) | instskip(NEXT) | instid1(VALU_DEP_2)
	v_fma_f64 v[25:26], v[31:32], s[12:13], v[29:30]
	v_add_f64_e32 v[21:22], v[21:22], v[23:24]
	s_delay_alu instid0(VALU_DEP_2) | instskip(NEXT) | instid1(VALU_DEP_2)
	v_add_f64_e32 v[23:24], v[69:70], v[25:26]
	v_add_f64_e32 v[29:30], v[27:28], v[21:22]
	s_delay_alu instid0(VALU_DEP_2) | instskip(NEXT) | instid1(VALU_DEP_2)
	v_add_f64_e64 v[69:70], v[23:24], -v[69:70]
	v_add_f64_e32 v[31:32], v[23:24], v[29:30]
	v_add_f64_e64 v[27:28], v[29:30], -v[27:28]
	s_delay_alu instid0(VALU_DEP_3) | instskip(NEXT) | instid1(VALU_DEP_3)
	v_add_f64_e64 v[25:26], v[25:26], -v[69:70]
	v_add_f64_e64 v[71:72], v[31:32], -v[23:24]
	s_delay_alu instid0(VALU_DEP_3) | instskip(NEXT) | instid1(VALU_DEP_2)
	v_add_f64_e64 v[21:22], v[21:22], -v[27:28]
	v_add_f64_e64 v[73:74], v[31:32], -v[71:72]
	;; [unrolled: 1-line block ×3, first 2 shown]
	s_delay_alu instid0(VALU_DEP_3) | instskip(NEXT) | instid1(VALU_DEP_3)
	v_add_f64_e32 v[29:30], v[25:26], v[21:22]
	v_add_f64_e64 v[23:24], v[23:24], -v[73:74]
	s_delay_alu instid0(VALU_DEP_1) | instskip(NEXT) | instid1(VALU_DEP_3)
	v_add_f64_e32 v[23:24], v[27:28], v[23:24]
	v_add_f64_e64 v[27:28], v[29:30], -v[25:26]
	s_delay_alu instid0(VALU_DEP_2) | instskip(NEXT) | instid1(VALU_DEP_2)
	v_add_f64_e32 v[23:24], v[29:30], v[23:24]
	v_add_f64_e64 v[29:30], v[29:30], -v[27:28]
	v_add_f64_e64 v[21:22], v[21:22], -v[27:28]
	s_delay_alu instid0(VALU_DEP_3) | instskip(NEXT) | instid1(VALU_DEP_3)
	v_add_f64_e32 v[69:70], v[31:32], v[23:24]
	v_add_f64_e64 v[25:26], v[25:26], -v[29:30]
	s_delay_alu instid0(VALU_DEP_2) | instskip(NEXT) | instid1(VALU_DEP_2)
	v_add_f64_e64 v[27:28], v[69:70], -v[31:32]
	v_add_f64_e32 v[21:22], v[21:22], v[25:26]
	s_delay_alu instid0(VALU_DEP_2) | instskip(NEXT) | instid1(VALU_DEP_1)
	v_add_f64_e64 v[23:24], v[23:24], -v[27:28]
	v_add_f64_e32 v[21:22], v[21:22], v[23:24]
	s_delay_alu instid0(VALU_DEP_1) | instskip(SKIP_1) | instid1(VALU_DEP_1)
	v_add_f64_e32 v[21:22], v[69:70], v[21:22]
	s_wait_alu 0xfffe
	v_cndmask_b32_e64 v21, 0, v21, s8
	v_cmp_neq_f64_e64 s8, -1.0, v[19:20]
	s_delay_alu instid0(VALU_DEP_3) | instskip(SKIP_1) | instid1(VALU_DEP_1)
	v_cndmask_b32_e64 v22, 0x7ff00000, v22, s9
	s_wait_alu 0xf1ff
	v_cndmask_b32_e64 v22, 0x7ff80000, v22, s10
	s_delay_alu instid0(VALU_DEP_1) | instskip(NEXT) | instid1(VALU_DEP_1)
	v_cndmask_b32_e64 v22, 0xfff00000, v22, s8
	v_add_f64_e32 v[69:70], v[17:18], v[21:22]
.LBB71_214:
	s_wait_alu 0xfffe
	s_or_b32 exec_lo, exec_lo, s14
	v_max_num_f64_e32 v[17:18], v[49:50], v[49:50]
	s_delay_alu instid0(VALU_DEP_2) | instskip(SKIP_2) | instid1(VALU_DEP_3)
	v_max_num_f64_e32 v[19:20], v[69:70], v[69:70]
	v_cmp_u_f64_e64 s9, v[69:70], v[69:70]
	v_cmp_u_f64_e64 s8, v[49:50], v[49:50]
	v_min_num_f64_e32 v[21:22], v[19:20], v[17:18]
	v_max_num_f64_e32 v[19:20], v[19:20], v[17:18]
	s_wait_alu 0xf1ff
	s_delay_alu instid0(VALU_DEP_2) | instskip(NEXT) | instid1(VALU_DEP_3)
	v_cndmask_b32_e64 v21, v21, v69, s9
	v_cndmask_b32_e64 v22, v22, v70, s9
	s_delay_alu instid0(VALU_DEP_3) | instskip(NEXT) | instid1(VALU_DEP_4)
	v_cndmask_b32_e64 v20, v20, v70, s9
	v_cndmask_b32_e64 v19, v19, v69, s9
	s_delay_alu instid0(VALU_DEP_4) | instskip(NEXT) | instid1(VALU_DEP_4)
	v_cndmask_b32_e64 v21, v21, v49, s8
	v_cndmask_b32_e64 v22, v22, v50, s8
	s_delay_alu instid0(VALU_DEP_4) | instskip(NEXT) | instid1(VALU_DEP_4)
	v_cndmask_b32_e64 v20, v20, v50, s8
	v_cndmask_b32_e64 v19, v19, v49, s8
	s_delay_alu instid0(VALU_DEP_3) | instskip(NEXT) | instid1(VALU_DEP_2)
	v_cmp_class_f64_e64 s10, v[21:22], 0x1f8
	v_cmp_neq_f64_e64 s9, v[21:22], v[19:20]
	s_or_b32 s9, s9, s10
	s_wait_alu 0xfffe
	s_and_saveexec_b32 s17, s9
	s_cbranch_execz .LBB71_216
; %bb.215:
	v_add_f64_e64 v[21:22], v[21:22], -v[19:20]
	s_mov_b32 s10, 0x652b82fe
	s_mov_b32 s11, 0x3ff71547
	;; [unrolled: 1-line block ×10, first 2 shown]
	s_wait_alu 0xfffe
	s_delay_alu instid0(VALU_DEP_1) | instskip(SKIP_3) | instid1(VALU_DEP_2)
	v_mul_f64_e32 v[23:24], s[10:11], v[21:22]
	s_mov_b32 s10, 0xfca7ab0c
	s_mov_b32 s11, 0x3e928af3
	v_cmp_nlt_f64_e64 s9, 0x40900000, v[21:22]
	v_rndne_f64_e32 v[23:24], v[23:24]
	s_delay_alu instid0(VALU_DEP_1) | instskip(SKIP_2) | instid1(VALU_DEP_2)
	v_fma_f64 v[25:26], v[23:24], s[12:13], v[21:22]
	v_cvt_i32_f64_e32 v29, v[23:24]
	s_mov_b32 s13, 0x3fe62e42
	v_fma_f64 v[25:26], v[23:24], s[14:15], v[25:26]
	s_mov_b32 s15, 0x3c7abc9e
	s_wait_alu 0xfffe
	s_delay_alu instid0(VALU_DEP_1)
	v_fma_f64 v[27:28], v[25:26], s[18:19], s[10:11]
	s_mov_b32 s10, 0x623fde64
	s_mov_b32 s11, 0x3ec71dee
	;; [unrolled: 1-line block ×4, first 2 shown]
	s_wait_alu 0xfffe
	s_delay_alu instid0(VALU_DEP_1) | instskip(SKIP_3) | instid1(VALU_DEP_1)
	v_fma_f64 v[27:28], v[25:26], v[27:28], s[10:11]
	s_mov_b32 s10, 0x7c89e6b0
	s_mov_b32 s11, 0x3efa0199
	s_wait_alu 0xfffe
	v_fma_f64 v[27:28], v[25:26], v[27:28], s[10:11]
	s_mov_b32 s10, 0x14761f6e
	s_mov_b32 s11, 0x3f2a01a0
	s_wait_alu 0xfffe
	s_delay_alu instid0(VALU_DEP_1) | instskip(SKIP_3) | instid1(VALU_DEP_1)
	v_fma_f64 v[27:28], v[25:26], v[27:28], s[10:11]
	s_mov_b32 s10, 0x1852b7b0
	s_mov_b32 s11, 0x3f56c16c
	s_wait_alu 0xfffe
	v_fma_f64 v[27:28], v[25:26], v[27:28], s[10:11]
	s_mov_b32 s10, 0x11122322
	s_mov_b32 s11, 0x3f811111
	;; [unrolled: 9-line block ×3, first 2 shown]
	s_wait_alu 0xfffe
	s_delay_alu instid0(VALU_DEP_1) | instskip(SKIP_3) | instid1(VALU_DEP_1)
	v_fma_f64 v[27:28], v[25:26], v[27:28], s[10:11]
	s_mov_b32 s10, 11
	s_mov_b32 s11, 0x3fe00000
	s_wait_alu 0xfffe
	v_fma_f64 v[27:28], v[25:26], v[27:28], s[10:11]
	v_cmp_ngt_f64_e64 s10, 0xc090cc00, v[21:22]
	s_mov_b32 s11, 0x3fe55555
	v_fma_f64 v[27:28], v[25:26], v[27:28], 1.0
	s_delay_alu instid0(VALU_DEP_1) | instskip(NEXT) | instid1(VALU_DEP_1)
	v_fma_f64 v[23:24], v[25:26], v[27:28], 1.0
	v_ldexp_f64 v[23:24], v[23:24], v29
	s_wait_alu 0xf1ff
	s_delay_alu instid0(VALU_DEP_1) | instskip(SKIP_2) | instid1(VALU_DEP_2)
	v_cndmask_b32_e64 v24, 0x7ff00000, v24, s9
	s_and_b32 s9, s10, s9
	s_wait_alu 0xfffe
	v_cndmask_b32_e64 v21, 0, v23, s9
	s_delay_alu instid0(VALU_DEP_2) | instskip(SKIP_1) | instid1(VALU_DEP_1)
	v_cndmask_b32_e64 v22, 0, v24, s10
	s_mov_b32 s10, 0x55555555
	v_add_f64_e32 v[23:24], 1.0, v[21:22]
	s_delay_alu instid0(VALU_DEP_1) | instskip(SKIP_3) | instid1(VALU_DEP_3)
	v_frexp_mant_f64_e32 v[25:26], v[23:24]
	v_frexp_exp_i32_f64_e32 v29, v[23:24]
	v_add_f64_e32 v[27:28], -1.0, v[23:24]
	s_wait_alu 0xfffe
	v_cmp_gt_f64_e64 s9, s[10:11], v[25:26]
	s_mov_b32 s10, 0x55555780
	v_add_f64_e64 v[25:26], v[27:28], -v[23:24]
	v_add_f64_e64 v[27:28], v[21:22], -v[27:28]
	s_wait_alu 0xf1ff
	v_subrev_co_ci_u32_e64 v81, null, 0, v29, s9
	s_delay_alu instid0(VALU_DEP_3) | instskip(SKIP_1) | instid1(VALU_DEP_3)
	v_add_f64_e32 v[25:26], 1.0, v[25:26]
	v_cmp_nge_f64_e64 s9, -1.0, v[21:22]
	v_sub_nc_u32_e32 v31, 0, v81
	s_delay_alu instid0(VALU_DEP_1) | instskip(NEXT) | instid1(VALU_DEP_4)
	v_ldexp_f64 v[23:24], v[23:24], v31
	v_add_f64_e32 v[25:26], v[27:28], v[25:26]
	s_delay_alu instid0(VALU_DEP_2) | instskip(SKIP_1) | instid1(VALU_DEP_3)
	v_add_f64_e32 v[29:30], 1.0, v[23:24]
	v_add_f64_e32 v[71:72], -1.0, v[23:24]
	v_ldexp_f64 v[25:26], v[25:26], v31
	s_delay_alu instid0(VALU_DEP_3) | instskip(NEXT) | instid1(VALU_DEP_3)
	v_add_f64_e32 v[27:28], -1.0, v[29:30]
	v_add_f64_e32 v[73:74], 1.0, v[71:72]
	s_delay_alu instid0(VALU_DEP_2) | instskip(NEXT) | instid1(VALU_DEP_2)
	v_add_f64_e64 v[27:28], v[23:24], -v[27:28]
	v_add_f64_e64 v[23:24], v[23:24], -v[73:74]
	s_delay_alu instid0(VALU_DEP_2) | instskip(NEXT) | instid1(VALU_DEP_2)
	v_add_f64_e32 v[27:28], v[25:26], v[27:28]
	v_add_f64_e32 v[23:24], v[25:26], v[23:24]
	s_delay_alu instid0(VALU_DEP_2) | instskip(NEXT) | instid1(VALU_DEP_2)
	v_add_f64_e32 v[31:32], v[29:30], v[27:28]
	v_add_f64_e32 v[73:74], v[71:72], v[23:24]
	s_delay_alu instid0(VALU_DEP_2) | instskip(SKIP_1) | instid1(VALU_DEP_2)
	v_rcp_f64_e32 v[69:70], v[31:32]
	v_add_f64_e64 v[29:30], v[31:32], -v[29:30]
	v_add_f64_e64 v[71:72], v[73:74], -v[71:72]
	s_delay_alu instid0(VALU_DEP_2) | instskip(NEXT) | instid1(TRANS32_DEP_1)
	v_add_f64_e64 v[27:28], v[27:28], -v[29:30]
	v_fma_f64 v[75:76], -v[31:32], v[69:70], 1.0
	s_delay_alu instid0(VALU_DEP_3) | instskip(NEXT) | instid1(VALU_DEP_2)
	v_add_f64_e64 v[23:24], v[23:24], -v[71:72]
	v_fma_f64 v[69:70], v[75:76], v[69:70], v[69:70]
	s_delay_alu instid0(VALU_DEP_1) | instskip(NEXT) | instid1(VALU_DEP_1)
	v_fma_f64 v[25:26], -v[31:32], v[69:70], 1.0
	v_fma_f64 v[25:26], v[25:26], v[69:70], v[69:70]
	s_delay_alu instid0(VALU_DEP_1) | instskip(NEXT) | instid1(VALU_DEP_1)
	v_mul_f64_e32 v[69:70], v[73:74], v[25:26]
	v_mul_f64_e32 v[75:76], v[31:32], v[69:70]
	s_delay_alu instid0(VALU_DEP_1) | instskip(NEXT) | instid1(VALU_DEP_1)
	v_fma_f64 v[29:30], v[69:70], v[31:32], -v[75:76]
	v_fma_f64 v[29:30], v[69:70], v[27:28], v[29:30]
	s_delay_alu instid0(VALU_DEP_1) | instskip(NEXT) | instid1(VALU_DEP_1)
	v_add_f64_e32 v[77:78], v[75:76], v[29:30]
	v_add_f64_e64 v[79:80], v[73:74], -v[77:78]
	v_add_f64_e64 v[71:72], v[77:78], -v[75:76]
	s_delay_alu instid0(VALU_DEP_2) | instskip(NEXT) | instid1(VALU_DEP_2)
	v_add_f64_e64 v[73:74], v[73:74], -v[79:80]
	v_add_f64_e64 v[29:30], v[71:72], -v[29:30]
	s_delay_alu instid0(VALU_DEP_2) | instskip(NEXT) | instid1(VALU_DEP_1)
	v_add_f64_e64 v[73:74], v[73:74], -v[77:78]
	v_add_f64_e32 v[23:24], v[23:24], v[73:74]
	s_delay_alu instid0(VALU_DEP_1) | instskip(NEXT) | instid1(VALU_DEP_1)
	v_add_f64_e32 v[23:24], v[29:30], v[23:24]
	v_add_f64_e32 v[29:30], v[79:80], v[23:24]
	s_delay_alu instid0(VALU_DEP_1) | instskip(SKIP_1) | instid1(VALU_DEP_2)
	v_mul_f64_e32 v[71:72], v[25:26], v[29:30]
	v_add_f64_e64 v[77:78], v[79:80], -v[29:30]
	v_mul_f64_e32 v[73:74], v[31:32], v[71:72]
	s_delay_alu instid0(VALU_DEP_2) | instskip(NEXT) | instid1(VALU_DEP_2)
	v_add_f64_e32 v[23:24], v[23:24], v[77:78]
	v_fma_f64 v[31:32], v[71:72], v[31:32], -v[73:74]
	s_delay_alu instid0(VALU_DEP_1) | instskip(NEXT) | instid1(VALU_DEP_1)
	v_fma_f64 v[27:28], v[71:72], v[27:28], v[31:32]
	v_add_f64_e32 v[31:32], v[73:74], v[27:28]
	s_delay_alu instid0(VALU_DEP_1) | instskip(SKIP_1) | instid1(VALU_DEP_2)
	v_add_f64_e64 v[75:76], v[29:30], -v[31:32]
	v_add_f64_e64 v[73:74], v[31:32], -v[73:74]
	;; [unrolled: 1-line block ×3, first 2 shown]
	s_delay_alu instid0(VALU_DEP_2) | instskip(NEXT) | instid1(VALU_DEP_2)
	v_add_f64_e64 v[27:28], v[73:74], -v[27:28]
	v_add_f64_e64 v[29:30], v[29:30], -v[31:32]
	s_delay_alu instid0(VALU_DEP_1) | instskip(SKIP_1) | instid1(VALU_DEP_2)
	v_add_f64_e32 v[23:24], v[23:24], v[29:30]
	v_add_f64_e32 v[29:30], v[69:70], v[71:72]
	;; [unrolled: 1-line block ×3, first 2 shown]
	s_delay_alu instid0(VALU_DEP_2) | instskip(NEXT) | instid1(VALU_DEP_2)
	v_add_f64_e64 v[27:28], v[29:30], -v[69:70]
	v_add_f64_e32 v[23:24], v[75:76], v[23:24]
	s_delay_alu instid0(VALU_DEP_2) | instskip(NEXT) | instid1(VALU_DEP_2)
	v_add_f64_e64 v[27:28], v[71:72], -v[27:28]
	v_mul_f64_e32 v[23:24], v[25:26], v[23:24]
	s_delay_alu instid0(VALU_DEP_1) | instskip(NEXT) | instid1(VALU_DEP_1)
	v_add_f64_e32 v[23:24], v[27:28], v[23:24]
	v_add_f64_e32 v[25:26], v[29:30], v[23:24]
	s_delay_alu instid0(VALU_DEP_1) | instskip(NEXT) | instid1(VALU_DEP_1)
	v_mul_f64_e32 v[27:28], v[25:26], v[25:26]
	v_fma_f64 v[31:32], v[27:28], s[20:21], s[18:19]
	s_mov_b32 s18, 0xd7f4df2e
	s_mov_b32 s19, 0x3fc7474d
	v_mul_f64_e32 v[69:70], v[25:26], v[27:28]
	s_wait_alu 0xfffe
	s_delay_alu instid0(VALU_DEP_2) | instskip(SKIP_3) | instid1(VALU_DEP_1)
	v_fma_f64 v[31:32], v[27:28], v[31:32], s[18:19]
	s_mov_b32 s18, 0x16291751
	s_mov_b32 s19, 0x3fcc71c0
	s_wait_alu 0xfffe
	v_fma_f64 v[31:32], v[27:28], v[31:32], s[18:19]
	s_mov_b32 s18, 0x9b27acf1
	s_mov_b32 s19, 0x3fd24924
	s_wait_alu 0xfffe
	s_delay_alu instid0(VALU_DEP_1) | instskip(SKIP_3) | instid1(VALU_DEP_1)
	v_fma_f64 v[31:32], v[27:28], v[31:32], s[18:19]
	s_mov_b32 s18, 0x998ef7b6
	s_mov_b32 s19, 0x3fd99999
	s_wait_alu 0xfffe
	v_fma_f64 v[31:32], v[27:28], v[31:32], s[18:19]
	s_delay_alu instid0(VALU_DEP_1)
	v_fma_f64 v[27:28], v[27:28], v[31:32], s[10:11]
	v_ldexp_f64 v[31:32], v[25:26], 1
	v_add_f64_e64 v[25:26], v[25:26], -v[29:30]
	v_cmp_neq_f64_e64 s10, 0x7ff00000, v[21:22]
	v_cmp_ngt_f64_e64 s11, -1.0, v[21:22]
	v_mul_f64_e32 v[27:28], v[69:70], v[27:28]
	v_cvt_f64_i32_e32 v[69:70], v81
	v_add_f64_e64 v[23:24], v[23:24], -v[25:26]
	s_and_b32 s9, s9, s10
	s_delay_alu instid0(VALU_DEP_3) | instskip(NEXT) | instid1(VALU_DEP_3)
	v_add_f64_e32 v[29:30], v[31:32], v[27:28]
	v_mul_f64_e32 v[71:72], s[12:13], v[69:70]
	s_delay_alu instid0(VALU_DEP_3) | instskip(NEXT) | instid1(VALU_DEP_3)
	v_ldexp_f64 v[23:24], v[23:24], 1
	v_add_f64_e64 v[25:26], v[29:30], -v[31:32]
	s_delay_alu instid0(VALU_DEP_3) | instskip(NEXT) | instid1(VALU_DEP_2)
	v_fma_f64 v[31:32], v[69:70], s[12:13], -v[71:72]
	v_add_f64_e64 v[25:26], v[27:28], -v[25:26]
	s_delay_alu instid0(VALU_DEP_2) | instskip(NEXT) | instid1(VALU_DEP_2)
	v_fma_f64 v[27:28], v[69:70], s[14:15], v[31:32]
	v_add_f64_e32 v[23:24], v[23:24], v[25:26]
	s_delay_alu instid0(VALU_DEP_2) | instskip(NEXT) | instid1(VALU_DEP_2)
	v_add_f64_e32 v[25:26], v[71:72], v[27:28]
	v_add_f64_e32 v[31:32], v[29:30], v[23:24]
	s_delay_alu instid0(VALU_DEP_2) | instskip(NEXT) | instid1(VALU_DEP_2)
	v_add_f64_e64 v[71:72], v[25:26], -v[71:72]
	v_add_f64_e32 v[69:70], v[25:26], v[31:32]
	v_add_f64_e64 v[29:30], v[31:32], -v[29:30]
	s_delay_alu instid0(VALU_DEP_3) | instskip(NEXT) | instid1(VALU_DEP_3)
	v_add_f64_e64 v[27:28], v[27:28], -v[71:72]
	v_add_f64_e64 v[73:74], v[69:70], -v[25:26]
	s_delay_alu instid0(VALU_DEP_3) | instskip(NEXT) | instid1(VALU_DEP_2)
	v_add_f64_e64 v[23:24], v[23:24], -v[29:30]
	v_add_f64_e64 v[75:76], v[69:70], -v[73:74]
	;; [unrolled: 1-line block ×3, first 2 shown]
	s_delay_alu instid0(VALU_DEP_3) | instskip(NEXT) | instid1(VALU_DEP_3)
	v_add_f64_e32 v[31:32], v[27:28], v[23:24]
	v_add_f64_e64 v[25:26], v[25:26], -v[75:76]
	s_delay_alu instid0(VALU_DEP_1) | instskip(NEXT) | instid1(VALU_DEP_3)
	v_add_f64_e32 v[25:26], v[29:30], v[25:26]
	v_add_f64_e64 v[29:30], v[31:32], -v[27:28]
	s_delay_alu instid0(VALU_DEP_2) | instskip(NEXT) | instid1(VALU_DEP_2)
	v_add_f64_e32 v[25:26], v[31:32], v[25:26]
	v_add_f64_e64 v[31:32], v[31:32], -v[29:30]
	v_add_f64_e64 v[23:24], v[23:24], -v[29:30]
	s_delay_alu instid0(VALU_DEP_3) | instskip(NEXT) | instid1(VALU_DEP_3)
	v_add_f64_e32 v[71:72], v[69:70], v[25:26]
	v_add_f64_e64 v[27:28], v[27:28], -v[31:32]
	s_delay_alu instid0(VALU_DEP_2) | instskip(NEXT) | instid1(VALU_DEP_2)
	v_add_f64_e64 v[29:30], v[71:72], -v[69:70]
	v_add_f64_e32 v[23:24], v[23:24], v[27:28]
	s_delay_alu instid0(VALU_DEP_2) | instskip(NEXT) | instid1(VALU_DEP_1)
	v_add_f64_e64 v[25:26], v[25:26], -v[29:30]
	v_add_f64_e32 v[23:24], v[23:24], v[25:26]
	s_delay_alu instid0(VALU_DEP_1) | instskip(SKIP_1) | instid1(VALU_DEP_1)
	v_add_f64_e32 v[23:24], v[71:72], v[23:24]
	s_wait_alu 0xfffe
	v_cndmask_b32_e64 v23, 0, v23, s9
	v_cmp_neq_f64_e64 s9, -1.0, v[21:22]
	s_delay_alu instid0(VALU_DEP_3) | instskip(NEXT) | instid1(VALU_DEP_1)
	v_cndmask_b32_e64 v24, 0x7ff00000, v24, s10
	v_cndmask_b32_e64 v24, 0x7ff80000, v24, s11
	s_wait_alu 0xf1ff
	s_delay_alu instid0(VALU_DEP_1) | instskip(NEXT) | instid1(VALU_DEP_1)
	v_cndmask_b32_e64 v24, 0xfff00000, v24, s9
	v_add_f64_e32 v[69:70], v[19:20], v[23:24]
.LBB71_216:
	s_wait_alu 0xfffe
	s_or_b32 exec_lo, exec_lo, s17
	v_max_num_f64_e32 v[19:20], v[51:52], v[51:52]
	s_delay_alu instid0(VALU_DEP_2) | instskip(SKIP_2) | instid1(VALU_DEP_3)
	v_max_num_f64_e32 v[21:22], v[69:70], v[69:70]
	v_cmp_u_f64_e64 s10, v[69:70], v[69:70]
	v_cmp_u_f64_e64 s9, v[51:52], v[51:52]
	v_min_num_f64_e32 v[23:24], v[21:22], v[19:20]
	v_max_num_f64_e32 v[21:22], v[21:22], v[19:20]
	s_wait_alu 0xf1ff
	s_delay_alu instid0(VALU_DEP_2) | instskip(NEXT) | instid1(VALU_DEP_3)
	v_cndmask_b32_e64 v23, v23, v69, s10
	v_cndmask_b32_e64 v24, v24, v70, s10
	s_delay_alu instid0(VALU_DEP_3) | instskip(NEXT) | instid1(VALU_DEP_4)
	v_cndmask_b32_e64 v22, v22, v70, s10
	v_cndmask_b32_e64 v21, v21, v69, s10
	s_delay_alu instid0(VALU_DEP_4) | instskip(NEXT) | instid1(VALU_DEP_4)
	v_cndmask_b32_e64 v23, v23, v51, s9
	v_cndmask_b32_e64 v24, v24, v52, s9
	s_delay_alu instid0(VALU_DEP_4) | instskip(NEXT) | instid1(VALU_DEP_4)
	v_cndmask_b32_e64 v22, v22, v52, s9
	v_cndmask_b32_e64 v21, v21, v51, s9
	s_delay_alu instid0(VALU_DEP_3) | instskip(NEXT) | instid1(VALU_DEP_2)
	v_cmp_class_f64_e64 s11, v[23:24], 0x1f8
	v_cmp_neq_f64_e64 s10, v[23:24], v[21:22]
	s_or_b32 s10, s10, s11
	s_wait_alu 0xfffe
	s_and_saveexec_b32 s17, s10
	s_cbranch_execz .LBB71_218
; %bb.217:
	v_add_f64_e64 v[23:24], v[23:24], -v[21:22]
	s_mov_b32 s10, 0x652b82fe
	s_mov_b32 s11, 0x3ff71547
	;; [unrolled: 1-line block ×10, first 2 shown]
	s_wait_alu 0xfffe
	s_delay_alu instid0(VALU_DEP_1) | instskip(SKIP_2) | instid1(VALU_DEP_1)
	v_mul_f64_e32 v[25:26], s[10:11], v[23:24]
	s_mov_b32 s10, 0xfca7ab0c
	s_mov_b32 s11, 0x3e928af3
	v_rndne_f64_e32 v[25:26], v[25:26]
	s_delay_alu instid0(VALU_DEP_1) | instskip(SKIP_2) | instid1(VALU_DEP_2)
	v_fma_f64 v[27:28], v[25:26], s[12:13], v[23:24]
	v_cvt_i32_f64_e32 v31, v[25:26]
	s_mov_b32 s13, 0x3fe62e42
	v_fma_f64 v[27:28], v[25:26], s[14:15], v[27:28]
	s_mov_b32 s15, 0x3c7abc9e
	s_wait_alu 0xfffe
	s_delay_alu instid0(VALU_DEP_1)
	v_fma_f64 v[29:30], v[27:28], s[18:19], s[10:11]
	s_mov_b32 s10, 0x623fde64
	s_mov_b32 s11, 0x3ec71dee
	;; [unrolled: 1-line block ×4, first 2 shown]
	s_wait_alu 0xfffe
	s_delay_alu instid0(VALU_DEP_1) | instskip(SKIP_3) | instid1(VALU_DEP_1)
	v_fma_f64 v[29:30], v[27:28], v[29:30], s[10:11]
	s_mov_b32 s10, 0x7c89e6b0
	s_mov_b32 s11, 0x3efa0199
	s_wait_alu 0xfffe
	v_fma_f64 v[29:30], v[27:28], v[29:30], s[10:11]
	s_mov_b32 s10, 0x14761f6e
	s_mov_b32 s11, 0x3f2a01a0
	s_wait_alu 0xfffe
	s_delay_alu instid0(VALU_DEP_1) | instskip(SKIP_3) | instid1(VALU_DEP_1)
	v_fma_f64 v[29:30], v[27:28], v[29:30], s[10:11]
	s_mov_b32 s10, 0x1852b7b0
	s_mov_b32 s11, 0x3f56c16c
	s_wait_alu 0xfffe
	v_fma_f64 v[29:30], v[27:28], v[29:30], s[10:11]
	s_mov_b32 s10, 0x11122322
	s_mov_b32 s11, 0x3f811111
	;; [unrolled: 9-line block ×3, first 2 shown]
	s_wait_alu 0xfffe
	s_delay_alu instid0(VALU_DEP_1) | instskip(SKIP_3) | instid1(VALU_DEP_1)
	v_fma_f64 v[29:30], v[27:28], v[29:30], s[10:11]
	s_mov_b32 s10, 11
	s_mov_b32 s11, 0x3fe00000
	s_wait_alu 0xfffe
	v_fma_f64 v[29:30], v[27:28], v[29:30], s[10:11]
	v_cmp_nlt_f64_e64 s10, 0x40900000, v[23:24]
	v_cmp_ngt_f64_e64 s11, 0xc090cc00, v[23:24]
	s_delay_alu instid0(VALU_DEP_3) | instskip(NEXT) | instid1(VALU_DEP_1)
	v_fma_f64 v[29:30], v[27:28], v[29:30], 1.0
	v_fma_f64 v[25:26], v[27:28], v[29:30], 1.0
	s_delay_alu instid0(VALU_DEP_1) | instskip(SKIP_1) | instid1(VALU_DEP_1)
	v_ldexp_f64 v[25:26], v[25:26], v31
	s_wait_alu 0xf1ff
	v_cndmask_b32_e64 v26, 0x7ff00000, v26, s10
	s_and_b32 s10, s11, s10
	s_wait_alu 0xfffe
	s_delay_alu instid0(VALU_DEP_2) | instskip(SKIP_3) | instid1(VALU_DEP_1)
	v_cndmask_b32_e64 v23, 0, v25, s10
	s_mov_b32 s10, 0x55555555
	v_cndmask_b32_e64 v24, 0, v26, s11
	s_mov_b32 s11, 0x3fe55555
	v_add_f64_e32 v[25:26], 1.0, v[23:24]
	s_delay_alu instid0(VALU_DEP_1) | instskip(SKIP_3) | instid1(VALU_DEP_3)
	v_frexp_mant_f64_e32 v[27:28], v[25:26]
	v_frexp_exp_i32_f64_e32 v31, v[25:26]
	v_add_f64_e32 v[29:30], -1.0, v[25:26]
	s_wait_alu 0xfffe
	v_cmp_gt_f64_e64 s10, s[10:11], v[27:28]
	s_delay_alu instid0(VALU_DEP_2) | instskip(SKIP_2) | instid1(VALU_DEP_3)
	v_add_f64_e64 v[27:28], v[29:30], -v[25:26]
	v_add_f64_e64 v[29:30], v[23:24], -v[29:30]
	s_wait_alu 0xf1ff
	v_subrev_co_ci_u32_e64 v101, null, 0, v31, s10
	s_delay_alu instid0(VALU_DEP_3) | instskip(SKIP_1) | instid1(VALU_DEP_2)
	v_add_f64_e32 v[27:28], 1.0, v[27:28]
	s_mov_b32 s10, 0x55555780
	v_sub_nc_u32_e32 v69, 0, v101
	s_delay_alu instid0(VALU_DEP_1) | instskip(NEXT) | instid1(VALU_DEP_3)
	v_ldexp_f64 v[25:26], v[25:26], v69
	v_add_f64_e32 v[27:28], v[29:30], v[27:28]
	s_delay_alu instid0(VALU_DEP_2) | instskip(SKIP_1) | instid1(VALU_DEP_3)
	v_add_f64_e32 v[31:32], 1.0, v[25:26]
	v_add_f64_e32 v[73:74], -1.0, v[25:26]
	v_ldexp_f64 v[27:28], v[27:28], v69
	s_delay_alu instid0(VALU_DEP_3) | instskip(NEXT) | instid1(VALU_DEP_3)
	v_add_f64_e32 v[29:30], -1.0, v[31:32]
	v_add_f64_e32 v[75:76], 1.0, v[73:74]
	s_delay_alu instid0(VALU_DEP_2) | instskip(NEXT) | instid1(VALU_DEP_2)
	v_add_f64_e64 v[29:30], v[25:26], -v[29:30]
	v_add_f64_e64 v[25:26], v[25:26], -v[75:76]
	s_delay_alu instid0(VALU_DEP_2) | instskip(NEXT) | instid1(VALU_DEP_2)
	v_add_f64_e32 v[29:30], v[27:28], v[29:30]
	v_add_f64_e32 v[25:26], v[27:28], v[25:26]
	s_delay_alu instid0(VALU_DEP_2) | instskip(NEXT) | instid1(VALU_DEP_2)
	v_add_f64_e32 v[69:70], v[31:32], v[29:30]
	v_add_f64_e32 v[75:76], v[73:74], v[25:26]
	s_delay_alu instid0(VALU_DEP_2) | instskip(SKIP_1) | instid1(VALU_DEP_2)
	v_rcp_f64_e32 v[71:72], v[69:70]
	v_add_f64_e64 v[31:32], v[69:70], -v[31:32]
	v_add_f64_e64 v[73:74], v[75:76], -v[73:74]
	s_delay_alu instid0(VALU_DEP_2) | instskip(NEXT) | instid1(TRANS32_DEP_1)
	v_add_f64_e64 v[29:30], v[29:30], -v[31:32]
	v_fma_f64 v[77:78], -v[69:70], v[71:72], 1.0
	s_delay_alu instid0(VALU_DEP_3) | instskip(NEXT) | instid1(VALU_DEP_2)
	v_add_f64_e64 v[25:26], v[25:26], -v[73:74]
	v_fma_f64 v[71:72], v[77:78], v[71:72], v[71:72]
	s_delay_alu instid0(VALU_DEP_1) | instskip(NEXT) | instid1(VALU_DEP_1)
	v_fma_f64 v[27:28], -v[69:70], v[71:72], 1.0
	v_fma_f64 v[27:28], v[27:28], v[71:72], v[71:72]
	s_delay_alu instid0(VALU_DEP_1) | instskip(NEXT) | instid1(VALU_DEP_1)
	v_mul_f64_e32 v[71:72], v[75:76], v[27:28]
	v_mul_f64_e32 v[77:78], v[69:70], v[71:72]
	s_delay_alu instid0(VALU_DEP_1) | instskip(NEXT) | instid1(VALU_DEP_1)
	v_fma_f64 v[31:32], v[71:72], v[69:70], -v[77:78]
	v_fma_f64 v[31:32], v[71:72], v[29:30], v[31:32]
	s_delay_alu instid0(VALU_DEP_1) | instskip(NEXT) | instid1(VALU_DEP_1)
	v_add_f64_e32 v[79:80], v[77:78], v[31:32]
	v_add_f64_e64 v[81:82], v[75:76], -v[79:80]
	v_add_f64_e64 v[73:74], v[79:80], -v[77:78]
	s_delay_alu instid0(VALU_DEP_2) | instskip(NEXT) | instid1(VALU_DEP_2)
	v_add_f64_e64 v[75:76], v[75:76], -v[81:82]
	v_add_f64_e64 v[31:32], v[73:74], -v[31:32]
	s_delay_alu instid0(VALU_DEP_2) | instskip(NEXT) | instid1(VALU_DEP_1)
	v_add_f64_e64 v[75:76], v[75:76], -v[79:80]
	v_add_f64_e32 v[25:26], v[25:26], v[75:76]
	s_delay_alu instid0(VALU_DEP_1) | instskip(NEXT) | instid1(VALU_DEP_1)
	v_add_f64_e32 v[25:26], v[31:32], v[25:26]
	v_add_f64_e32 v[31:32], v[81:82], v[25:26]
	s_delay_alu instid0(VALU_DEP_1) | instskip(SKIP_1) | instid1(VALU_DEP_2)
	v_mul_f64_e32 v[73:74], v[27:28], v[31:32]
	v_add_f64_e64 v[79:80], v[81:82], -v[31:32]
	v_mul_f64_e32 v[75:76], v[69:70], v[73:74]
	s_delay_alu instid0(VALU_DEP_2) | instskip(NEXT) | instid1(VALU_DEP_2)
	v_add_f64_e32 v[25:26], v[25:26], v[79:80]
	v_fma_f64 v[69:70], v[73:74], v[69:70], -v[75:76]
	s_delay_alu instid0(VALU_DEP_1) | instskip(NEXT) | instid1(VALU_DEP_1)
	v_fma_f64 v[29:30], v[73:74], v[29:30], v[69:70]
	v_add_f64_e32 v[69:70], v[75:76], v[29:30]
	s_delay_alu instid0(VALU_DEP_1) | instskip(SKIP_1) | instid1(VALU_DEP_2)
	v_add_f64_e64 v[77:78], v[31:32], -v[69:70]
	v_add_f64_e64 v[75:76], v[69:70], -v[75:76]
	;; [unrolled: 1-line block ×3, first 2 shown]
	s_delay_alu instid0(VALU_DEP_2) | instskip(NEXT) | instid1(VALU_DEP_2)
	v_add_f64_e64 v[29:30], v[75:76], -v[29:30]
	v_add_f64_e64 v[31:32], v[31:32], -v[69:70]
	s_delay_alu instid0(VALU_DEP_1) | instskip(SKIP_1) | instid1(VALU_DEP_2)
	v_add_f64_e32 v[25:26], v[25:26], v[31:32]
	v_add_f64_e32 v[31:32], v[71:72], v[73:74]
	;; [unrolled: 1-line block ×3, first 2 shown]
	s_delay_alu instid0(VALU_DEP_2) | instskip(NEXT) | instid1(VALU_DEP_2)
	v_add_f64_e64 v[29:30], v[31:32], -v[71:72]
	v_add_f64_e32 v[25:26], v[77:78], v[25:26]
	s_delay_alu instid0(VALU_DEP_2) | instskip(NEXT) | instid1(VALU_DEP_2)
	v_add_f64_e64 v[29:30], v[73:74], -v[29:30]
	v_mul_f64_e32 v[25:26], v[27:28], v[25:26]
	s_delay_alu instid0(VALU_DEP_1) | instskip(NEXT) | instid1(VALU_DEP_1)
	v_add_f64_e32 v[25:26], v[29:30], v[25:26]
	v_add_f64_e32 v[27:28], v[31:32], v[25:26]
	s_delay_alu instid0(VALU_DEP_1) | instskip(NEXT) | instid1(VALU_DEP_1)
	v_mul_f64_e32 v[29:30], v[27:28], v[27:28]
	v_fma_f64 v[69:70], v[29:30], s[20:21], s[18:19]
	s_mov_b32 s18, 0xd7f4df2e
	s_mov_b32 s19, 0x3fc7474d
	v_mul_f64_e32 v[71:72], v[27:28], v[29:30]
	s_wait_alu 0xfffe
	s_delay_alu instid0(VALU_DEP_2) | instskip(SKIP_3) | instid1(VALU_DEP_1)
	v_fma_f64 v[69:70], v[29:30], v[69:70], s[18:19]
	s_mov_b32 s18, 0x16291751
	s_mov_b32 s19, 0x3fcc71c0
	s_wait_alu 0xfffe
	v_fma_f64 v[69:70], v[29:30], v[69:70], s[18:19]
	s_mov_b32 s18, 0x9b27acf1
	s_mov_b32 s19, 0x3fd24924
	s_wait_alu 0xfffe
	s_delay_alu instid0(VALU_DEP_1) | instskip(SKIP_3) | instid1(VALU_DEP_1)
	v_fma_f64 v[69:70], v[29:30], v[69:70], s[18:19]
	s_mov_b32 s18, 0x998ef7b6
	s_mov_b32 s19, 0x3fd99999
	s_wait_alu 0xfffe
	v_fma_f64 v[69:70], v[29:30], v[69:70], s[18:19]
	s_delay_alu instid0(VALU_DEP_1)
	v_fma_f64 v[29:30], v[29:30], v[69:70], s[10:11]
	v_ldexp_f64 v[69:70], v[27:28], 1
	v_add_f64_e64 v[27:28], v[27:28], -v[31:32]
	v_cmp_nge_f64_e64 s10, -1.0, v[23:24]
	v_cmp_neq_f64_e64 s11, 0x7ff00000, v[23:24]
	v_mul_f64_e32 v[29:30], v[71:72], v[29:30]
	v_cvt_f64_i32_e32 v[71:72], v101
	v_add_f64_e64 v[25:26], v[25:26], -v[27:28]
	s_and_b32 s10, s10, s11
	s_delay_alu instid0(VALU_DEP_3) | instskip(NEXT) | instid1(VALU_DEP_3)
	v_add_f64_e32 v[31:32], v[69:70], v[29:30]
	v_mul_f64_e32 v[73:74], s[12:13], v[71:72]
	s_delay_alu instid0(VALU_DEP_3) | instskip(NEXT) | instid1(VALU_DEP_3)
	v_ldexp_f64 v[25:26], v[25:26], 1
	v_add_f64_e64 v[27:28], v[31:32], -v[69:70]
	s_delay_alu instid0(VALU_DEP_3) | instskip(SKIP_1) | instid1(VALU_DEP_3)
	v_fma_f64 v[69:70], v[71:72], s[12:13], -v[73:74]
	v_cmp_ngt_f64_e64 s12, -1.0, v[23:24]
	v_add_f64_e64 v[27:28], v[29:30], -v[27:28]
	s_delay_alu instid0(VALU_DEP_3) | instskip(NEXT) | instid1(VALU_DEP_2)
	v_fma_f64 v[29:30], v[71:72], s[14:15], v[69:70]
	v_add_f64_e32 v[25:26], v[25:26], v[27:28]
	s_delay_alu instid0(VALU_DEP_2) | instskip(NEXT) | instid1(VALU_DEP_2)
	v_add_f64_e32 v[27:28], v[73:74], v[29:30]
	v_add_f64_e32 v[69:70], v[31:32], v[25:26]
	s_delay_alu instid0(VALU_DEP_2) | instskip(NEXT) | instid1(VALU_DEP_2)
	v_add_f64_e64 v[73:74], v[27:28], -v[73:74]
	v_add_f64_e32 v[71:72], v[27:28], v[69:70]
	v_add_f64_e64 v[31:32], v[69:70], -v[31:32]
	s_delay_alu instid0(VALU_DEP_3) | instskip(NEXT) | instid1(VALU_DEP_3)
	v_add_f64_e64 v[29:30], v[29:30], -v[73:74]
	v_add_f64_e64 v[75:76], v[71:72], -v[27:28]
	s_delay_alu instid0(VALU_DEP_3) | instskip(NEXT) | instid1(VALU_DEP_2)
	v_add_f64_e64 v[25:26], v[25:26], -v[31:32]
	v_add_f64_e64 v[77:78], v[71:72], -v[75:76]
	;; [unrolled: 1-line block ×3, first 2 shown]
	s_delay_alu instid0(VALU_DEP_3) | instskip(NEXT) | instid1(VALU_DEP_3)
	v_add_f64_e32 v[69:70], v[29:30], v[25:26]
	v_add_f64_e64 v[27:28], v[27:28], -v[77:78]
	s_delay_alu instid0(VALU_DEP_1) | instskip(NEXT) | instid1(VALU_DEP_3)
	v_add_f64_e32 v[27:28], v[31:32], v[27:28]
	v_add_f64_e64 v[31:32], v[69:70], -v[29:30]
	s_delay_alu instid0(VALU_DEP_2) | instskip(NEXT) | instid1(VALU_DEP_2)
	v_add_f64_e32 v[27:28], v[69:70], v[27:28]
	v_add_f64_e64 v[69:70], v[69:70], -v[31:32]
	v_add_f64_e64 v[25:26], v[25:26], -v[31:32]
	s_delay_alu instid0(VALU_DEP_3) | instskip(NEXT) | instid1(VALU_DEP_3)
	v_add_f64_e32 v[73:74], v[71:72], v[27:28]
	v_add_f64_e64 v[29:30], v[29:30], -v[69:70]
	s_delay_alu instid0(VALU_DEP_2) | instskip(NEXT) | instid1(VALU_DEP_2)
	v_add_f64_e64 v[31:32], v[73:74], -v[71:72]
	v_add_f64_e32 v[25:26], v[25:26], v[29:30]
	s_delay_alu instid0(VALU_DEP_2) | instskip(NEXT) | instid1(VALU_DEP_1)
	v_add_f64_e64 v[27:28], v[27:28], -v[31:32]
	v_add_f64_e32 v[25:26], v[25:26], v[27:28]
	s_delay_alu instid0(VALU_DEP_1) | instskip(SKIP_1) | instid1(VALU_DEP_1)
	v_add_f64_e32 v[25:26], v[73:74], v[25:26]
	s_wait_alu 0xfffe
	v_cndmask_b32_e64 v25, 0, v25, s10
	v_cmp_neq_f64_e64 s10, -1.0, v[23:24]
	s_delay_alu instid0(VALU_DEP_3) | instskip(SKIP_1) | instid1(VALU_DEP_1)
	v_cndmask_b32_e64 v26, 0x7ff00000, v26, s11
	s_wait_alu 0xf1ff
	v_cndmask_b32_e64 v26, 0x7ff80000, v26, s12
	s_delay_alu instid0(VALU_DEP_1) | instskip(NEXT) | instid1(VALU_DEP_1)
	v_cndmask_b32_e64 v26, 0xfff00000, v26, s10
	v_add_f64_e32 v[69:70], v[21:22], v[25:26]
.LBB71_218:
	s_wait_alu 0xfffe
	s_or_b32 exec_lo, exec_lo, s17
	v_max_num_f64_e32 v[21:22], v[45:46], v[45:46]
	s_delay_alu instid0(VALU_DEP_2) | instskip(SKIP_2) | instid1(VALU_DEP_3)
	v_max_num_f64_e32 v[23:24], v[69:70], v[69:70]
	v_cmp_u_f64_e64 s11, v[69:70], v[69:70]
	v_cmp_u_f64_e64 s10, v[45:46], v[45:46]
	v_min_num_f64_e32 v[25:26], v[23:24], v[21:22]
	v_max_num_f64_e32 v[23:24], v[23:24], v[21:22]
	s_wait_alu 0xf1ff
	s_delay_alu instid0(VALU_DEP_2) | instskip(NEXT) | instid1(VALU_DEP_3)
	v_cndmask_b32_e64 v25, v25, v69, s11
	v_cndmask_b32_e64 v26, v26, v70, s11
	s_delay_alu instid0(VALU_DEP_3) | instskip(NEXT) | instid1(VALU_DEP_4)
	v_cndmask_b32_e64 v24, v24, v70, s11
	v_cndmask_b32_e64 v23, v23, v69, s11
	s_delay_alu instid0(VALU_DEP_4) | instskip(NEXT) | instid1(VALU_DEP_4)
	v_cndmask_b32_e64 v25, v25, v45, s10
	v_cndmask_b32_e64 v26, v26, v46, s10
	s_delay_alu instid0(VALU_DEP_4) | instskip(NEXT) | instid1(VALU_DEP_4)
	v_cndmask_b32_e64 v24, v24, v46, s10
	v_cndmask_b32_e64 v23, v23, v45, s10
	s_delay_alu instid0(VALU_DEP_3) | instskip(NEXT) | instid1(VALU_DEP_2)
	v_cmp_class_f64_e64 s12, v[25:26], 0x1f8
	v_cmp_neq_f64_e64 s11, v[25:26], v[23:24]
	s_or_b32 s11, s11, s12
	s_wait_alu 0xfffe
	s_and_saveexec_b32 s17, s11
	s_cbranch_execz .LBB71_220
; %bb.219:
	v_add_f64_e64 v[25:26], v[25:26], -v[23:24]
	s_mov_b32 s12, 0x652b82fe
	s_mov_b32 s13, 0x3ff71547
	;; [unrolled: 1-line block ×10, first 2 shown]
	s_wait_alu 0xfffe
	s_delay_alu instid0(VALU_DEP_1) | instskip(SKIP_3) | instid1(VALU_DEP_2)
	v_mul_f64_e32 v[27:28], s[12:13], v[25:26]
	s_mov_b32 s12, 0xfca7ab0c
	s_mov_b32 s13, 0x3e928af3
	v_cmp_nlt_f64_e64 s11, 0x40900000, v[25:26]
	v_rndne_f64_e32 v[27:28], v[27:28]
	s_delay_alu instid0(VALU_DEP_1) | instskip(SKIP_2) | instid1(VALU_DEP_2)
	v_fma_f64 v[29:30], v[27:28], s[14:15], v[25:26]
	v_cvt_i32_f64_e32 v69, v[27:28]
	s_mov_b32 s15, 0x3fe62e42
	v_fma_f64 v[29:30], v[27:28], s[18:19], v[29:30]
	s_mov_b32 s19, 0x3c7abc9e
	s_wait_alu 0xfffe
	s_delay_alu instid0(VALU_DEP_1)
	v_fma_f64 v[31:32], v[29:30], s[20:21], s[12:13]
	s_mov_b32 s12, 0x623fde64
	s_mov_b32 s13, 0x3ec71dee
	;; [unrolled: 1-line block ×4, first 2 shown]
	s_wait_alu 0xfffe
	s_delay_alu instid0(VALU_DEP_1) | instskip(SKIP_3) | instid1(VALU_DEP_1)
	v_fma_f64 v[31:32], v[29:30], v[31:32], s[12:13]
	s_mov_b32 s12, 0x7c89e6b0
	s_mov_b32 s13, 0x3efa0199
	s_wait_alu 0xfffe
	v_fma_f64 v[31:32], v[29:30], v[31:32], s[12:13]
	s_mov_b32 s12, 0x14761f6e
	s_mov_b32 s13, 0x3f2a01a0
	s_wait_alu 0xfffe
	s_delay_alu instid0(VALU_DEP_1) | instskip(SKIP_3) | instid1(VALU_DEP_1)
	v_fma_f64 v[31:32], v[29:30], v[31:32], s[12:13]
	s_mov_b32 s12, 0x1852b7b0
	s_mov_b32 s13, 0x3f56c16c
	s_wait_alu 0xfffe
	v_fma_f64 v[31:32], v[29:30], v[31:32], s[12:13]
	s_mov_b32 s12, 0x11122322
	s_mov_b32 s13, 0x3f811111
	s_wait_alu 0xfffe
	s_delay_alu instid0(VALU_DEP_1) | instskip(SKIP_3) | instid1(VALU_DEP_1)
	v_fma_f64 v[31:32], v[29:30], v[31:32], s[12:13]
	s_mov_b32 s12, 0x555502a1
	s_mov_b32 s13, 0x3fa55555
	s_wait_alu 0xfffe
	v_fma_f64 v[31:32], v[29:30], v[31:32], s[12:13]
	s_mov_b32 s12, 0x55555511
	s_mov_b32 s13, 0x3fc55555
	s_wait_alu 0xfffe
	s_delay_alu instid0(VALU_DEP_1) | instskip(SKIP_3) | instid1(VALU_DEP_1)
	v_fma_f64 v[31:32], v[29:30], v[31:32], s[12:13]
	s_mov_b32 s12, 11
	s_mov_b32 s13, 0x3fe00000
	s_wait_alu 0xfffe
	v_fma_f64 v[31:32], v[29:30], v[31:32], s[12:13]
	v_cmp_ngt_f64_e64 s12, 0xc090cc00, v[25:26]
	s_mov_b32 s13, 0x3fe55555
	v_fma_f64 v[31:32], v[29:30], v[31:32], 1.0
	s_delay_alu instid0(VALU_DEP_1) | instskip(NEXT) | instid1(VALU_DEP_1)
	v_fma_f64 v[27:28], v[29:30], v[31:32], 1.0
	v_ldexp_f64 v[27:28], v[27:28], v69
	s_wait_alu 0xf1ff
	s_delay_alu instid0(VALU_DEP_1) | instskip(SKIP_2) | instid1(VALU_DEP_2)
	v_cndmask_b32_e64 v28, 0x7ff00000, v28, s11
	s_and_b32 s11, s12, s11
	s_wait_alu 0xfffe
	v_cndmask_b32_e64 v25, 0, v27, s11
	s_delay_alu instid0(VALU_DEP_2) | instskip(SKIP_1) | instid1(VALU_DEP_1)
	v_cndmask_b32_e64 v26, 0, v28, s12
	s_mov_b32 s12, 0x55555555
	v_add_f64_e32 v[27:28], 1.0, v[25:26]
	s_delay_alu instid0(VALU_DEP_1) | instskip(SKIP_3) | instid1(VALU_DEP_3)
	v_frexp_mant_f64_e32 v[29:30], v[27:28]
	v_frexp_exp_i32_f64_e32 v69, v[27:28]
	v_add_f64_e32 v[31:32], -1.0, v[27:28]
	s_wait_alu 0xfffe
	v_cmp_gt_f64_e64 s11, s[12:13], v[29:30]
	s_mov_b32 s12, 0x55555780
	v_add_f64_e64 v[29:30], v[31:32], -v[27:28]
	v_add_f64_e64 v[31:32], v[25:26], -v[31:32]
	s_wait_alu 0xf1ff
	v_subrev_co_ci_u32_e64 v103, null, 0, v69, s11
	s_delay_alu instid0(VALU_DEP_3) | instskip(SKIP_1) | instid1(VALU_DEP_3)
	v_add_f64_e32 v[29:30], 1.0, v[29:30]
	v_cmp_nge_f64_e64 s11, -1.0, v[25:26]
	v_sub_nc_u32_e32 v71, 0, v103
	s_delay_alu instid0(VALU_DEP_1) | instskip(NEXT) | instid1(VALU_DEP_4)
	v_ldexp_f64 v[27:28], v[27:28], v71
	v_add_f64_e32 v[29:30], v[31:32], v[29:30]
	s_delay_alu instid0(VALU_DEP_2) | instskip(SKIP_1) | instid1(VALU_DEP_3)
	v_add_f64_e32 v[69:70], 1.0, v[27:28]
	v_add_f64_e32 v[75:76], -1.0, v[27:28]
	v_ldexp_f64 v[29:30], v[29:30], v71
	s_delay_alu instid0(VALU_DEP_3) | instskip(NEXT) | instid1(VALU_DEP_3)
	v_add_f64_e32 v[31:32], -1.0, v[69:70]
	v_add_f64_e32 v[77:78], 1.0, v[75:76]
	s_delay_alu instid0(VALU_DEP_2) | instskip(NEXT) | instid1(VALU_DEP_2)
	v_add_f64_e64 v[31:32], v[27:28], -v[31:32]
	v_add_f64_e64 v[27:28], v[27:28], -v[77:78]
	s_delay_alu instid0(VALU_DEP_2) | instskip(NEXT) | instid1(VALU_DEP_2)
	v_add_f64_e32 v[31:32], v[29:30], v[31:32]
	v_add_f64_e32 v[27:28], v[29:30], v[27:28]
	s_delay_alu instid0(VALU_DEP_2) | instskip(NEXT) | instid1(VALU_DEP_2)
	v_add_f64_e32 v[71:72], v[69:70], v[31:32]
	v_add_f64_e32 v[77:78], v[75:76], v[27:28]
	s_delay_alu instid0(VALU_DEP_2) | instskip(SKIP_1) | instid1(VALU_DEP_2)
	v_rcp_f64_e32 v[73:74], v[71:72]
	v_add_f64_e64 v[69:70], v[71:72], -v[69:70]
	v_add_f64_e64 v[75:76], v[77:78], -v[75:76]
	s_delay_alu instid0(VALU_DEP_2) | instskip(NEXT) | instid1(TRANS32_DEP_1)
	v_add_f64_e64 v[31:32], v[31:32], -v[69:70]
	v_fma_f64 v[79:80], -v[71:72], v[73:74], 1.0
	s_delay_alu instid0(VALU_DEP_3) | instskip(NEXT) | instid1(VALU_DEP_2)
	v_add_f64_e64 v[27:28], v[27:28], -v[75:76]
	v_fma_f64 v[73:74], v[79:80], v[73:74], v[73:74]
	s_delay_alu instid0(VALU_DEP_1) | instskip(NEXT) | instid1(VALU_DEP_1)
	v_fma_f64 v[29:30], -v[71:72], v[73:74], 1.0
	v_fma_f64 v[29:30], v[29:30], v[73:74], v[73:74]
	s_delay_alu instid0(VALU_DEP_1) | instskip(NEXT) | instid1(VALU_DEP_1)
	v_mul_f64_e32 v[73:74], v[77:78], v[29:30]
	v_mul_f64_e32 v[79:80], v[71:72], v[73:74]
	s_delay_alu instid0(VALU_DEP_1) | instskip(NEXT) | instid1(VALU_DEP_1)
	v_fma_f64 v[69:70], v[73:74], v[71:72], -v[79:80]
	v_fma_f64 v[69:70], v[73:74], v[31:32], v[69:70]
	s_delay_alu instid0(VALU_DEP_1) | instskip(NEXT) | instid1(VALU_DEP_1)
	v_add_f64_e32 v[81:82], v[79:80], v[69:70]
	v_add_f64_e64 v[101:102], v[77:78], -v[81:82]
	v_add_f64_e64 v[75:76], v[81:82], -v[79:80]
	s_delay_alu instid0(VALU_DEP_2) | instskip(NEXT) | instid1(VALU_DEP_2)
	v_add_f64_e64 v[77:78], v[77:78], -v[101:102]
	v_add_f64_e64 v[69:70], v[75:76], -v[69:70]
	s_delay_alu instid0(VALU_DEP_2) | instskip(NEXT) | instid1(VALU_DEP_1)
	v_add_f64_e64 v[77:78], v[77:78], -v[81:82]
	v_add_f64_e32 v[27:28], v[27:28], v[77:78]
	s_delay_alu instid0(VALU_DEP_1) | instskip(NEXT) | instid1(VALU_DEP_1)
	v_add_f64_e32 v[27:28], v[69:70], v[27:28]
	v_add_f64_e32 v[69:70], v[101:102], v[27:28]
	s_delay_alu instid0(VALU_DEP_1) | instskip(SKIP_1) | instid1(VALU_DEP_2)
	v_mul_f64_e32 v[75:76], v[29:30], v[69:70]
	v_add_f64_e64 v[81:82], v[101:102], -v[69:70]
	v_mul_f64_e32 v[77:78], v[71:72], v[75:76]
	s_delay_alu instid0(VALU_DEP_2) | instskip(NEXT) | instid1(VALU_DEP_2)
	v_add_f64_e32 v[27:28], v[27:28], v[81:82]
	v_fma_f64 v[71:72], v[75:76], v[71:72], -v[77:78]
	s_delay_alu instid0(VALU_DEP_1) | instskip(NEXT) | instid1(VALU_DEP_1)
	v_fma_f64 v[31:32], v[75:76], v[31:32], v[71:72]
	v_add_f64_e32 v[71:72], v[77:78], v[31:32]
	s_delay_alu instid0(VALU_DEP_1) | instskip(SKIP_1) | instid1(VALU_DEP_2)
	v_add_f64_e64 v[79:80], v[69:70], -v[71:72]
	v_add_f64_e64 v[77:78], v[71:72], -v[77:78]
	;; [unrolled: 1-line block ×3, first 2 shown]
	s_delay_alu instid0(VALU_DEP_2) | instskip(NEXT) | instid1(VALU_DEP_2)
	v_add_f64_e64 v[31:32], v[77:78], -v[31:32]
	v_add_f64_e64 v[69:70], v[69:70], -v[71:72]
	s_delay_alu instid0(VALU_DEP_1) | instskip(SKIP_1) | instid1(VALU_DEP_2)
	v_add_f64_e32 v[27:28], v[27:28], v[69:70]
	v_add_f64_e32 v[69:70], v[73:74], v[75:76]
	;; [unrolled: 1-line block ×3, first 2 shown]
	s_delay_alu instid0(VALU_DEP_2) | instskip(NEXT) | instid1(VALU_DEP_2)
	v_add_f64_e64 v[31:32], v[69:70], -v[73:74]
	v_add_f64_e32 v[27:28], v[79:80], v[27:28]
	s_delay_alu instid0(VALU_DEP_2) | instskip(NEXT) | instid1(VALU_DEP_2)
	v_add_f64_e64 v[31:32], v[75:76], -v[31:32]
	v_mul_f64_e32 v[27:28], v[29:30], v[27:28]
	s_delay_alu instid0(VALU_DEP_1) | instskip(NEXT) | instid1(VALU_DEP_1)
	v_add_f64_e32 v[27:28], v[31:32], v[27:28]
	v_add_f64_e32 v[29:30], v[69:70], v[27:28]
	s_delay_alu instid0(VALU_DEP_1) | instskip(NEXT) | instid1(VALU_DEP_1)
	v_mul_f64_e32 v[31:32], v[29:30], v[29:30]
	v_fma_f64 v[71:72], v[31:32], s[24:25], s[20:21]
	s_mov_b32 s20, 0xd7f4df2e
	s_mov_b32 s21, 0x3fc7474d
	v_mul_f64_e32 v[73:74], v[29:30], v[31:32]
	s_wait_alu 0xfffe
	s_delay_alu instid0(VALU_DEP_2) | instskip(SKIP_3) | instid1(VALU_DEP_1)
	v_fma_f64 v[71:72], v[31:32], v[71:72], s[20:21]
	s_mov_b32 s20, 0x16291751
	s_mov_b32 s21, 0x3fcc71c0
	s_wait_alu 0xfffe
	v_fma_f64 v[71:72], v[31:32], v[71:72], s[20:21]
	s_mov_b32 s20, 0x9b27acf1
	s_mov_b32 s21, 0x3fd24924
	s_wait_alu 0xfffe
	s_delay_alu instid0(VALU_DEP_1) | instskip(SKIP_3) | instid1(VALU_DEP_1)
	v_fma_f64 v[71:72], v[31:32], v[71:72], s[20:21]
	s_mov_b32 s20, 0x998ef7b6
	s_mov_b32 s21, 0x3fd99999
	s_wait_alu 0xfffe
	v_fma_f64 v[71:72], v[31:32], v[71:72], s[20:21]
	s_delay_alu instid0(VALU_DEP_1)
	v_fma_f64 v[31:32], v[31:32], v[71:72], s[12:13]
	v_ldexp_f64 v[71:72], v[29:30], 1
	v_add_f64_e64 v[29:30], v[29:30], -v[69:70]
	v_cmp_neq_f64_e64 s12, 0x7ff00000, v[25:26]
	v_cmp_ngt_f64_e64 s13, -1.0, v[25:26]
	v_mul_f64_e32 v[31:32], v[73:74], v[31:32]
	v_cvt_f64_i32_e32 v[73:74], v103
	v_add_f64_e64 v[27:28], v[27:28], -v[29:30]
	s_and_b32 s11, s11, s12
	s_delay_alu instid0(VALU_DEP_3) | instskip(NEXT) | instid1(VALU_DEP_3)
	v_add_f64_e32 v[69:70], v[71:72], v[31:32]
	v_mul_f64_e32 v[75:76], s[14:15], v[73:74]
	s_delay_alu instid0(VALU_DEP_3) | instskip(NEXT) | instid1(VALU_DEP_3)
	v_ldexp_f64 v[27:28], v[27:28], 1
	v_add_f64_e64 v[29:30], v[69:70], -v[71:72]
	s_delay_alu instid0(VALU_DEP_3) | instskip(NEXT) | instid1(VALU_DEP_2)
	v_fma_f64 v[71:72], v[73:74], s[14:15], -v[75:76]
	v_add_f64_e64 v[29:30], v[31:32], -v[29:30]
	s_delay_alu instid0(VALU_DEP_2) | instskip(NEXT) | instid1(VALU_DEP_2)
	v_fma_f64 v[31:32], v[73:74], s[18:19], v[71:72]
	v_add_f64_e32 v[27:28], v[27:28], v[29:30]
	s_delay_alu instid0(VALU_DEP_2) | instskip(NEXT) | instid1(VALU_DEP_2)
	v_add_f64_e32 v[29:30], v[75:76], v[31:32]
	v_add_f64_e32 v[71:72], v[69:70], v[27:28]
	s_delay_alu instid0(VALU_DEP_2) | instskip(NEXT) | instid1(VALU_DEP_2)
	v_add_f64_e64 v[75:76], v[29:30], -v[75:76]
	v_add_f64_e32 v[73:74], v[29:30], v[71:72]
	v_add_f64_e64 v[69:70], v[71:72], -v[69:70]
	s_delay_alu instid0(VALU_DEP_3) | instskip(NEXT) | instid1(VALU_DEP_3)
	v_add_f64_e64 v[31:32], v[31:32], -v[75:76]
	v_add_f64_e64 v[77:78], v[73:74], -v[29:30]
	s_delay_alu instid0(VALU_DEP_3) | instskip(NEXT) | instid1(VALU_DEP_2)
	v_add_f64_e64 v[27:28], v[27:28], -v[69:70]
	v_add_f64_e64 v[79:80], v[73:74], -v[77:78]
	;; [unrolled: 1-line block ×3, first 2 shown]
	s_delay_alu instid0(VALU_DEP_3) | instskip(NEXT) | instid1(VALU_DEP_3)
	v_add_f64_e32 v[71:72], v[31:32], v[27:28]
	v_add_f64_e64 v[29:30], v[29:30], -v[79:80]
	s_delay_alu instid0(VALU_DEP_1) | instskip(NEXT) | instid1(VALU_DEP_3)
	v_add_f64_e32 v[29:30], v[69:70], v[29:30]
	v_add_f64_e64 v[69:70], v[71:72], -v[31:32]
	s_delay_alu instid0(VALU_DEP_2) | instskip(NEXT) | instid1(VALU_DEP_2)
	v_add_f64_e32 v[29:30], v[71:72], v[29:30]
	v_add_f64_e64 v[71:72], v[71:72], -v[69:70]
	v_add_f64_e64 v[27:28], v[27:28], -v[69:70]
	s_delay_alu instid0(VALU_DEP_3) | instskip(NEXT) | instid1(VALU_DEP_3)
	v_add_f64_e32 v[75:76], v[73:74], v[29:30]
	v_add_f64_e64 v[31:32], v[31:32], -v[71:72]
	s_delay_alu instid0(VALU_DEP_2) | instskip(NEXT) | instid1(VALU_DEP_2)
	v_add_f64_e64 v[69:70], v[75:76], -v[73:74]
	v_add_f64_e32 v[27:28], v[27:28], v[31:32]
	s_delay_alu instid0(VALU_DEP_2) | instskip(NEXT) | instid1(VALU_DEP_1)
	v_add_f64_e64 v[29:30], v[29:30], -v[69:70]
	v_add_f64_e32 v[27:28], v[27:28], v[29:30]
	s_delay_alu instid0(VALU_DEP_1) | instskip(SKIP_1) | instid1(VALU_DEP_1)
	v_add_f64_e32 v[27:28], v[75:76], v[27:28]
	s_wait_alu 0xfffe
	v_cndmask_b32_e64 v27, 0, v27, s11
	v_cmp_neq_f64_e64 s11, -1.0, v[25:26]
	s_delay_alu instid0(VALU_DEP_3) | instskip(NEXT) | instid1(VALU_DEP_1)
	v_cndmask_b32_e64 v28, 0x7ff00000, v28, s12
	v_cndmask_b32_e64 v28, 0x7ff80000, v28, s13
	s_wait_alu 0xf1ff
	s_delay_alu instid0(VALU_DEP_1) | instskip(NEXT) | instid1(VALU_DEP_1)
	v_cndmask_b32_e64 v28, 0xfff00000, v28, s11
	v_add_f64_e32 v[69:70], v[23:24], v[27:28]
.LBB71_220:
	s_wait_alu 0xfffe
	s_or_b32 exec_lo, exec_lo, s17
	v_max_num_f64_e32 v[23:24], v[47:48], v[47:48]
	s_delay_alu instid0(VALU_DEP_2) | instskip(SKIP_2) | instid1(VALU_DEP_3)
	v_max_num_f64_e32 v[25:26], v[69:70], v[69:70]
	v_cmp_u_f64_e64 s12, v[69:70], v[69:70]
	v_cmp_u_f64_e64 s11, v[47:48], v[47:48]
	v_min_num_f64_e32 v[27:28], v[25:26], v[23:24]
	v_max_num_f64_e32 v[25:26], v[25:26], v[23:24]
	s_wait_alu 0xf1ff
	s_delay_alu instid0(VALU_DEP_2) | instskip(NEXT) | instid1(VALU_DEP_3)
	v_cndmask_b32_e64 v27, v27, v69, s12
	v_cndmask_b32_e64 v28, v28, v70, s12
	s_delay_alu instid0(VALU_DEP_3) | instskip(NEXT) | instid1(VALU_DEP_4)
	v_cndmask_b32_e64 v26, v26, v70, s12
	v_cndmask_b32_e64 v25, v25, v69, s12
	s_delay_alu instid0(VALU_DEP_4) | instskip(NEXT) | instid1(VALU_DEP_4)
	v_cndmask_b32_e64 v27, v27, v47, s11
	v_cndmask_b32_e64 v28, v28, v48, s11
	s_delay_alu instid0(VALU_DEP_4) | instskip(NEXT) | instid1(VALU_DEP_4)
	v_cndmask_b32_e64 v26, v26, v48, s11
	v_cndmask_b32_e64 v25, v25, v47, s11
	s_delay_alu instid0(VALU_DEP_3) | instskip(NEXT) | instid1(VALU_DEP_2)
	v_cmp_class_f64_e64 s13, v[27:28], 0x1f8
	v_cmp_neq_f64_e64 s12, v[27:28], v[25:26]
	s_or_b32 s12, s12, s13
	s_wait_alu 0xfffe
	s_and_saveexec_b32 s17, s12
	s_cbranch_execz .LBB71_222
; %bb.221:
	v_add_f64_e64 v[27:28], v[27:28], -v[25:26]
	s_mov_b32 s12, 0x652b82fe
	s_mov_b32 s13, 0x3ff71547
	;; [unrolled: 1-line block ×10, first 2 shown]
	s_wait_alu 0xfffe
	s_delay_alu instid0(VALU_DEP_1) | instskip(SKIP_2) | instid1(VALU_DEP_1)
	v_mul_f64_e32 v[29:30], s[12:13], v[27:28]
	s_mov_b32 s12, 0xfca7ab0c
	s_mov_b32 s13, 0x3e928af3
	v_rndne_f64_e32 v[29:30], v[29:30]
	s_delay_alu instid0(VALU_DEP_1) | instskip(SKIP_2) | instid1(VALU_DEP_2)
	v_fma_f64 v[31:32], v[29:30], s[14:15], v[27:28]
	v_cvt_i32_f64_e32 v71, v[29:30]
	s_mov_b32 s15, 0x3fe62e42
	v_fma_f64 v[31:32], v[29:30], s[18:19], v[31:32]
	s_mov_b32 s19, 0x3c7abc9e
	s_wait_alu 0xfffe
	s_delay_alu instid0(VALU_DEP_1)
	v_fma_f64 v[69:70], v[31:32], s[20:21], s[12:13]
	s_mov_b32 s12, 0x623fde64
	s_mov_b32 s13, 0x3ec71dee
	;; [unrolled: 1-line block ×4, first 2 shown]
	s_wait_alu 0xfffe
	s_delay_alu instid0(VALU_DEP_1) | instskip(SKIP_3) | instid1(VALU_DEP_1)
	v_fma_f64 v[69:70], v[31:32], v[69:70], s[12:13]
	s_mov_b32 s12, 0x7c89e6b0
	s_mov_b32 s13, 0x3efa0199
	s_wait_alu 0xfffe
	v_fma_f64 v[69:70], v[31:32], v[69:70], s[12:13]
	s_mov_b32 s12, 0x14761f6e
	s_mov_b32 s13, 0x3f2a01a0
	s_wait_alu 0xfffe
	s_delay_alu instid0(VALU_DEP_1) | instskip(SKIP_3) | instid1(VALU_DEP_1)
	v_fma_f64 v[69:70], v[31:32], v[69:70], s[12:13]
	s_mov_b32 s12, 0x1852b7b0
	s_mov_b32 s13, 0x3f56c16c
	s_wait_alu 0xfffe
	v_fma_f64 v[69:70], v[31:32], v[69:70], s[12:13]
	s_mov_b32 s12, 0x11122322
	s_mov_b32 s13, 0x3f811111
	s_wait_alu 0xfffe
	s_delay_alu instid0(VALU_DEP_1) | instskip(SKIP_3) | instid1(VALU_DEP_1)
	v_fma_f64 v[69:70], v[31:32], v[69:70], s[12:13]
	s_mov_b32 s12, 0x555502a1
	s_mov_b32 s13, 0x3fa55555
	s_wait_alu 0xfffe
	v_fma_f64 v[69:70], v[31:32], v[69:70], s[12:13]
	s_mov_b32 s12, 0x55555511
	s_mov_b32 s13, 0x3fc55555
	s_wait_alu 0xfffe
	s_delay_alu instid0(VALU_DEP_1) | instskip(SKIP_3) | instid1(VALU_DEP_1)
	v_fma_f64 v[69:70], v[31:32], v[69:70], s[12:13]
	s_mov_b32 s12, 11
	s_mov_b32 s13, 0x3fe00000
	s_wait_alu 0xfffe
	v_fma_f64 v[69:70], v[31:32], v[69:70], s[12:13]
	v_cmp_nlt_f64_e64 s12, 0x40900000, v[27:28]
	v_cmp_ngt_f64_e64 s13, 0xc090cc00, v[27:28]
	s_delay_alu instid0(VALU_DEP_3) | instskip(NEXT) | instid1(VALU_DEP_1)
	v_fma_f64 v[69:70], v[31:32], v[69:70], 1.0
	v_fma_f64 v[29:30], v[31:32], v[69:70], 1.0
	s_delay_alu instid0(VALU_DEP_1) | instskip(SKIP_1) | instid1(VALU_DEP_1)
	v_ldexp_f64 v[29:30], v[29:30], v71
	s_wait_alu 0xf1ff
	v_cndmask_b32_e64 v30, 0x7ff00000, v30, s12
	s_and_b32 s12, s13, s12
	s_wait_alu 0xfffe
	s_delay_alu instid0(VALU_DEP_2) | instskip(SKIP_3) | instid1(VALU_DEP_1)
	v_cndmask_b32_e64 v27, 0, v29, s12
	s_mov_b32 s12, 0x55555555
	v_cndmask_b32_e64 v28, 0, v30, s13
	s_mov_b32 s13, 0x3fe55555
	v_add_f64_e32 v[29:30], 1.0, v[27:28]
	s_delay_alu instid0(VALU_DEP_1) | instskip(SKIP_3) | instid1(VALU_DEP_3)
	v_frexp_mant_f64_e32 v[31:32], v[29:30]
	v_frexp_exp_i32_f64_e32 v71, v[29:30]
	v_add_f64_e32 v[69:70], -1.0, v[29:30]
	s_wait_alu 0xfffe
	v_cmp_gt_f64_e64 s12, s[12:13], v[31:32]
	s_delay_alu instid0(VALU_DEP_2) | instskip(SKIP_2) | instid1(VALU_DEP_3)
	v_add_f64_e64 v[31:32], v[69:70], -v[29:30]
	v_add_f64_e64 v[69:70], v[27:28], -v[69:70]
	s_wait_alu 0xf1ff
	v_subrev_co_ci_u32_e64 v105, null, 0, v71, s12
	s_delay_alu instid0(VALU_DEP_3) | instskip(SKIP_1) | instid1(VALU_DEP_2)
	v_add_f64_e32 v[31:32], 1.0, v[31:32]
	s_mov_b32 s12, 0x55555780
	v_sub_nc_u32_e32 v73, 0, v105
	s_delay_alu instid0(VALU_DEP_1) | instskip(NEXT) | instid1(VALU_DEP_3)
	v_ldexp_f64 v[29:30], v[29:30], v73
	v_add_f64_e32 v[31:32], v[69:70], v[31:32]
	s_delay_alu instid0(VALU_DEP_2) | instskip(SKIP_1) | instid1(VALU_DEP_3)
	v_add_f64_e32 v[71:72], 1.0, v[29:30]
	v_add_f64_e32 v[77:78], -1.0, v[29:30]
	v_ldexp_f64 v[31:32], v[31:32], v73
	s_delay_alu instid0(VALU_DEP_3) | instskip(NEXT) | instid1(VALU_DEP_3)
	v_add_f64_e32 v[69:70], -1.0, v[71:72]
	v_add_f64_e32 v[79:80], 1.0, v[77:78]
	s_delay_alu instid0(VALU_DEP_2) | instskip(NEXT) | instid1(VALU_DEP_2)
	v_add_f64_e64 v[69:70], v[29:30], -v[69:70]
	v_add_f64_e64 v[29:30], v[29:30], -v[79:80]
	s_delay_alu instid0(VALU_DEP_2) | instskip(NEXT) | instid1(VALU_DEP_2)
	v_add_f64_e32 v[69:70], v[31:32], v[69:70]
	v_add_f64_e32 v[29:30], v[31:32], v[29:30]
	s_delay_alu instid0(VALU_DEP_2) | instskip(NEXT) | instid1(VALU_DEP_2)
	v_add_f64_e32 v[73:74], v[71:72], v[69:70]
	v_add_f64_e32 v[79:80], v[77:78], v[29:30]
	s_delay_alu instid0(VALU_DEP_2) | instskip(SKIP_1) | instid1(VALU_DEP_2)
	v_rcp_f64_e32 v[75:76], v[73:74]
	v_add_f64_e64 v[71:72], v[73:74], -v[71:72]
	v_add_f64_e64 v[77:78], v[79:80], -v[77:78]
	s_delay_alu instid0(VALU_DEP_2) | instskip(NEXT) | instid1(TRANS32_DEP_1)
	v_add_f64_e64 v[69:70], v[69:70], -v[71:72]
	v_fma_f64 v[81:82], -v[73:74], v[75:76], 1.0
	s_delay_alu instid0(VALU_DEP_3) | instskip(NEXT) | instid1(VALU_DEP_2)
	v_add_f64_e64 v[29:30], v[29:30], -v[77:78]
	v_fma_f64 v[75:76], v[81:82], v[75:76], v[75:76]
	s_delay_alu instid0(VALU_DEP_1) | instskip(NEXT) | instid1(VALU_DEP_1)
	v_fma_f64 v[31:32], -v[73:74], v[75:76], 1.0
	v_fma_f64 v[31:32], v[31:32], v[75:76], v[75:76]
	s_delay_alu instid0(VALU_DEP_1) | instskip(NEXT) | instid1(VALU_DEP_1)
	v_mul_f64_e32 v[75:76], v[79:80], v[31:32]
	v_mul_f64_e32 v[81:82], v[73:74], v[75:76]
	s_delay_alu instid0(VALU_DEP_1) | instskip(NEXT) | instid1(VALU_DEP_1)
	v_fma_f64 v[71:72], v[75:76], v[73:74], -v[81:82]
	v_fma_f64 v[71:72], v[75:76], v[69:70], v[71:72]
	s_delay_alu instid0(VALU_DEP_1) | instskip(NEXT) | instid1(VALU_DEP_1)
	v_add_f64_e32 v[101:102], v[81:82], v[71:72]
	v_add_f64_e64 v[103:104], v[79:80], -v[101:102]
	v_add_f64_e64 v[77:78], v[101:102], -v[81:82]
	s_delay_alu instid0(VALU_DEP_2) | instskip(NEXT) | instid1(VALU_DEP_2)
	v_add_f64_e64 v[79:80], v[79:80], -v[103:104]
	v_add_f64_e64 v[71:72], v[77:78], -v[71:72]
	s_delay_alu instid0(VALU_DEP_2) | instskip(NEXT) | instid1(VALU_DEP_1)
	v_add_f64_e64 v[79:80], v[79:80], -v[101:102]
	v_add_f64_e32 v[29:30], v[29:30], v[79:80]
	s_delay_alu instid0(VALU_DEP_1) | instskip(NEXT) | instid1(VALU_DEP_1)
	v_add_f64_e32 v[29:30], v[71:72], v[29:30]
	v_add_f64_e32 v[71:72], v[103:104], v[29:30]
	s_delay_alu instid0(VALU_DEP_1) | instskip(SKIP_1) | instid1(VALU_DEP_2)
	v_mul_f64_e32 v[77:78], v[31:32], v[71:72]
	v_add_f64_e64 v[101:102], v[103:104], -v[71:72]
	v_mul_f64_e32 v[79:80], v[73:74], v[77:78]
	s_delay_alu instid0(VALU_DEP_2) | instskip(NEXT) | instid1(VALU_DEP_2)
	v_add_f64_e32 v[29:30], v[29:30], v[101:102]
	v_fma_f64 v[73:74], v[77:78], v[73:74], -v[79:80]
	s_delay_alu instid0(VALU_DEP_1) | instskip(NEXT) | instid1(VALU_DEP_1)
	v_fma_f64 v[69:70], v[77:78], v[69:70], v[73:74]
	v_add_f64_e32 v[73:74], v[79:80], v[69:70]
	s_delay_alu instid0(VALU_DEP_1) | instskip(SKIP_1) | instid1(VALU_DEP_2)
	v_add_f64_e64 v[81:82], v[71:72], -v[73:74]
	v_add_f64_e64 v[79:80], v[73:74], -v[79:80]
	;; [unrolled: 1-line block ×3, first 2 shown]
	s_delay_alu instid0(VALU_DEP_2) | instskip(NEXT) | instid1(VALU_DEP_2)
	v_add_f64_e64 v[69:70], v[79:80], -v[69:70]
	v_add_f64_e64 v[71:72], v[71:72], -v[73:74]
	s_delay_alu instid0(VALU_DEP_1) | instskip(SKIP_1) | instid1(VALU_DEP_2)
	v_add_f64_e32 v[29:30], v[29:30], v[71:72]
	v_add_f64_e32 v[71:72], v[75:76], v[77:78]
	;; [unrolled: 1-line block ×3, first 2 shown]
	s_delay_alu instid0(VALU_DEP_2) | instskip(NEXT) | instid1(VALU_DEP_2)
	v_add_f64_e64 v[69:70], v[71:72], -v[75:76]
	v_add_f64_e32 v[29:30], v[81:82], v[29:30]
	s_delay_alu instid0(VALU_DEP_2) | instskip(NEXT) | instid1(VALU_DEP_2)
	v_add_f64_e64 v[69:70], v[77:78], -v[69:70]
	v_mul_f64_e32 v[29:30], v[31:32], v[29:30]
	s_delay_alu instid0(VALU_DEP_1) | instskip(NEXT) | instid1(VALU_DEP_1)
	v_add_f64_e32 v[29:30], v[69:70], v[29:30]
	v_add_f64_e32 v[31:32], v[71:72], v[29:30]
	s_delay_alu instid0(VALU_DEP_1) | instskip(NEXT) | instid1(VALU_DEP_1)
	v_mul_f64_e32 v[69:70], v[31:32], v[31:32]
	v_fma_f64 v[73:74], v[69:70], s[24:25], s[20:21]
	s_mov_b32 s20, 0xd7f4df2e
	s_mov_b32 s21, 0x3fc7474d
	v_mul_f64_e32 v[75:76], v[31:32], v[69:70]
	s_wait_alu 0xfffe
	s_delay_alu instid0(VALU_DEP_2) | instskip(SKIP_3) | instid1(VALU_DEP_1)
	v_fma_f64 v[73:74], v[69:70], v[73:74], s[20:21]
	s_mov_b32 s20, 0x16291751
	s_mov_b32 s21, 0x3fcc71c0
	s_wait_alu 0xfffe
	v_fma_f64 v[73:74], v[69:70], v[73:74], s[20:21]
	s_mov_b32 s20, 0x9b27acf1
	s_mov_b32 s21, 0x3fd24924
	s_wait_alu 0xfffe
	s_delay_alu instid0(VALU_DEP_1) | instskip(SKIP_3) | instid1(VALU_DEP_1)
	v_fma_f64 v[73:74], v[69:70], v[73:74], s[20:21]
	s_mov_b32 s20, 0x998ef7b6
	s_mov_b32 s21, 0x3fd99999
	s_wait_alu 0xfffe
	v_fma_f64 v[73:74], v[69:70], v[73:74], s[20:21]
	s_delay_alu instid0(VALU_DEP_1)
	v_fma_f64 v[69:70], v[69:70], v[73:74], s[12:13]
	v_ldexp_f64 v[73:74], v[31:32], 1
	v_add_f64_e64 v[31:32], v[31:32], -v[71:72]
	v_cmp_nge_f64_e64 s12, -1.0, v[27:28]
	v_cmp_neq_f64_e64 s13, 0x7ff00000, v[27:28]
	v_mul_f64_e32 v[69:70], v[75:76], v[69:70]
	v_cvt_f64_i32_e32 v[75:76], v105
	v_add_f64_e64 v[29:30], v[29:30], -v[31:32]
	s_and_b32 s12, s12, s13
	s_delay_alu instid0(VALU_DEP_3) | instskip(NEXT) | instid1(VALU_DEP_3)
	v_add_f64_e32 v[71:72], v[73:74], v[69:70]
	v_mul_f64_e32 v[77:78], s[14:15], v[75:76]
	s_delay_alu instid0(VALU_DEP_3) | instskip(NEXT) | instid1(VALU_DEP_3)
	v_ldexp_f64 v[29:30], v[29:30], 1
	v_add_f64_e64 v[31:32], v[71:72], -v[73:74]
	s_delay_alu instid0(VALU_DEP_3) | instskip(SKIP_1) | instid1(VALU_DEP_3)
	v_fma_f64 v[73:74], v[75:76], s[14:15], -v[77:78]
	v_cmp_ngt_f64_e64 s14, -1.0, v[27:28]
	v_add_f64_e64 v[31:32], v[69:70], -v[31:32]
	s_delay_alu instid0(VALU_DEP_3) | instskip(NEXT) | instid1(VALU_DEP_2)
	v_fma_f64 v[69:70], v[75:76], s[18:19], v[73:74]
	v_add_f64_e32 v[29:30], v[29:30], v[31:32]
	s_delay_alu instid0(VALU_DEP_2) | instskip(NEXT) | instid1(VALU_DEP_2)
	v_add_f64_e32 v[31:32], v[77:78], v[69:70]
	v_add_f64_e32 v[73:74], v[71:72], v[29:30]
	s_delay_alu instid0(VALU_DEP_2) | instskip(NEXT) | instid1(VALU_DEP_2)
	v_add_f64_e64 v[77:78], v[31:32], -v[77:78]
	v_add_f64_e32 v[75:76], v[31:32], v[73:74]
	v_add_f64_e64 v[71:72], v[73:74], -v[71:72]
	s_delay_alu instid0(VALU_DEP_3) | instskip(NEXT) | instid1(VALU_DEP_3)
	v_add_f64_e64 v[69:70], v[69:70], -v[77:78]
	v_add_f64_e64 v[79:80], v[75:76], -v[31:32]
	s_delay_alu instid0(VALU_DEP_3) | instskip(NEXT) | instid1(VALU_DEP_2)
	v_add_f64_e64 v[29:30], v[29:30], -v[71:72]
	v_add_f64_e64 v[81:82], v[75:76], -v[79:80]
	;; [unrolled: 1-line block ×3, first 2 shown]
	s_delay_alu instid0(VALU_DEP_3) | instskip(NEXT) | instid1(VALU_DEP_3)
	v_add_f64_e32 v[73:74], v[69:70], v[29:30]
	v_add_f64_e64 v[31:32], v[31:32], -v[81:82]
	s_delay_alu instid0(VALU_DEP_1) | instskip(NEXT) | instid1(VALU_DEP_3)
	v_add_f64_e32 v[31:32], v[71:72], v[31:32]
	v_add_f64_e64 v[71:72], v[73:74], -v[69:70]
	s_delay_alu instid0(VALU_DEP_2) | instskip(NEXT) | instid1(VALU_DEP_2)
	v_add_f64_e32 v[31:32], v[73:74], v[31:32]
	v_add_f64_e64 v[73:74], v[73:74], -v[71:72]
	v_add_f64_e64 v[29:30], v[29:30], -v[71:72]
	s_delay_alu instid0(VALU_DEP_3) | instskip(NEXT) | instid1(VALU_DEP_3)
	v_add_f64_e32 v[77:78], v[75:76], v[31:32]
	v_add_f64_e64 v[69:70], v[69:70], -v[73:74]
	s_delay_alu instid0(VALU_DEP_2) | instskip(NEXT) | instid1(VALU_DEP_2)
	v_add_f64_e64 v[71:72], v[77:78], -v[75:76]
	v_add_f64_e32 v[29:30], v[29:30], v[69:70]
	s_delay_alu instid0(VALU_DEP_2) | instskip(NEXT) | instid1(VALU_DEP_1)
	v_add_f64_e64 v[31:32], v[31:32], -v[71:72]
	v_add_f64_e32 v[29:30], v[29:30], v[31:32]
	s_delay_alu instid0(VALU_DEP_1) | instskip(SKIP_1) | instid1(VALU_DEP_1)
	v_add_f64_e32 v[29:30], v[77:78], v[29:30]
	s_wait_alu 0xfffe
	v_cndmask_b32_e64 v29, 0, v29, s12
	v_cmp_neq_f64_e64 s12, -1.0, v[27:28]
	s_delay_alu instid0(VALU_DEP_3) | instskip(SKIP_1) | instid1(VALU_DEP_1)
	v_cndmask_b32_e64 v30, 0x7ff00000, v30, s13
	s_wait_alu 0xf1ff
	v_cndmask_b32_e64 v30, 0x7ff80000, v30, s14
	s_delay_alu instid0(VALU_DEP_1) | instskip(NEXT) | instid1(VALU_DEP_1)
	v_cndmask_b32_e64 v30, 0xfff00000, v30, s12
	v_add_f64_e32 v[69:70], v[25:26], v[29:30]
.LBB71_222:
	s_wait_alu 0xfffe
	s_or_b32 exec_lo, exec_lo, s17
	v_max_num_f64_e32 v[25:26], v[41:42], v[41:42]
	s_delay_alu instid0(VALU_DEP_2) | instskip(SKIP_2) | instid1(VALU_DEP_3)
	v_max_num_f64_e32 v[27:28], v[69:70], v[69:70]
	v_cmp_u_f64_e64 s13, v[69:70], v[69:70]
	v_cmp_u_f64_e64 s12, v[41:42], v[41:42]
	v_min_num_f64_e32 v[29:30], v[27:28], v[25:26]
	v_max_num_f64_e32 v[27:28], v[27:28], v[25:26]
	s_wait_alu 0xf1ff
	s_delay_alu instid0(VALU_DEP_2) | instskip(NEXT) | instid1(VALU_DEP_3)
	v_cndmask_b32_e64 v29, v29, v69, s13
	v_cndmask_b32_e64 v30, v30, v70, s13
	s_delay_alu instid0(VALU_DEP_3) | instskip(NEXT) | instid1(VALU_DEP_4)
	v_cndmask_b32_e64 v28, v28, v70, s13
	v_cndmask_b32_e64 v27, v27, v69, s13
	s_delay_alu instid0(VALU_DEP_4) | instskip(NEXT) | instid1(VALU_DEP_4)
	v_cndmask_b32_e64 v29, v29, v41, s12
	v_cndmask_b32_e64 v30, v30, v42, s12
	s_delay_alu instid0(VALU_DEP_4) | instskip(NEXT) | instid1(VALU_DEP_4)
	v_cndmask_b32_e64 v28, v28, v42, s12
	v_cndmask_b32_e64 v27, v27, v41, s12
	s_delay_alu instid0(VALU_DEP_3) | instskip(NEXT) | instid1(VALU_DEP_2)
	v_cmp_class_f64_e64 s14, v[29:30], 0x1f8
	v_cmp_neq_f64_e64 s13, v[29:30], v[27:28]
	s_or_b32 s13, s13, s14
	s_wait_alu 0xfffe
	s_and_saveexec_b32 s17, s13
	s_cbranch_execz .LBB71_224
; %bb.223:
	v_add_f64_e64 v[29:30], v[29:30], -v[27:28]
	s_mov_b32 s14, 0x652b82fe
	s_mov_b32 s15, 0x3ff71547
	;; [unrolled: 1-line block ×10, first 2 shown]
	s_wait_alu 0xfffe
	s_delay_alu instid0(VALU_DEP_1) | instskip(SKIP_3) | instid1(VALU_DEP_2)
	v_mul_f64_e32 v[31:32], s[14:15], v[29:30]
	s_mov_b32 s14, 0xfca7ab0c
	s_mov_b32 s15, 0x3e928af3
	v_cmp_nlt_f64_e64 s13, 0x40900000, v[29:30]
	v_rndne_f64_e32 v[31:32], v[31:32]
	s_delay_alu instid0(VALU_DEP_1) | instskip(SKIP_2) | instid1(VALU_DEP_2)
	v_fma_f64 v[69:70], v[31:32], s[18:19], v[29:30]
	v_cvt_i32_f64_e32 v73, v[31:32]
	s_mov_b32 s19, 0x3fe62e42
	v_fma_f64 v[69:70], v[31:32], s[20:21], v[69:70]
	s_mov_b32 s21, 0x3c7abc9e
	s_wait_alu 0xfffe
	s_delay_alu instid0(VALU_DEP_1)
	v_fma_f64 v[71:72], v[69:70], s[24:25], s[14:15]
	s_mov_b32 s14, 0x623fde64
	s_mov_b32 s15, 0x3ec71dee
	;; [unrolled: 1-line block ×4, first 2 shown]
	s_wait_alu 0xfffe
	s_delay_alu instid0(VALU_DEP_1) | instskip(SKIP_3) | instid1(VALU_DEP_1)
	v_fma_f64 v[71:72], v[69:70], v[71:72], s[14:15]
	s_mov_b32 s14, 0x7c89e6b0
	s_mov_b32 s15, 0x3efa0199
	s_wait_alu 0xfffe
	v_fma_f64 v[71:72], v[69:70], v[71:72], s[14:15]
	s_mov_b32 s14, 0x14761f6e
	s_mov_b32 s15, 0x3f2a01a0
	s_wait_alu 0xfffe
	s_delay_alu instid0(VALU_DEP_1) | instskip(SKIP_3) | instid1(VALU_DEP_1)
	v_fma_f64 v[71:72], v[69:70], v[71:72], s[14:15]
	s_mov_b32 s14, 0x1852b7b0
	s_mov_b32 s15, 0x3f56c16c
	s_wait_alu 0xfffe
	v_fma_f64 v[71:72], v[69:70], v[71:72], s[14:15]
	s_mov_b32 s14, 0x11122322
	s_mov_b32 s15, 0x3f811111
	;; [unrolled: 9-line block ×3, first 2 shown]
	s_wait_alu 0xfffe
	s_delay_alu instid0(VALU_DEP_1) | instskip(SKIP_3) | instid1(VALU_DEP_1)
	v_fma_f64 v[71:72], v[69:70], v[71:72], s[14:15]
	s_mov_b32 s14, 11
	s_mov_b32 s15, 0x3fe00000
	s_wait_alu 0xfffe
	v_fma_f64 v[71:72], v[69:70], v[71:72], s[14:15]
	v_cmp_ngt_f64_e64 s14, 0xc090cc00, v[29:30]
	s_mov_b32 s15, 0x3fe55555
	v_fma_f64 v[71:72], v[69:70], v[71:72], 1.0
	s_delay_alu instid0(VALU_DEP_1) | instskip(NEXT) | instid1(VALU_DEP_1)
	v_fma_f64 v[31:32], v[69:70], v[71:72], 1.0
	v_ldexp_f64 v[31:32], v[31:32], v73
	s_wait_alu 0xf1ff
	s_delay_alu instid0(VALU_DEP_1) | instskip(SKIP_2) | instid1(VALU_DEP_2)
	v_cndmask_b32_e64 v32, 0x7ff00000, v32, s13
	s_and_b32 s13, s14, s13
	s_wait_alu 0xfffe
	v_cndmask_b32_e64 v29, 0, v31, s13
	s_delay_alu instid0(VALU_DEP_2) | instskip(SKIP_1) | instid1(VALU_DEP_1)
	v_cndmask_b32_e64 v30, 0, v32, s14
	s_mov_b32 s14, 0x55555555
	v_add_f64_e32 v[31:32], 1.0, v[29:30]
	s_delay_alu instid0(VALU_DEP_1) | instskip(SKIP_3) | instid1(VALU_DEP_3)
	v_frexp_mant_f64_e32 v[69:70], v[31:32]
	v_frexp_exp_i32_f64_e32 v73, v[31:32]
	v_add_f64_e32 v[71:72], -1.0, v[31:32]
	s_wait_alu 0xfffe
	v_cmp_gt_f64_e64 s13, s[14:15], v[69:70]
	s_mov_b32 s14, 0x55555780
	v_add_f64_e64 v[69:70], v[71:72], -v[31:32]
	v_add_f64_e64 v[71:72], v[29:30], -v[71:72]
	s_wait_alu 0xf1ff
	v_subrev_co_ci_u32_e64 v107, null, 0, v73, s13
	s_delay_alu instid0(VALU_DEP_3) | instskip(SKIP_1) | instid1(VALU_DEP_3)
	v_add_f64_e32 v[69:70], 1.0, v[69:70]
	v_cmp_nge_f64_e64 s13, -1.0, v[29:30]
	v_sub_nc_u32_e32 v75, 0, v107
	s_delay_alu instid0(VALU_DEP_1) | instskip(NEXT) | instid1(VALU_DEP_4)
	v_ldexp_f64 v[31:32], v[31:32], v75
	v_add_f64_e32 v[69:70], v[71:72], v[69:70]
	s_delay_alu instid0(VALU_DEP_2) | instskip(SKIP_1) | instid1(VALU_DEP_3)
	v_add_f64_e32 v[73:74], 1.0, v[31:32]
	v_add_f64_e32 v[79:80], -1.0, v[31:32]
	v_ldexp_f64 v[69:70], v[69:70], v75
	s_delay_alu instid0(VALU_DEP_3) | instskip(NEXT) | instid1(VALU_DEP_3)
	v_add_f64_e32 v[71:72], -1.0, v[73:74]
	v_add_f64_e32 v[81:82], 1.0, v[79:80]
	s_delay_alu instid0(VALU_DEP_2) | instskip(NEXT) | instid1(VALU_DEP_2)
	v_add_f64_e64 v[71:72], v[31:32], -v[71:72]
	v_add_f64_e64 v[31:32], v[31:32], -v[81:82]
	s_delay_alu instid0(VALU_DEP_2) | instskip(NEXT) | instid1(VALU_DEP_2)
	v_add_f64_e32 v[71:72], v[69:70], v[71:72]
	v_add_f64_e32 v[31:32], v[69:70], v[31:32]
	s_delay_alu instid0(VALU_DEP_2) | instskip(NEXT) | instid1(VALU_DEP_2)
	v_add_f64_e32 v[75:76], v[73:74], v[71:72]
	v_add_f64_e32 v[81:82], v[79:80], v[31:32]
	s_delay_alu instid0(VALU_DEP_2) | instskip(SKIP_1) | instid1(VALU_DEP_2)
	v_rcp_f64_e32 v[77:78], v[75:76]
	v_add_f64_e64 v[73:74], v[75:76], -v[73:74]
	v_add_f64_e64 v[79:80], v[81:82], -v[79:80]
	s_delay_alu instid0(VALU_DEP_2) | instskip(NEXT) | instid1(TRANS32_DEP_1)
	v_add_f64_e64 v[71:72], v[71:72], -v[73:74]
	v_fma_f64 v[101:102], -v[75:76], v[77:78], 1.0
	s_delay_alu instid0(VALU_DEP_3) | instskip(NEXT) | instid1(VALU_DEP_2)
	v_add_f64_e64 v[31:32], v[31:32], -v[79:80]
	v_fma_f64 v[77:78], v[101:102], v[77:78], v[77:78]
	s_delay_alu instid0(VALU_DEP_1) | instskip(NEXT) | instid1(VALU_DEP_1)
	v_fma_f64 v[69:70], -v[75:76], v[77:78], 1.0
	v_fma_f64 v[69:70], v[69:70], v[77:78], v[77:78]
	s_delay_alu instid0(VALU_DEP_1) | instskip(NEXT) | instid1(VALU_DEP_1)
	v_mul_f64_e32 v[77:78], v[81:82], v[69:70]
	v_mul_f64_e32 v[101:102], v[75:76], v[77:78]
	s_delay_alu instid0(VALU_DEP_1) | instskip(NEXT) | instid1(VALU_DEP_1)
	v_fma_f64 v[73:74], v[77:78], v[75:76], -v[101:102]
	v_fma_f64 v[73:74], v[77:78], v[71:72], v[73:74]
	s_delay_alu instid0(VALU_DEP_1) | instskip(NEXT) | instid1(VALU_DEP_1)
	v_add_f64_e32 v[103:104], v[101:102], v[73:74]
	v_add_f64_e64 v[105:106], v[81:82], -v[103:104]
	v_add_f64_e64 v[79:80], v[103:104], -v[101:102]
	s_delay_alu instid0(VALU_DEP_2) | instskip(NEXT) | instid1(VALU_DEP_2)
	v_add_f64_e64 v[81:82], v[81:82], -v[105:106]
	v_add_f64_e64 v[73:74], v[79:80], -v[73:74]
	s_delay_alu instid0(VALU_DEP_2) | instskip(NEXT) | instid1(VALU_DEP_1)
	v_add_f64_e64 v[81:82], v[81:82], -v[103:104]
	v_add_f64_e32 v[31:32], v[31:32], v[81:82]
	s_delay_alu instid0(VALU_DEP_1) | instskip(NEXT) | instid1(VALU_DEP_1)
	v_add_f64_e32 v[31:32], v[73:74], v[31:32]
	v_add_f64_e32 v[73:74], v[105:106], v[31:32]
	s_delay_alu instid0(VALU_DEP_1) | instskip(SKIP_1) | instid1(VALU_DEP_2)
	v_mul_f64_e32 v[79:80], v[69:70], v[73:74]
	v_add_f64_e64 v[103:104], v[105:106], -v[73:74]
	v_mul_f64_e32 v[81:82], v[75:76], v[79:80]
	s_delay_alu instid0(VALU_DEP_2) | instskip(NEXT) | instid1(VALU_DEP_2)
	v_add_f64_e32 v[31:32], v[31:32], v[103:104]
	v_fma_f64 v[75:76], v[79:80], v[75:76], -v[81:82]
	s_delay_alu instid0(VALU_DEP_1) | instskip(NEXT) | instid1(VALU_DEP_1)
	v_fma_f64 v[71:72], v[79:80], v[71:72], v[75:76]
	v_add_f64_e32 v[75:76], v[81:82], v[71:72]
	s_delay_alu instid0(VALU_DEP_1) | instskip(SKIP_1) | instid1(VALU_DEP_2)
	v_add_f64_e64 v[101:102], v[73:74], -v[75:76]
	v_add_f64_e64 v[81:82], v[75:76], -v[81:82]
	v_add_f64_e64 v[73:74], v[73:74], -v[101:102]
	s_delay_alu instid0(VALU_DEP_2) | instskip(NEXT) | instid1(VALU_DEP_2)
	v_add_f64_e64 v[71:72], v[81:82], -v[71:72]
	v_add_f64_e64 v[73:74], v[73:74], -v[75:76]
	s_delay_alu instid0(VALU_DEP_1) | instskip(SKIP_1) | instid1(VALU_DEP_2)
	v_add_f64_e32 v[31:32], v[31:32], v[73:74]
	v_add_f64_e32 v[73:74], v[77:78], v[79:80]
	;; [unrolled: 1-line block ×3, first 2 shown]
	s_delay_alu instid0(VALU_DEP_2) | instskip(NEXT) | instid1(VALU_DEP_2)
	v_add_f64_e64 v[71:72], v[73:74], -v[77:78]
	v_add_f64_e32 v[31:32], v[101:102], v[31:32]
	s_delay_alu instid0(VALU_DEP_2) | instskip(NEXT) | instid1(VALU_DEP_2)
	v_add_f64_e64 v[71:72], v[79:80], -v[71:72]
	v_mul_f64_e32 v[31:32], v[69:70], v[31:32]
	s_delay_alu instid0(VALU_DEP_1) | instskip(NEXT) | instid1(VALU_DEP_1)
	v_add_f64_e32 v[31:32], v[71:72], v[31:32]
	v_add_f64_e32 v[69:70], v[73:74], v[31:32]
	s_delay_alu instid0(VALU_DEP_1) | instskip(NEXT) | instid1(VALU_DEP_1)
	v_mul_f64_e32 v[71:72], v[69:70], v[69:70]
	v_fma_f64 v[75:76], v[71:72], s[28:29], s[24:25]
	s_mov_b32 s24, 0xd7f4df2e
	s_mov_b32 s25, 0x3fc7474d
	v_mul_f64_e32 v[77:78], v[69:70], v[71:72]
	s_wait_alu 0xfffe
	s_delay_alu instid0(VALU_DEP_2) | instskip(SKIP_3) | instid1(VALU_DEP_1)
	v_fma_f64 v[75:76], v[71:72], v[75:76], s[24:25]
	s_mov_b32 s24, 0x16291751
	s_mov_b32 s25, 0x3fcc71c0
	s_wait_alu 0xfffe
	v_fma_f64 v[75:76], v[71:72], v[75:76], s[24:25]
	s_mov_b32 s24, 0x9b27acf1
	s_mov_b32 s25, 0x3fd24924
	s_wait_alu 0xfffe
	s_delay_alu instid0(VALU_DEP_1) | instskip(SKIP_3) | instid1(VALU_DEP_1)
	v_fma_f64 v[75:76], v[71:72], v[75:76], s[24:25]
	s_mov_b32 s24, 0x998ef7b6
	s_mov_b32 s25, 0x3fd99999
	s_wait_alu 0xfffe
	v_fma_f64 v[75:76], v[71:72], v[75:76], s[24:25]
	s_delay_alu instid0(VALU_DEP_1)
	v_fma_f64 v[71:72], v[71:72], v[75:76], s[14:15]
	v_ldexp_f64 v[75:76], v[69:70], 1
	v_add_f64_e64 v[69:70], v[69:70], -v[73:74]
	v_cmp_neq_f64_e64 s14, 0x7ff00000, v[29:30]
	v_cmp_ngt_f64_e64 s15, -1.0, v[29:30]
	v_mul_f64_e32 v[71:72], v[77:78], v[71:72]
	v_cvt_f64_i32_e32 v[77:78], v107
	v_add_f64_e64 v[31:32], v[31:32], -v[69:70]
	s_and_b32 s13, s13, s14
	s_delay_alu instid0(VALU_DEP_3) | instskip(NEXT) | instid1(VALU_DEP_3)
	v_add_f64_e32 v[73:74], v[75:76], v[71:72]
	v_mul_f64_e32 v[79:80], s[18:19], v[77:78]
	s_delay_alu instid0(VALU_DEP_3) | instskip(NEXT) | instid1(VALU_DEP_3)
	v_ldexp_f64 v[31:32], v[31:32], 1
	v_add_f64_e64 v[69:70], v[73:74], -v[75:76]
	s_delay_alu instid0(VALU_DEP_3) | instskip(NEXT) | instid1(VALU_DEP_2)
	v_fma_f64 v[75:76], v[77:78], s[18:19], -v[79:80]
	v_add_f64_e64 v[69:70], v[71:72], -v[69:70]
	s_delay_alu instid0(VALU_DEP_2) | instskip(NEXT) | instid1(VALU_DEP_2)
	v_fma_f64 v[71:72], v[77:78], s[20:21], v[75:76]
	v_add_f64_e32 v[31:32], v[31:32], v[69:70]
	s_delay_alu instid0(VALU_DEP_2) | instskip(NEXT) | instid1(VALU_DEP_2)
	v_add_f64_e32 v[69:70], v[79:80], v[71:72]
	v_add_f64_e32 v[75:76], v[73:74], v[31:32]
	s_delay_alu instid0(VALU_DEP_2) | instskip(NEXT) | instid1(VALU_DEP_2)
	v_add_f64_e64 v[79:80], v[69:70], -v[79:80]
	v_add_f64_e32 v[77:78], v[69:70], v[75:76]
	v_add_f64_e64 v[73:74], v[75:76], -v[73:74]
	s_delay_alu instid0(VALU_DEP_3) | instskip(NEXT) | instid1(VALU_DEP_3)
	v_add_f64_e64 v[71:72], v[71:72], -v[79:80]
	v_add_f64_e64 v[81:82], v[77:78], -v[69:70]
	s_delay_alu instid0(VALU_DEP_3) | instskip(NEXT) | instid1(VALU_DEP_2)
	v_add_f64_e64 v[31:32], v[31:32], -v[73:74]
	v_add_f64_e64 v[101:102], v[77:78], -v[81:82]
	;; [unrolled: 1-line block ×3, first 2 shown]
	s_delay_alu instid0(VALU_DEP_3) | instskip(NEXT) | instid1(VALU_DEP_3)
	v_add_f64_e32 v[75:76], v[71:72], v[31:32]
	v_add_f64_e64 v[69:70], v[69:70], -v[101:102]
	s_delay_alu instid0(VALU_DEP_1) | instskip(NEXT) | instid1(VALU_DEP_3)
	v_add_f64_e32 v[69:70], v[73:74], v[69:70]
	v_add_f64_e64 v[73:74], v[75:76], -v[71:72]
	s_delay_alu instid0(VALU_DEP_2) | instskip(NEXT) | instid1(VALU_DEP_2)
	v_add_f64_e32 v[69:70], v[75:76], v[69:70]
	v_add_f64_e64 v[75:76], v[75:76], -v[73:74]
	v_add_f64_e64 v[31:32], v[31:32], -v[73:74]
	s_delay_alu instid0(VALU_DEP_3) | instskip(NEXT) | instid1(VALU_DEP_3)
	v_add_f64_e32 v[79:80], v[77:78], v[69:70]
	v_add_f64_e64 v[71:72], v[71:72], -v[75:76]
	s_delay_alu instid0(VALU_DEP_2) | instskip(NEXT) | instid1(VALU_DEP_2)
	v_add_f64_e64 v[73:74], v[79:80], -v[77:78]
	v_add_f64_e32 v[31:32], v[31:32], v[71:72]
	s_delay_alu instid0(VALU_DEP_2) | instskip(NEXT) | instid1(VALU_DEP_1)
	v_add_f64_e64 v[69:70], v[69:70], -v[73:74]
	v_add_f64_e32 v[31:32], v[31:32], v[69:70]
	s_delay_alu instid0(VALU_DEP_1) | instskip(SKIP_1) | instid1(VALU_DEP_1)
	v_add_f64_e32 v[31:32], v[79:80], v[31:32]
	s_wait_alu 0xfffe
	v_cndmask_b32_e64 v31, 0, v31, s13
	v_cmp_neq_f64_e64 s13, -1.0, v[29:30]
	s_delay_alu instid0(VALU_DEP_3) | instskip(NEXT) | instid1(VALU_DEP_1)
	v_cndmask_b32_e64 v32, 0x7ff00000, v32, s14
	v_cndmask_b32_e64 v32, 0x7ff80000, v32, s15
	s_wait_alu 0xf1ff
	s_delay_alu instid0(VALU_DEP_1) | instskip(NEXT) | instid1(VALU_DEP_1)
	v_cndmask_b32_e64 v32, 0xfff00000, v32, s13
	v_add_f64_e32 v[69:70], v[27:28], v[31:32]
.LBB71_224:
	s_wait_alu 0xfffe
	s_or_b32 exec_lo, exec_lo, s17
	v_max_num_f64_e32 v[27:28], v[43:44], v[43:44]
	s_delay_alu instid0(VALU_DEP_2) | instskip(SKIP_2) | instid1(VALU_DEP_3)
	v_max_num_f64_e32 v[29:30], v[69:70], v[69:70]
	v_cmp_u_f64_e64 s14, v[69:70], v[69:70]
	v_cmp_u_f64_e64 s13, v[43:44], v[43:44]
	v_min_num_f64_e32 v[31:32], v[29:30], v[27:28]
	v_max_num_f64_e32 v[29:30], v[29:30], v[27:28]
	s_wait_alu 0xf1ff
	s_delay_alu instid0(VALU_DEP_2) | instskip(NEXT) | instid1(VALU_DEP_3)
	v_cndmask_b32_e64 v31, v31, v69, s14
	v_cndmask_b32_e64 v32, v32, v70, s14
	s_delay_alu instid0(VALU_DEP_3) | instskip(NEXT) | instid1(VALU_DEP_4)
	v_cndmask_b32_e64 v30, v30, v70, s14
	v_cndmask_b32_e64 v29, v29, v69, s14
	s_delay_alu instid0(VALU_DEP_4) | instskip(NEXT) | instid1(VALU_DEP_4)
	v_cndmask_b32_e64 v31, v31, v43, s13
	v_cndmask_b32_e64 v32, v32, v44, s13
	s_delay_alu instid0(VALU_DEP_4) | instskip(NEXT) | instid1(VALU_DEP_4)
	v_cndmask_b32_e64 v30, v30, v44, s13
	v_cndmask_b32_e64 v29, v29, v43, s13
	s_delay_alu instid0(VALU_DEP_3) | instskip(NEXT) | instid1(VALU_DEP_2)
	v_cmp_class_f64_e64 s15, v[31:32], 0x1f8
	v_cmp_neq_f64_e64 s14, v[31:32], v[29:30]
	s_or_b32 s14, s14, s15
	s_wait_alu 0xfffe
	s_and_saveexec_b32 s24, s14
	s_cbranch_execz .LBB71_226
; %bb.225:
	v_add_f64_e64 v[31:32], v[31:32], -v[29:30]
	s_mov_b32 s14, 0x652b82fe
	s_mov_b32 s15, 0x3ff71547
	;; [unrolled: 1-line block ×10, first 2 shown]
	s_wait_alu 0xfffe
	s_delay_alu instid0(VALU_DEP_1) | instskip(SKIP_2) | instid1(VALU_DEP_1)
	v_mul_f64_e32 v[69:70], s[14:15], v[31:32]
	s_mov_b32 s14, 0xfca7ab0c
	s_mov_b32 s15, 0x3e928af3
	v_rndne_f64_e32 v[69:70], v[69:70]
	s_delay_alu instid0(VALU_DEP_1) | instskip(SKIP_2) | instid1(VALU_DEP_2)
	v_fma_f64 v[71:72], v[69:70], s[18:19], v[31:32]
	v_cvt_i32_f64_e32 v75, v[69:70]
	s_mov_b32 s19, 0x3fe62e42
	v_fma_f64 v[71:72], v[69:70], s[20:21], v[71:72]
	s_mov_b32 s21, 0x3c7abc9e
	s_wait_alu 0xfffe
	s_delay_alu instid0(VALU_DEP_1)
	v_fma_f64 v[73:74], v[71:72], s[28:29], s[14:15]
	s_mov_b32 s14, 0x623fde64
	s_mov_b32 s15, 0x3ec71dee
	;; [unrolled: 1-line block ×4, first 2 shown]
	s_wait_alu 0xfffe
	s_delay_alu instid0(VALU_DEP_1) | instskip(SKIP_3) | instid1(VALU_DEP_1)
	v_fma_f64 v[73:74], v[71:72], v[73:74], s[14:15]
	s_mov_b32 s14, 0x7c89e6b0
	s_mov_b32 s15, 0x3efa0199
	s_wait_alu 0xfffe
	v_fma_f64 v[73:74], v[71:72], v[73:74], s[14:15]
	s_mov_b32 s14, 0x14761f6e
	s_mov_b32 s15, 0x3f2a01a0
	s_wait_alu 0xfffe
	s_delay_alu instid0(VALU_DEP_1) | instskip(SKIP_3) | instid1(VALU_DEP_1)
	v_fma_f64 v[73:74], v[71:72], v[73:74], s[14:15]
	s_mov_b32 s14, 0x1852b7b0
	s_mov_b32 s15, 0x3f56c16c
	s_wait_alu 0xfffe
	v_fma_f64 v[73:74], v[71:72], v[73:74], s[14:15]
	s_mov_b32 s14, 0x11122322
	s_mov_b32 s15, 0x3f811111
	;; [unrolled: 9-line block ×3, first 2 shown]
	s_wait_alu 0xfffe
	s_delay_alu instid0(VALU_DEP_1) | instskip(SKIP_3) | instid1(VALU_DEP_1)
	v_fma_f64 v[73:74], v[71:72], v[73:74], s[14:15]
	s_mov_b32 s14, 11
	s_mov_b32 s15, 0x3fe00000
	s_wait_alu 0xfffe
	v_fma_f64 v[73:74], v[71:72], v[73:74], s[14:15]
	v_cmp_nlt_f64_e64 s14, 0x40900000, v[31:32]
	v_cmp_ngt_f64_e64 s15, 0xc090cc00, v[31:32]
	s_delay_alu instid0(VALU_DEP_3) | instskip(NEXT) | instid1(VALU_DEP_1)
	v_fma_f64 v[73:74], v[71:72], v[73:74], 1.0
	v_fma_f64 v[69:70], v[71:72], v[73:74], 1.0
	s_delay_alu instid0(VALU_DEP_1) | instskip(SKIP_1) | instid1(VALU_DEP_1)
	v_ldexp_f64 v[69:70], v[69:70], v75
	s_wait_alu 0xf1ff
	v_cndmask_b32_e64 v70, 0x7ff00000, v70, s14
	s_and_b32 s14, s15, s14
	s_wait_alu 0xfffe
	s_delay_alu instid0(VALU_DEP_2) | instskip(SKIP_3) | instid1(VALU_DEP_1)
	v_cndmask_b32_e64 v31, 0, v69, s14
	s_mov_b32 s14, 0x55555555
	v_cndmask_b32_e64 v32, 0, v70, s15
	s_mov_b32 s15, 0x3fe55555
	v_add_f64_e32 v[69:70], 1.0, v[31:32]
	v_cmp_ngt_f64_e64 s17, -1.0, v[31:32]
	s_delay_alu instid0(VALU_DEP_2) | instskip(SKIP_3) | instid1(VALU_DEP_3)
	v_frexp_mant_f64_e32 v[71:72], v[69:70]
	v_frexp_exp_i32_f64_e32 v75, v[69:70]
	v_add_f64_e32 v[73:74], -1.0, v[69:70]
	s_wait_alu 0xfffe
	v_cmp_gt_f64_e64 s14, s[14:15], v[71:72]
	s_delay_alu instid0(VALU_DEP_2) | instskip(SKIP_2) | instid1(VALU_DEP_3)
	v_add_f64_e64 v[71:72], v[73:74], -v[69:70]
	v_add_f64_e64 v[73:74], v[31:32], -v[73:74]
	s_wait_alu 0xf1ff
	v_subrev_co_ci_u32_e64 v109, null, 0, v75, s14
	s_delay_alu instid0(VALU_DEP_3) | instskip(SKIP_1) | instid1(VALU_DEP_2)
	v_add_f64_e32 v[71:72], 1.0, v[71:72]
	s_mov_b32 s14, 0x55555780
	v_sub_nc_u32_e32 v77, 0, v109
	s_delay_alu instid0(VALU_DEP_1) | instskip(NEXT) | instid1(VALU_DEP_3)
	v_ldexp_f64 v[69:70], v[69:70], v77
	v_add_f64_e32 v[71:72], v[73:74], v[71:72]
	s_delay_alu instid0(VALU_DEP_2) | instskip(SKIP_1) | instid1(VALU_DEP_3)
	v_add_f64_e32 v[75:76], 1.0, v[69:70]
	v_add_f64_e32 v[81:82], -1.0, v[69:70]
	v_ldexp_f64 v[71:72], v[71:72], v77
	s_delay_alu instid0(VALU_DEP_3) | instskip(NEXT) | instid1(VALU_DEP_3)
	v_add_f64_e32 v[73:74], -1.0, v[75:76]
	v_add_f64_e32 v[101:102], 1.0, v[81:82]
	s_delay_alu instid0(VALU_DEP_2) | instskip(NEXT) | instid1(VALU_DEP_2)
	v_add_f64_e64 v[73:74], v[69:70], -v[73:74]
	v_add_f64_e64 v[69:70], v[69:70], -v[101:102]
	s_delay_alu instid0(VALU_DEP_2) | instskip(NEXT) | instid1(VALU_DEP_2)
	v_add_f64_e32 v[73:74], v[71:72], v[73:74]
	v_add_f64_e32 v[69:70], v[71:72], v[69:70]
	s_delay_alu instid0(VALU_DEP_2) | instskip(NEXT) | instid1(VALU_DEP_2)
	v_add_f64_e32 v[77:78], v[75:76], v[73:74]
	v_add_f64_e32 v[101:102], v[81:82], v[69:70]
	s_delay_alu instid0(VALU_DEP_2) | instskip(SKIP_1) | instid1(VALU_DEP_2)
	v_rcp_f64_e32 v[79:80], v[77:78]
	v_add_f64_e64 v[75:76], v[77:78], -v[75:76]
	v_add_f64_e64 v[81:82], v[101:102], -v[81:82]
	s_delay_alu instid0(VALU_DEP_2) | instskip(NEXT) | instid1(TRANS32_DEP_1)
	v_add_f64_e64 v[73:74], v[73:74], -v[75:76]
	v_fma_f64 v[103:104], -v[77:78], v[79:80], 1.0
	s_delay_alu instid0(VALU_DEP_3) | instskip(NEXT) | instid1(VALU_DEP_2)
	v_add_f64_e64 v[69:70], v[69:70], -v[81:82]
	v_fma_f64 v[79:80], v[103:104], v[79:80], v[79:80]
	s_delay_alu instid0(VALU_DEP_1) | instskip(NEXT) | instid1(VALU_DEP_1)
	v_fma_f64 v[71:72], -v[77:78], v[79:80], 1.0
	v_fma_f64 v[71:72], v[71:72], v[79:80], v[79:80]
	s_delay_alu instid0(VALU_DEP_1) | instskip(NEXT) | instid1(VALU_DEP_1)
	v_mul_f64_e32 v[79:80], v[101:102], v[71:72]
	v_mul_f64_e32 v[103:104], v[77:78], v[79:80]
	s_delay_alu instid0(VALU_DEP_1) | instskip(NEXT) | instid1(VALU_DEP_1)
	v_fma_f64 v[75:76], v[79:80], v[77:78], -v[103:104]
	v_fma_f64 v[75:76], v[79:80], v[73:74], v[75:76]
	s_delay_alu instid0(VALU_DEP_1) | instskip(NEXT) | instid1(VALU_DEP_1)
	v_add_f64_e32 v[105:106], v[103:104], v[75:76]
	v_add_f64_e64 v[107:108], v[101:102], -v[105:106]
	v_add_f64_e64 v[81:82], v[105:106], -v[103:104]
	s_delay_alu instid0(VALU_DEP_2) | instskip(NEXT) | instid1(VALU_DEP_2)
	v_add_f64_e64 v[101:102], v[101:102], -v[107:108]
	v_add_f64_e64 v[75:76], v[81:82], -v[75:76]
	s_delay_alu instid0(VALU_DEP_2) | instskip(NEXT) | instid1(VALU_DEP_1)
	v_add_f64_e64 v[101:102], v[101:102], -v[105:106]
	v_add_f64_e32 v[69:70], v[69:70], v[101:102]
	s_delay_alu instid0(VALU_DEP_1) | instskip(NEXT) | instid1(VALU_DEP_1)
	v_add_f64_e32 v[69:70], v[75:76], v[69:70]
	v_add_f64_e32 v[75:76], v[107:108], v[69:70]
	s_delay_alu instid0(VALU_DEP_1) | instskip(SKIP_1) | instid1(VALU_DEP_2)
	v_mul_f64_e32 v[81:82], v[71:72], v[75:76]
	v_add_f64_e64 v[105:106], v[107:108], -v[75:76]
	v_mul_f64_e32 v[101:102], v[77:78], v[81:82]
	s_delay_alu instid0(VALU_DEP_2) | instskip(NEXT) | instid1(VALU_DEP_2)
	v_add_f64_e32 v[69:70], v[69:70], v[105:106]
	v_fma_f64 v[77:78], v[81:82], v[77:78], -v[101:102]
	s_delay_alu instid0(VALU_DEP_1) | instskip(NEXT) | instid1(VALU_DEP_1)
	v_fma_f64 v[73:74], v[81:82], v[73:74], v[77:78]
	v_add_f64_e32 v[77:78], v[101:102], v[73:74]
	s_delay_alu instid0(VALU_DEP_1) | instskip(SKIP_1) | instid1(VALU_DEP_2)
	v_add_f64_e64 v[103:104], v[75:76], -v[77:78]
	v_add_f64_e64 v[101:102], v[77:78], -v[101:102]
	;; [unrolled: 1-line block ×3, first 2 shown]
	s_delay_alu instid0(VALU_DEP_2) | instskip(NEXT) | instid1(VALU_DEP_2)
	v_add_f64_e64 v[73:74], v[101:102], -v[73:74]
	v_add_f64_e64 v[75:76], v[75:76], -v[77:78]
	s_delay_alu instid0(VALU_DEP_1) | instskip(SKIP_1) | instid1(VALU_DEP_2)
	v_add_f64_e32 v[69:70], v[69:70], v[75:76]
	v_add_f64_e32 v[75:76], v[79:80], v[81:82]
	;; [unrolled: 1-line block ×3, first 2 shown]
	s_delay_alu instid0(VALU_DEP_2) | instskip(NEXT) | instid1(VALU_DEP_2)
	v_add_f64_e64 v[73:74], v[75:76], -v[79:80]
	v_add_f64_e32 v[69:70], v[103:104], v[69:70]
	s_delay_alu instid0(VALU_DEP_2) | instskip(NEXT) | instid1(VALU_DEP_2)
	v_add_f64_e64 v[73:74], v[81:82], -v[73:74]
	v_mul_f64_e32 v[69:70], v[71:72], v[69:70]
	s_delay_alu instid0(VALU_DEP_1) | instskip(NEXT) | instid1(VALU_DEP_1)
	v_add_f64_e32 v[69:70], v[73:74], v[69:70]
	v_add_f64_e32 v[71:72], v[75:76], v[69:70]
	s_delay_alu instid0(VALU_DEP_1) | instskip(NEXT) | instid1(VALU_DEP_1)
	v_mul_f64_e32 v[73:74], v[71:72], v[71:72]
	v_fma_f64 v[77:78], v[73:74], s[42:43], s[28:29]
	s_mov_b32 s28, 0xd7f4df2e
	s_mov_b32 s29, 0x3fc7474d
	v_mul_f64_e32 v[79:80], v[71:72], v[73:74]
	s_wait_alu 0xfffe
	s_delay_alu instid0(VALU_DEP_2) | instskip(SKIP_3) | instid1(VALU_DEP_1)
	v_fma_f64 v[77:78], v[73:74], v[77:78], s[28:29]
	s_mov_b32 s28, 0x16291751
	s_mov_b32 s29, 0x3fcc71c0
	s_wait_alu 0xfffe
	v_fma_f64 v[77:78], v[73:74], v[77:78], s[28:29]
	s_mov_b32 s28, 0x9b27acf1
	s_mov_b32 s29, 0x3fd24924
	s_wait_alu 0xfffe
	s_delay_alu instid0(VALU_DEP_1) | instskip(SKIP_3) | instid1(VALU_DEP_1)
	v_fma_f64 v[77:78], v[73:74], v[77:78], s[28:29]
	s_mov_b32 s28, 0x998ef7b6
	s_mov_b32 s29, 0x3fd99999
	s_wait_alu 0xfffe
	v_fma_f64 v[77:78], v[73:74], v[77:78], s[28:29]
	s_delay_alu instid0(VALU_DEP_1)
	v_fma_f64 v[73:74], v[73:74], v[77:78], s[14:15]
	v_ldexp_f64 v[77:78], v[71:72], 1
	v_add_f64_e64 v[71:72], v[71:72], -v[75:76]
	v_cmp_nge_f64_e64 s14, -1.0, v[31:32]
	v_cmp_neq_f64_e64 s15, 0x7ff00000, v[31:32]
	v_mul_f64_e32 v[73:74], v[79:80], v[73:74]
	v_cvt_f64_i32_e32 v[79:80], v109
	v_add_f64_e64 v[69:70], v[69:70], -v[71:72]
	s_and_b32 s14, s14, s15
	s_delay_alu instid0(VALU_DEP_3) | instskip(NEXT) | instid1(VALU_DEP_3)
	v_add_f64_e32 v[75:76], v[77:78], v[73:74]
	v_mul_f64_e32 v[81:82], s[18:19], v[79:80]
	s_delay_alu instid0(VALU_DEP_3) | instskip(NEXT) | instid1(VALU_DEP_3)
	v_ldexp_f64 v[69:70], v[69:70], 1
	v_add_f64_e64 v[71:72], v[75:76], -v[77:78]
	s_delay_alu instid0(VALU_DEP_3) | instskip(NEXT) | instid1(VALU_DEP_2)
	v_fma_f64 v[77:78], v[79:80], s[18:19], -v[81:82]
	v_add_f64_e64 v[71:72], v[73:74], -v[71:72]
	s_delay_alu instid0(VALU_DEP_2) | instskip(NEXT) | instid1(VALU_DEP_2)
	v_fma_f64 v[73:74], v[79:80], s[20:21], v[77:78]
	v_add_f64_e32 v[69:70], v[69:70], v[71:72]
	s_delay_alu instid0(VALU_DEP_2) | instskip(NEXT) | instid1(VALU_DEP_2)
	v_add_f64_e32 v[71:72], v[81:82], v[73:74]
	v_add_f64_e32 v[77:78], v[75:76], v[69:70]
	s_delay_alu instid0(VALU_DEP_2) | instskip(NEXT) | instid1(VALU_DEP_2)
	v_add_f64_e64 v[81:82], v[71:72], -v[81:82]
	v_add_f64_e32 v[79:80], v[71:72], v[77:78]
	v_add_f64_e64 v[75:76], v[77:78], -v[75:76]
	s_delay_alu instid0(VALU_DEP_3) | instskip(NEXT) | instid1(VALU_DEP_3)
	v_add_f64_e64 v[73:74], v[73:74], -v[81:82]
	v_add_f64_e64 v[101:102], v[79:80], -v[71:72]
	s_delay_alu instid0(VALU_DEP_3) | instskip(NEXT) | instid1(VALU_DEP_2)
	v_add_f64_e64 v[69:70], v[69:70], -v[75:76]
	v_add_f64_e64 v[103:104], v[79:80], -v[101:102]
	;; [unrolled: 1-line block ×3, first 2 shown]
	s_delay_alu instid0(VALU_DEP_3) | instskip(NEXT) | instid1(VALU_DEP_3)
	v_add_f64_e32 v[77:78], v[73:74], v[69:70]
	v_add_f64_e64 v[71:72], v[71:72], -v[103:104]
	s_delay_alu instid0(VALU_DEP_1) | instskip(NEXT) | instid1(VALU_DEP_3)
	v_add_f64_e32 v[71:72], v[75:76], v[71:72]
	v_add_f64_e64 v[75:76], v[77:78], -v[73:74]
	s_delay_alu instid0(VALU_DEP_2) | instskip(NEXT) | instid1(VALU_DEP_2)
	v_add_f64_e32 v[71:72], v[77:78], v[71:72]
	v_add_f64_e64 v[77:78], v[77:78], -v[75:76]
	v_add_f64_e64 v[69:70], v[69:70], -v[75:76]
	s_delay_alu instid0(VALU_DEP_3) | instskip(NEXT) | instid1(VALU_DEP_3)
	v_add_f64_e32 v[81:82], v[79:80], v[71:72]
	v_add_f64_e64 v[73:74], v[73:74], -v[77:78]
	s_delay_alu instid0(VALU_DEP_2) | instskip(NEXT) | instid1(VALU_DEP_2)
	v_add_f64_e64 v[75:76], v[81:82], -v[79:80]
	v_add_f64_e32 v[69:70], v[69:70], v[73:74]
	s_delay_alu instid0(VALU_DEP_2) | instskip(NEXT) | instid1(VALU_DEP_1)
	v_add_f64_e64 v[71:72], v[71:72], -v[75:76]
	v_add_f64_e32 v[69:70], v[69:70], v[71:72]
	s_delay_alu instid0(VALU_DEP_1) | instskip(SKIP_1) | instid1(VALU_DEP_1)
	v_add_f64_e32 v[69:70], v[81:82], v[69:70]
	s_wait_alu 0xfffe
	v_cndmask_b32_e64 v69, 0, v69, s14
	v_cmp_neq_f64_e64 s14, -1.0, v[31:32]
	s_delay_alu instid0(VALU_DEP_3) | instskip(NEXT) | instid1(VALU_DEP_1)
	v_cndmask_b32_e64 v70, 0x7ff00000, v70, s15
	v_cndmask_b32_e64 v70, 0x7ff80000, v70, s17
	s_wait_alu 0xf1ff
	s_delay_alu instid0(VALU_DEP_1) | instskip(NEXT) | instid1(VALU_DEP_1)
	v_cndmask_b32_e64 v70, 0xfff00000, v70, s14
	v_add_f64_e32 v[69:70], v[29:30], v[69:70]
.LBB71_226:
	s_wait_alu 0xfffe
	s_or_b32 exec_lo, exec_lo, s24
	v_max_num_f64_e32 v[29:30], v[37:38], v[37:38]
	s_delay_alu instid0(VALU_DEP_2) | instskip(SKIP_2) | instid1(VALU_DEP_3)
	v_max_num_f64_e32 v[31:32], v[69:70], v[69:70]
	v_cmp_u_f64_e64 s15, v[69:70], v[69:70]
	v_cmp_u_f64_e64 s14, v[37:38], v[37:38]
	v_min_num_f64_e32 v[71:72], v[31:32], v[29:30]
	v_max_num_f64_e32 v[31:32], v[31:32], v[29:30]
	s_wait_alu 0xf1ff
	s_delay_alu instid0(VALU_DEP_2) | instskip(NEXT) | instid1(VALU_DEP_3)
	v_cndmask_b32_e64 v71, v71, v69, s15
	v_cndmask_b32_e64 v72, v72, v70, s15
	s_delay_alu instid0(VALU_DEP_3) | instskip(NEXT) | instid1(VALU_DEP_4)
	v_cndmask_b32_e64 v32, v32, v70, s15
	v_cndmask_b32_e64 v31, v31, v69, s15
	s_delay_alu instid0(VALU_DEP_4) | instskip(NEXT) | instid1(VALU_DEP_4)
	v_cndmask_b32_e64 v71, v71, v37, s14
	v_cndmask_b32_e64 v72, v72, v38, s14
	s_delay_alu instid0(VALU_DEP_4) | instskip(NEXT) | instid1(VALU_DEP_4)
	v_cndmask_b32_e64 v32, v32, v38, s14
	v_cndmask_b32_e64 v31, v31, v37, s14
	s_delay_alu instid0(VALU_DEP_3) | instskip(NEXT) | instid1(VALU_DEP_2)
	v_cmp_class_f64_e64 s17, v[71:72], 0x1f8
	v_cmp_neq_f64_e64 s15, v[71:72], v[31:32]
	s_or_b32 s15, s15, s17
	s_wait_alu 0xfffe
	s_and_saveexec_b32 s28, s15
	s_cbranch_execz .LBB71_228
; %bb.227:
	v_add_f64_e64 v[69:70], v[71:72], -v[31:32]
	s_mov_b32 s18, 0x652b82fe
	s_mov_b32 s19, 0x3ff71547
	;; [unrolled: 1-line block ×10, first 2 shown]
	s_wait_alu 0xfffe
	s_delay_alu instid0(VALU_DEP_1) | instskip(SKIP_4) | instid1(VALU_DEP_3)
	v_mul_f64_e32 v[71:72], s[18:19], v[69:70]
	s_mov_b32 s19, 0xbfe62e42
	s_mov_b32 s18, 0xfefa39ef
	v_cmp_nlt_f64_e64 s15, 0x40900000, v[69:70]
	v_cmp_ngt_f64_e64 s17, 0xc090cc00, v[69:70]
	v_rndne_f64_e32 v[71:72], v[71:72]
	s_wait_alu 0xfffe
	s_delay_alu instid0(VALU_DEP_1) | instskip(SKIP_2) | instid1(VALU_DEP_2)
	v_fma_f64 v[73:74], v[71:72], s[18:19], v[69:70]
	v_cvt_i32_f64_e32 v77, v[71:72]
	s_mov_b32 s19, 0x3fe62e42
	v_fma_f64 v[73:74], v[71:72], s[20:21], v[73:74]
	s_mov_b32 s21, 0x3c7abc9e
	s_delay_alu instid0(VALU_DEP_1)
	v_fma_f64 v[75:76], v[73:74], s[42:43], s[24:25]
	s_mov_b32 s24, 0x623fde64
	s_mov_b32 s25, 0x3ec71dee
	;; [unrolled: 1-line block ×4, first 2 shown]
	s_wait_alu 0xfffe
	s_delay_alu instid0(VALU_DEP_1) | instskip(SKIP_3) | instid1(VALU_DEP_1)
	v_fma_f64 v[75:76], v[73:74], v[75:76], s[24:25]
	s_mov_b32 s24, 0x7c89e6b0
	s_mov_b32 s25, 0x3efa0199
	s_wait_alu 0xfffe
	v_fma_f64 v[75:76], v[73:74], v[75:76], s[24:25]
	s_mov_b32 s24, 0x14761f6e
	s_mov_b32 s25, 0x3f2a01a0
	s_wait_alu 0xfffe
	s_delay_alu instid0(VALU_DEP_1) | instskip(SKIP_3) | instid1(VALU_DEP_1)
	v_fma_f64 v[75:76], v[73:74], v[75:76], s[24:25]
	s_mov_b32 s24, 0x1852b7b0
	s_mov_b32 s25, 0x3f56c16c
	s_wait_alu 0xfffe
	v_fma_f64 v[75:76], v[73:74], v[75:76], s[24:25]
	s_mov_b32 s24, 0x11122322
	s_mov_b32 s25, 0x3f811111
	;; [unrolled: 9-line block ×4, first 2 shown]
	s_delay_alu instid0(VALU_DEP_1) | instskip(NEXT) | instid1(VALU_DEP_1)
	v_fma_f64 v[75:76], v[73:74], v[75:76], 1.0
	v_fma_f64 v[71:72], v[73:74], v[75:76], 1.0
	s_delay_alu instid0(VALU_DEP_1) | instskip(SKIP_1) | instid1(VALU_DEP_1)
	v_ldexp_f64 v[71:72], v[71:72], v77
	s_wait_alu 0xf1ff
	v_cndmask_b32_e64 v72, 0x7ff00000, v72, s15
	s_and_b32 s15, s17, s15
	s_wait_alu 0xfffe
	s_delay_alu instid0(VALU_DEP_2) | instskip(NEXT) | instid1(VALU_DEP_2)
	v_cndmask_b32_e64 v69, 0, v71, s15
	v_cndmask_b32_e64 v70, 0, v72, s17
	s_delay_alu instid0(VALU_DEP_1) | instskip(SKIP_1) | instid1(VALU_DEP_2)
	v_add_f64_e32 v[71:72], 1.0, v[69:70]
	v_cmp_neq_f64_e64 s17, 0x7ff00000, v[69:70]
	v_frexp_mant_f64_e32 v[73:74], v[71:72]
	v_frexp_exp_i32_f64_e32 v77, v[71:72]
	v_add_f64_e32 v[75:76], -1.0, v[71:72]
	s_delay_alu instid0(VALU_DEP_3)
	v_cmp_gt_f64_e64 s15, s[24:25], v[73:74]
	s_mov_b32 s24, 0x55555780
	v_add_f64_e64 v[73:74], v[75:76], -v[71:72]
	v_add_f64_e64 v[75:76], v[69:70], -v[75:76]
	s_wait_alu 0xf1ff
	v_subrev_co_ci_u32_e64 v111, null, 0, v77, s15
	s_delay_alu instid0(VALU_DEP_3) | instskip(SKIP_1) | instid1(VALU_DEP_3)
	v_add_f64_e32 v[73:74], 1.0, v[73:74]
	v_cmp_nge_f64_e64 s15, -1.0, v[69:70]
	v_sub_nc_u32_e32 v79, 0, v111
	s_delay_alu instid0(VALU_DEP_1) | instskip(NEXT) | instid1(VALU_DEP_4)
	v_ldexp_f64 v[71:72], v[71:72], v79
	v_add_f64_e32 v[73:74], v[75:76], v[73:74]
	s_and_b32 s15, s15, s17
	s_delay_alu instid0(VALU_DEP_2) | instskip(SKIP_1) | instid1(VALU_DEP_3)
	v_add_f64_e32 v[77:78], 1.0, v[71:72]
	v_add_f64_e32 v[101:102], -1.0, v[71:72]
	v_ldexp_f64 v[73:74], v[73:74], v79
	s_delay_alu instid0(VALU_DEP_3) | instskip(NEXT) | instid1(VALU_DEP_3)
	v_add_f64_e32 v[75:76], -1.0, v[77:78]
	v_add_f64_e32 v[103:104], 1.0, v[101:102]
	s_delay_alu instid0(VALU_DEP_2) | instskip(NEXT) | instid1(VALU_DEP_2)
	v_add_f64_e64 v[75:76], v[71:72], -v[75:76]
	v_add_f64_e64 v[71:72], v[71:72], -v[103:104]
	s_delay_alu instid0(VALU_DEP_2) | instskip(NEXT) | instid1(VALU_DEP_2)
	v_add_f64_e32 v[75:76], v[73:74], v[75:76]
	v_add_f64_e32 v[71:72], v[73:74], v[71:72]
	s_delay_alu instid0(VALU_DEP_2) | instskip(NEXT) | instid1(VALU_DEP_2)
	v_add_f64_e32 v[79:80], v[77:78], v[75:76]
	v_add_f64_e32 v[103:104], v[101:102], v[71:72]
	s_delay_alu instid0(VALU_DEP_2) | instskip(SKIP_1) | instid1(VALU_DEP_2)
	v_rcp_f64_e32 v[81:82], v[79:80]
	v_add_f64_e64 v[77:78], v[79:80], -v[77:78]
	v_add_f64_e64 v[101:102], v[103:104], -v[101:102]
	s_delay_alu instid0(VALU_DEP_2) | instskip(NEXT) | instid1(TRANS32_DEP_1)
	v_add_f64_e64 v[75:76], v[75:76], -v[77:78]
	v_fma_f64 v[105:106], -v[79:80], v[81:82], 1.0
	s_delay_alu instid0(VALU_DEP_3) | instskip(NEXT) | instid1(VALU_DEP_2)
	v_add_f64_e64 v[71:72], v[71:72], -v[101:102]
	v_fma_f64 v[81:82], v[105:106], v[81:82], v[81:82]
	s_delay_alu instid0(VALU_DEP_1) | instskip(NEXT) | instid1(VALU_DEP_1)
	v_fma_f64 v[73:74], -v[79:80], v[81:82], 1.0
	v_fma_f64 v[73:74], v[73:74], v[81:82], v[81:82]
	s_delay_alu instid0(VALU_DEP_1) | instskip(NEXT) | instid1(VALU_DEP_1)
	v_mul_f64_e32 v[81:82], v[103:104], v[73:74]
	v_mul_f64_e32 v[105:106], v[79:80], v[81:82]
	s_delay_alu instid0(VALU_DEP_1) | instskip(NEXT) | instid1(VALU_DEP_1)
	v_fma_f64 v[77:78], v[81:82], v[79:80], -v[105:106]
	v_fma_f64 v[77:78], v[81:82], v[75:76], v[77:78]
	s_delay_alu instid0(VALU_DEP_1) | instskip(NEXT) | instid1(VALU_DEP_1)
	v_add_f64_e32 v[107:108], v[105:106], v[77:78]
	v_add_f64_e64 v[109:110], v[103:104], -v[107:108]
	v_add_f64_e64 v[101:102], v[107:108], -v[105:106]
	s_delay_alu instid0(VALU_DEP_2) | instskip(NEXT) | instid1(VALU_DEP_2)
	v_add_f64_e64 v[103:104], v[103:104], -v[109:110]
	v_add_f64_e64 v[77:78], v[101:102], -v[77:78]
	s_delay_alu instid0(VALU_DEP_2) | instskip(NEXT) | instid1(VALU_DEP_1)
	v_add_f64_e64 v[103:104], v[103:104], -v[107:108]
	v_add_f64_e32 v[71:72], v[71:72], v[103:104]
	s_delay_alu instid0(VALU_DEP_1) | instskip(NEXT) | instid1(VALU_DEP_1)
	v_add_f64_e32 v[71:72], v[77:78], v[71:72]
	v_add_f64_e32 v[77:78], v[109:110], v[71:72]
	s_delay_alu instid0(VALU_DEP_1) | instskip(SKIP_1) | instid1(VALU_DEP_2)
	v_mul_f64_e32 v[101:102], v[73:74], v[77:78]
	v_add_f64_e64 v[107:108], v[109:110], -v[77:78]
	v_mul_f64_e32 v[103:104], v[79:80], v[101:102]
	s_delay_alu instid0(VALU_DEP_2) | instskip(NEXT) | instid1(VALU_DEP_2)
	v_add_f64_e32 v[71:72], v[71:72], v[107:108]
	v_fma_f64 v[79:80], v[101:102], v[79:80], -v[103:104]
	s_delay_alu instid0(VALU_DEP_1) | instskip(NEXT) | instid1(VALU_DEP_1)
	v_fma_f64 v[75:76], v[101:102], v[75:76], v[79:80]
	v_add_f64_e32 v[79:80], v[103:104], v[75:76]
	s_delay_alu instid0(VALU_DEP_1) | instskip(SKIP_1) | instid1(VALU_DEP_2)
	v_add_f64_e64 v[105:106], v[77:78], -v[79:80]
	v_add_f64_e64 v[103:104], v[79:80], -v[103:104]
	;; [unrolled: 1-line block ×3, first 2 shown]
	s_delay_alu instid0(VALU_DEP_2) | instskip(NEXT) | instid1(VALU_DEP_2)
	v_add_f64_e64 v[75:76], v[103:104], -v[75:76]
	v_add_f64_e64 v[77:78], v[77:78], -v[79:80]
	s_delay_alu instid0(VALU_DEP_1) | instskip(SKIP_1) | instid1(VALU_DEP_2)
	v_add_f64_e32 v[71:72], v[71:72], v[77:78]
	v_add_f64_e32 v[77:78], v[81:82], v[101:102]
	;; [unrolled: 1-line block ×3, first 2 shown]
	s_delay_alu instid0(VALU_DEP_2) | instskip(NEXT) | instid1(VALU_DEP_2)
	v_add_f64_e64 v[75:76], v[77:78], -v[81:82]
	v_add_f64_e32 v[71:72], v[105:106], v[71:72]
	s_delay_alu instid0(VALU_DEP_2) | instskip(NEXT) | instid1(VALU_DEP_2)
	v_add_f64_e64 v[75:76], v[101:102], -v[75:76]
	v_mul_f64_e32 v[71:72], v[73:74], v[71:72]
	s_delay_alu instid0(VALU_DEP_1) | instskip(NEXT) | instid1(VALU_DEP_1)
	v_add_f64_e32 v[71:72], v[75:76], v[71:72]
	v_add_f64_e32 v[73:74], v[77:78], v[71:72]
	s_delay_alu instid0(VALU_DEP_1) | instskip(NEXT) | instid1(VALU_DEP_1)
	v_mul_f64_e32 v[75:76], v[73:74], v[73:74]
	v_fma_f64 v[79:80], v[75:76], s[44:45], s[42:43]
	s_mov_b32 s42, 0xd7f4df2e
	s_mov_b32 s43, 0x3fc7474d
	v_mul_f64_e32 v[81:82], v[73:74], v[75:76]
	s_wait_alu 0xfffe
	s_delay_alu instid0(VALU_DEP_2) | instskip(SKIP_3) | instid1(VALU_DEP_1)
	v_fma_f64 v[79:80], v[75:76], v[79:80], s[42:43]
	s_mov_b32 s42, 0x16291751
	s_mov_b32 s43, 0x3fcc71c0
	s_wait_alu 0xfffe
	v_fma_f64 v[79:80], v[75:76], v[79:80], s[42:43]
	s_mov_b32 s42, 0x9b27acf1
	s_mov_b32 s43, 0x3fd24924
	s_wait_alu 0xfffe
	s_delay_alu instid0(VALU_DEP_1) | instskip(SKIP_3) | instid1(VALU_DEP_1)
	v_fma_f64 v[79:80], v[75:76], v[79:80], s[42:43]
	s_mov_b32 s42, 0x998ef7b6
	s_mov_b32 s43, 0x3fd99999
	s_wait_alu 0xfffe
	v_fma_f64 v[79:80], v[75:76], v[79:80], s[42:43]
	s_delay_alu instid0(VALU_DEP_1) | instskip(SKIP_2) | instid1(VALU_DEP_3)
	v_fma_f64 v[75:76], v[75:76], v[79:80], s[24:25]
	v_ldexp_f64 v[79:80], v[73:74], 1
	v_add_f64_e64 v[73:74], v[73:74], -v[77:78]
	v_mul_f64_e32 v[75:76], v[81:82], v[75:76]
	v_cvt_f64_i32_e32 v[81:82], v111
	s_delay_alu instid0(VALU_DEP_3) | instskip(NEXT) | instid1(VALU_DEP_3)
	v_add_f64_e64 v[71:72], v[71:72], -v[73:74]
	v_add_f64_e32 v[77:78], v[79:80], v[75:76]
	s_delay_alu instid0(VALU_DEP_3) | instskip(NEXT) | instid1(VALU_DEP_3)
	v_mul_f64_e32 v[101:102], s[18:19], v[81:82]
	v_ldexp_f64 v[71:72], v[71:72], 1
	s_delay_alu instid0(VALU_DEP_3) | instskip(NEXT) | instid1(VALU_DEP_3)
	v_add_f64_e64 v[73:74], v[77:78], -v[79:80]
	v_fma_f64 v[79:80], v[81:82], s[18:19], -v[101:102]
	v_cmp_ngt_f64_e64 s18, -1.0, v[69:70]
	s_delay_alu instid0(VALU_DEP_3) | instskip(NEXT) | instid1(VALU_DEP_3)
	v_add_f64_e64 v[73:74], v[75:76], -v[73:74]
	v_fma_f64 v[75:76], v[81:82], s[20:21], v[79:80]
	s_delay_alu instid0(VALU_DEP_2) | instskip(NEXT) | instid1(VALU_DEP_2)
	v_add_f64_e32 v[71:72], v[71:72], v[73:74]
	v_add_f64_e32 v[73:74], v[101:102], v[75:76]
	s_delay_alu instid0(VALU_DEP_2) | instskip(NEXT) | instid1(VALU_DEP_2)
	v_add_f64_e32 v[79:80], v[77:78], v[71:72]
	v_add_f64_e64 v[101:102], v[73:74], -v[101:102]
	s_delay_alu instid0(VALU_DEP_2) | instskip(SKIP_1) | instid1(VALU_DEP_3)
	v_add_f64_e32 v[81:82], v[73:74], v[79:80]
	v_add_f64_e64 v[77:78], v[79:80], -v[77:78]
	v_add_f64_e64 v[75:76], v[75:76], -v[101:102]
	s_delay_alu instid0(VALU_DEP_3) | instskip(NEXT) | instid1(VALU_DEP_3)
	v_add_f64_e64 v[103:104], v[81:82], -v[73:74]
	v_add_f64_e64 v[71:72], v[71:72], -v[77:78]
	s_delay_alu instid0(VALU_DEP_2) | instskip(SKIP_1) | instid1(VALU_DEP_3)
	v_add_f64_e64 v[105:106], v[81:82], -v[103:104]
	v_add_f64_e64 v[77:78], v[79:80], -v[103:104]
	v_add_f64_e32 v[79:80], v[75:76], v[71:72]
	s_delay_alu instid0(VALU_DEP_3) | instskip(NEXT) | instid1(VALU_DEP_1)
	v_add_f64_e64 v[73:74], v[73:74], -v[105:106]
	v_add_f64_e32 v[73:74], v[77:78], v[73:74]
	s_delay_alu instid0(VALU_DEP_3) | instskip(NEXT) | instid1(VALU_DEP_2)
	v_add_f64_e64 v[77:78], v[79:80], -v[75:76]
	v_add_f64_e32 v[73:74], v[79:80], v[73:74]
	s_delay_alu instid0(VALU_DEP_2) | instskip(SKIP_1) | instid1(VALU_DEP_3)
	v_add_f64_e64 v[79:80], v[79:80], -v[77:78]
	v_add_f64_e64 v[71:72], v[71:72], -v[77:78]
	v_add_f64_e32 v[101:102], v[81:82], v[73:74]
	s_delay_alu instid0(VALU_DEP_3) | instskip(NEXT) | instid1(VALU_DEP_2)
	v_add_f64_e64 v[75:76], v[75:76], -v[79:80]
	v_add_f64_e64 v[77:78], v[101:102], -v[81:82]
	s_delay_alu instid0(VALU_DEP_2) | instskip(NEXT) | instid1(VALU_DEP_2)
	v_add_f64_e32 v[71:72], v[71:72], v[75:76]
	v_add_f64_e64 v[73:74], v[73:74], -v[77:78]
	s_delay_alu instid0(VALU_DEP_1) | instskip(NEXT) | instid1(VALU_DEP_1)
	v_add_f64_e32 v[71:72], v[71:72], v[73:74]
	v_add_f64_e32 v[71:72], v[101:102], v[71:72]
	s_delay_alu instid0(VALU_DEP_1) | instskip(SKIP_1) | instid1(VALU_DEP_3)
	v_cndmask_b32_e64 v71, 0, v71, s15
	v_cmp_neq_f64_e64 s15, -1.0, v[69:70]
	v_cndmask_b32_e64 v72, 0x7ff00000, v72, s17
	s_wait_alu 0xf1ff
	s_delay_alu instid0(VALU_DEP_1) | instskip(NEXT) | instid1(VALU_DEP_1)
	v_cndmask_b32_e64 v72, 0x7ff80000, v72, s18
	v_cndmask_b32_e64 v72, 0xfff00000, v72, s15
	s_delay_alu instid0(VALU_DEP_1)
	v_add_f64_e32 v[69:70], v[31:32], v[71:72]
.LBB71_228:
	s_wait_alu 0xfffe
	s_or_b32 exec_lo, exec_lo, s28
	v_max_num_f64_e32 v[31:32], v[39:40], v[39:40]
	s_delay_alu instid0(VALU_DEP_2) | instskip(SKIP_2) | instid1(VALU_DEP_3)
	v_max_num_f64_e32 v[71:72], v[69:70], v[69:70]
	v_cmp_u_f64_e64 s17, v[69:70], v[69:70]
	v_cmp_u_f64_e64 s15, v[39:40], v[39:40]
	v_min_num_f64_e32 v[73:74], v[71:72], v[31:32]
	v_max_num_f64_e32 v[71:72], v[71:72], v[31:32]
	s_wait_alu 0xf1ff
	s_delay_alu instid0(VALU_DEP_2) | instskip(NEXT) | instid1(VALU_DEP_3)
	v_cndmask_b32_e64 v73, v73, v69, s17
	v_cndmask_b32_e64 v74, v74, v70, s17
	s_delay_alu instid0(VALU_DEP_3) | instskip(NEXT) | instid1(VALU_DEP_4)
	v_cndmask_b32_e64 v72, v72, v70, s17
	v_cndmask_b32_e64 v71, v71, v69, s17
	s_delay_alu instid0(VALU_DEP_4) | instskip(NEXT) | instid1(VALU_DEP_4)
	v_cndmask_b32_e64 v73, v73, v39, s15
	v_cndmask_b32_e64 v74, v74, v40, s15
	s_delay_alu instid0(VALU_DEP_4) | instskip(NEXT) | instid1(VALU_DEP_4)
	v_cndmask_b32_e64 v72, v72, v40, s15
	v_cndmask_b32_e64 v71, v71, v39, s15
	s_delay_alu instid0(VALU_DEP_3) | instskip(NEXT) | instid1(VALU_DEP_2)
	v_cmp_class_f64_e64 s18, v[73:74], 0x1f8
	v_cmp_neq_f64_e64 s17, v[73:74], v[71:72]
	s_or_b32 s17, s17, s18
	s_wait_alu 0xfffe
	s_and_saveexec_b32 s28, s17
	s_cbranch_execz .LBB71_230
; %bb.229:
	v_add_f64_e64 v[69:70], v[73:74], -v[71:72]
	s_mov_b32 s18, 0x652b82fe
	s_mov_b32 s19, 0x3ff71547
	;; [unrolled: 1-line block ×10, first 2 shown]
	s_wait_alu 0xfffe
	s_delay_alu instid0(VALU_DEP_1) | instskip(SKIP_3) | instid1(VALU_DEP_2)
	v_mul_f64_e32 v[73:74], s[18:19], v[69:70]
	s_mov_b32 s18, 0xfca7ab0c
	s_mov_b32 s19, 0x3e928af3
	v_cmp_nlt_f64_e64 s17, 0x40900000, v[69:70]
	v_rndne_f64_e32 v[73:74], v[73:74]
	s_delay_alu instid0(VALU_DEP_1) | instskip(SKIP_2) | instid1(VALU_DEP_2)
	v_fma_f64 v[75:76], v[73:74], s[20:21], v[69:70]
	v_cvt_i32_f64_e32 v79, v[73:74]
	s_mov_b32 s21, 0x3fe62e42
	v_fma_f64 v[75:76], v[73:74], s[24:25], v[75:76]
	s_mov_b32 s25, 0x3c7abc9e
	s_wait_alu 0xfffe
	s_delay_alu instid0(VALU_DEP_1)
	v_fma_f64 v[77:78], v[75:76], s[42:43], s[18:19]
	s_mov_b32 s18, 0x623fde64
	s_mov_b32 s19, 0x3ec71dee
	;; [unrolled: 1-line block ×4, first 2 shown]
	s_wait_alu 0xfffe
	s_delay_alu instid0(VALU_DEP_1) | instskip(SKIP_3) | instid1(VALU_DEP_1)
	v_fma_f64 v[77:78], v[75:76], v[77:78], s[18:19]
	s_mov_b32 s18, 0x7c89e6b0
	s_mov_b32 s19, 0x3efa0199
	s_wait_alu 0xfffe
	v_fma_f64 v[77:78], v[75:76], v[77:78], s[18:19]
	s_mov_b32 s18, 0x14761f6e
	s_mov_b32 s19, 0x3f2a01a0
	s_wait_alu 0xfffe
	s_delay_alu instid0(VALU_DEP_1) | instskip(SKIP_3) | instid1(VALU_DEP_1)
	v_fma_f64 v[77:78], v[75:76], v[77:78], s[18:19]
	s_mov_b32 s18, 0x1852b7b0
	s_mov_b32 s19, 0x3f56c16c
	s_wait_alu 0xfffe
	v_fma_f64 v[77:78], v[75:76], v[77:78], s[18:19]
	s_mov_b32 s18, 0x11122322
	s_mov_b32 s19, 0x3f811111
	;; [unrolled: 9-line block ×3, first 2 shown]
	s_wait_alu 0xfffe
	s_delay_alu instid0(VALU_DEP_1) | instskip(SKIP_3) | instid1(VALU_DEP_1)
	v_fma_f64 v[77:78], v[75:76], v[77:78], s[18:19]
	s_mov_b32 s18, 11
	s_mov_b32 s19, 0x3fe00000
	s_wait_alu 0xfffe
	v_fma_f64 v[77:78], v[75:76], v[77:78], s[18:19]
	v_cmp_ngt_f64_e64 s18, 0xc090cc00, v[69:70]
	s_mov_b32 s19, 0x3fe55555
	v_fma_f64 v[77:78], v[75:76], v[77:78], 1.0
	s_delay_alu instid0(VALU_DEP_1) | instskip(NEXT) | instid1(VALU_DEP_1)
	v_fma_f64 v[73:74], v[75:76], v[77:78], 1.0
	v_ldexp_f64 v[73:74], v[73:74], v79
	s_wait_alu 0xf1ff
	s_delay_alu instid0(VALU_DEP_1) | instskip(SKIP_2) | instid1(VALU_DEP_2)
	v_cndmask_b32_e64 v74, 0x7ff00000, v74, s17
	s_and_b32 s17, s18, s17
	s_wait_alu 0xfffe
	v_cndmask_b32_e64 v69, 0, v73, s17
	s_delay_alu instid0(VALU_DEP_2) | instskip(SKIP_1) | instid1(VALU_DEP_1)
	v_cndmask_b32_e64 v70, 0, v74, s18
	s_mov_b32 s18, 0x55555555
	v_add_f64_e32 v[73:74], 1.0, v[69:70]
	s_delay_alu instid0(VALU_DEP_1) | instskip(SKIP_3) | instid1(VALU_DEP_3)
	v_frexp_mant_f64_e32 v[75:76], v[73:74]
	v_frexp_exp_i32_f64_e32 v79, v[73:74]
	v_add_f64_e32 v[77:78], -1.0, v[73:74]
	s_wait_alu 0xfffe
	v_cmp_gt_f64_e64 s17, s[18:19], v[75:76]
	s_mov_b32 s18, 0x55555780
	v_add_f64_e64 v[75:76], v[77:78], -v[73:74]
	v_add_f64_e64 v[77:78], v[69:70], -v[77:78]
	s_wait_alu 0xf1ff
	v_subrev_co_ci_u32_e64 v113, null, 0, v79, s17
	s_delay_alu instid0(VALU_DEP_3) | instskip(SKIP_1) | instid1(VALU_DEP_3)
	v_add_f64_e32 v[75:76], 1.0, v[75:76]
	v_cmp_nge_f64_e64 s17, -1.0, v[69:70]
	v_sub_nc_u32_e32 v81, 0, v113
	s_delay_alu instid0(VALU_DEP_1) | instskip(NEXT) | instid1(VALU_DEP_4)
	v_ldexp_f64 v[73:74], v[73:74], v81
	v_add_f64_e32 v[75:76], v[77:78], v[75:76]
	s_delay_alu instid0(VALU_DEP_2) | instskip(SKIP_1) | instid1(VALU_DEP_3)
	v_add_f64_e32 v[79:80], 1.0, v[73:74]
	v_add_f64_e32 v[103:104], -1.0, v[73:74]
	v_ldexp_f64 v[75:76], v[75:76], v81
	s_delay_alu instid0(VALU_DEP_3) | instskip(NEXT) | instid1(VALU_DEP_3)
	v_add_f64_e32 v[77:78], -1.0, v[79:80]
	v_add_f64_e32 v[105:106], 1.0, v[103:104]
	s_delay_alu instid0(VALU_DEP_2) | instskip(NEXT) | instid1(VALU_DEP_2)
	v_add_f64_e64 v[77:78], v[73:74], -v[77:78]
	v_add_f64_e64 v[73:74], v[73:74], -v[105:106]
	s_delay_alu instid0(VALU_DEP_2) | instskip(NEXT) | instid1(VALU_DEP_2)
	v_add_f64_e32 v[77:78], v[75:76], v[77:78]
	v_add_f64_e32 v[73:74], v[75:76], v[73:74]
	s_delay_alu instid0(VALU_DEP_2) | instskip(NEXT) | instid1(VALU_DEP_2)
	v_add_f64_e32 v[81:82], v[79:80], v[77:78]
	v_add_f64_e32 v[105:106], v[103:104], v[73:74]
	s_delay_alu instid0(VALU_DEP_2) | instskip(SKIP_1) | instid1(VALU_DEP_2)
	v_rcp_f64_e32 v[101:102], v[81:82]
	v_add_f64_e64 v[79:80], v[81:82], -v[79:80]
	v_add_f64_e64 v[103:104], v[105:106], -v[103:104]
	s_delay_alu instid0(VALU_DEP_2) | instskip(NEXT) | instid1(TRANS32_DEP_1)
	v_add_f64_e64 v[77:78], v[77:78], -v[79:80]
	v_fma_f64 v[107:108], -v[81:82], v[101:102], 1.0
	s_delay_alu instid0(VALU_DEP_3) | instskip(NEXT) | instid1(VALU_DEP_2)
	v_add_f64_e64 v[73:74], v[73:74], -v[103:104]
	v_fma_f64 v[101:102], v[107:108], v[101:102], v[101:102]
	s_delay_alu instid0(VALU_DEP_1) | instskip(NEXT) | instid1(VALU_DEP_1)
	v_fma_f64 v[75:76], -v[81:82], v[101:102], 1.0
	v_fma_f64 v[75:76], v[75:76], v[101:102], v[101:102]
	s_delay_alu instid0(VALU_DEP_1) | instskip(NEXT) | instid1(VALU_DEP_1)
	v_mul_f64_e32 v[101:102], v[105:106], v[75:76]
	v_mul_f64_e32 v[107:108], v[81:82], v[101:102]
	s_delay_alu instid0(VALU_DEP_1) | instskip(NEXT) | instid1(VALU_DEP_1)
	v_fma_f64 v[79:80], v[101:102], v[81:82], -v[107:108]
	v_fma_f64 v[79:80], v[101:102], v[77:78], v[79:80]
	s_delay_alu instid0(VALU_DEP_1) | instskip(NEXT) | instid1(VALU_DEP_1)
	v_add_f64_e32 v[109:110], v[107:108], v[79:80]
	v_add_f64_e64 v[111:112], v[105:106], -v[109:110]
	v_add_f64_e64 v[103:104], v[109:110], -v[107:108]
	s_delay_alu instid0(VALU_DEP_2) | instskip(NEXT) | instid1(VALU_DEP_2)
	v_add_f64_e64 v[105:106], v[105:106], -v[111:112]
	v_add_f64_e64 v[79:80], v[103:104], -v[79:80]
	s_delay_alu instid0(VALU_DEP_2) | instskip(NEXT) | instid1(VALU_DEP_1)
	v_add_f64_e64 v[105:106], v[105:106], -v[109:110]
	v_add_f64_e32 v[73:74], v[73:74], v[105:106]
	s_delay_alu instid0(VALU_DEP_1) | instskip(NEXT) | instid1(VALU_DEP_1)
	v_add_f64_e32 v[73:74], v[79:80], v[73:74]
	v_add_f64_e32 v[79:80], v[111:112], v[73:74]
	s_delay_alu instid0(VALU_DEP_1) | instskip(SKIP_1) | instid1(VALU_DEP_2)
	v_mul_f64_e32 v[103:104], v[75:76], v[79:80]
	v_add_f64_e64 v[109:110], v[111:112], -v[79:80]
	v_mul_f64_e32 v[105:106], v[81:82], v[103:104]
	s_delay_alu instid0(VALU_DEP_2) | instskip(NEXT) | instid1(VALU_DEP_2)
	v_add_f64_e32 v[73:74], v[73:74], v[109:110]
	v_fma_f64 v[81:82], v[103:104], v[81:82], -v[105:106]
	s_delay_alu instid0(VALU_DEP_1) | instskip(NEXT) | instid1(VALU_DEP_1)
	v_fma_f64 v[77:78], v[103:104], v[77:78], v[81:82]
	v_add_f64_e32 v[81:82], v[105:106], v[77:78]
	s_delay_alu instid0(VALU_DEP_1) | instskip(SKIP_1) | instid1(VALU_DEP_2)
	v_add_f64_e64 v[107:108], v[79:80], -v[81:82]
	v_add_f64_e64 v[105:106], v[81:82], -v[105:106]
	;; [unrolled: 1-line block ×3, first 2 shown]
	s_delay_alu instid0(VALU_DEP_2) | instskip(NEXT) | instid1(VALU_DEP_2)
	v_add_f64_e64 v[77:78], v[105:106], -v[77:78]
	v_add_f64_e64 v[79:80], v[79:80], -v[81:82]
	s_delay_alu instid0(VALU_DEP_1) | instskip(SKIP_1) | instid1(VALU_DEP_2)
	v_add_f64_e32 v[73:74], v[73:74], v[79:80]
	v_add_f64_e32 v[79:80], v[101:102], v[103:104]
	;; [unrolled: 1-line block ×3, first 2 shown]
	s_delay_alu instid0(VALU_DEP_2) | instskip(NEXT) | instid1(VALU_DEP_2)
	v_add_f64_e64 v[77:78], v[79:80], -v[101:102]
	v_add_f64_e32 v[73:74], v[107:108], v[73:74]
	s_delay_alu instid0(VALU_DEP_2) | instskip(NEXT) | instid1(VALU_DEP_2)
	v_add_f64_e64 v[77:78], v[103:104], -v[77:78]
	v_mul_f64_e32 v[73:74], v[75:76], v[73:74]
	s_delay_alu instid0(VALU_DEP_1) | instskip(NEXT) | instid1(VALU_DEP_1)
	v_add_f64_e32 v[73:74], v[77:78], v[73:74]
	v_add_f64_e32 v[75:76], v[79:80], v[73:74]
	s_delay_alu instid0(VALU_DEP_1) | instskip(NEXT) | instid1(VALU_DEP_1)
	v_mul_f64_e32 v[77:78], v[75:76], v[75:76]
	v_fma_f64 v[81:82], v[77:78], s[44:45], s[42:43]
	s_mov_b32 s42, 0xd7f4df2e
	s_mov_b32 s43, 0x3fc7474d
	v_mul_f64_e32 v[101:102], v[75:76], v[77:78]
	s_wait_alu 0xfffe
	s_delay_alu instid0(VALU_DEP_2) | instskip(SKIP_3) | instid1(VALU_DEP_1)
	v_fma_f64 v[81:82], v[77:78], v[81:82], s[42:43]
	s_mov_b32 s42, 0x16291751
	s_mov_b32 s43, 0x3fcc71c0
	s_wait_alu 0xfffe
	v_fma_f64 v[81:82], v[77:78], v[81:82], s[42:43]
	s_mov_b32 s42, 0x9b27acf1
	s_mov_b32 s43, 0x3fd24924
	s_wait_alu 0xfffe
	s_delay_alu instid0(VALU_DEP_1) | instskip(SKIP_3) | instid1(VALU_DEP_1)
	v_fma_f64 v[81:82], v[77:78], v[81:82], s[42:43]
	s_mov_b32 s42, 0x998ef7b6
	s_mov_b32 s43, 0x3fd99999
	s_wait_alu 0xfffe
	v_fma_f64 v[81:82], v[77:78], v[81:82], s[42:43]
	s_delay_alu instid0(VALU_DEP_1)
	v_fma_f64 v[77:78], v[77:78], v[81:82], s[18:19]
	v_ldexp_f64 v[81:82], v[75:76], 1
	v_add_f64_e64 v[75:76], v[75:76], -v[79:80]
	v_cmp_neq_f64_e64 s18, 0x7ff00000, v[69:70]
	v_cmp_ngt_f64_e64 s19, -1.0, v[69:70]
	v_mul_f64_e32 v[77:78], v[101:102], v[77:78]
	v_cvt_f64_i32_e32 v[101:102], v113
	v_add_f64_e64 v[73:74], v[73:74], -v[75:76]
	s_and_b32 s17, s17, s18
	s_delay_alu instid0(VALU_DEP_3) | instskip(NEXT) | instid1(VALU_DEP_3)
	v_add_f64_e32 v[79:80], v[81:82], v[77:78]
	v_mul_f64_e32 v[103:104], s[20:21], v[101:102]
	s_delay_alu instid0(VALU_DEP_3) | instskip(NEXT) | instid1(VALU_DEP_3)
	v_ldexp_f64 v[73:74], v[73:74], 1
	v_add_f64_e64 v[75:76], v[79:80], -v[81:82]
	s_delay_alu instid0(VALU_DEP_3) | instskip(NEXT) | instid1(VALU_DEP_2)
	v_fma_f64 v[81:82], v[101:102], s[20:21], -v[103:104]
	v_add_f64_e64 v[75:76], v[77:78], -v[75:76]
	s_delay_alu instid0(VALU_DEP_2) | instskip(NEXT) | instid1(VALU_DEP_2)
	v_fma_f64 v[77:78], v[101:102], s[24:25], v[81:82]
	v_add_f64_e32 v[73:74], v[73:74], v[75:76]
	s_delay_alu instid0(VALU_DEP_2) | instskip(NEXT) | instid1(VALU_DEP_2)
	v_add_f64_e32 v[75:76], v[103:104], v[77:78]
	v_add_f64_e32 v[81:82], v[79:80], v[73:74]
	s_delay_alu instid0(VALU_DEP_2) | instskip(NEXT) | instid1(VALU_DEP_2)
	v_add_f64_e64 v[103:104], v[75:76], -v[103:104]
	v_add_f64_e32 v[101:102], v[75:76], v[81:82]
	v_add_f64_e64 v[79:80], v[81:82], -v[79:80]
	s_delay_alu instid0(VALU_DEP_3) | instskip(NEXT) | instid1(VALU_DEP_3)
	v_add_f64_e64 v[77:78], v[77:78], -v[103:104]
	v_add_f64_e64 v[105:106], v[101:102], -v[75:76]
	s_delay_alu instid0(VALU_DEP_3) | instskip(NEXT) | instid1(VALU_DEP_2)
	v_add_f64_e64 v[73:74], v[73:74], -v[79:80]
	v_add_f64_e64 v[107:108], v[101:102], -v[105:106]
	v_add_f64_e64 v[79:80], v[81:82], -v[105:106]
	s_delay_alu instid0(VALU_DEP_3) | instskip(NEXT) | instid1(VALU_DEP_3)
	v_add_f64_e32 v[81:82], v[77:78], v[73:74]
	v_add_f64_e64 v[75:76], v[75:76], -v[107:108]
	s_delay_alu instid0(VALU_DEP_1) | instskip(NEXT) | instid1(VALU_DEP_3)
	v_add_f64_e32 v[75:76], v[79:80], v[75:76]
	v_add_f64_e64 v[79:80], v[81:82], -v[77:78]
	s_delay_alu instid0(VALU_DEP_2) | instskip(NEXT) | instid1(VALU_DEP_2)
	v_add_f64_e32 v[75:76], v[81:82], v[75:76]
	v_add_f64_e64 v[81:82], v[81:82], -v[79:80]
	v_add_f64_e64 v[73:74], v[73:74], -v[79:80]
	s_delay_alu instid0(VALU_DEP_3) | instskip(NEXT) | instid1(VALU_DEP_3)
	v_add_f64_e32 v[103:104], v[101:102], v[75:76]
	v_add_f64_e64 v[77:78], v[77:78], -v[81:82]
	s_delay_alu instid0(VALU_DEP_2) | instskip(NEXT) | instid1(VALU_DEP_2)
	v_add_f64_e64 v[79:80], v[103:104], -v[101:102]
	v_add_f64_e32 v[73:74], v[73:74], v[77:78]
	s_delay_alu instid0(VALU_DEP_2) | instskip(NEXT) | instid1(VALU_DEP_1)
	v_add_f64_e64 v[75:76], v[75:76], -v[79:80]
	v_add_f64_e32 v[73:74], v[73:74], v[75:76]
	s_delay_alu instid0(VALU_DEP_1) | instskip(SKIP_1) | instid1(VALU_DEP_1)
	v_add_f64_e32 v[73:74], v[103:104], v[73:74]
	s_wait_alu 0xfffe
	v_cndmask_b32_e64 v73, 0, v73, s17
	v_cmp_neq_f64_e64 s17, -1.0, v[69:70]
	s_delay_alu instid0(VALU_DEP_3) | instskip(NEXT) | instid1(VALU_DEP_1)
	v_cndmask_b32_e64 v74, 0x7ff00000, v74, s18
	v_cndmask_b32_e64 v74, 0x7ff80000, v74, s19
	s_wait_alu 0xf1ff
	s_delay_alu instid0(VALU_DEP_1) | instskip(NEXT) | instid1(VALU_DEP_1)
	v_cndmask_b32_e64 v74, 0xfff00000, v74, s17
	v_add_f64_e32 v[69:70], v[71:72], v[73:74]
.LBB71_230:
	s_wait_alu 0xfffe
	s_or_b32 exec_lo, exec_lo, s28
	v_mbcnt_lo_u32_b32 v77, -1, 0
	s_delay_alu instid0(VALU_DEP_2) | instskip(NEXT) | instid1(VALU_DEP_3)
	v_mov_b32_dpp v71, v69 row_shr:1 row_mask:0xf bank_mask:0xf
	v_mov_b32_dpp v72, v70 row_shr:1 row_mask:0xf bank_mask:0xf
	v_mov_b32_e32 v73, v69
	s_mov_b32 s28, exec_lo
	v_dual_mov_b32 v74, v70 :: v_dual_and_b32 v75, 15, v77
	s_delay_alu instid0(VALU_DEP_1)
	v_cmpx_ne_u32_e32 0, v75
	s_cbranch_execz .LBB71_234
; %bb.231:
	v_max_num_f64_e32 v[73:74], v[71:72], v[71:72]
	v_max_num_f64_e32 v[78:79], v[69:70], v[69:70]
	v_cmp_u_f64_e64 s17, v[71:72], v[71:72]
	v_cmp_u_f64_e64 s18, v[69:70], v[69:70]
	s_delay_alu instid0(VALU_DEP_3) | instskip(SKIP_2) | instid1(VALU_DEP_2)
	v_min_num_f64_e32 v[80:81], v[73:74], v[78:79]
	v_max_num_f64_e32 v[73:74], v[73:74], v[78:79]
	s_wait_alu 0xf1ff
	v_cndmask_b32_e64 v76, v81, v72, s17
	s_delay_alu instid0(VALU_DEP_3) | instskip(NEXT) | instid1(VALU_DEP_3)
	v_cndmask_b32_e64 v78, v80, v71, s17
	v_cndmask_b32_e64 v79, v74, v72, s17
	s_delay_alu instid0(VALU_DEP_4) | instskip(NEXT) | instid1(VALU_DEP_4)
	v_cndmask_b32_e64 v80, v73, v71, s17
	v_cndmask_b32_e64 v74, v76, v70, s18
	s_delay_alu instid0(VALU_DEP_4) | instskip(NEXT) | instid1(VALU_DEP_4)
	v_cndmask_b32_e64 v73, v78, v69, s18
	v_cndmask_b32_e64 v70, v79, v70, s18
	s_delay_alu instid0(VALU_DEP_4) | instskip(NEXT) | instid1(VALU_DEP_3)
	v_cndmask_b32_e64 v69, v80, v69, s18
	v_cmp_class_f64_e64 s18, v[73:74], 0x1f8
	s_delay_alu instid0(VALU_DEP_2)
	v_cmp_neq_f64_e64 s17, v[73:74], v[69:70]
	s_or_b32 s17, s17, s18
	s_wait_alu 0xfffe
	s_and_saveexec_b32 s29, s17
	s_cbranch_execz .LBB71_233
; %bb.232:
	v_add_f64_e64 v[71:72], v[73:74], -v[69:70]
	s_mov_b32 s18, 0x652b82fe
	s_mov_b32 s19, 0x3ff71547
	;; [unrolled: 1-line block ×10, first 2 shown]
	s_wait_alu 0xfffe
	s_delay_alu instid0(VALU_DEP_1) | instskip(SKIP_3) | instid1(VALU_DEP_2)
	v_mul_f64_e32 v[73:74], s[18:19], v[71:72]
	s_mov_b32 s18, 0xfca7ab0c
	s_mov_b32 s19, 0x3e928af3
	v_cmp_nlt_f64_e64 s17, 0x40900000, v[71:72]
	v_rndne_f64_e32 v[73:74], v[73:74]
	s_delay_alu instid0(VALU_DEP_1) | instskip(SKIP_2) | instid1(VALU_DEP_2)
	v_fma_f64 v[78:79], v[73:74], s[20:21], v[71:72]
	v_cvt_i32_f64_e32 v76, v[73:74]
	s_mov_b32 s21, 0x3fe62e42
	v_fma_f64 v[78:79], v[73:74], s[24:25], v[78:79]
	s_mov_b32 s25, 0x3c7abc9e
	s_wait_alu 0xfffe
	s_delay_alu instid0(VALU_DEP_1)
	v_fma_f64 v[80:81], v[78:79], s[42:43], s[18:19]
	s_mov_b32 s18, 0x623fde64
	s_mov_b32 s19, 0x3ec71dee
	;; [unrolled: 1-line block ×4, first 2 shown]
	s_wait_alu 0xfffe
	s_delay_alu instid0(VALU_DEP_1) | instskip(SKIP_3) | instid1(VALU_DEP_1)
	v_fma_f64 v[80:81], v[78:79], v[80:81], s[18:19]
	s_mov_b32 s18, 0x7c89e6b0
	s_mov_b32 s19, 0x3efa0199
	s_wait_alu 0xfffe
	v_fma_f64 v[80:81], v[78:79], v[80:81], s[18:19]
	s_mov_b32 s18, 0x14761f6e
	s_mov_b32 s19, 0x3f2a01a0
	s_wait_alu 0xfffe
	s_delay_alu instid0(VALU_DEP_1) | instskip(SKIP_3) | instid1(VALU_DEP_1)
	v_fma_f64 v[80:81], v[78:79], v[80:81], s[18:19]
	s_mov_b32 s18, 0x1852b7b0
	s_mov_b32 s19, 0x3f56c16c
	s_wait_alu 0xfffe
	v_fma_f64 v[80:81], v[78:79], v[80:81], s[18:19]
	s_mov_b32 s18, 0x11122322
	s_mov_b32 s19, 0x3f811111
	;; [unrolled: 9-line block ×3, first 2 shown]
	s_wait_alu 0xfffe
	s_delay_alu instid0(VALU_DEP_1) | instskip(SKIP_3) | instid1(VALU_DEP_1)
	v_fma_f64 v[80:81], v[78:79], v[80:81], s[18:19]
	s_mov_b32 s18, 11
	s_mov_b32 s19, 0x3fe00000
	s_wait_alu 0xfffe
	v_fma_f64 v[80:81], v[78:79], v[80:81], s[18:19]
	v_cmp_ngt_f64_e64 s18, 0xc090cc00, v[71:72]
	s_mov_b32 s19, 0x3fe55555
	v_fma_f64 v[80:81], v[78:79], v[80:81], 1.0
	s_delay_alu instid0(VALU_DEP_1) | instskip(NEXT) | instid1(VALU_DEP_1)
	v_fma_f64 v[73:74], v[78:79], v[80:81], 1.0
	v_ldexp_f64 v[73:74], v[73:74], v76
	s_wait_alu 0xf1ff
	s_delay_alu instid0(VALU_DEP_1) | instskip(SKIP_2) | instid1(VALU_DEP_2)
	v_cndmask_b32_e64 v74, 0x7ff00000, v74, s17
	s_and_b32 s17, s18, s17
	s_wait_alu 0xfffe
	v_cndmask_b32_e64 v71, 0, v73, s17
	s_delay_alu instid0(VALU_DEP_2) | instskip(SKIP_1) | instid1(VALU_DEP_1)
	v_cndmask_b32_e64 v72, 0, v74, s18
	s_mov_b32 s18, 0x55555555
	v_add_f64_e32 v[73:74], 1.0, v[71:72]
	s_delay_alu instid0(VALU_DEP_1) | instskip(SKIP_3) | instid1(VALU_DEP_3)
	v_frexp_mant_f64_e32 v[78:79], v[73:74]
	v_frexp_exp_i32_f64_e32 v76, v[73:74]
	v_add_f64_e32 v[80:81], -1.0, v[73:74]
	s_wait_alu 0xfffe
	v_cmp_gt_f64_e64 s17, s[18:19], v[78:79]
	s_mov_b32 s18, 0x55555780
	v_add_f64_e64 v[78:79], v[80:81], -v[73:74]
	v_add_f64_e64 v[80:81], v[71:72], -v[80:81]
	s_wait_alu 0xf1ff
	v_subrev_co_ci_u32_e64 v76, null, 0, v76, s17
	s_delay_alu instid0(VALU_DEP_3) | instskip(SKIP_1) | instid1(VALU_DEP_3)
	v_add_f64_e32 v[78:79], 1.0, v[78:79]
	v_cmp_nge_f64_e64 s17, -1.0, v[71:72]
	v_sub_nc_u32_e32 v82, 0, v76
	s_delay_alu instid0(VALU_DEP_1) | instskip(NEXT) | instid1(VALU_DEP_4)
	v_ldexp_f64 v[73:74], v[73:74], v82
	v_add_f64_e32 v[78:79], v[80:81], v[78:79]
	s_delay_alu instid0(VALU_DEP_2) | instskip(SKIP_1) | instid1(VALU_DEP_3)
	v_add_f64_e32 v[101:102], 1.0, v[73:74]
	v_add_f64_e32 v[107:108], -1.0, v[73:74]
	v_ldexp_f64 v[78:79], v[78:79], v82
	s_delay_alu instid0(VALU_DEP_3) | instskip(NEXT) | instid1(VALU_DEP_3)
	v_add_f64_e32 v[80:81], -1.0, v[101:102]
	v_add_f64_e32 v[109:110], 1.0, v[107:108]
	s_delay_alu instid0(VALU_DEP_2) | instskip(NEXT) | instid1(VALU_DEP_2)
	v_add_f64_e64 v[80:81], v[73:74], -v[80:81]
	v_add_f64_e64 v[73:74], v[73:74], -v[109:110]
	s_delay_alu instid0(VALU_DEP_2) | instskip(NEXT) | instid1(VALU_DEP_2)
	v_add_f64_e32 v[80:81], v[78:79], v[80:81]
	v_add_f64_e32 v[73:74], v[78:79], v[73:74]
	s_delay_alu instid0(VALU_DEP_2) | instskip(NEXT) | instid1(VALU_DEP_2)
	v_add_f64_e32 v[103:104], v[101:102], v[80:81]
	v_add_f64_e32 v[109:110], v[107:108], v[73:74]
	s_delay_alu instid0(VALU_DEP_2) | instskip(SKIP_1) | instid1(VALU_DEP_2)
	v_rcp_f64_e32 v[105:106], v[103:104]
	v_add_f64_e64 v[101:102], v[103:104], -v[101:102]
	v_add_f64_e64 v[107:108], v[109:110], -v[107:108]
	s_delay_alu instid0(VALU_DEP_2) | instskip(NEXT) | instid1(TRANS32_DEP_1)
	v_add_f64_e64 v[80:81], v[80:81], -v[101:102]
	v_fma_f64 v[111:112], -v[103:104], v[105:106], 1.0
	s_delay_alu instid0(VALU_DEP_3) | instskip(NEXT) | instid1(VALU_DEP_2)
	v_add_f64_e64 v[73:74], v[73:74], -v[107:108]
	v_fma_f64 v[105:106], v[111:112], v[105:106], v[105:106]
	s_delay_alu instid0(VALU_DEP_1) | instskip(NEXT) | instid1(VALU_DEP_1)
	v_fma_f64 v[78:79], -v[103:104], v[105:106], 1.0
	v_fma_f64 v[78:79], v[78:79], v[105:106], v[105:106]
	s_delay_alu instid0(VALU_DEP_1) | instskip(NEXT) | instid1(VALU_DEP_1)
	v_mul_f64_e32 v[105:106], v[109:110], v[78:79]
	v_mul_f64_e32 v[111:112], v[103:104], v[105:106]
	s_delay_alu instid0(VALU_DEP_1) | instskip(NEXT) | instid1(VALU_DEP_1)
	v_fma_f64 v[101:102], v[105:106], v[103:104], -v[111:112]
	v_fma_f64 v[101:102], v[105:106], v[80:81], v[101:102]
	s_delay_alu instid0(VALU_DEP_1) | instskip(NEXT) | instid1(VALU_DEP_1)
	v_add_f64_e32 v[113:114], v[111:112], v[101:102]
	v_add_f64_e64 v[115:116], v[109:110], -v[113:114]
	v_add_f64_e64 v[107:108], v[113:114], -v[111:112]
	s_delay_alu instid0(VALU_DEP_2) | instskip(NEXT) | instid1(VALU_DEP_2)
	v_add_f64_e64 v[109:110], v[109:110], -v[115:116]
	v_add_f64_e64 v[101:102], v[107:108], -v[101:102]
	s_delay_alu instid0(VALU_DEP_2) | instskip(NEXT) | instid1(VALU_DEP_1)
	v_add_f64_e64 v[109:110], v[109:110], -v[113:114]
	v_add_f64_e32 v[73:74], v[73:74], v[109:110]
	s_delay_alu instid0(VALU_DEP_1) | instskip(NEXT) | instid1(VALU_DEP_1)
	v_add_f64_e32 v[73:74], v[101:102], v[73:74]
	v_add_f64_e32 v[101:102], v[115:116], v[73:74]
	s_delay_alu instid0(VALU_DEP_1) | instskip(SKIP_1) | instid1(VALU_DEP_2)
	v_mul_f64_e32 v[107:108], v[78:79], v[101:102]
	v_add_f64_e64 v[113:114], v[115:116], -v[101:102]
	v_mul_f64_e32 v[109:110], v[103:104], v[107:108]
	s_delay_alu instid0(VALU_DEP_2) | instskip(NEXT) | instid1(VALU_DEP_2)
	v_add_f64_e32 v[73:74], v[73:74], v[113:114]
	v_fma_f64 v[103:104], v[107:108], v[103:104], -v[109:110]
	s_delay_alu instid0(VALU_DEP_1) | instskip(NEXT) | instid1(VALU_DEP_1)
	v_fma_f64 v[80:81], v[107:108], v[80:81], v[103:104]
	v_add_f64_e32 v[103:104], v[109:110], v[80:81]
	s_delay_alu instid0(VALU_DEP_1) | instskip(SKIP_1) | instid1(VALU_DEP_2)
	v_add_f64_e64 v[111:112], v[101:102], -v[103:104]
	v_add_f64_e64 v[109:110], v[103:104], -v[109:110]
	;; [unrolled: 1-line block ×3, first 2 shown]
	s_delay_alu instid0(VALU_DEP_2) | instskip(NEXT) | instid1(VALU_DEP_2)
	v_add_f64_e64 v[80:81], v[109:110], -v[80:81]
	v_add_f64_e64 v[101:102], v[101:102], -v[103:104]
	s_delay_alu instid0(VALU_DEP_1) | instskip(SKIP_1) | instid1(VALU_DEP_2)
	v_add_f64_e32 v[73:74], v[73:74], v[101:102]
	v_add_f64_e32 v[101:102], v[105:106], v[107:108]
	v_add_f64_e32 v[73:74], v[80:81], v[73:74]
	s_delay_alu instid0(VALU_DEP_2) | instskip(NEXT) | instid1(VALU_DEP_2)
	v_add_f64_e64 v[80:81], v[101:102], -v[105:106]
	v_add_f64_e32 v[73:74], v[111:112], v[73:74]
	s_delay_alu instid0(VALU_DEP_2) | instskip(NEXT) | instid1(VALU_DEP_2)
	v_add_f64_e64 v[80:81], v[107:108], -v[80:81]
	v_mul_f64_e32 v[73:74], v[78:79], v[73:74]
	s_delay_alu instid0(VALU_DEP_1) | instskip(NEXT) | instid1(VALU_DEP_1)
	v_add_f64_e32 v[73:74], v[80:81], v[73:74]
	v_add_f64_e32 v[78:79], v[101:102], v[73:74]
	s_delay_alu instid0(VALU_DEP_1) | instskip(NEXT) | instid1(VALU_DEP_1)
	v_mul_f64_e32 v[80:81], v[78:79], v[78:79]
	v_fma_f64 v[103:104], v[80:81], s[44:45], s[42:43]
	s_mov_b32 s42, 0xd7f4df2e
	s_mov_b32 s43, 0x3fc7474d
	v_mul_f64_e32 v[105:106], v[78:79], v[80:81]
	s_wait_alu 0xfffe
	s_delay_alu instid0(VALU_DEP_2) | instskip(SKIP_3) | instid1(VALU_DEP_1)
	v_fma_f64 v[103:104], v[80:81], v[103:104], s[42:43]
	s_mov_b32 s42, 0x16291751
	s_mov_b32 s43, 0x3fcc71c0
	s_wait_alu 0xfffe
	v_fma_f64 v[103:104], v[80:81], v[103:104], s[42:43]
	s_mov_b32 s42, 0x9b27acf1
	s_mov_b32 s43, 0x3fd24924
	s_wait_alu 0xfffe
	s_delay_alu instid0(VALU_DEP_1) | instskip(SKIP_3) | instid1(VALU_DEP_1)
	v_fma_f64 v[103:104], v[80:81], v[103:104], s[42:43]
	s_mov_b32 s42, 0x998ef7b6
	s_mov_b32 s43, 0x3fd99999
	s_wait_alu 0xfffe
	v_fma_f64 v[103:104], v[80:81], v[103:104], s[42:43]
	s_delay_alu instid0(VALU_DEP_1)
	v_fma_f64 v[80:81], v[80:81], v[103:104], s[18:19]
	v_ldexp_f64 v[103:104], v[78:79], 1
	v_add_f64_e64 v[78:79], v[78:79], -v[101:102]
	v_cmp_neq_f64_e64 s18, 0x7ff00000, v[71:72]
	v_cmp_ngt_f64_e64 s19, -1.0, v[71:72]
	v_mul_f64_e32 v[80:81], v[105:106], v[80:81]
	v_cvt_f64_i32_e32 v[105:106], v76
	v_add_f64_e64 v[73:74], v[73:74], -v[78:79]
	s_and_b32 s17, s17, s18
	s_delay_alu instid0(VALU_DEP_3) | instskip(NEXT) | instid1(VALU_DEP_3)
	v_add_f64_e32 v[101:102], v[103:104], v[80:81]
	v_mul_f64_e32 v[107:108], s[20:21], v[105:106]
	s_delay_alu instid0(VALU_DEP_3) | instskip(NEXT) | instid1(VALU_DEP_3)
	v_ldexp_f64 v[73:74], v[73:74], 1
	v_add_f64_e64 v[78:79], v[101:102], -v[103:104]
	s_delay_alu instid0(VALU_DEP_3) | instskip(NEXT) | instid1(VALU_DEP_2)
	v_fma_f64 v[103:104], v[105:106], s[20:21], -v[107:108]
	v_add_f64_e64 v[78:79], v[80:81], -v[78:79]
	s_delay_alu instid0(VALU_DEP_2) | instskip(NEXT) | instid1(VALU_DEP_2)
	v_fma_f64 v[80:81], v[105:106], s[24:25], v[103:104]
	v_add_f64_e32 v[73:74], v[73:74], v[78:79]
	s_delay_alu instid0(VALU_DEP_2) | instskip(NEXT) | instid1(VALU_DEP_2)
	v_add_f64_e32 v[78:79], v[107:108], v[80:81]
	v_add_f64_e32 v[103:104], v[101:102], v[73:74]
	s_delay_alu instid0(VALU_DEP_2) | instskip(NEXT) | instid1(VALU_DEP_2)
	v_add_f64_e64 v[107:108], v[78:79], -v[107:108]
	v_add_f64_e32 v[105:106], v[78:79], v[103:104]
	v_add_f64_e64 v[101:102], v[103:104], -v[101:102]
	s_delay_alu instid0(VALU_DEP_3) | instskip(NEXT) | instid1(VALU_DEP_3)
	v_add_f64_e64 v[80:81], v[80:81], -v[107:108]
	v_add_f64_e64 v[109:110], v[105:106], -v[78:79]
	s_delay_alu instid0(VALU_DEP_3) | instskip(NEXT) | instid1(VALU_DEP_2)
	v_add_f64_e64 v[73:74], v[73:74], -v[101:102]
	v_add_f64_e64 v[111:112], v[105:106], -v[109:110]
	;; [unrolled: 1-line block ×3, first 2 shown]
	s_delay_alu instid0(VALU_DEP_3) | instskip(NEXT) | instid1(VALU_DEP_3)
	v_add_f64_e32 v[103:104], v[80:81], v[73:74]
	v_add_f64_e64 v[78:79], v[78:79], -v[111:112]
	s_delay_alu instid0(VALU_DEP_1) | instskip(NEXT) | instid1(VALU_DEP_3)
	v_add_f64_e32 v[78:79], v[101:102], v[78:79]
	v_add_f64_e64 v[101:102], v[103:104], -v[80:81]
	s_delay_alu instid0(VALU_DEP_2) | instskip(NEXT) | instid1(VALU_DEP_2)
	v_add_f64_e32 v[78:79], v[103:104], v[78:79]
	v_add_f64_e64 v[103:104], v[103:104], -v[101:102]
	v_add_f64_e64 v[73:74], v[73:74], -v[101:102]
	s_delay_alu instid0(VALU_DEP_3) | instskip(NEXT) | instid1(VALU_DEP_3)
	v_add_f64_e32 v[107:108], v[105:106], v[78:79]
	v_add_f64_e64 v[80:81], v[80:81], -v[103:104]
	s_delay_alu instid0(VALU_DEP_2) | instskip(NEXT) | instid1(VALU_DEP_2)
	v_add_f64_e64 v[101:102], v[107:108], -v[105:106]
	v_add_f64_e32 v[73:74], v[73:74], v[80:81]
	s_delay_alu instid0(VALU_DEP_2) | instskip(NEXT) | instid1(VALU_DEP_1)
	v_add_f64_e64 v[78:79], v[78:79], -v[101:102]
	v_add_f64_e32 v[73:74], v[73:74], v[78:79]
	s_delay_alu instid0(VALU_DEP_1) | instskip(SKIP_1) | instid1(VALU_DEP_1)
	v_add_f64_e32 v[73:74], v[107:108], v[73:74]
	s_wait_alu 0xfffe
	v_cndmask_b32_e64 v73, 0, v73, s17
	v_cmp_neq_f64_e64 s17, -1.0, v[71:72]
	s_delay_alu instid0(VALU_DEP_3) | instskip(NEXT) | instid1(VALU_DEP_1)
	v_cndmask_b32_e64 v74, 0x7ff00000, v74, s18
	v_cndmask_b32_e64 v74, 0x7ff80000, v74, s19
	s_wait_alu 0xf1ff
	s_delay_alu instid0(VALU_DEP_1) | instskip(NEXT) | instid1(VALU_DEP_1)
	v_cndmask_b32_e64 v74, 0xfff00000, v74, s17
	v_add_f64_e32 v[71:72], v[69:70], v[73:74]
.LBB71_233:
	s_wait_alu 0xfffe
	s_or_b32 exec_lo, exec_lo, s29
	s_delay_alu instid0(VALU_DEP_1)
	v_dual_mov_b32 v73, v71 :: v_dual_mov_b32 v74, v72
	v_dual_mov_b32 v69, v71 :: v_dual_mov_b32 v70, v72
.LBB71_234:
	s_wait_alu 0xfffe
	s_or_b32 exec_lo, exec_lo, s28
	s_delay_alu instid0(VALU_DEP_2)
	v_mov_b32_dpp v71, v73 row_shr:2 row_mask:0xf bank_mask:0xf
	v_mov_b32_dpp v72, v74 row_shr:2 row_mask:0xf bank_mask:0xf
	s_mov_b32 s28, exec_lo
	v_cmpx_lt_u32_e32 1, v75
	s_cbranch_execz .LBB71_238
; %bb.235:
	s_delay_alu instid0(VALU_DEP_2) | instskip(SKIP_3) | instid1(VALU_DEP_3)
	v_max_num_f64_e32 v[73:74], v[71:72], v[71:72]
	v_max_num_f64_e32 v[78:79], v[69:70], v[69:70]
	v_cmp_u_f64_e64 s17, v[71:72], v[71:72]
	v_cmp_u_f64_e64 s18, v[69:70], v[69:70]
	v_min_num_f64_e32 v[80:81], v[73:74], v[78:79]
	v_max_num_f64_e32 v[73:74], v[73:74], v[78:79]
	s_wait_alu 0xf1ff
	s_delay_alu instid0(VALU_DEP_2) | instskip(NEXT) | instid1(VALU_DEP_3)
	v_cndmask_b32_e64 v76, v81, v72, s17
	v_cndmask_b32_e64 v78, v80, v71, s17
	s_delay_alu instid0(VALU_DEP_3) | instskip(NEXT) | instid1(VALU_DEP_4)
	v_cndmask_b32_e64 v79, v74, v72, s17
	v_cndmask_b32_e64 v80, v73, v71, s17
	s_delay_alu instid0(VALU_DEP_4) | instskip(NEXT) | instid1(VALU_DEP_4)
	v_cndmask_b32_e64 v74, v76, v70, s18
	v_cndmask_b32_e64 v73, v78, v69, s18
	s_delay_alu instid0(VALU_DEP_4) | instskip(NEXT) | instid1(VALU_DEP_4)
	v_cndmask_b32_e64 v70, v79, v70, s18
	v_cndmask_b32_e64 v69, v80, v69, s18
	s_delay_alu instid0(VALU_DEP_3) | instskip(NEXT) | instid1(VALU_DEP_2)
	v_cmp_class_f64_e64 s18, v[73:74], 0x1f8
	v_cmp_neq_f64_e64 s17, v[73:74], v[69:70]
	s_or_b32 s17, s17, s18
	s_wait_alu 0xfffe
	s_and_saveexec_b32 s29, s17
	s_cbranch_execz .LBB71_237
; %bb.236:
	v_add_f64_e64 v[71:72], v[73:74], -v[69:70]
	s_mov_b32 s18, 0x652b82fe
	s_mov_b32 s19, 0x3ff71547
	;; [unrolled: 1-line block ×10, first 2 shown]
	s_wait_alu 0xfffe
	s_delay_alu instid0(VALU_DEP_1) | instskip(SKIP_3) | instid1(VALU_DEP_2)
	v_mul_f64_e32 v[73:74], s[18:19], v[71:72]
	s_mov_b32 s18, 0xfca7ab0c
	s_mov_b32 s19, 0x3e928af3
	v_cmp_nlt_f64_e64 s17, 0x40900000, v[71:72]
	v_rndne_f64_e32 v[73:74], v[73:74]
	s_delay_alu instid0(VALU_DEP_1) | instskip(SKIP_2) | instid1(VALU_DEP_2)
	v_fma_f64 v[78:79], v[73:74], s[20:21], v[71:72]
	v_cvt_i32_f64_e32 v76, v[73:74]
	s_mov_b32 s21, 0x3fe62e42
	v_fma_f64 v[78:79], v[73:74], s[24:25], v[78:79]
	s_mov_b32 s25, 0x3c7abc9e
	s_wait_alu 0xfffe
	s_delay_alu instid0(VALU_DEP_1)
	v_fma_f64 v[80:81], v[78:79], s[42:43], s[18:19]
	s_mov_b32 s18, 0x623fde64
	s_mov_b32 s19, 0x3ec71dee
	;; [unrolled: 1-line block ×4, first 2 shown]
	s_wait_alu 0xfffe
	s_delay_alu instid0(VALU_DEP_1) | instskip(SKIP_3) | instid1(VALU_DEP_1)
	v_fma_f64 v[80:81], v[78:79], v[80:81], s[18:19]
	s_mov_b32 s18, 0x7c89e6b0
	s_mov_b32 s19, 0x3efa0199
	s_wait_alu 0xfffe
	v_fma_f64 v[80:81], v[78:79], v[80:81], s[18:19]
	s_mov_b32 s18, 0x14761f6e
	s_mov_b32 s19, 0x3f2a01a0
	s_wait_alu 0xfffe
	s_delay_alu instid0(VALU_DEP_1) | instskip(SKIP_3) | instid1(VALU_DEP_1)
	v_fma_f64 v[80:81], v[78:79], v[80:81], s[18:19]
	s_mov_b32 s18, 0x1852b7b0
	s_mov_b32 s19, 0x3f56c16c
	s_wait_alu 0xfffe
	v_fma_f64 v[80:81], v[78:79], v[80:81], s[18:19]
	s_mov_b32 s18, 0x11122322
	s_mov_b32 s19, 0x3f811111
	;; [unrolled: 9-line block ×3, first 2 shown]
	s_wait_alu 0xfffe
	s_delay_alu instid0(VALU_DEP_1) | instskip(SKIP_3) | instid1(VALU_DEP_1)
	v_fma_f64 v[80:81], v[78:79], v[80:81], s[18:19]
	s_mov_b32 s18, 11
	s_mov_b32 s19, 0x3fe00000
	s_wait_alu 0xfffe
	v_fma_f64 v[80:81], v[78:79], v[80:81], s[18:19]
	v_cmp_ngt_f64_e64 s18, 0xc090cc00, v[71:72]
	s_mov_b32 s19, 0x3fe55555
	v_fma_f64 v[80:81], v[78:79], v[80:81], 1.0
	s_delay_alu instid0(VALU_DEP_1) | instskip(NEXT) | instid1(VALU_DEP_1)
	v_fma_f64 v[73:74], v[78:79], v[80:81], 1.0
	v_ldexp_f64 v[73:74], v[73:74], v76
	s_wait_alu 0xf1ff
	s_delay_alu instid0(VALU_DEP_1) | instskip(SKIP_2) | instid1(VALU_DEP_2)
	v_cndmask_b32_e64 v74, 0x7ff00000, v74, s17
	s_and_b32 s17, s18, s17
	s_wait_alu 0xfffe
	v_cndmask_b32_e64 v71, 0, v73, s17
	s_delay_alu instid0(VALU_DEP_2) | instskip(SKIP_1) | instid1(VALU_DEP_1)
	v_cndmask_b32_e64 v72, 0, v74, s18
	s_mov_b32 s18, 0x55555555
	v_add_f64_e32 v[73:74], 1.0, v[71:72]
	s_delay_alu instid0(VALU_DEP_1) | instskip(SKIP_3) | instid1(VALU_DEP_3)
	v_frexp_mant_f64_e32 v[78:79], v[73:74]
	v_frexp_exp_i32_f64_e32 v76, v[73:74]
	v_add_f64_e32 v[80:81], -1.0, v[73:74]
	s_wait_alu 0xfffe
	v_cmp_gt_f64_e64 s17, s[18:19], v[78:79]
	s_mov_b32 s18, 0x55555780
	v_add_f64_e64 v[78:79], v[80:81], -v[73:74]
	v_add_f64_e64 v[80:81], v[71:72], -v[80:81]
	s_wait_alu 0xf1ff
	v_subrev_co_ci_u32_e64 v76, null, 0, v76, s17
	s_delay_alu instid0(VALU_DEP_3) | instskip(SKIP_1) | instid1(VALU_DEP_3)
	v_add_f64_e32 v[78:79], 1.0, v[78:79]
	v_cmp_nge_f64_e64 s17, -1.0, v[71:72]
	v_sub_nc_u32_e32 v82, 0, v76
	s_delay_alu instid0(VALU_DEP_1) | instskip(NEXT) | instid1(VALU_DEP_4)
	v_ldexp_f64 v[73:74], v[73:74], v82
	v_add_f64_e32 v[78:79], v[80:81], v[78:79]
	s_delay_alu instid0(VALU_DEP_2) | instskip(SKIP_1) | instid1(VALU_DEP_3)
	v_add_f64_e32 v[101:102], 1.0, v[73:74]
	v_add_f64_e32 v[107:108], -1.0, v[73:74]
	v_ldexp_f64 v[78:79], v[78:79], v82
	s_delay_alu instid0(VALU_DEP_3) | instskip(NEXT) | instid1(VALU_DEP_3)
	v_add_f64_e32 v[80:81], -1.0, v[101:102]
	v_add_f64_e32 v[109:110], 1.0, v[107:108]
	s_delay_alu instid0(VALU_DEP_2) | instskip(NEXT) | instid1(VALU_DEP_2)
	v_add_f64_e64 v[80:81], v[73:74], -v[80:81]
	v_add_f64_e64 v[73:74], v[73:74], -v[109:110]
	s_delay_alu instid0(VALU_DEP_2) | instskip(NEXT) | instid1(VALU_DEP_2)
	v_add_f64_e32 v[80:81], v[78:79], v[80:81]
	v_add_f64_e32 v[73:74], v[78:79], v[73:74]
	s_delay_alu instid0(VALU_DEP_2) | instskip(NEXT) | instid1(VALU_DEP_2)
	v_add_f64_e32 v[103:104], v[101:102], v[80:81]
	v_add_f64_e32 v[109:110], v[107:108], v[73:74]
	s_delay_alu instid0(VALU_DEP_2) | instskip(SKIP_1) | instid1(VALU_DEP_2)
	v_rcp_f64_e32 v[105:106], v[103:104]
	v_add_f64_e64 v[101:102], v[103:104], -v[101:102]
	v_add_f64_e64 v[107:108], v[109:110], -v[107:108]
	s_delay_alu instid0(VALU_DEP_2) | instskip(NEXT) | instid1(TRANS32_DEP_1)
	v_add_f64_e64 v[80:81], v[80:81], -v[101:102]
	v_fma_f64 v[111:112], -v[103:104], v[105:106], 1.0
	s_delay_alu instid0(VALU_DEP_3) | instskip(NEXT) | instid1(VALU_DEP_2)
	v_add_f64_e64 v[73:74], v[73:74], -v[107:108]
	v_fma_f64 v[105:106], v[111:112], v[105:106], v[105:106]
	s_delay_alu instid0(VALU_DEP_1) | instskip(NEXT) | instid1(VALU_DEP_1)
	v_fma_f64 v[78:79], -v[103:104], v[105:106], 1.0
	v_fma_f64 v[78:79], v[78:79], v[105:106], v[105:106]
	s_delay_alu instid0(VALU_DEP_1) | instskip(NEXT) | instid1(VALU_DEP_1)
	v_mul_f64_e32 v[105:106], v[109:110], v[78:79]
	v_mul_f64_e32 v[111:112], v[103:104], v[105:106]
	s_delay_alu instid0(VALU_DEP_1) | instskip(NEXT) | instid1(VALU_DEP_1)
	v_fma_f64 v[101:102], v[105:106], v[103:104], -v[111:112]
	v_fma_f64 v[101:102], v[105:106], v[80:81], v[101:102]
	s_delay_alu instid0(VALU_DEP_1) | instskip(NEXT) | instid1(VALU_DEP_1)
	v_add_f64_e32 v[113:114], v[111:112], v[101:102]
	v_add_f64_e64 v[115:116], v[109:110], -v[113:114]
	v_add_f64_e64 v[107:108], v[113:114], -v[111:112]
	s_delay_alu instid0(VALU_DEP_2) | instskip(NEXT) | instid1(VALU_DEP_2)
	v_add_f64_e64 v[109:110], v[109:110], -v[115:116]
	v_add_f64_e64 v[101:102], v[107:108], -v[101:102]
	s_delay_alu instid0(VALU_DEP_2) | instskip(NEXT) | instid1(VALU_DEP_1)
	v_add_f64_e64 v[109:110], v[109:110], -v[113:114]
	v_add_f64_e32 v[73:74], v[73:74], v[109:110]
	s_delay_alu instid0(VALU_DEP_1) | instskip(NEXT) | instid1(VALU_DEP_1)
	v_add_f64_e32 v[73:74], v[101:102], v[73:74]
	v_add_f64_e32 v[101:102], v[115:116], v[73:74]
	s_delay_alu instid0(VALU_DEP_1) | instskip(SKIP_1) | instid1(VALU_DEP_2)
	v_mul_f64_e32 v[107:108], v[78:79], v[101:102]
	v_add_f64_e64 v[113:114], v[115:116], -v[101:102]
	v_mul_f64_e32 v[109:110], v[103:104], v[107:108]
	s_delay_alu instid0(VALU_DEP_2) | instskip(NEXT) | instid1(VALU_DEP_2)
	v_add_f64_e32 v[73:74], v[73:74], v[113:114]
	v_fma_f64 v[103:104], v[107:108], v[103:104], -v[109:110]
	s_delay_alu instid0(VALU_DEP_1) | instskip(NEXT) | instid1(VALU_DEP_1)
	v_fma_f64 v[80:81], v[107:108], v[80:81], v[103:104]
	v_add_f64_e32 v[103:104], v[109:110], v[80:81]
	s_delay_alu instid0(VALU_DEP_1) | instskip(SKIP_1) | instid1(VALU_DEP_2)
	v_add_f64_e64 v[111:112], v[101:102], -v[103:104]
	v_add_f64_e64 v[109:110], v[103:104], -v[109:110]
	;; [unrolled: 1-line block ×3, first 2 shown]
	s_delay_alu instid0(VALU_DEP_2) | instskip(NEXT) | instid1(VALU_DEP_2)
	v_add_f64_e64 v[80:81], v[109:110], -v[80:81]
	v_add_f64_e64 v[101:102], v[101:102], -v[103:104]
	s_delay_alu instid0(VALU_DEP_1) | instskip(SKIP_1) | instid1(VALU_DEP_2)
	v_add_f64_e32 v[73:74], v[73:74], v[101:102]
	v_add_f64_e32 v[101:102], v[105:106], v[107:108]
	;; [unrolled: 1-line block ×3, first 2 shown]
	s_delay_alu instid0(VALU_DEP_2) | instskip(NEXT) | instid1(VALU_DEP_2)
	v_add_f64_e64 v[80:81], v[101:102], -v[105:106]
	v_add_f64_e32 v[73:74], v[111:112], v[73:74]
	s_delay_alu instid0(VALU_DEP_2) | instskip(NEXT) | instid1(VALU_DEP_2)
	v_add_f64_e64 v[80:81], v[107:108], -v[80:81]
	v_mul_f64_e32 v[73:74], v[78:79], v[73:74]
	s_delay_alu instid0(VALU_DEP_1) | instskip(NEXT) | instid1(VALU_DEP_1)
	v_add_f64_e32 v[73:74], v[80:81], v[73:74]
	v_add_f64_e32 v[78:79], v[101:102], v[73:74]
	s_delay_alu instid0(VALU_DEP_1) | instskip(NEXT) | instid1(VALU_DEP_1)
	v_mul_f64_e32 v[80:81], v[78:79], v[78:79]
	v_fma_f64 v[103:104], v[80:81], s[44:45], s[42:43]
	s_mov_b32 s42, 0xd7f4df2e
	s_mov_b32 s43, 0x3fc7474d
	v_mul_f64_e32 v[105:106], v[78:79], v[80:81]
	s_wait_alu 0xfffe
	s_delay_alu instid0(VALU_DEP_2) | instskip(SKIP_3) | instid1(VALU_DEP_1)
	v_fma_f64 v[103:104], v[80:81], v[103:104], s[42:43]
	s_mov_b32 s42, 0x16291751
	s_mov_b32 s43, 0x3fcc71c0
	s_wait_alu 0xfffe
	v_fma_f64 v[103:104], v[80:81], v[103:104], s[42:43]
	s_mov_b32 s42, 0x9b27acf1
	s_mov_b32 s43, 0x3fd24924
	s_wait_alu 0xfffe
	s_delay_alu instid0(VALU_DEP_1) | instskip(SKIP_3) | instid1(VALU_DEP_1)
	v_fma_f64 v[103:104], v[80:81], v[103:104], s[42:43]
	s_mov_b32 s42, 0x998ef7b6
	s_mov_b32 s43, 0x3fd99999
	s_wait_alu 0xfffe
	v_fma_f64 v[103:104], v[80:81], v[103:104], s[42:43]
	s_delay_alu instid0(VALU_DEP_1)
	v_fma_f64 v[80:81], v[80:81], v[103:104], s[18:19]
	v_ldexp_f64 v[103:104], v[78:79], 1
	v_add_f64_e64 v[78:79], v[78:79], -v[101:102]
	v_cmp_neq_f64_e64 s18, 0x7ff00000, v[71:72]
	v_cmp_ngt_f64_e64 s19, -1.0, v[71:72]
	v_mul_f64_e32 v[80:81], v[105:106], v[80:81]
	v_cvt_f64_i32_e32 v[105:106], v76
	v_add_f64_e64 v[73:74], v[73:74], -v[78:79]
	s_and_b32 s17, s17, s18
	s_delay_alu instid0(VALU_DEP_3) | instskip(NEXT) | instid1(VALU_DEP_3)
	v_add_f64_e32 v[101:102], v[103:104], v[80:81]
	v_mul_f64_e32 v[107:108], s[20:21], v[105:106]
	s_delay_alu instid0(VALU_DEP_3) | instskip(NEXT) | instid1(VALU_DEP_3)
	v_ldexp_f64 v[73:74], v[73:74], 1
	v_add_f64_e64 v[78:79], v[101:102], -v[103:104]
	s_delay_alu instid0(VALU_DEP_3) | instskip(NEXT) | instid1(VALU_DEP_2)
	v_fma_f64 v[103:104], v[105:106], s[20:21], -v[107:108]
	v_add_f64_e64 v[78:79], v[80:81], -v[78:79]
	s_delay_alu instid0(VALU_DEP_2) | instskip(NEXT) | instid1(VALU_DEP_2)
	v_fma_f64 v[80:81], v[105:106], s[24:25], v[103:104]
	v_add_f64_e32 v[73:74], v[73:74], v[78:79]
	s_delay_alu instid0(VALU_DEP_2) | instskip(NEXT) | instid1(VALU_DEP_2)
	v_add_f64_e32 v[78:79], v[107:108], v[80:81]
	v_add_f64_e32 v[103:104], v[101:102], v[73:74]
	s_delay_alu instid0(VALU_DEP_2) | instskip(NEXT) | instid1(VALU_DEP_2)
	v_add_f64_e64 v[107:108], v[78:79], -v[107:108]
	v_add_f64_e32 v[105:106], v[78:79], v[103:104]
	v_add_f64_e64 v[101:102], v[103:104], -v[101:102]
	s_delay_alu instid0(VALU_DEP_3) | instskip(NEXT) | instid1(VALU_DEP_3)
	v_add_f64_e64 v[80:81], v[80:81], -v[107:108]
	v_add_f64_e64 v[109:110], v[105:106], -v[78:79]
	s_delay_alu instid0(VALU_DEP_3) | instskip(NEXT) | instid1(VALU_DEP_2)
	v_add_f64_e64 v[73:74], v[73:74], -v[101:102]
	v_add_f64_e64 v[111:112], v[105:106], -v[109:110]
	;; [unrolled: 1-line block ×3, first 2 shown]
	s_delay_alu instid0(VALU_DEP_3) | instskip(NEXT) | instid1(VALU_DEP_3)
	v_add_f64_e32 v[103:104], v[80:81], v[73:74]
	v_add_f64_e64 v[78:79], v[78:79], -v[111:112]
	s_delay_alu instid0(VALU_DEP_1) | instskip(NEXT) | instid1(VALU_DEP_3)
	v_add_f64_e32 v[78:79], v[101:102], v[78:79]
	v_add_f64_e64 v[101:102], v[103:104], -v[80:81]
	s_delay_alu instid0(VALU_DEP_2) | instskip(NEXT) | instid1(VALU_DEP_2)
	v_add_f64_e32 v[78:79], v[103:104], v[78:79]
	v_add_f64_e64 v[103:104], v[103:104], -v[101:102]
	v_add_f64_e64 v[73:74], v[73:74], -v[101:102]
	s_delay_alu instid0(VALU_DEP_3) | instskip(NEXT) | instid1(VALU_DEP_3)
	v_add_f64_e32 v[107:108], v[105:106], v[78:79]
	v_add_f64_e64 v[80:81], v[80:81], -v[103:104]
	s_delay_alu instid0(VALU_DEP_2) | instskip(NEXT) | instid1(VALU_DEP_2)
	v_add_f64_e64 v[101:102], v[107:108], -v[105:106]
	v_add_f64_e32 v[73:74], v[73:74], v[80:81]
	s_delay_alu instid0(VALU_DEP_2) | instskip(NEXT) | instid1(VALU_DEP_1)
	v_add_f64_e64 v[78:79], v[78:79], -v[101:102]
	v_add_f64_e32 v[73:74], v[73:74], v[78:79]
	s_delay_alu instid0(VALU_DEP_1) | instskip(SKIP_1) | instid1(VALU_DEP_1)
	v_add_f64_e32 v[73:74], v[107:108], v[73:74]
	s_wait_alu 0xfffe
	v_cndmask_b32_e64 v73, 0, v73, s17
	v_cmp_neq_f64_e64 s17, -1.0, v[71:72]
	s_delay_alu instid0(VALU_DEP_3) | instskip(NEXT) | instid1(VALU_DEP_1)
	v_cndmask_b32_e64 v74, 0x7ff00000, v74, s18
	v_cndmask_b32_e64 v74, 0x7ff80000, v74, s19
	s_wait_alu 0xf1ff
	s_delay_alu instid0(VALU_DEP_1) | instskip(NEXT) | instid1(VALU_DEP_1)
	v_cndmask_b32_e64 v74, 0xfff00000, v74, s17
	v_add_f64_e32 v[71:72], v[69:70], v[73:74]
.LBB71_237:
	s_wait_alu 0xfffe
	s_or_b32 exec_lo, exec_lo, s29
	s_delay_alu instid0(VALU_DEP_1)
	v_dual_mov_b32 v69, v71 :: v_dual_mov_b32 v70, v72
	v_dual_mov_b32 v73, v71 :: v_dual_mov_b32 v74, v72
.LBB71_238:
	s_wait_alu 0xfffe
	s_or_b32 exec_lo, exec_lo, s28
	s_delay_alu instid0(VALU_DEP_1) | instskip(NEXT) | instid1(VALU_DEP_2)
	v_mov_b32_dpp v71, v73 row_shr:4 row_mask:0xf bank_mask:0xf
	v_mov_b32_dpp v72, v74 row_shr:4 row_mask:0xf bank_mask:0xf
	s_mov_b32 s28, exec_lo
	v_cmpx_lt_u32_e32 3, v75
	s_cbranch_execz .LBB71_242
; %bb.239:
	s_delay_alu instid0(VALU_DEP_2) | instskip(SKIP_3) | instid1(VALU_DEP_3)
	v_max_num_f64_e32 v[73:74], v[71:72], v[71:72]
	v_max_num_f64_e32 v[78:79], v[69:70], v[69:70]
	v_cmp_u_f64_e64 s17, v[71:72], v[71:72]
	v_cmp_u_f64_e64 s18, v[69:70], v[69:70]
	v_min_num_f64_e32 v[80:81], v[73:74], v[78:79]
	v_max_num_f64_e32 v[73:74], v[73:74], v[78:79]
	s_wait_alu 0xf1ff
	s_delay_alu instid0(VALU_DEP_2) | instskip(NEXT) | instid1(VALU_DEP_3)
	v_cndmask_b32_e64 v76, v81, v72, s17
	v_cndmask_b32_e64 v78, v80, v71, s17
	s_delay_alu instid0(VALU_DEP_3) | instskip(NEXT) | instid1(VALU_DEP_4)
	v_cndmask_b32_e64 v79, v74, v72, s17
	v_cndmask_b32_e64 v80, v73, v71, s17
	s_delay_alu instid0(VALU_DEP_4) | instskip(NEXT) | instid1(VALU_DEP_4)
	v_cndmask_b32_e64 v74, v76, v70, s18
	v_cndmask_b32_e64 v73, v78, v69, s18
	s_delay_alu instid0(VALU_DEP_4) | instskip(NEXT) | instid1(VALU_DEP_4)
	v_cndmask_b32_e64 v70, v79, v70, s18
	v_cndmask_b32_e64 v69, v80, v69, s18
	s_delay_alu instid0(VALU_DEP_3) | instskip(NEXT) | instid1(VALU_DEP_2)
	v_cmp_class_f64_e64 s18, v[73:74], 0x1f8
	v_cmp_neq_f64_e64 s17, v[73:74], v[69:70]
	s_or_b32 s17, s17, s18
	s_wait_alu 0xfffe
	s_and_saveexec_b32 s29, s17
	s_cbranch_execz .LBB71_241
; %bb.240:
	v_add_f64_e64 v[71:72], v[73:74], -v[69:70]
	s_mov_b32 s18, 0x652b82fe
	s_mov_b32 s19, 0x3ff71547
	;; [unrolled: 1-line block ×10, first 2 shown]
	s_wait_alu 0xfffe
	s_delay_alu instid0(VALU_DEP_1) | instskip(SKIP_3) | instid1(VALU_DEP_2)
	v_mul_f64_e32 v[73:74], s[18:19], v[71:72]
	s_mov_b32 s18, 0xfca7ab0c
	s_mov_b32 s19, 0x3e928af3
	v_cmp_nlt_f64_e64 s17, 0x40900000, v[71:72]
	v_rndne_f64_e32 v[73:74], v[73:74]
	s_delay_alu instid0(VALU_DEP_1) | instskip(SKIP_2) | instid1(VALU_DEP_2)
	v_fma_f64 v[78:79], v[73:74], s[20:21], v[71:72]
	v_cvt_i32_f64_e32 v76, v[73:74]
	s_mov_b32 s21, 0x3fe62e42
	v_fma_f64 v[78:79], v[73:74], s[24:25], v[78:79]
	s_mov_b32 s25, 0x3c7abc9e
	s_wait_alu 0xfffe
	s_delay_alu instid0(VALU_DEP_1)
	v_fma_f64 v[80:81], v[78:79], s[42:43], s[18:19]
	s_mov_b32 s18, 0x623fde64
	s_mov_b32 s19, 0x3ec71dee
	;; [unrolled: 1-line block ×4, first 2 shown]
	s_wait_alu 0xfffe
	s_delay_alu instid0(VALU_DEP_1) | instskip(SKIP_3) | instid1(VALU_DEP_1)
	v_fma_f64 v[80:81], v[78:79], v[80:81], s[18:19]
	s_mov_b32 s18, 0x7c89e6b0
	s_mov_b32 s19, 0x3efa0199
	s_wait_alu 0xfffe
	v_fma_f64 v[80:81], v[78:79], v[80:81], s[18:19]
	s_mov_b32 s18, 0x14761f6e
	s_mov_b32 s19, 0x3f2a01a0
	s_wait_alu 0xfffe
	s_delay_alu instid0(VALU_DEP_1) | instskip(SKIP_3) | instid1(VALU_DEP_1)
	v_fma_f64 v[80:81], v[78:79], v[80:81], s[18:19]
	s_mov_b32 s18, 0x1852b7b0
	s_mov_b32 s19, 0x3f56c16c
	s_wait_alu 0xfffe
	v_fma_f64 v[80:81], v[78:79], v[80:81], s[18:19]
	s_mov_b32 s18, 0x11122322
	s_mov_b32 s19, 0x3f811111
	;; [unrolled: 9-line block ×3, first 2 shown]
	s_wait_alu 0xfffe
	s_delay_alu instid0(VALU_DEP_1) | instskip(SKIP_3) | instid1(VALU_DEP_1)
	v_fma_f64 v[80:81], v[78:79], v[80:81], s[18:19]
	s_mov_b32 s18, 11
	s_mov_b32 s19, 0x3fe00000
	s_wait_alu 0xfffe
	v_fma_f64 v[80:81], v[78:79], v[80:81], s[18:19]
	v_cmp_ngt_f64_e64 s18, 0xc090cc00, v[71:72]
	s_mov_b32 s19, 0x3fe55555
	v_fma_f64 v[80:81], v[78:79], v[80:81], 1.0
	s_delay_alu instid0(VALU_DEP_1) | instskip(NEXT) | instid1(VALU_DEP_1)
	v_fma_f64 v[73:74], v[78:79], v[80:81], 1.0
	v_ldexp_f64 v[73:74], v[73:74], v76
	s_wait_alu 0xf1ff
	s_delay_alu instid0(VALU_DEP_1) | instskip(SKIP_2) | instid1(VALU_DEP_2)
	v_cndmask_b32_e64 v74, 0x7ff00000, v74, s17
	s_and_b32 s17, s18, s17
	s_wait_alu 0xfffe
	v_cndmask_b32_e64 v71, 0, v73, s17
	s_delay_alu instid0(VALU_DEP_2) | instskip(SKIP_1) | instid1(VALU_DEP_1)
	v_cndmask_b32_e64 v72, 0, v74, s18
	s_mov_b32 s18, 0x55555555
	v_add_f64_e32 v[73:74], 1.0, v[71:72]
	s_delay_alu instid0(VALU_DEP_1) | instskip(SKIP_3) | instid1(VALU_DEP_3)
	v_frexp_mant_f64_e32 v[78:79], v[73:74]
	v_frexp_exp_i32_f64_e32 v76, v[73:74]
	v_add_f64_e32 v[80:81], -1.0, v[73:74]
	s_wait_alu 0xfffe
	v_cmp_gt_f64_e64 s17, s[18:19], v[78:79]
	s_mov_b32 s18, 0x55555780
	v_add_f64_e64 v[78:79], v[80:81], -v[73:74]
	v_add_f64_e64 v[80:81], v[71:72], -v[80:81]
	s_wait_alu 0xf1ff
	v_subrev_co_ci_u32_e64 v76, null, 0, v76, s17
	s_delay_alu instid0(VALU_DEP_3) | instskip(SKIP_1) | instid1(VALU_DEP_3)
	v_add_f64_e32 v[78:79], 1.0, v[78:79]
	v_cmp_nge_f64_e64 s17, -1.0, v[71:72]
	v_sub_nc_u32_e32 v82, 0, v76
	s_delay_alu instid0(VALU_DEP_1) | instskip(NEXT) | instid1(VALU_DEP_4)
	v_ldexp_f64 v[73:74], v[73:74], v82
	v_add_f64_e32 v[78:79], v[80:81], v[78:79]
	s_delay_alu instid0(VALU_DEP_2) | instskip(SKIP_1) | instid1(VALU_DEP_3)
	v_add_f64_e32 v[101:102], 1.0, v[73:74]
	v_add_f64_e32 v[107:108], -1.0, v[73:74]
	v_ldexp_f64 v[78:79], v[78:79], v82
	s_delay_alu instid0(VALU_DEP_3) | instskip(NEXT) | instid1(VALU_DEP_3)
	v_add_f64_e32 v[80:81], -1.0, v[101:102]
	v_add_f64_e32 v[109:110], 1.0, v[107:108]
	s_delay_alu instid0(VALU_DEP_2) | instskip(NEXT) | instid1(VALU_DEP_2)
	v_add_f64_e64 v[80:81], v[73:74], -v[80:81]
	v_add_f64_e64 v[73:74], v[73:74], -v[109:110]
	s_delay_alu instid0(VALU_DEP_2) | instskip(NEXT) | instid1(VALU_DEP_2)
	v_add_f64_e32 v[80:81], v[78:79], v[80:81]
	v_add_f64_e32 v[73:74], v[78:79], v[73:74]
	s_delay_alu instid0(VALU_DEP_2) | instskip(NEXT) | instid1(VALU_DEP_2)
	v_add_f64_e32 v[103:104], v[101:102], v[80:81]
	v_add_f64_e32 v[109:110], v[107:108], v[73:74]
	s_delay_alu instid0(VALU_DEP_2) | instskip(SKIP_1) | instid1(VALU_DEP_2)
	v_rcp_f64_e32 v[105:106], v[103:104]
	v_add_f64_e64 v[101:102], v[103:104], -v[101:102]
	v_add_f64_e64 v[107:108], v[109:110], -v[107:108]
	s_delay_alu instid0(VALU_DEP_2) | instskip(NEXT) | instid1(TRANS32_DEP_1)
	v_add_f64_e64 v[80:81], v[80:81], -v[101:102]
	v_fma_f64 v[111:112], -v[103:104], v[105:106], 1.0
	s_delay_alu instid0(VALU_DEP_3) | instskip(NEXT) | instid1(VALU_DEP_2)
	v_add_f64_e64 v[73:74], v[73:74], -v[107:108]
	v_fma_f64 v[105:106], v[111:112], v[105:106], v[105:106]
	s_delay_alu instid0(VALU_DEP_1) | instskip(NEXT) | instid1(VALU_DEP_1)
	v_fma_f64 v[78:79], -v[103:104], v[105:106], 1.0
	v_fma_f64 v[78:79], v[78:79], v[105:106], v[105:106]
	s_delay_alu instid0(VALU_DEP_1) | instskip(NEXT) | instid1(VALU_DEP_1)
	v_mul_f64_e32 v[105:106], v[109:110], v[78:79]
	v_mul_f64_e32 v[111:112], v[103:104], v[105:106]
	s_delay_alu instid0(VALU_DEP_1) | instskip(NEXT) | instid1(VALU_DEP_1)
	v_fma_f64 v[101:102], v[105:106], v[103:104], -v[111:112]
	v_fma_f64 v[101:102], v[105:106], v[80:81], v[101:102]
	s_delay_alu instid0(VALU_DEP_1) | instskip(NEXT) | instid1(VALU_DEP_1)
	v_add_f64_e32 v[113:114], v[111:112], v[101:102]
	v_add_f64_e64 v[115:116], v[109:110], -v[113:114]
	v_add_f64_e64 v[107:108], v[113:114], -v[111:112]
	s_delay_alu instid0(VALU_DEP_2) | instskip(NEXT) | instid1(VALU_DEP_2)
	v_add_f64_e64 v[109:110], v[109:110], -v[115:116]
	v_add_f64_e64 v[101:102], v[107:108], -v[101:102]
	s_delay_alu instid0(VALU_DEP_2) | instskip(NEXT) | instid1(VALU_DEP_1)
	v_add_f64_e64 v[109:110], v[109:110], -v[113:114]
	v_add_f64_e32 v[73:74], v[73:74], v[109:110]
	s_delay_alu instid0(VALU_DEP_1) | instskip(NEXT) | instid1(VALU_DEP_1)
	v_add_f64_e32 v[73:74], v[101:102], v[73:74]
	v_add_f64_e32 v[101:102], v[115:116], v[73:74]
	s_delay_alu instid0(VALU_DEP_1) | instskip(SKIP_1) | instid1(VALU_DEP_2)
	v_mul_f64_e32 v[107:108], v[78:79], v[101:102]
	v_add_f64_e64 v[113:114], v[115:116], -v[101:102]
	v_mul_f64_e32 v[109:110], v[103:104], v[107:108]
	s_delay_alu instid0(VALU_DEP_2) | instskip(NEXT) | instid1(VALU_DEP_2)
	v_add_f64_e32 v[73:74], v[73:74], v[113:114]
	v_fma_f64 v[103:104], v[107:108], v[103:104], -v[109:110]
	s_delay_alu instid0(VALU_DEP_1) | instskip(NEXT) | instid1(VALU_DEP_1)
	v_fma_f64 v[80:81], v[107:108], v[80:81], v[103:104]
	v_add_f64_e32 v[103:104], v[109:110], v[80:81]
	s_delay_alu instid0(VALU_DEP_1) | instskip(SKIP_1) | instid1(VALU_DEP_2)
	v_add_f64_e64 v[111:112], v[101:102], -v[103:104]
	v_add_f64_e64 v[109:110], v[103:104], -v[109:110]
	;; [unrolled: 1-line block ×3, first 2 shown]
	s_delay_alu instid0(VALU_DEP_2) | instskip(NEXT) | instid1(VALU_DEP_2)
	v_add_f64_e64 v[80:81], v[109:110], -v[80:81]
	v_add_f64_e64 v[101:102], v[101:102], -v[103:104]
	s_delay_alu instid0(VALU_DEP_1) | instskip(SKIP_1) | instid1(VALU_DEP_2)
	v_add_f64_e32 v[73:74], v[73:74], v[101:102]
	v_add_f64_e32 v[101:102], v[105:106], v[107:108]
	;; [unrolled: 1-line block ×3, first 2 shown]
	s_delay_alu instid0(VALU_DEP_2) | instskip(NEXT) | instid1(VALU_DEP_2)
	v_add_f64_e64 v[80:81], v[101:102], -v[105:106]
	v_add_f64_e32 v[73:74], v[111:112], v[73:74]
	s_delay_alu instid0(VALU_DEP_2) | instskip(NEXT) | instid1(VALU_DEP_2)
	v_add_f64_e64 v[80:81], v[107:108], -v[80:81]
	v_mul_f64_e32 v[73:74], v[78:79], v[73:74]
	s_delay_alu instid0(VALU_DEP_1) | instskip(NEXT) | instid1(VALU_DEP_1)
	v_add_f64_e32 v[73:74], v[80:81], v[73:74]
	v_add_f64_e32 v[78:79], v[101:102], v[73:74]
	s_delay_alu instid0(VALU_DEP_1) | instskip(NEXT) | instid1(VALU_DEP_1)
	v_mul_f64_e32 v[80:81], v[78:79], v[78:79]
	v_fma_f64 v[103:104], v[80:81], s[44:45], s[42:43]
	s_mov_b32 s42, 0xd7f4df2e
	s_mov_b32 s43, 0x3fc7474d
	v_mul_f64_e32 v[105:106], v[78:79], v[80:81]
	s_wait_alu 0xfffe
	s_delay_alu instid0(VALU_DEP_2) | instskip(SKIP_3) | instid1(VALU_DEP_1)
	v_fma_f64 v[103:104], v[80:81], v[103:104], s[42:43]
	s_mov_b32 s42, 0x16291751
	s_mov_b32 s43, 0x3fcc71c0
	s_wait_alu 0xfffe
	v_fma_f64 v[103:104], v[80:81], v[103:104], s[42:43]
	s_mov_b32 s42, 0x9b27acf1
	s_mov_b32 s43, 0x3fd24924
	s_wait_alu 0xfffe
	s_delay_alu instid0(VALU_DEP_1) | instskip(SKIP_3) | instid1(VALU_DEP_1)
	v_fma_f64 v[103:104], v[80:81], v[103:104], s[42:43]
	s_mov_b32 s42, 0x998ef7b6
	s_mov_b32 s43, 0x3fd99999
	s_wait_alu 0xfffe
	v_fma_f64 v[103:104], v[80:81], v[103:104], s[42:43]
	s_delay_alu instid0(VALU_DEP_1)
	v_fma_f64 v[80:81], v[80:81], v[103:104], s[18:19]
	v_ldexp_f64 v[103:104], v[78:79], 1
	v_add_f64_e64 v[78:79], v[78:79], -v[101:102]
	v_cmp_neq_f64_e64 s18, 0x7ff00000, v[71:72]
	v_cmp_ngt_f64_e64 s19, -1.0, v[71:72]
	v_mul_f64_e32 v[80:81], v[105:106], v[80:81]
	v_cvt_f64_i32_e32 v[105:106], v76
	v_add_f64_e64 v[73:74], v[73:74], -v[78:79]
	s_and_b32 s17, s17, s18
	s_delay_alu instid0(VALU_DEP_3) | instskip(NEXT) | instid1(VALU_DEP_3)
	v_add_f64_e32 v[101:102], v[103:104], v[80:81]
	v_mul_f64_e32 v[107:108], s[20:21], v[105:106]
	s_delay_alu instid0(VALU_DEP_3) | instskip(NEXT) | instid1(VALU_DEP_3)
	v_ldexp_f64 v[73:74], v[73:74], 1
	v_add_f64_e64 v[78:79], v[101:102], -v[103:104]
	s_delay_alu instid0(VALU_DEP_3) | instskip(NEXT) | instid1(VALU_DEP_2)
	v_fma_f64 v[103:104], v[105:106], s[20:21], -v[107:108]
	v_add_f64_e64 v[78:79], v[80:81], -v[78:79]
	s_delay_alu instid0(VALU_DEP_2) | instskip(NEXT) | instid1(VALU_DEP_2)
	v_fma_f64 v[80:81], v[105:106], s[24:25], v[103:104]
	v_add_f64_e32 v[73:74], v[73:74], v[78:79]
	s_delay_alu instid0(VALU_DEP_2) | instskip(NEXT) | instid1(VALU_DEP_2)
	v_add_f64_e32 v[78:79], v[107:108], v[80:81]
	v_add_f64_e32 v[103:104], v[101:102], v[73:74]
	s_delay_alu instid0(VALU_DEP_2) | instskip(NEXT) | instid1(VALU_DEP_2)
	v_add_f64_e64 v[107:108], v[78:79], -v[107:108]
	v_add_f64_e32 v[105:106], v[78:79], v[103:104]
	v_add_f64_e64 v[101:102], v[103:104], -v[101:102]
	s_delay_alu instid0(VALU_DEP_3) | instskip(NEXT) | instid1(VALU_DEP_3)
	v_add_f64_e64 v[80:81], v[80:81], -v[107:108]
	v_add_f64_e64 v[109:110], v[105:106], -v[78:79]
	s_delay_alu instid0(VALU_DEP_3) | instskip(NEXT) | instid1(VALU_DEP_2)
	v_add_f64_e64 v[73:74], v[73:74], -v[101:102]
	v_add_f64_e64 v[111:112], v[105:106], -v[109:110]
	;; [unrolled: 1-line block ×3, first 2 shown]
	s_delay_alu instid0(VALU_DEP_3) | instskip(NEXT) | instid1(VALU_DEP_3)
	v_add_f64_e32 v[103:104], v[80:81], v[73:74]
	v_add_f64_e64 v[78:79], v[78:79], -v[111:112]
	s_delay_alu instid0(VALU_DEP_1) | instskip(NEXT) | instid1(VALU_DEP_3)
	v_add_f64_e32 v[78:79], v[101:102], v[78:79]
	v_add_f64_e64 v[101:102], v[103:104], -v[80:81]
	s_delay_alu instid0(VALU_DEP_2) | instskip(NEXT) | instid1(VALU_DEP_2)
	v_add_f64_e32 v[78:79], v[103:104], v[78:79]
	v_add_f64_e64 v[103:104], v[103:104], -v[101:102]
	v_add_f64_e64 v[73:74], v[73:74], -v[101:102]
	s_delay_alu instid0(VALU_DEP_3) | instskip(NEXT) | instid1(VALU_DEP_3)
	v_add_f64_e32 v[107:108], v[105:106], v[78:79]
	v_add_f64_e64 v[80:81], v[80:81], -v[103:104]
	s_delay_alu instid0(VALU_DEP_2) | instskip(NEXT) | instid1(VALU_DEP_2)
	v_add_f64_e64 v[101:102], v[107:108], -v[105:106]
	v_add_f64_e32 v[73:74], v[73:74], v[80:81]
	s_delay_alu instid0(VALU_DEP_2) | instskip(NEXT) | instid1(VALU_DEP_1)
	v_add_f64_e64 v[78:79], v[78:79], -v[101:102]
	v_add_f64_e32 v[73:74], v[73:74], v[78:79]
	s_delay_alu instid0(VALU_DEP_1) | instskip(SKIP_1) | instid1(VALU_DEP_1)
	v_add_f64_e32 v[73:74], v[107:108], v[73:74]
	s_wait_alu 0xfffe
	v_cndmask_b32_e64 v73, 0, v73, s17
	v_cmp_neq_f64_e64 s17, -1.0, v[71:72]
	s_delay_alu instid0(VALU_DEP_3) | instskip(NEXT) | instid1(VALU_DEP_1)
	v_cndmask_b32_e64 v74, 0x7ff00000, v74, s18
	v_cndmask_b32_e64 v74, 0x7ff80000, v74, s19
	s_wait_alu 0xf1ff
	s_delay_alu instid0(VALU_DEP_1) | instskip(NEXT) | instid1(VALU_DEP_1)
	v_cndmask_b32_e64 v74, 0xfff00000, v74, s17
	v_add_f64_e32 v[71:72], v[69:70], v[73:74]
.LBB71_241:
	s_wait_alu 0xfffe
	s_or_b32 exec_lo, exec_lo, s29
	s_delay_alu instid0(VALU_DEP_1)
	v_dual_mov_b32 v69, v71 :: v_dual_mov_b32 v70, v72
	v_dual_mov_b32 v73, v71 :: v_dual_mov_b32 v74, v72
.LBB71_242:
	s_wait_alu 0xfffe
	s_or_b32 exec_lo, exec_lo, s28
	s_delay_alu instid0(VALU_DEP_1) | instskip(NEXT) | instid1(VALU_DEP_2)
	v_mov_b32_dpp v71, v73 row_shr:8 row_mask:0xf bank_mask:0xf
	v_mov_b32_dpp v72, v74 row_shr:8 row_mask:0xf bank_mask:0xf
	s_mov_b32 s28, exec_lo
	v_cmpx_lt_u32_e32 7, v75
	s_cbranch_execz .LBB71_246
; %bb.243:
	s_delay_alu instid0(VALU_DEP_2) | instskip(SKIP_3) | instid1(VALU_DEP_3)
	v_max_num_f64_e32 v[73:74], v[71:72], v[71:72]
	v_max_num_f64_e32 v[75:76], v[69:70], v[69:70]
	v_cmp_u_f64_e64 s17, v[71:72], v[71:72]
	v_cmp_u_f64_e64 s18, v[69:70], v[69:70]
	v_min_num_f64_e32 v[78:79], v[73:74], v[75:76]
	v_max_num_f64_e32 v[73:74], v[73:74], v[75:76]
	s_wait_alu 0xf1ff
	s_delay_alu instid0(VALU_DEP_2) | instskip(NEXT) | instid1(VALU_DEP_3)
	v_cndmask_b32_e64 v75, v79, v72, s17
	v_cndmask_b32_e64 v76, v78, v71, s17
	s_delay_alu instid0(VALU_DEP_3) | instskip(NEXT) | instid1(VALU_DEP_4)
	v_cndmask_b32_e64 v78, v74, v72, s17
	v_cndmask_b32_e64 v79, v73, v71, s17
	s_delay_alu instid0(VALU_DEP_4) | instskip(NEXT) | instid1(VALU_DEP_4)
	v_cndmask_b32_e64 v74, v75, v70, s18
	v_cndmask_b32_e64 v73, v76, v69, s18
	s_delay_alu instid0(VALU_DEP_4) | instskip(NEXT) | instid1(VALU_DEP_4)
	v_cndmask_b32_e64 v70, v78, v70, s18
	v_cndmask_b32_e64 v69, v79, v69, s18
	s_delay_alu instid0(VALU_DEP_3) | instskip(NEXT) | instid1(VALU_DEP_2)
	v_cmp_class_f64_e64 s18, v[73:74], 0x1f8
	v_cmp_neq_f64_e64 s17, v[73:74], v[69:70]
	s_or_b32 s17, s17, s18
	s_wait_alu 0xfffe
	s_and_saveexec_b32 s29, s17
	s_cbranch_execz .LBB71_245
; %bb.244:
	v_add_f64_e64 v[71:72], v[73:74], -v[69:70]
	s_mov_b32 s18, 0x652b82fe
	s_mov_b32 s19, 0x3ff71547
	;; [unrolled: 1-line block ×10, first 2 shown]
	s_wait_alu 0xfffe
	s_delay_alu instid0(VALU_DEP_1) | instskip(SKIP_3) | instid1(VALU_DEP_2)
	v_mul_f64_e32 v[73:74], s[18:19], v[71:72]
	s_mov_b32 s18, 0xfca7ab0c
	s_mov_b32 s19, 0x3e928af3
	v_cmp_nlt_f64_e64 s17, 0x40900000, v[71:72]
	v_rndne_f64_e32 v[73:74], v[73:74]
	s_delay_alu instid0(VALU_DEP_1) | instskip(SKIP_2) | instid1(VALU_DEP_2)
	v_fma_f64 v[75:76], v[73:74], s[20:21], v[71:72]
	v_cvt_i32_f64_e32 v80, v[73:74]
	s_mov_b32 s21, 0x3fe62e42
	v_fma_f64 v[75:76], v[73:74], s[24:25], v[75:76]
	s_mov_b32 s25, 0x3c7abc9e
	s_wait_alu 0xfffe
	s_delay_alu instid0(VALU_DEP_1)
	v_fma_f64 v[78:79], v[75:76], s[42:43], s[18:19]
	s_mov_b32 s18, 0x623fde64
	s_mov_b32 s19, 0x3ec71dee
	;; [unrolled: 1-line block ×4, first 2 shown]
	s_wait_alu 0xfffe
	s_delay_alu instid0(VALU_DEP_1) | instskip(SKIP_3) | instid1(VALU_DEP_1)
	v_fma_f64 v[78:79], v[75:76], v[78:79], s[18:19]
	s_mov_b32 s18, 0x7c89e6b0
	s_mov_b32 s19, 0x3efa0199
	s_wait_alu 0xfffe
	v_fma_f64 v[78:79], v[75:76], v[78:79], s[18:19]
	s_mov_b32 s18, 0x14761f6e
	s_mov_b32 s19, 0x3f2a01a0
	s_wait_alu 0xfffe
	s_delay_alu instid0(VALU_DEP_1) | instskip(SKIP_3) | instid1(VALU_DEP_1)
	v_fma_f64 v[78:79], v[75:76], v[78:79], s[18:19]
	s_mov_b32 s18, 0x1852b7b0
	s_mov_b32 s19, 0x3f56c16c
	s_wait_alu 0xfffe
	v_fma_f64 v[78:79], v[75:76], v[78:79], s[18:19]
	s_mov_b32 s18, 0x11122322
	s_mov_b32 s19, 0x3f811111
	;; [unrolled: 9-line block ×3, first 2 shown]
	s_wait_alu 0xfffe
	s_delay_alu instid0(VALU_DEP_1) | instskip(SKIP_3) | instid1(VALU_DEP_1)
	v_fma_f64 v[78:79], v[75:76], v[78:79], s[18:19]
	s_mov_b32 s18, 11
	s_mov_b32 s19, 0x3fe00000
	s_wait_alu 0xfffe
	v_fma_f64 v[78:79], v[75:76], v[78:79], s[18:19]
	v_cmp_ngt_f64_e64 s18, 0xc090cc00, v[71:72]
	s_mov_b32 s19, 0x3fe55555
	v_fma_f64 v[78:79], v[75:76], v[78:79], 1.0
	s_delay_alu instid0(VALU_DEP_1) | instskip(NEXT) | instid1(VALU_DEP_1)
	v_fma_f64 v[73:74], v[75:76], v[78:79], 1.0
	v_ldexp_f64 v[73:74], v[73:74], v80
	s_wait_alu 0xf1ff
	s_delay_alu instid0(VALU_DEP_1) | instskip(SKIP_2) | instid1(VALU_DEP_2)
	v_cndmask_b32_e64 v74, 0x7ff00000, v74, s17
	s_and_b32 s17, s18, s17
	s_wait_alu 0xfffe
	v_cndmask_b32_e64 v71, 0, v73, s17
	s_delay_alu instid0(VALU_DEP_2) | instskip(SKIP_1) | instid1(VALU_DEP_1)
	v_cndmask_b32_e64 v72, 0, v74, s18
	s_mov_b32 s18, 0x55555555
	v_add_f64_e32 v[73:74], 1.0, v[71:72]
	s_delay_alu instid0(VALU_DEP_1) | instskip(SKIP_3) | instid1(VALU_DEP_3)
	v_frexp_mant_f64_e32 v[75:76], v[73:74]
	v_frexp_exp_i32_f64_e32 v80, v[73:74]
	v_add_f64_e32 v[78:79], -1.0, v[73:74]
	s_wait_alu 0xfffe
	v_cmp_gt_f64_e64 s17, s[18:19], v[75:76]
	s_mov_b32 s18, 0x55555780
	v_add_f64_e64 v[75:76], v[78:79], -v[73:74]
	v_add_f64_e64 v[78:79], v[71:72], -v[78:79]
	s_wait_alu 0xf1ff
	v_subrev_co_ci_u32_e64 v82, null, 0, v80, s17
	s_delay_alu instid0(VALU_DEP_3) | instskip(SKIP_1) | instid1(VALU_DEP_3)
	v_add_f64_e32 v[75:76], 1.0, v[75:76]
	v_cmp_nge_f64_e64 s17, -1.0, v[71:72]
	v_sub_nc_u32_e32 v101, 0, v82
	s_delay_alu instid0(VALU_DEP_1) | instskip(NEXT) | instid1(VALU_DEP_4)
	v_ldexp_f64 v[73:74], v[73:74], v101
	v_add_f64_e32 v[75:76], v[78:79], v[75:76]
	s_delay_alu instid0(VALU_DEP_2) | instskip(SKIP_1) | instid1(VALU_DEP_3)
	v_add_f64_e32 v[80:81], 1.0, v[73:74]
	v_add_f64_e32 v[105:106], -1.0, v[73:74]
	v_ldexp_f64 v[75:76], v[75:76], v101
	s_delay_alu instid0(VALU_DEP_3) | instskip(NEXT) | instid1(VALU_DEP_3)
	v_add_f64_e32 v[78:79], -1.0, v[80:81]
	v_add_f64_e32 v[107:108], 1.0, v[105:106]
	s_delay_alu instid0(VALU_DEP_2) | instskip(NEXT) | instid1(VALU_DEP_2)
	v_add_f64_e64 v[78:79], v[73:74], -v[78:79]
	v_add_f64_e64 v[73:74], v[73:74], -v[107:108]
	s_delay_alu instid0(VALU_DEP_2) | instskip(NEXT) | instid1(VALU_DEP_2)
	v_add_f64_e32 v[78:79], v[75:76], v[78:79]
	v_add_f64_e32 v[73:74], v[75:76], v[73:74]
	s_delay_alu instid0(VALU_DEP_2) | instskip(NEXT) | instid1(VALU_DEP_2)
	v_add_f64_e32 v[101:102], v[80:81], v[78:79]
	v_add_f64_e32 v[107:108], v[105:106], v[73:74]
	s_delay_alu instid0(VALU_DEP_2) | instskip(SKIP_1) | instid1(VALU_DEP_2)
	v_rcp_f64_e32 v[103:104], v[101:102]
	v_add_f64_e64 v[80:81], v[101:102], -v[80:81]
	v_add_f64_e64 v[105:106], v[107:108], -v[105:106]
	s_delay_alu instid0(VALU_DEP_2) | instskip(NEXT) | instid1(TRANS32_DEP_1)
	v_add_f64_e64 v[78:79], v[78:79], -v[80:81]
	v_fma_f64 v[109:110], -v[101:102], v[103:104], 1.0
	s_delay_alu instid0(VALU_DEP_3) | instskip(NEXT) | instid1(VALU_DEP_2)
	v_add_f64_e64 v[73:74], v[73:74], -v[105:106]
	v_fma_f64 v[103:104], v[109:110], v[103:104], v[103:104]
	s_delay_alu instid0(VALU_DEP_1) | instskip(NEXT) | instid1(VALU_DEP_1)
	v_fma_f64 v[75:76], -v[101:102], v[103:104], 1.0
	v_fma_f64 v[75:76], v[75:76], v[103:104], v[103:104]
	s_delay_alu instid0(VALU_DEP_1) | instskip(NEXT) | instid1(VALU_DEP_1)
	v_mul_f64_e32 v[103:104], v[107:108], v[75:76]
	v_mul_f64_e32 v[109:110], v[101:102], v[103:104]
	s_delay_alu instid0(VALU_DEP_1) | instskip(NEXT) | instid1(VALU_DEP_1)
	v_fma_f64 v[80:81], v[103:104], v[101:102], -v[109:110]
	v_fma_f64 v[80:81], v[103:104], v[78:79], v[80:81]
	s_delay_alu instid0(VALU_DEP_1) | instskip(NEXT) | instid1(VALU_DEP_1)
	v_add_f64_e32 v[111:112], v[109:110], v[80:81]
	v_add_f64_e64 v[113:114], v[107:108], -v[111:112]
	v_add_f64_e64 v[105:106], v[111:112], -v[109:110]
	s_delay_alu instid0(VALU_DEP_2) | instskip(NEXT) | instid1(VALU_DEP_2)
	v_add_f64_e64 v[107:108], v[107:108], -v[113:114]
	v_add_f64_e64 v[80:81], v[105:106], -v[80:81]
	s_delay_alu instid0(VALU_DEP_2) | instskip(NEXT) | instid1(VALU_DEP_1)
	v_add_f64_e64 v[107:108], v[107:108], -v[111:112]
	v_add_f64_e32 v[73:74], v[73:74], v[107:108]
	s_delay_alu instid0(VALU_DEP_1) | instskip(NEXT) | instid1(VALU_DEP_1)
	v_add_f64_e32 v[73:74], v[80:81], v[73:74]
	v_add_f64_e32 v[80:81], v[113:114], v[73:74]
	s_delay_alu instid0(VALU_DEP_1) | instskip(SKIP_1) | instid1(VALU_DEP_2)
	v_mul_f64_e32 v[105:106], v[75:76], v[80:81]
	v_add_f64_e64 v[111:112], v[113:114], -v[80:81]
	v_mul_f64_e32 v[107:108], v[101:102], v[105:106]
	s_delay_alu instid0(VALU_DEP_2) | instskip(NEXT) | instid1(VALU_DEP_2)
	v_add_f64_e32 v[73:74], v[73:74], v[111:112]
	v_fma_f64 v[101:102], v[105:106], v[101:102], -v[107:108]
	s_delay_alu instid0(VALU_DEP_1) | instskip(NEXT) | instid1(VALU_DEP_1)
	v_fma_f64 v[78:79], v[105:106], v[78:79], v[101:102]
	v_add_f64_e32 v[101:102], v[107:108], v[78:79]
	s_delay_alu instid0(VALU_DEP_1) | instskip(SKIP_1) | instid1(VALU_DEP_2)
	v_add_f64_e64 v[109:110], v[80:81], -v[101:102]
	v_add_f64_e64 v[107:108], v[101:102], -v[107:108]
	;; [unrolled: 1-line block ×3, first 2 shown]
	s_delay_alu instid0(VALU_DEP_2) | instskip(NEXT) | instid1(VALU_DEP_2)
	v_add_f64_e64 v[78:79], v[107:108], -v[78:79]
	v_add_f64_e64 v[80:81], v[80:81], -v[101:102]
	s_delay_alu instid0(VALU_DEP_1) | instskip(SKIP_1) | instid1(VALU_DEP_2)
	v_add_f64_e32 v[73:74], v[73:74], v[80:81]
	v_add_f64_e32 v[80:81], v[103:104], v[105:106]
	v_add_f64_e32 v[73:74], v[78:79], v[73:74]
	s_delay_alu instid0(VALU_DEP_2) | instskip(NEXT) | instid1(VALU_DEP_2)
	v_add_f64_e64 v[78:79], v[80:81], -v[103:104]
	v_add_f64_e32 v[73:74], v[109:110], v[73:74]
	s_delay_alu instid0(VALU_DEP_2) | instskip(NEXT) | instid1(VALU_DEP_2)
	v_add_f64_e64 v[78:79], v[105:106], -v[78:79]
	v_mul_f64_e32 v[73:74], v[75:76], v[73:74]
	s_delay_alu instid0(VALU_DEP_1) | instskip(NEXT) | instid1(VALU_DEP_1)
	v_add_f64_e32 v[73:74], v[78:79], v[73:74]
	v_add_f64_e32 v[75:76], v[80:81], v[73:74]
	s_delay_alu instid0(VALU_DEP_1) | instskip(NEXT) | instid1(VALU_DEP_1)
	v_mul_f64_e32 v[78:79], v[75:76], v[75:76]
	v_fma_f64 v[101:102], v[78:79], s[44:45], s[42:43]
	s_mov_b32 s42, 0xd7f4df2e
	s_mov_b32 s43, 0x3fc7474d
	v_mul_f64_e32 v[103:104], v[75:76], v[78:79]
	s_wait_alu 0xfffe
	s_delay_alu instid0(VALU_DEP_2) | instskip(SKIP_3) | instid1(VALU_DEP_1)
	v_fma_f64 v[101:102], v[78:79], v[101:102], s[42:43]
	s_mov_b32 s42, 0x16291751
	s_mov_b32 s43, 0x3fcc71c0
	s_wait_alu 0xfffe
	v_fma_f64 v[101:102], v[78:79], v[101:102], s[42:43]
	s_mov_b32 s42, 0x9b27acf1
	s_mov_b32 s43, 0x3fd24924
	s_wait_alu 0xfffe
	s_delay_alu instid0(VALU_DEP_1) | instskip(SKIP_3) | instid1(VALU_DEP_1)
	v_fma_f64 v[101:102], v[78:79], v[101:102], s[42:43]
	s_mov_b32 s42, 0x998ef7b6
	s_mov_b32 s43, 0x3fd99999
	s_wait_alu 0xfffe
	v_fma_f64 v[101:102], v[78:79], v[101:102], s[42:43]
	s_delay_alu instid0(VALU_DEP_1)
	v_fma_f64 v[78:79], v[78:79], v[101:102], s[18:19]
	v_ldexp_f64 v[101:102], v[75:76], 1
	v_add_f64_e64 v[75:76], v[75:76], -v[80:81]
	v_cmp_neq_f64_e64 s18, 0x7ff00000, v[71:72]
	v_cmp_ngt_f64_e64 s19, -1.0, v[71:72]
	v_mul_f64_e32 v[78:79], v[103:104], v[78:79]
	v_cvt_f64_i32_e32 v[103:104], v82
	v_add_f64_e64 v[73:74], v[73:74], -v[75:76]
	s_and_b32 s17, s17, s18
	s_delay_alu instid0(VALU_DEP_3) | instskip(NEXT) | instid1(VALU_DEP_3)
	v_add_f64_e32 v[80:81], v[101:102], v[78:79]
	v_mul_f64_e32 v[105:106], s[20:21], v[103:104]
	s_delay_alu instid0(VALU_DEP_3) | instskip(NEXT) | instid1(VALU_DEP_3)
	v_ldexp_f64 v[73:74], v[73:74], 1
	v_add_f64_e64 v[75:76], v[80:81], -v[101:102]
	s_delay_alu instid0(VALU_DEP_3) | instskip(NEXT) | instid1(VALU_DEP_2)
	v_fma_f64 v[101:102], v[103:104], s[20:21], -v[105:106]
	v_add_f64_e64 v[75:76], v[78:79], -v[75:76]
	s_delay_alu instid0(VALU_DEP_2) | instskip(NEXT) | instid1(VALU_DEP_2)
	v_fma_f64 v[78:79], v[103:104], s[24:25], v[101:102]
	v_add_f64_e32 v[73:74], v[73:74], v[75:76]
	s_delay_alu instid0(VALU_DEP_2) | instskip(NEXT) | instid1(VALU_DEP_2)
	v_add_f64_e32 v[75:76], v[105:106], v[78:79]
	v_add_f64_e32 v[101:102], v[80:81], v[73:74]
	s_delay_alu instid0(VALU_DEP_2) | instskip(NEXT) | instid1(VALU_DEP_2)
	v_add_f64_e64 v[105:106], v[75:76], -v[105:106]
	v_add_f64_e32 v[103:104], v[75:76], v[101:102]
	v_add_f64_e64 v[80:81], v[101:102], -v[80:81]
	s_delay_alu instid0(VALU_DEP_3) | instskip(NEXT) | instid1(VALU_DEP_3)
	v_add_f64_e64 v[78:79], v[78:79], -v[105:106]
	v_add_f64_e64 v[107:108], v[103:104], -v[75:76]
	s_delay_alu instid0(VALU_DEP_3) | instskip(NEXT) | instid1(VALU_DEP_2)
	v_add_f64_e64 v[73:74], v[73:74], -v[80:81]
	v_add_f64_e64 v[109:110], v[103:104], -v[107:108]
	;; [unrolled: 1-line block ×3, first 2 shown]
	s_delay_alu instid0(VALU_DEP_3) | instskip(NEXT) | instid1(VALU_DEP_3)
	v_add_f64_e32 v[101:102], v[78:79], v[73:74]
	v_add_f64_e64 v[75:76], v[75:76], -v[109:110]
	s_delay_alu instid0(VALU_DEP_1) | instskip(NEXT) | instid1(VALU_DEP_3)
	v_add_f64_e32 v[75:76], v[80:81], v[75:76]
	v_add_f64_e64 v[80:81], v[101:102], -v[78:79]
	s_delay_alu instid0(VALU_DEP_2) | instskip(NEXT) | instid1(VALU_DEP_2)
	v_add_f64_e32 v[75:76], v[101:102], v[75:76]
	v_add_f64_e64 v[101:102], v[101:102], -v[80:81]
	v_add_f64_e64 v[73:74], v[73:74], -v[80:81]
	s_delay_alu instid0(VALU_DEP_3) | instskip(NEXT) | instid1(VALU_DEP_3)
	v_add_f64_e32 v[105:106], v[103:104], v[75:76]
	v_add_f64_e64 v[78:79], v[78:79], -v[101:102]
	s_delay_alu instid0(VALU_DEP_2) | instskip(NEXT) | instid1(VALU_DEP_2)
	v_add_f64_e64 v[80:81], v[105:106], -v[103:104]
	v_add_f64_e32 v[73:74], v[73:74], v[78:79]
	s_delay_alu instid0(VALU_DEP_2) | instskip(NEXT) | instid1(VALU_DEP_1)
	v_add_f64_e64 v[75:76], v[75:76], -v[80:81]
	v_add_f64_e32 v[73:74], v[73:74], v[75:76]
	s_delay_alu instid0(VALU_DEP_1) | instskip(SKIP_1) | instid1(VALU_DEP_1)
	v_add_f64_e32 v[73:74], v[105:106], v[73:74]
	s_wait_alu 0xfffe
	v_cndmask_b32_e64 v73, 0, v73, s17
	v_cmp_neq_f64_e64 s17, -1.0, v[71:72]
	s_delay_alu instid0(VALU_DEP_3) | instskip(NEXT) | instid1(VALU_DEP_1)
	v_cndmask_b32_e64 v74, 0x7ff00000, v74, s18
	v_cndmask_b32_e64 v74, 0x7ff80000, v74, s19
	s_wait_alu 0xf1ff
	s_delay_alu instid0(VALU_DEP_1) | instskip(NEXT) | instid1(VALU_DEP_1)
	v_cndmask_b32_e64 v74, 0xfff00000, v74, s17
	v_add_f64_e32 v[71:72], v[69:70], v[73:74]
.LBB71_245:
	s_wait_alu 0xfffe
	s_or_b32 exec_lo, exec_lo, s29
	s_delay_alu instid0(VALU_DEP_1)
	v_dual_mov_b32 v73, v71 :: v_dual_mov_b32 v74, v72
	v_dual_mov_b32 v69, v71 :: v_dual_mov_b32 v70, v72
.LBB71_246:
	s_wait_alu 0xfffe
	s_or_b32 exec_lo, exec_lo, s28
	ds_swizzle_b32 v71, v73 offset:swizzle(BROADCAST,32,15)
	ds_swizzle_b32 v72, v74 offset:swizzle(BROADCAST,32,15)
	v_and_b32_e32 v73, 16, v77
	s_mov_b32 s28, exec_lo
	s_delay_alu instid0(VALU_DEP_1)
	v_cmpx_ne_u32_e32 0, v73
	s_cbranch_execz .LBB71_250
; %bb.247:
	s_wait_dscnt 0x0
	v_max_num_f64_e32 v[73:74], v[71:72], v[71:72]
	v_max_num_f64_e32 v[75:76], v[69:70], v[69:70]
	v_cmp_u_f64_e64 s17, v[71:72], v[71:72]
	v_cmp_u_f64_e64 s18, v[69:70], v[69:70]
	s_delay_alu instid0(VALU_DEP_3) | instskip(SKIP_2) | instid1(VALU_DEP_2)
	v_min_num_f64_e32 v[78:79], v[73:74], v[75:76]
	v_max_num_f64_e32 v[73:74], v[73:74], v[75:76]
	s_wait_alu 0xf1ff
	v_cndmask_b32_e64 v75, v79, v72, s17
	s_delay_alu instid0(VALU_DEP_3) | instskip(NEXT) | instid1(VALU_DEP_3)
	v_cndmask_b32_e64 v76, v78, v71, s17
	v_cndmask_b32_e64 v78, v74, v72, s17
	s_delay_alu instid0(VALU_DEP_4) | instskip(NEXT) | instid1(VALU_DEP_4)
	v_cndmask_b32_e64 v79, v73, v71, s17
	v_cndmask_b32_e64 v74, v75, v70, s18
	s_delay_alu instid0(VALU_DEP_4) | instskip(NEXT) | instid1(VALU_DEP_4)
	v_cndmask_b32_e64 v73, v76, v69, s18
	v_cndmask_b32_e64 v70, v78, v70, s18
	s_delay_alu instid0(VALU_DEP_4) | instskip(NEXT) | instid1(VALU_DEP_3)
	v_cndmask_b32_e64 v69, v79, v69, s18
	v_cmp_class_f64_e64 s18, v[73:74], 0x1f8
	s_delay_alu instid0(VALU_DEP_2)
	v_cmp_neq_f64_e64 s17, v[73:74], v[69:70]
	s_or_b32 s17, s17, s18
	s_wait_alu 0xfffe
	s_and_saveexec_b32 s29, s17
	s_cbranch_execz .LBB71_249
; %bb.248:
	v_add_f64_e64 v[71:72], v[73:74], -v[69:70]
	s_mov_b32 s18, 0x652b82fe
	s_mov_b32 s19, 0x3ff71547
	;; [unrolled: 1-line block ×10, first 2 shown]
	s_wait_alu 0xfffe
	s_delay_alu instid0(VALU_DEP_1) | instskip(SKIP_3) | instid1(VALU_DEP_2)
	v_mul_f64_e32 v[73:74], s[18:19], v[71:72]
	s_mov_b32 s18, 0xfca7ab0c
	s_mov_b32 s19, 0x3e928af3
	v_cmp_nlt_f64_e64 s17, 0x40900000, v[71:72]
	v_rndne_f64_e32 v[73:74], v[73:74]
	s_delay_alu instid0(VALU_DEP_1) | instskip(SKIP_2) | instid1(VALU_DEP_2)
	v_fma_f64 v[75:76], v[73:74], s[20:21], v[71:72]
	v_cvt_i32_f64_e32 v80, v[73:74]
	s_mov_b32 s21, 0x3fe62e42
	v_fma_f64 v[75:76], v[73:74], s[24:25], v[75:76]
	s_mov_b32 s25, 0x3c7abc9e
	s_wait_alu 0xfffe
	s_delay_alu instid0(VALU_DEP_1)
	v_fma_f64 v[78:79], v[75:76], s[42:43], s[18:19]
	s_mov_b32 s18, 0x623fde64
	s_mov_b32 s19, 0x3ec71dee
	;; [unrolled: 1-line block ×4, first 2 shown]
	s_wait_alu 0xfffe
	s_delay_alu instid0(VALU_DEP_1) | instskip(SKIP_3) | instid1(VALU_DEP_1)
	v_fma_f64 v[78:79], v[75:76], v[78:79], s[18:19]
	s_mov_b32 s18, 0x7c89e6b0
	s_mov_b32 s19, 0x3efa0199
	s_wait_alu 0xfffe
	v_fma_f64 v[78:79], v[75:76], v[78:79], s[18:19]
	s_mov_b32 s18, 0x14761f6e
	s_mov_b32 s19, 0x3f2a01a0
	s_wait_alu 0xfffe
	s_delay_alu instid0(VALU_DEP_1) | instskip(SKIP_3) | instid1(VALU_DEP_1)
	v_fma_f64 v[78:79], v[75:76], v[78:79], s[18:19]
	s_mov_b32 s18, 0x1852b7b0
	s_mov_b32 s19, 0x3f56c16c
	s_wait_alu 0xfffe
	v_fma_f64 v[78:79], v[75:76], v[78:79], s[18:19]
	s_mov_b32 s18, 0x11122322
	s_mov_b32 s19, 0x3f811111
	;; [unrolled: 9-line block ×3, first 2 shown]
	s_wait_alu 0xfffe
	s_delay_alu instid0(VALU_DEP_1) | instskip(SKIP_3) | instid1(VALU_DEP_1)
	v_fma_f64 v[78:79], v[75:76], v[78:79], s[18:19]
	s_mov_b32 s18, 11
	s_mov_b32 s19, 0x3fe00000
	s_wait_alu 0xfffe
	v_fma_f64 v[78:79], v[75:76], v[78:79], s[18:19]
	v_cmp_ngt_f64_e64 s18, 0xc090cc00, v[71:72]
	s_mov_b32 s19, 0x3fe55555
	v_fma_f64 v[78:79], v[75:76], v[78:79], 1.0
	s_delay_alu instid0(VALU_DEP_1) | instskip(NEXT) | instid1(VALU_DEP_1)
	v_fma_f64 v[73:74], v[75:76], v[78:79], 1.0
	v_ldexp_f64 v[73:74], v[73:74], v80
	s_wait_alu 0xf1ff
	s_delay_alu instid0(VALU_DEP_1) | instskip(SKIP_2) | instid1(VALU_DEP_2)
	v_cndmask_b32_e64 v74, 0x7ff00000, v74, s17
	s_and_b32 s17, s18, s17
	s_wait_alu 0xfffe
	v_cndmask_b32_e64 v71, 0, v73, s17
	s_delay_alu instid0(VALU_DEP_2) | instskip(SKIP_1) | instid1(VALU_DEP_1)
	v_cndmask_b32_e64 v72, 0, v74, s18
	s_mov_b32 s18, 0x55555555
	v_add_f64_e32 v[73:74], 1.0, v[71:72]
	s_delay_alu instid0(VALU_DEP_1) | instskip(SKIP_3) | instid1(VALU_DEP_3)
	v_frexp_mant_f64_e32 v[75:76], v[73:74]
	v_frexp_exp_i32_f64_e32 v80, v[73:74]
	v_add_f64_e32 v[78:79], -1.0, v[73:74]
	s_wait_alu 0xfffe
	v_cmp_gt_f64_e64 s17, s[18:19], v[75:76]
	s_mov_b32 s18, 0x55555780
	v_add_f64_e64 v[75:76], v[78:79], -v[73:74]
	v_add_f64_e64 v[78:79], v[71:72], -v[78:79]
	s_wait_alu 0xf1ff
	v_subrev_co_ci_u32_e64 v82, null, 0, v80, s17
	s_delay_alu instid0(VALU_DEP_3) | instskip(SKIP_1) | instid1(VALU_DEP_3)
	v_add_f64_e32 v[75:76], 1.0, v[75:76]
	v_cmp_nge_f64_e64 s17, -1.0, v[71:72]
	v_sub_nc_u32_e32 v101, 0, v82
	s_delay_alu instid0(VALU_DEP_1) | instskip(NEXT) | instid1(VALU_DEP_4)
	v_ldexp_f64 v[73:74], v[73:74], v101
	v_add_f64_e32 v[75:76], v[78:79], v[75:76]
	s_delay_alu instid0(VALU_DEP_2) | instskip(SKIP_1) | instid1(VALU_DEP_3)
	v_add_f64_e32 v[80:81], 1.0, v[73:74]
	v_add_f64_e32 v[105:106], -1.0, v[73:74]
	v_ldexp_f64 v[75:76], v[75:76], v101
	s_delay_alu instid0(VALU_DEP_3) | instskip(NEXT) | instid1(VALU_DEP_3)
	v_add_f64_e32 v[78:79], -1.0, v[80:81]
	v_add_f64_e32 v[107:108], 1.0, v[105:106]
	s_delay_alu instid0(VALU_DEP_2) | instskip(NEXT) | instid1(VALU_DEP_2)
	v_add_f64_e64 v[78:79], v[73:74], -v[78:79]
	v_add_f64_e64 v[73:74], v[73:74], -v[107:108]
	s_delay_alu instid0(VALU_DEP_2) | instskip(NEXT) | instid1(VALU_DEP_2)
	v_add_f64_e32 v[78:79], v[75:76], v[78:79]
	v_add_f64_e32 v[73:74], v[75:76], v[73:74]
	s_delay_alu instid0(VALU_DEP_2) | instskip(NEXT) | instid1(VALU_DEP_2)
	v_add_f64_e32 v[101:102], v[80:81], v[78:79]
	v_add_f64_e32 v[107:108], v[105:106], v[73:74]
	s_delay_alu instid0(VALU_DEP_2) | instskip(SKIP_1) | instid1(VALU_DEP_2)
	v_rcp_f64_e32 v[103:104], v[101:102]
	v_add_f64_e64 v[80:81], v[101:102], -v[80:81]
	v_add_f64_e64 v[105:106], v[107:108], -v[105:106]
	s_delay_alu instid0(VALU_DEP_2) | instskip(NEXT) | instid1(TRANS32_DEP_1)
	v_add_f64_e64 v[78:79], v[78:79], -v[80:81]
	v_fma_f64 v[109:110], -v[101:102], v[103:104], 1.0
	s_delay_alu instid0(VALU_DEP_3) | instskip(NEXT) | instid1(VALU_DEP_2)
	v_add_f64_e64 v[73:74], v[73:74], -v[105:106]
	v_fma_f64 v[103:104], v[109:110], v[103:104], v[103:104]
	s_delay_alu instid0(VALU_DEP_1) | instskip(NEXT) | instid1(VALU_DEP_1)
	v_fma_f64 v[75:76], -v[101:102], v[103:104], 1.0
	v_fma_f64 v[75:76], v[75:76], v[103:104], v[103:104]
	s_delay_alu instid0(VALU_DEP_1) | instskip(NEXT) | instid1(VALU_DEP_1)
	v_mul_f64_e32 v[103:104], v[107:108], v[75:76]
	v_mul_f64_e32 v[109:110], v[101:102], v[103:104]
	s_delay_alu instid0(VALU_DEP_1) | instskip(NEXT) | instid1(VALU_DEP_1)
	v_fma_f64 v[80:81], v[103:104], v[101:102], -v[109:110]
	v_fma_f64 v[80:81], v[103:104], v[78:79], v[80:81]
	s_delay_alu instid0(VALU_DEP_1) | instskip(NEXT) | instid1(VALU_DEP_1)
	v_add_f64_e32 v[111:112], v[109:110], v[80:81]
	v_add_f64_e64 v[113:114], v[107:108], -v[111:112]
	v_add_f64_e64 v[105:106], v[111:112], -v[109:110]
	s_delay_alu instid0(VALU_DEP_2) | instskip(NEXT) | instid1(VALU_DEP_2)
	v_add_f64_e64 v[107:108], v[107:108], -v[113:114]
	v_add_f64_e64 v[80:81], v[105:106], -v[80:81]
	s_delay_alu instid0(VALU_DEP_2) | instskip(NEXT) | instid1(VALU_DEP_1)
	v_add_f64_e64 v[107:108], v[107:108], -v[111:112]
	v_add_f64_e32 v[73:74], v[73:74], v[107:108]
	s_delay_alu instid0(VALU_DEP_1) | instskip(NEXT) | instid1(VALU_DEP_1)
	v_add_f64_e32 v[73:74], v[80:81], v[73:74]
	v_add_f64_e32 v[80:81], v[113:114], v[73:74]
	s_delay_alu instid0(VALU_DEP_1) | instskip(SKIP_1) | instid1(VALU_DEP_2)
	v_mul_f64_e32 v[105:106], v[75:76], v[80:81]
	v_add_f64_e64 v[111:112], v[113:114], -v[80:81]
	v_mul_f64_e32 v[107:108], v[101:102], v[105:106]
	s_delay_alu instid0(VALU_DEP_2) | instskip(NEXT) | instid1(VALU_DEP_2)
	v_add_f64_e32 v[73:74], v[73:74], v[111:112]
	v_fma_f64 v[101:102], v[105:106], v[101:102], -v[107:108]
	s_delay_alu instid0(VALU_DEP_1) | instskip(NEXT) | instid1(VALU_DEP_1)
	v_fma_f64 v[78:79], v[105:106], v[78:79], v[101:102]
	v_add_f64_e32 v[101:102], v[107:108], v[78:79]
	s_delay_alu instid0(VALU_DEP_1) | instskip(SKIP_1) | instid1(VALU_DEP_2)
	v_add_f64_e64 v[109:110], v[80:81], -v[101:102]
	v_add_f64_e64 v[107:108], v[101:102], -v[107:108]
	;; [unrolled: 1-line block ×3, first 2 shown]
	s_delay_alu instid0(VALU_DEP_2) | instskip(NEXT) | instid1(VALU_DEP_2)
	v_add_f64_e64 v[78:79], v[107:108], -v[78:79]
	v_add_f64_e64 v[80:81], v[80:81], -v[101:102]
	s_delay_alu instid0(VALU_DEP_1) | instskip(SKIP_1) | instid1(VALU_DEP_2)
	v_add_f64_e32 v[73:74], v[73:74], v[80:81]
	v_add_f64_e32 v[80:81], v[103:104], v[105:106]
	v_add_f64_e32 v[73:74], v[78:79], v[73:74]
	s_delay_alu instid0(VALU_DEP_2) | instskip(NEXT) | instid1(VALU_DEP_2)
	v_add_f64_e64 v[78:79], v[80:81], -v[103:104]
	v_add_f64_e32 v[73:74], v[109:110], v[73:74]
	s_delay_alu instid0(VALU_DEP_2) | instskip(NEXT) | instid1(VALU_DEP_2)
	v_add_f64_e64 v[78:79], v[105:106], -v[78:79]
	v_mul_f64_e32 v[73:74], v[75:76], v[73:74]
	s_delay_alu instid0(VALU_DEP_1) | instskip(NEXT) | instid1(VALU_DEP_1)
	v_add_f64_e32 v[73:74], v[78:79], v[73:74]
	v_add_f64_e32 v[75:76], v[80:81], v[73:74]
	s_delay_alu instid0(VALU_DEP_1) | instskip(NEXT) | instid1(VALU_DEP_1)
	v_mul_f64_e32 v[78:79], v[75:76], v[75:76]
	v_fma_f64 v[101:102], v[78:79], s[44:45], s[42:43]
	s_mov_b32 s42, 0xd7f4df2e
	s_mov_b32 s43, 0x3fc7474d
	v_mul_f64_e32 v[103:104], v[75:76], v[78:79]
	s_wait_alu 0xfffe
	s_delay_alu instid0(VALU_DEP_2) | instskip(SKIP_3) | instid1(VALU_DEP_1)
	v_fma_f64 v[101:102], v[78:79], v[101:102], s[42:43]
	s_mov_b32 s42, 0x16291751
	s_mov_b32 s43, 0x3fcc71c0
	s_wait_alu 0xfffe
	v_fma_f64 v[101:102], v[78:79], v[101:102], s[42:43]
	s_mov_b32 s42, 0x9b27acf1
	s_mov_b32 s43, 0x3fd24924
	s_wait_alu 0xfffe
	s_delay_alu instid0(VALU_DEP_1) | instskip(SKIP_3) | instid1(VALU_DEP_1)
	v_fma_f64 v[101:102], v[78:79], v[101:102], s[42:43]
	s_mov_b32 s42, 0x998ef7b6
	s_mov_b32 s43, 0x3fd99999
	s_wait_alu 0xfffe
	v_fma_f64 v[101:102], v[78:79], v[101:102], s[42:43]
	s_delay_alu instid0(VALU_DEP_1)
	v_fma_f64 v[78:79], v[78:79], v[101:102], s[18:19]
	v_ldexp_f64 v[101:102], v[75:76], 1
	v_add_f64_e64 v[75:76], v[75:76], -v[80:81]
	v_cmp_neq_f64_e64 s18, 0x7ff00000, v[71:72]
	v_cmp_ngt_f64_e64 s19, -1.0, v[71:72]
	v_mul_f64_e32 v[78:79], v[103:104], v[78:79]
	v_cvt_f64_i32_e32 v[103:104], v82
	v_add_f64_e64 v[73:74], v[73:74], -v[75:76]
	s_and_b32 s17, s17, s18
	s_delay_alu instid0(VALU_DEP_3) | instskip(NEXT) | instid1(VALU_DEP_3)
	v_add_f64_e32 v[80:81], v[101:102], v[78:79]
	v_mul_f64_e32 v[105:106], s[20:21], v[103:104]
	s_delay_alu instid0(VALU_DEP_3) | instskip(NEXT) | instid1(VALU_DEP_3)
	v_ldexp_f64 v[73:74], v[73:74], 1
	v_add_f64_e64 v[75:76], v[80:81], -v[101:102]
	s_delay_alu instid0(VALU_DEP_3) | instskip(NEXT) | instid1(VALU_DEP_2)
	v_fma_f64 v[101:102], v[103:104], s[20:21], -v[105:106]
	v_add_f64_e64 v[75:76], v[78:79], -v[75:76]
	s_delay_alu instid0(VALU_DEP_2) | instskip(NEXT) | instid1(VALU_DEP_2)
	v_fma_f64 v[78:79], v[103:104], s[24:25], v[101:102]
	v_add_f64_e32 v[73:74], v[73:74], v[75:76]
	s_delay_alu instid0(VALU_DEP_2) | instskip(NEXT) | instid1(VALU_DEP_2)
	v_add_f64_e32 v[75:76], v[105:106], v[78:79]
	v_add_f64_e32 v[101:102], v[80:81], v[73:74]
	s_delay_alu instid0(VALU_DEP_2) | instskip(NEXT) | instid1(VALU_DEP_2)
	v_add_f64_e64 v[105:106], v[75:76], -v[105:106]
	v_add_f64_e32 v[103:104], v[75:76], v[101:102]
	v_add_f64_e64 v[80:81], v[101:102], -v[80:81]
	s_delay_alu instid0(VALU_DEP_3) | instskip(NEXT) | instid1(VALU_DEP_3)
	v_add_f64_e64 v[78:79], v[78:79], -v[105:106]
	v_add_f64_e64 v[107:108], v[103:104], -v[75:76]
	s_delay_alu instid0(VALU_DEP_3) | instskip(NEXT) | instid1(VALU_DEP_2)
	v_add_f64_e64 v[73:74], v[73:74], -v[80:81]
	v_add_f64_e64 v[109:110], v[103:104], -v[107:108]
	;; [unrolled: 1-line block ×3, first 2 shown]
	s_delay_alu instid0(VALU_DEP_3) | instskip(NEXT) | instid1(VALU_DEP_3)
	v_add_f64_e32 v[101:102], v[78:79], v[73:74]
	v_add_f64_e64 v[75:76], v[75:76], -v[109:110]
	s_delay_alu instid0(VALU_DEP_1) | instskip(NEXT) | instid1(VALU_DEP_3)
	v_add_f64_e32 v[75:76], v[80:81], v[75:76]
	v_add_f64_e64 v[80:81], v[101:102], -v[78:79]
	s_delay_alu instid0(VALU_DEP_2) | instskip(NEXT) | instid1(VALU_DEP_2)
	v_add_f64_e32 v[75:76], v[101:102], v[75:76]
	v_add_f64_e64 v[101:102], v[101:102], -v[80:81]
	v_add_f64_e64 v[73:74], v[73:74], -v[80:81]
	s_delay_alu instid0(VALU_DEP_3) | instskip(NEXT) | instid1(VALU_DEP_3)
	v_add_f64_e32 v[105:106], v[103:104], v[75:76]
	v_add_f64_e64 v[78:79], v[78:79], -v[101:102]
	s_delay_alu instid0(VALU_DEP_2) | instskip(NEXT) | instid1(VALU_DEP_2)
	v_add_f64_e64 v[80:81], v[105:106], -v[103:104]
	v_add_f64_e32 v[73:74], v[73:74], v[78:79]
	s_delay_alu instid0(VALU_DEP_2) | instskip(NEXT) | instid1(VALU_DEP_1)
	v_add_f64_e64 v[75:76], v[75:76], -v[80:81]
	v_add_f64_e32 v[73:74], v[73:74], v[75:76]
	s_delay_alu instid0(VALU_DEP_1) | instskip(SKIP_1) | instid1(VALU_DEP_1)
	v_add_f64_e32 v[73:74], v[105:106], v[73:74]
	s_wait_alu 0xfffe
	v_cndmask_b32_e64 v73, 0, v73, s17
	v_cmp_neq_f64_e64 s17, -1.0, v[71:72]
	s_delay_alu instid0(VALU_DEP_3) | instskip(NEXT) | instid1(VALU_DEP_1)
	v_cndmask_b32_e64 v74, 0x7ff00000, v74, s18
	v_cndmask_b32_e64 v74, 0x7ff80000, v74, s19
	s_wait_alu 0xf1ff
	s_delay_alu instid0(VALU_DEP_1) | instskip(NEXT) | instid1(VALU_DEP_1)
	v_cndmask_b32_e64 v74, 0xfff00000, v74, s17
	v_add_f64_e32 v[71:72], v[69:70], v[73:74]
.LBB71_249:
	s_wait_alu 0xfffe
	s_or_b32 exec_lo, exec_lo, s29
	s_delay_alu instid0(VALU_DEP_1)
	v_dual_mov_b32 v69, v71 :: v_dual_mov_b32 v70, v72
.LBB71_250:
	s_wait_alu 0xfffe
	s_or_b32 exec_lo, exec_lo, s28
	s_wait_dscnt 0x1
	v_or_b32_e32 v71, 31, v0
	v_lshrrev_b32_e32 v78, 5, v0
	s_mov_b32 s18, exec_lo
	s_delay_alu instid0(VALU_DEP_2)
	v_cmpx_eq_u32_e64 v0, v71
; %bb.251:
	s_delay_alu instid0(VALU_DEP_2)
	v_lshlrev_b32_e32 v71, 3, v78
	ds_store_b64 v71, v[69:70]
; %bb.252:
	s_wait_alu 0xfffe
	s_or_b32 exec_lo, exec_lo, s18
	s_delay_alu instid0(SALU_CYCLE_1)
	s_mov_b32 s28, exec_lo
	s_wait_loadcnt_dscnt 0x0
	s_barrier_signal -1
	s_barrier_wait -1
	global_inv scope:SCOPE_SE
	v_cmpx_gt_u32_e32 8, v0
	s_cbranch_execz .LBB71_266
; %bb.253:
	ds_load_b64 v[71:72], v98
	v_and_b32_e32 v79, 7, v77
	s_mov_b32 s29, exec_lo
	s_wait_dscnt 0x0
	v_mov_b32_dpp v73, v71 row_shr:1 row_mask:0xf bank_mask:0xf
	v_mov_b32_dpp v74, v72 row_shr:1 row_mask:0xf bank_mask:0xf
	v_dual_mov_b32 v75, v71 :: v_dual_mov_b32 v76, v72
	v_cmpx_ne_u32_e32 0, v79
	s_cbranch_execz .LBB71_257
; %bb.254:
	s_delay_alu instid0(VALU_DEP_3) | instskip(SKIP_3) | instid1(VALU_DEP_3)
	v_max_num_f64_e32 v[75:76], v[73:74], v[73:74]
	v_max_num_f64_e32 v[80:81], v[71:72], v[71:72]
	v_cmp_u_f64_e64 s17, v[73:74], v[73:74]
	v_cmp_u_f64_e64 s18, v[71:72], v[71:72]
	v_min_num_f64_e32 v[101:102], v[75:76], v[80:81]
	v_max_num_f64_e32 v[75:76], v[75:76], v[80:81]
	s_wait_alu 0xf1ff
	s_delay_alu instid0(VALU_DEP_2) | instskip(NEXT) | instid1(VALU_DEP_3)
	v_cndmask_b32_e64 v80, v102, v74, s17
	v_cndmask_b32_e64 v81, v101, v73, s17
	s_delay_alu instid0(VALU_DEP_3) | instskip(NEXT) | instid1(VALU_DEP_4)
	v_cndmask_b32_e64 v82, v76, v74, s17
	v_cndmask_b32_e64 v101, v75, v73, s17
	s_delay_alu instid0(VALU_DEP_4) | instskip(NEXT) | instid1(VALU_DEP_4)
	v_cndmask_b32_e64 v76, v80, v72, s18
	v_cndmask_b32_e64 v75, v81, v71, s18
	s_delay_alu instid0(VALU_DEP_4) | instskip(NEXT) | instid1(VALU_DEP_4)
	v_cndmask_b32_e64 v72, v82, v72, s18
	v_cndmask_b32_e64 v71, v101, v71, s18
	s_delay_alu instid0(VALU_DEP_3) | instskip(NEXT) | instid1(VALU_DEP_2)
	v_cmp_class_f64_e64 s18, v[75:76], 0x1f8
	v_cmp_neq_f64_e64 s17, v[75:76], v[71:72]
	s_or_b32 s17, s17, s18
	s_wait_alu 0xfffe
	s_and_saveexec_b32 s33, s17
	s_cbranch_execz .LBB71_256
; %bb.255:
	v_add_f64_e64 v[73:74], v[75:76], -v[71:72]
	s_mov_b32 s18, 0x652b82fe
	s_mov_b32 s19, 0x3ff71547
	;; [unrolled: 1-line block ×10, first 2 shown]
	s_wait_alu 0xfffe
	s_delay_alu instid0(VALU_DEP_1) | instskip(SKIP_3) | instid1(VALU_DEP_2)
	v_mul_f64_e32 v[75:76], s[18:19], v[73:74]
	s_mov_b32 s18, 0xfca7ab0c
	s_mov_b32 s19, 0x3e928af3
	v_cmp_nlt_f64_e64 s17, 0x40900000, v[73:74]
	v_rndne_f64_e32 v[75:76], v[75:76]
	s_delay_alu instid0(VALU_DEP_1) | instskip(SKIP_2) | instid1(VALU_DEP_2)
	v_fma_f64 v[80:81], v[75:76], s[20:21], v[73:74]
	v_cvt_i32_f64_e32 v82, v[75:76]
	s_mov_b32 s21, 0x3fe62e42
	v_fma_f64 v[80:81], v[75:76], s[24:25], v[80:81]
	s_mov_b32 s25, 0x3c7abc9e
	s_wait_alu 0xfffe
	s_delay_alu instid0(VALU_DEP_1)
	v_fma_f64 v[101:102], v[80:81], s[42:43], s[18:19]
	s_mov_b32 s18, 0x623fde64
	s_mov_b32 s19, 0x3ec71dee
	;; [unrolled: 1-line block ×4, first 2 shown]
	s_wait_alu 0xfffe
	s_delay_alu instid0(VALU_DEP_1) | instskip(SKIP_3) | instid1(VALU_DEP_1)
	v_fma_f64 v[101:102], v[80:81], v[101:102], s[18:19]
	s_mov_b32 s18, 0x7c89e6b0
	s_mov_b32 s19, 0x3efa0199
	s_wait_alu 0xfffe
	v_fma_f64 v[101:102], v[80:81], v[101:102], s[18:19]
	s_mov_b32 s18, 0x14761f6e
	s_mov_b32 s19, 0x3f2a01a0
	s_wait_alu 0xfffe
	s_delay_alu instid0(VALU_DEP_1) | instskip(SKIP_3) | instid1(VALU_DEP_1)
	v_fma_f64 v[101:102], v[80:81], v[101:102], s[18:19]
	s_mov_b32 s18, 0x1852b7b0
	s_mov_b32 s19, 0x3f56c16c
	s_wait_alu 0xfffe
	v_fma_f64 v[101:102], v[80:81], v[101:102], s[18:19]
	s_mov_b32 s18, 0x11122322
	s_mov_b32 s19, 0x3f811111
	s_wait_alu 0xfffe
	s_delay_alu instid0(VALU_DEP_1) | instskip(SKIP_3) | instid1(VALU_DEP_1)
	v_fma_f64 v[101:102], v[80:81], v[101:102], s[18:19]
	s_mov_b32 s18, 0x555502a1
	s_mov_b32 s19, 0x3fa55555
	s_wait_alu 0xfffe
	v_fma_f64 v[101:102], v[80:81], v[101:102], s[18:19]
	s_mov_b32 s18, 0x55555511
	s_mov_b32 s19, 0x3fc55555
	s_wait_alu 0xfffe
	s_delay_alu instid0(VALU_DEP_1) | instskip(SKIP_3) | instid1(VALU_DEP_1)
	v_fma_f64 v[101:102], v[80:81], v[101:102], s[18:19]
	s_mov_b32 s18, 11
	s_mov_b32 s19, 0x3fe00000
	s_wait_alu 0xfffe
	v_fma_f64 v[101:102], v[80:81], v[101:102], s[18:19]
	v_cmp_ngt_f64_e64 s18, 0xc090cc00, v[73:74]
	s_mov_b32 s19, 0x3fe55555
	v_fma_f64 v[101:102], v[80:81], v[101:102], 1.0
	s_delay_alu instid0(VALU_DEP_1) | instskip(NEXT) | instid1(VALU_DEP_1)
	v_fma_f64 v[75:76], v[80:81], v[101:102], 1.0
	v_ldexp_f64 v[75:76], v[75:76], v82
	s_wait_alu 0xf1ff
	s_delay_alu instid0(VALU_DEP_1) | instskip(SKIP_2) | instid1(VALU_DEP_2)
	v_cndmask_b32_e64 v76, 0x7ff00000, v76, s17
	s_and_b32 s17, s18, s17
	s_wait_alu 0xfffe
	v_cndmask_b32_e64 v73, 0, v75, s17
	s_delay_alu instid0(VALU_DEP_2) | instskip(SKIP_1) | instid1(VALU_DEP_1)
	v_cndmask_b32_e64 v74, 0, v76, s18
	s_mov_b32 s18, 0x55555555
	v_add_f64_e32 v[75:76], 1.0, v[73:74]
	s_delay_alu instid0(VALU_DEP_1) | instskip(SKIP_3) | instid1(VALU_DEP_3)
	v_frexp_mant_f64_e32 v[80:81], v[75:76]
	v_frexp_exp_i32_f64_e32 v82, v[75:76]
	v_add_f64_e32 v[101:102], -1.0, v[75:76]
	s_wait_alu 0xfffe
	v_cmp_gt_f64_e64 s17, s[18:19], v[80:81]
	s_mov_b32 s18, 0x55555780
	v_add_f64_e64 v[80:81], v[101:102], -v[75:76]
	v_add_f64_e64 v[101:102], v[73:74], -v[101:102]
	s_wait_alu 0xf1ff
	v_subrev_co_ci_u32_e64 v82, null, 0, v82, s17
	s_delay_alu instid0(VALU_DEP_3) | instskip(SKIP_1) | instid1(VALU_DEP_3)
	v_add_f64_e32 v[80:81], 1.0, v[80:81]
	v_cmp_nge_f64_e64 s17, -1.0, v[73:74]
	v_sub_nc_u32_e32 v105, 0, v82
	s_delay_alu instid0(VALU_DEP_1) | instskip(NEXT) | instid1(VALU_DEP_4)
	v_ldexp_f64 v[75:76], v[75:76], v105
	v_add_f64_e32 v[80:81], v[101:102], v[80:81]
	s_delay_alu instid0(VALU_DEP_2) | instskip(SKIP_1) | instid1(VALU_DEP_3)
	v_add_f64_e32 v[103:104], 1.0, v[75:76]
	v_add_f64_e32 v[109:110], -1.0, v[75:76]
	v_ldexp_f64 v[80:81], v[80:81], v105
	s_delay_alu instid0(VALU_DEP_3) | instskip(NEXT) | instid1(VALU_DEP_3)
	v_add_f64_e32 v[101:102], -1.0, v[103:104]
	v_add_f64_e32 v[111:112], 1.0, v[109:110]
	s_delay_alu instid0(VALU_DEP_2) | instskip(NEXT) | instid1(VALU_DEP_2)
	v_add_f64_e64 v[101:102], v[75:76], -v[101:102]
	v_add_f64_e64 v[75:76], v[75:76], -v[111:112]
	s_delay_alu instid0(VALU_DEP_2) | instskip(NEXT) | instid1(VALU_DEP_2)
	v_add_f64_e32 v[101:102], v[80:81], v[101:102]
	v_add_f64_e32 v[75:76], v[80:81], v[75:76]
	s_delay_alu instid0(VALU_DEP_2) | instskip(NEXT) | instid1(VALU_DEP_2)
	v_add_f64_e32 v[105:106], v[103:104], v[101:102]
	v_add_f64_e32 v[111:112], v[109:110], v[75:76]
	s_delay_alu instid0(VALU_DEP_2) | instskip(SKIP_1) | instid1(VALU_DEP_2)
	v_rcp_f64_e32 v[107:108], v[105:106]
	v_add_f64_e64 v[103:104], v[105:106], -v[103:104]
	v_add_f64_e64 v[109:110], v[111:112], -v[109:110]
	s_delay_alu instid0(VALU_DEP_2) | instskip(NEXT) | instid1(TRANS32_DEP_1)
	v_add_f64_e64 v[101:102], v[101:102], -v[103:104]
	v_fma_f64 v[113:114], -v[105:106], v[107:108], 1.0
	s_delay_alu instid0(VALU_DEP_3) | instskip(NEXT) | instid1(VALU_DEP_2)
	v_add_f64_e64 v[75:76], v[75:76], -v[109:110]
	v_fma_f64 v[107:108], v[113:114], v[107:108], v[107:108]
	s_delay_alu instid0(VALU_DEP_1) | instskip(NEXT) | instid1(VALU_DEP_1)
	v_fma_f64 v[80:81], -v[105:106], v[107:108], 1.0
	v_fma_f64 v[80:81], v[80:81], v[107:108], v[107:108]
	s_delay_alu instid0(VALU_DEP_1) | instskip(NEXT) | instid1(VALU_DEP_1)
	v_mul_f64_e32 v[107:108], v[111:112], v[80:81]
	v_mul_f64_e32 v[113:114], v[105:106], v[107:108]
	s_delay_alu instid0(VALU_DEP_1) | instskip(NEXT) | instid1(VALU_DEP_1)
	v_fma_f64 v[103:104], v[107:108], v[105:106], -v[113:114]
	v_fma_f64 v[103:104], v[107:108], v[101:102], v[103:104]
	s_delay_alu instid0(VALU_DEP_1) | instskip(NEXT) | instid1(VALU_DEP_1)
	v_add_f64_e32 v[115:116], v[113:114], v[103:104]
	v_add_f64_e64 v[117:118], v[111:112], -v[115:116]
	v_add_f64_e64 v[109:110], v[115:116], -v[113:114]
	s_delay_alu instid0(VALU_DEP_2) | instskip(NEXT) | instid1(VALU_DEP_2)
	v_add_f64_e64 v[111:112], v[111:112], -v[117:118]
	v_add_f64_e64 v[103:104], v[109:110], -v[103:104]
	s_delay_alu instid0(VALU_DEP_2) | instskip(NEXT) | instid1(VALU_DEP_1)
	v_add_f64_e64 v[111:112], v[111:112], -v[115:116]
	v_add_f64_e32 v[75:76], v[75:76], v[111:112]
	s_delay_alu instid0(VALU_DEP_1) | instskip(NEXT) | instid1(VALU_DEP_1)
	v_add_f64_e32 v[75:76], v[103:104], v[75:76]
	v_add_f64_e32 v[103:104], v[117:118], v[75:76]
	s_delay_alu instid0(VALU_DEP_1) | instskip(SKIP_1) | instid1(VALU_DEP_2)
	v_mul_f64_e32 v[109:110], v[80:81], v[103:104]
	v_add_f64_e64 v[115:116], v[117:118], -v[103:104]
	v_mul_f64_e32 v[111:112], v[105:106], v[109:110]
	s_delay_alu instid0(VALU_DEP_2) | instskip(NEXT) | instid1(VALU_DEP_2)
	v_add_f64_e32 v[75:76], v[75:76], v[115:116]
	v_fma_f64 v[105:106], v[109:110], v[105:106], -v[111:112]
	s_delay_alu instid0(VALU_DEP_1) | instskip(NEXT) | instid1(VALU_DEP_1)
	v_fma_f64 v[101:102], v[109:110], v[101:102], v[105:106]
	v_add_f64_e32 v[105:106], v[111:112], v[101:102]
	s_delay_alu instid0(VALU_DEP_1) | instskip(SKIP_1) | instid1(VALU_DEP_2)
	v_add_f64_e64 v[113:114], v[103:104], -v[105:106]
	v_add_f64_e64 v[111:112], v[105:106], -v[111:112]
	;; [unrolled: 1-line block ×3, first 2 shown]
	s_delay_alu instid0(VALU_DEP_2) | instskip(NEXT) | instid1(VALU_DEP_2)
	v_add_f64_e64 v[101:102], v[111:112], -v[101:102]
	v_add_f64_e64 v[103:104], v[103:104], -v[105:106]
	s_delay_alu instid0(VALU_DEP_1) | instskip(SKIP_1) | instid1(VALU_DEP_2)
	v_add_f64_e32 v[75:76], v[75:76], v[103:104]
	v_add_f64_e32 v[103:104], v[107:108], v[109:110]
	;; [unrolled: 1-line block ×3, first 2 shown]
	s_delay_alu instid0(VALU_DEP_2) | instskip(NEXT) | instid1(VALU_DEP_2)
	v_add_f64_e64 v[101:102], v[103:104], -v[107:108]
	v_add_f64_e32 v[75:76], v[113:114], v[75:76]
	s_delay_alu instid0(VALU_DEP_2) | instskip(NEXT) | instid1(VALU_DEP_2)
	v_add_f64_e64 v[101:102], v[109:110], -v[101:102]
	v_mul_f64_e32 v[75:76], v[80:81], v[75:76]
	s_delay_alu instid0(VALU_DEP_1) | instskip(NEXT) | instid1(VALU_DEP_1)
	v_add_f64_e32 v[75:76], v[101:102], v[75:76]
	v_add_f64_e32 v[80:81], v[103:104], v[75:76]
	s_delay_alu instid0(VALU_DEP_1) | instskip(NEXT) | instid1(VALU_DEP_1)
	v_mul_f64_e32 v[101:102], v[80:81], v[80:81]
	v_fma_f64 v[105:106], v[101:102], s[44:45], s[42:43]
	s_mov_b32 s42, 0xd7f4df2e
	s_mov_b32 s43, 0x3fc7474d
	v_mul_f64_e32 v[107:108], v[80:81], v[101:102]
	s_wait_alu 0xfffe
	s_delay_alu instid0(VALU_DEP_2) | instskip(SKIP_3) | instid1(VALU_DEP_1)
	v_fma_f64 v[105:106], v[101:102], v[105:106], s[42:43]
	s_mov_b32 s42, 0x16291751
	s_mov_b32 s43, 0x3fcc71c0
	s_wait_alu 0xfffe
	v_fma_f64 v[105:106], v[101:102], v[105:106], s[42:43]
	s_mov_b32 s42, 0x9b27acf1
	s_mov_b32 s43, 0x3fd24924
	s_wait_alu 0xfffe
	s_delay_alu instid0(VALU_DEP_1) | instskip(SKIP_3) | instid1(VALU_DEP_1)
	v_fma_f64 v[105:106], v[101:102], v[105:106], s[42:43]
	s_mov_b32 s42, 0x998ef7b6
	s_mov_b32 s43, 0x3fd99999
	s_wait_alu 0xfffe
	v_fma_f64 v[105:106], v[101:102], v[105:106], s[42:43]
	s_delay_alu instid0(VALU_DEP_1)
	v_fma_f64 v[101:102], v[101:102], v[105:106], s[18:19]
	v_ldexp_f64 v[105:106], v[80:81], 1
	v_add_f64_e64 v[80:81], v[80:81], -v[103:104]
	v_cmp_neq_f64_e64 s18, 0x7ff00000, v[73:74]
	v_cmp_ngt_f64_e64 s19, -1.0, v[73:74]
	v_mul_f64_e32 v[101:102], v[107:108], v[101:102]
	v_cvt_f64_i32_e32 v[107:108], v82
	v_add_f64_e64 v[75:76], v[75:76], -v[80:81]
	s_and_b32 s17, s17, s18
	s_delay_alu instid0(VALU_DEP_3) | instskip(NEXT) | instid1(VALU_DEP_3)
	v_add_f64_e32 v[103:104], v[105:106], v[101:102]
	v_mul_f64_e32 v[109:110], s[20:21], v[107:108]
	s_delay_alu instid0(VALU_DEP_3) | instskip(NEXT) | instid1(VALU_DEP_3)
	v_ldexp_f64 v[75:76], v[75:76], 1
	v_add_f64_e64 v[80:81], v[103:104], -v[105:106]
	s_delay_alu instid0(VALU_DEP_3) | instskip(NEXT) | instid1(VALU_DEP_2)
	v_fma_f64 v[105:106], v[107:108], s[20:21], -v[109:110]
	v_add_f64_e64 v[80:81], v[101:102], -v[80:81]
	s_delay_alu instid0(VALU_DEP_2) | instskip(NEXT) | instid1(VALU_DEP_2)
	v_fma_f64 v[101:102], v[107:108], s[24:25], v[105:106]
	v_add_f64_e32 v[75:76], v[75:76], v[80:81]
	s_delay_alu instid0(VALU_DEP_2) | instskip(NEXT) | instid1(VALU_DEP_2)
	v_add_f64_e32 v[80:81], v[109:110], v[101:102]
	v_add_f64_e32 v[105:106], v[103:104], v[75:76]
	s_delay_alu instid0(VALU_DEP_2) | instskip(NEXT) | instid1(VALU_DEP_2)
	v_add_f64_e64 v[109:110], v[80:81], -v[109:110]
	v_add_f64_e32 v[107:108], v[80:81], v[105:106]
	v_add_f64_e64 v[103:104], v[105:106], -v[103:104]
	s_delay_alu instid0(VALU_DEP_3) | instskip(NEXT) | instid1(VALU_DEP_3)
	v_add_f64_e64 v[101:102], v[101:102], -v[109:110]
	v_add_f64_e64 v[111:112], v[107:108], -v[80:81]
	s_delay_alu instid0(VALU_DEP_3) | instskip(NEXT) | instid1(VALU_DEP_2)
	v_add_f64_e64 v[75:76], v[75:76], -v[103:104]
	v_add_f64_e64 v[113:114], v[107:108], -v[111:112]
	;; [unrolled: 1-line block ×3, first 2 shown]
	s_delay_alu instid0(VALU_DEP_3) | instskip(NEXT) | instid1(VALU_DEP_3)
	v_add_f64_e32 v[105:106], v[101:102], v[75:76]
	v_add_f64_e64 v[80:81], v[80:81], -v[113:114]
	s_delay_alu instid0(VALU_DEP_1) | instskip(NEXT) | instid1(VALU_DEP_3)
	v_add_f64_e32 v[80:81], v[103:104], v[80:81]
	v_add_f64_e64 v[103:104], v[105:106], -v[101:102]
	s_delay_alu instid0(VALU_DEP_2) | instskip(NEXT) | instid1(VALU_DEP_2)
	v_add_f64_e32 v[80:81], v[105:106], v[80:81]
	v_add_f64_e64 v[105:106], v[105:106], -v[103:104]
	v_add_f64_e64 v[75:76], v[75:76], -v[103:104]
	s_delay_alu instid0(VALU_DEP_3) | instskip(NEXT) | instid1(VALU_DEP_3)
	v_add_f64_e32 v[109:110], v[107:108], v[80:81]
	v_add_f64_e64 v[101:102], v[101:102], -v[105:106]
	s_delay_alu instid0(VALU_DEP_2) | instskip(NEXT) | instid1(VALU_DEP_2)
	v_add_f64_e64 v[103:104], v[109:110], -v[107:108]
	v_add_f64_e32 v[75:76], v[75:76], v[101:102]
	s_delay_alu instid0(VALU_DEP_2) | instskip(NEXT) | instid1(VALU_DEP_1)
	v_add_f64_e64 v[80:81], v[80:81], -v[103:104]
	v_add_f64_e32 v[75:76], v[75:76], v[80:81]
	s_delay_alu instid0(VALU_DEP_1) | instskip(SKIP_1) | instid1(VALU_DEP_1)
	v_add_f64_e32 v[75:76], v[109:110], v[75:76]
	s_wait_alu 0xfffe
	v_cndmask_b32_e64 v75, 0, v75, s17
	v_cmp_neq_f64_e64 s17, -1.0, v[73:74]
	s_delay_alu instid0(VALU_DEP_3) | instskip(NEXT) | instid1(VALU_DEP_1)
	v_cndmask_b32_e64 v76, 0x7ff00000, v76, s18
	v_cndmask_b32_e64 v76, 0x7ff80000, v76, s19
	s_wait_alu 0xf1ff
	s_delay_alu instid0(VALU_DEP_1) | instskip(NEXT) | instid1(VALU_DEP_1)
	v_cndmask_b32_e64 v76, 0xfff00000, v76, s17
	v_add_f64_e32 v[73:74], v[71:72], v[75:76]
.LBB71_256:
	s_or_b32 exec_lo, exec_lo, s33
	s_delay_alu instid0(VALU_DEP_1)
	v_dual_mov_b32 v75, v73 :: v_dual_mov_b32 v76, v74
	v_dual_mov_b32 v71, v73 :: v_dual_mov_b32 v72, v74
.LBB71_257:
	s_wait_alu 0xfffe
	s_or_b32 exec_lo, exec_lo, s29
	s_delay_alu instid0(VALU_DEP_2)
	v_mov_b32_dpp v73, v75 row_shr:2 row_mask:0xf bank_mask:0xf
	v_mov_b32_dpp v74, v76 row_shr:2 row_mask:0xf bank_mask:0xf
	s_mov_b32 s29, exec_lo
	v_cmpx_lt_u32_e32 1, v79
	s_cbranch_execz .LBB71_261
; %bb.258:
	s_delay_alu instid0(VALU_DEP_2) | instskip(SKIP_3) | instid1(VALU_DEP_3)
	v_max_num_f64_e32 v[75:76], v[73:74], v[73:74]
	v_max_num_f64_e32 v[80:81], v[71:72], v[71:72]
	v_cmp_u_f64_e64 s17, v[73:74], v[73:74]
	v_cmp_u_f64_e64 s18, v[71:72], v[71:72]
	v_min_num_f64_e32 v[101:102], v[75:76], v[80:81]
	v_max_num_f64_e32 v[75:76], v[75:76], v[80:81]
	s_wait_alu 0xf1ff
	s_delay_alu instid0(VALU_DEP_2) | instskip(NEXT) | instid1(VALU_DEP_3)
	v_cndmask_b32_e64 v80, v102, v74, s17
	v_cndmask_b32_e64 v81, v101, v73, s17
	s_delay_alu instid0(VALU_DEP_3) | instskip(NEXT) | instid1(VALU_DEP_4)
	v_cndmask_b32_e64 v82, v76, v74, s17
	v_cndmask_b32_e64 v101, v75, v73, s17
	s_delay_alu instid0(VALU_DEP_4) | instskip(NEXT) | instid1(VALU_DEP_4)
	v_cndmask_b32_e64 v76, v80, v72, s18
	v_cndmask_b32_e64 v75, v81, v71, s18
	s_delay_alu instid0(VALU_DEP_4) | instskip(NEXT) | instid1(VALU_DEP_4)
	v_cndmask_b32_e64 v72, v82, v72, s18
	v_cndmask_b32_e64 v71, v101, v71, s18
	s_delay_alu instid0(VALU_DEP_3) | instskip(NEXT) | instid1(VALU_DEP_2)
	v_cmp_class_f64_e64 s18, v[75:76], 0x1f8
	v_cmp_neq_f64_e64 s17, v[75:76], v[71:72]
	s_or_b32 s17, s17, s18
	s_wait_alu 0xfffe
	s_and_saveexec_b32 s33, s17
	s_cbranch_execz .LBB71_260
; %bb.259:
	v_add_f64_e64 v[73:74], v[75:76], -v[71:72]
	s_mov_b32 s18, 0x652b82fe
	s_mov_b32 s19, 0x3ff71547
	;; [unrolled: 1-line block ×10, first 2 shown]
	s_wait_alu 0xfffe
	s_delay_alu instid0(VALU_DEP_1) | instskip(SKIP_3) | instid1(VALU_DEP_2)
	v_mul_f64_e32 v[75:76], s[18:19], v[73:74]
	s_mov_b32 s18, 0xfca7ab0c
	s_mov_b32 s19, 0x3e928af3
	v_cmp_nlt_f64_e64 s17, 0x40900000, v[73:74]
	v_rndne_f64_e32 v[75:76], v[75:76]
	s_delay_alu instid0(VALU_DEP_1) | instskip(SKIP_2) | instid1(VALU_DEP_2)
	v_fma_f64 v[80:81], v[75:76], s[20:21], v[73:74]
	v_cvt_i32_f64_e32 v82, v[75:76]
	s_mov_b32 s21, 0x3fe62e42
	v_fma_f64 v[80:81], v[75:76], s[24:25], v[80:81]
	s_mov_b32 s25, 0x3c7abc9e
	s_wait_alu 0xfffe
	s_delay_alu instid0(VALU_DEP_1)
	v_fma_f64 v[101:102], v[80:81], s[42:43], s[18:19]
	s_mov_b32 s18, 0x623fde64
	s_mov_b32 s19, 0x3ec71dee
	;; [unrolled: 1-line block ×4, first 2 shown]
	s_wait_alu 0xfffe
	s_delay_alu instid0(VALU_DEP_1) | instskip(SKIP_3) | instid1(VALU_DEP_1)
	v_fma_f64 v[101:102], v[80:81], v[101:102], s[18:19]
	s_mov_b32 s18, 0x7c89e6b0
	s_mov_b32 s19, 0x3efa0199
	s_wait_alu 0xfffe
	v_fma_f64 v[101:102], v[80:81], v[101:102], s[18:19]
	s_mov_b32 s18, 0x14761f6e
	s_mov_b32 s19, 0x3f2a01a0
	s_wait_alu 0xfffe
	s_delay_alu instid0(VALU_DEP_1) | instskip(SKIP_3) | instid1(VALU_DEP_1)
	v_fma_f64 v[101:102], v[80:81], v[101:102], s[18:19]
	s_mov_b32 s18, 0x1852b7b0
	s_mov_b32 s19, 0x3f56c16c
	s_wait_alu 0xfffe
	v_fma_f64 v[101:102], v[80:81], v[101:102], s[18:19]
	s_mov_b32 s18, 0x11122322
	s_mov_b32 s19, 0x3f811111
	;; [unrolled: 9-line block ×3, first 2 shown]
	s_wait_alu 0xfffe
	s_delay_alu instid0(VALU_DEP_1) | instskip(SKIP_3) | instid1(VALU_DEP_1)
	v_fma_f64 v[101:102], v[80:81], v[101:102], s[18:19]
	s_mov_b32 s18, 11
	s_mov_b32 s19, 0x3fe00000
	s_wait_alu 0xfffe
	v_fma_f64 v[101:102], v[80:81], v[101:102], s[18:19]
	v_cmp_ngt_f64_e64 s18, 0xc090cc00, v[73:74]
	s_mov_b32 s19, 0x3fe55555
	v_fma_f64 v[101:102], v[80:81], v[101:102], 1.0
	s_delay_alu instid0(VALU_DEP_1) | instskip(NEXT) | instid1(VALU_DEP_1)
	v_fma_f64 v[75:76], v[80:81], v[101:102], 1.0
	v_ldexp_f64 v[75:76], v[75:76], v82
	s_wait_alu 0xf1ff
	s_delay_alu instid0(VALU_DEP_1) | instskip(SKIP_2) | instid1(VALU_DEP_2)
	v_cndmask_b32_e64 v76, 0x7ff00000, v76, s17
	s_and_b32 s17, s18, s17
	s_wait_alu 0xfffe
	v_cndmask_b32_e64 v73, 0, v75, s17
	s_delay_alu instid0(VALU_DEP_2) | instskip(SKIP_1) | instid1(VALU_DEP_1)
	v_cndmask_b32_e64 v74, 0, v76, s18
	s_mov_b32 s18, 0x55555555
	v_add_f64_e32 v[75:76], 1.0, v[73:74]
	s_delay_alu instid0(VALU_DEP_1) | instskip(SKIP_3) | instid1(VALU_DEP_3)
	v_frexp_mant_f64_e32 v[80:81], v[75:76]
	v_frexp_exp_i32_f64_e32 v82, v[75:76]
	v_add_f64_e32 v[101:102], -1.0, v[75:76]
	s_wait_alu 0xfffe
	v_cmp_gt_f64_e64 s17, s[18:19], v[80:81]
	s_mov_b32 s18, 0x55555780
	v_add_f64_e64 v[80:81], v[101:102], -v[75:76]
	v_add_f64_e64 v[101:102], v[73:74], -v[101:102]
	s_wait_alu 0xf1ff
	v_subrev_co_ci_u32_e64 v82, null, 0, v82, s17
	s_delay_alu instid0(VALU_DEP_3) | instskip(SKIP_1) | instid1(VALU_DEP_3)
	v_add_f64_e32 v[80:81], 1.0, v[80:81]
	v_cmp_nge_f64_e64 s17, -1.0, v[73:74]
	v_sub_nc_u32_e32 v105, 0, v82
	s_delay_alu instid0(VALU_DEP_1) | instskip(NEXT) | instid1(VALU_DEP_4)
	v_ldexp_f64 v[75:76], v[75:76], v105
	v_add_f64_e32 v[80:81], v[101:102], v[80:81]
	s_delay_alu instid0(VALU_DEP_2) | instskip(SKIP_1) | instid1(VALU_DEP_3)
	v_add_f64_e32 v[103:104], 1.0, v[75:76]
	v_add_f64_e32 v[109:110], -1.0, v[75:76]
	v_ldexp_f64 v[80:81], v[80:81], v105
	s_delay_alu instid0(VALU_DEP_3) | instskip(NEXT) | instid1(VALU_DEP_3)
	v_add_f64_e32 v[101:102], -1.0, v[103:104]
	v_add_f64_e32 v[111:112], 1.0, v[109:110]
	s_delay_alu instid0(VALU_DEP_2) | instskip(NEXT) | instid1(VALU_DEP_2)
	v_add_f64_e64 v[101:102], v[75:76], -v[101:102]
	v_add_f64_e64 v[75:76], v[75:76], -v[111:112]
	s_delay_alu instid0(VALU_DEP_2) | instskip(NEXT) | instid1(VALU_DEP_2)
	v_add_f64_e32 v[101:102], v[80:81], v[101:102]
	v_add_f64_e32 v[75:76], v[80:81], v[75:76]
	s_delay_alu instid0(VALU_DEP_2) | instskip(NEXT) | instid1(VALU_DEP_2)
	v_add_f64_e32 v[105:106], v[103:104], v[101:102]
	v_add_f64_e32 v[111:112], v[109:110], v[75:76]
	s_delay_alu instid0(VALU_DEP_2) | instskip(SKIP_1) | instid1(VALU_DEP_2)
	v_rcp_f64_e32 v[107:108], v[105:106]
	v_add_f64_e64 v[103:104], v[105:106], -v[103:104]
	v_add_f64_e64 v[109:110], v[111:112], -v[109:110]
	s_delay_alu instid0(VALU_DEP_2) | instskip(NEXT) | instid1(TRANS32_DEP_1)
	v_add_f64_e64 v[101:102], v[101:102], -v[103:104]
	v_fma_f64 v[113:114], -v[105:106], v[107:108], 1.0
	s_delay_alu instid0(VALU_DEP_3) | instskip(NEXT) | instid1(VALU_DEP_2)
	v_add_f64_e64 v[75:76], v[75:76], -v[109:110]
	v_fma_f64 v[107:108], v[113:114], v[107:108], v[107:108]
	s_delay_alu instid0(VALU_DEP_1) | instskip(NEXT) | instid1(VALU_DEP_1)
	v_fma_f64 v[80:81], -v[105:106], v[107:108], 1.0
	v_fma_f64 v[80:81], v[80:81], v[107:108], v[107:108]
	s_delay_alu instid0(VALU_DEP_1) | instskip(NEXT) | instid1(VALU_DEP_1)
	v_mul_f64_e32 v[107:108], v[111:112], v[80:81]
	v_mul_f64_e32 v[113:114], v[105:106], v[107:108]
	s_delay_alu instid0(VALU_DEP_1) | instskip(NEXT) | instid1(VALU_DEP_1)
	v_fma_f64 v[103:104], v[107:108], v[105:106], -v[113:114]
	v_fma_f64 v[103:104], v[107:108], v[101:102], v[103:104]
	s_delay_alu instid0(VALU_DEP_1) | instskip(NEXT) | instid1(VALU_DEP_1)
	v_add_f64_e32 v[115:116], v[113:114], v[103:104]
	v_add_f64_e64 v[117:118], v[111:112], -v[115:116]
	v_add_f64_e64 v[109:110], v[115:116], -v[113:114]
	s_delay_alu instid0(VALU_DEP_2) | instskip(NEXT) | instid1(VALU_DEP_2)
	v_add_f64_e64 v[111:112], v[111:112], -v[117:118]
	v_add_f64_e64 v[103:104], v[109:110], -v[103:104]
	s_delay_alu instid0(VALU_DEP_2) | instskip(NEXT) | instid1(VALU_DEP_1)
	v_add_f64_e64 v[111:112], v[111:112], -v[115:116]
	v_add_f64_e32 v[75:76], v[75:76], v[111:112]
	s_delay_alu instid0(VALU_DEP_1) | instskip(NEXT) | instid1(VALU_DEP_1)
	v_add_f64_e32 v[75:76], v[103:104], v[75:76]
	v_add_f64_e32 v[103:104], v[117:118], v[75:76]
	s_delay_alu instid0(VALU_DEP_1) | instskip(SKIP_1) | instid1(VALU_DEP_2)
	v_mul_f64_e32 v[109:110], v[80:81], v[103:104]
	v_add_f64_e64 v[115:116], v[117:118], -v[103:104]
	v_mul_f64_e32 v[111:112], v[105:106], v[109:110]
	s_delay_alu instid0(VALU_DEP_2) | instskip(NEXT) | instid1(VALU_DEP_2)
	v_add_f64_e32 v[75:76], v[75:76], v[115:116]
	v_fma_f64 v[105:106], v[109:110], v[105:106], -v[111:112]
	s_delay_alu instid0(VALU_DEP_1) | instskip(NEXT) | instid1(VALU_DEP_1)
	v_fma_f64 v[101:102], v[109:110], v[101:102], v[105:106]
	v_add_f64_e32 v[105:106], v[111:112], v[101:102]
	s_delay_alu instid0(VALU_DEP_1) | instskip(SKIP_1) | instid1(VALU_DEP_2)
	v_add_f64_e64 v[113:114], v[103:104], -v[105:106]
	v_add_f64_e64 v[111:112], v[105:106], -v[111:112]
	;; [unrolled: 1-line block ×3, first 2 shown]
	s_delay_alu instid0(VALU_DEP_2) | instskip(NEXT) | instid1(VALU_DEP_2)
	v_add_f64_e64 v[101:102], v[111:112], -v[101:102]
	v_add_f64_e64 v[103:104], v[103:104], -v[105:106]
	s_delay_alu instid0(VALU_DEP_1) | instskip(SKIP_1) | instid1(VALU_DEP_2)
	v_add_f64_e32 v[75:76], v[75:76], v[103:104]
	v_add_f64_e32 v[103:104], v[107:108], v[109:110]
	;; [unrolled: 1-line block ×3, first 2 shown]
	s_delay_alu instid0(VALU_DEP_2) | instskip(NEXT) | instid1(VALU_DEP_2)
	v_add_f64_e64 v[101:102], v[103:104], -v[107:108]
	v_add_f64_e32 v[75:76], v[113:114], v[75:76]
	s_delay_alu instid0(VALU_DEP_2) | instskip(NEXT) | instid1(VALU_DEP_2)
	v_add_f64_e64 v[101:102], v[109:110], -v[101:102]
	v_mul_f64_e32 v[75:76], v[80:81], v[75:76]
	s_delay_alu instid0(VALU_DEP_1) | instskip(NEXT) | instid1(VALU_DEP_1)
	v_add_f64_e32 v[75:76], v[101:102], v[75:76]
	v_add_f64_e32 v[80:81], v[103:104], v[75:76]
	s_delay_alu instid0(VALU_DEP_1) | instskip(NEXT) | instid1(VALU_DEP_1)
	v_mul_f64_e32 v[101:102], v[80:81], v[80:81]
	v_fma_f64 v[105:106], v[101:102], s[44:45], s[42:43]
	s_mov_b32 s42, 0xd7f4df2e
	s_mov_b32 s43, 0x3fc7474d
	v_mul_f64_e32 v[107:108], v[80:81], v[101:102]
	s_wait_alu 0xfffe
	s_delay_alu instid0(VALU_DEP_2) | instskip(SKIP_3) | instid1(VALU_DEP_1)
	v_fma_f64 v[105:106], v[101:102], v[105:106], s[42:43]
	s_mov_b32 s42, 0x16291751
	s_mov_b32 s43, 0x3fcc71c0
	s_wait_alu 0xfffe
	v_fma_f64 v[105:106], v[101:102], v[105:106], s[42:43]
	s_mov_b32 s42, 0x9b27acf1
	s_mov_b32 s43, 0x3fd24924
	s_wait_alu 0xfffe
	s_delay_alu instid0(VALU_DEP_1) | instskip(SKIP_3) | instid1(VALU_DEP_1)
	v_fma_f64 v[105:106], v[101:102], v[105:106], s[42:43]
	s_mov_b32 s42, 0x998ef7b6
	s_mov_b32 s43, 0x3fd99999
	s_wait_alu 0xfffe
	v_fma_f64 v[105:106], v[101:102], v[105:106], s[42:43]
	s_delay_alu instid0(VALU_DEP_1)
	v_fma_f64 v[101:102], v[101:102], v[105:106], s[18:19]
	v_ldexp_f64 v[105:106], v[80:81], 1
	v_add_f64_e64 v[80:81], v[80:81], -v[103:104]
	v_cmp_neq_f64_e64 s18, 0x7ff00000, v[73:74]
	v_cmp_ngt_f64_e64 s19, -1.0, v[73:74]
	v_mul_f64_e32 v[101:102], v[107:108], v[101:102]
	v_cvt_f64_i32_e32 v[107:108], v82
	v_add_f64_e64 v[75:76], v[75:76], -v[80:81]
	s_and_b32 s17, s17, s18
	s_delay_alu instid0(VALU_DEP_3) | instskip(NEXT) | instid1(VALU_DEP_3)
	v_add_f64_e32 v[103:104], v[105:106], v[101:102]
	v_mul_f64_e32 v[109:110], s[20:21], v[107:108]
	s_delay_alu instid0(VALU_DEP_3) | instskip(NEXT) | instid1(VALU_DEP_3)
	v_ldexp_f64 v[75:76], v[75:76], 1
	v_add_f64_e64 v[80:81], v[103:104], -v[105:106]
	s_delay_alu instid0(VALU_DEP_3) | instskip(NEXT) | instid1(VALU_DEP_2)
	v_fma_f64 v[105:106], v[107:108], s[20:21], -v[109:110]
	v_add_f64_e64 v[80:81], v[101:102], -v[80:81]
	s_delay_alu instid0(VALU_DEP_2) | instskip(NEXT) | instid1(VALU_DEP_2)
	v_fma_f64 v[101:102], v[107:108], s[24:25], v[105:106]
	v_add_f64_e32 v[75:76], v[75:76], v[80:81]
	s_delay_alu instid0(VALU_DEP_2) | instskip(NEXT) | instid1(VALU_DEP_2)
	v_add_f64_e32 v[80:81], v[109:110], v[101:102]
	v_add_f64_e32 v[105:106], v[103:104], v[75:76]
	s_delay_alu instid0(VALU_DEP_2) | instskip(NEXT) | instid1(VALU_DEP_2)
	v_add_f64_e64 v[109:110], v[80:81], -v[109:110]
	v_add_f64_e32 v[107:108], v[80:81], v[105:106]
	v_add_f64_e64 v[103:104], v[105:106], -v[103:104]
	s_delay_alu instid0(VALU_DEP_3) | instskip(NEXT) | instid1(VALU_DEP_3)
	v_add_f64_e64 v[101:102], v[101:102], -v[109:110]
	v_add_f64_e64 v[111:112], v[107:108], -v[80:81]
	s_delay_alu instid0(VALU_DEP_3) | instskip(NEXT) | instid1(VALU_DEP_2)
	v_add_f64_e64 v[75:76], v[75:76], -v[103:104]
	v_add_f64_e64 v[113:114], v[107:108], -v[111:112]
	;; [unrolled: 1-line block ×3, first 2 shown]
	s_delay_alu instid0(VALU_DEP_3) | instskip(NEXT) | instid1(VALU_DEP_3)
	v_add_f64_e32 v[105:106], v[101:102], v[75:76]
	v_add_f64_e64 v[80:81], v[80:81], -v[113:114]
	s_delay_alu instid0(VALU_DEP_1) | instskip(NEXT) | instid1(VALU_DEP_3)
	v_add_f64_e32 v[80:81], v[103:104], v[80:81]
	v_add_f64_e64 v[103:104], v[105:106], -v[101:102]
	s_delay_alu instid0(VALU_DEP_2) | instskip(NEXT) | instid1(VALU_DEP_2)
	v_add_f64_e32 v[80:81], v[105:106], v[80:81]
	v_add_f64_e64 v[105:106], v[105:106], -v[103:104]
	v_add_f64_e64 v[75:76], v[75:76], -v[103:104]
	s_delay_alu instid0(VALU_DEP_3) | instskip(NEXT) | instid1(VALU_DEP_3)
	v_add_f64_e32 v[109:110], v[107:108], v[80:81]
	v_add_f64_e64 v[101:102], v[101:102], -v[105:106]
	s_delay_alu instid0(VALU_DEP_2) | instskip(NEXT) | instid1(VALU_DEP_2)
	v_add_f64_e64 v[103:104], v[109:110], -v[107:108]
	v_add_f64_e32 v[75:76], v[75:76], v[101:102]
	s_delay_alu instid0(VALU_DEP_2) | instskip(NEXT) | instid1(VALU_DEP_1)
	v_add_f64_e64 v[80:81], v[80:81], -v[103:104]
	v_add_f64_e32 v[75:76], v[75:76], v[80:81]
	s_delay_alu instid0(VALU_DEP_1) | instskip(SKIP_1) | instid1(VALU_DEP_1)
	v_add_f64_e32 v[75:76], v[109:110], v[75:76]
	s_wait_alu 0xfffe
	v_cndmask_b32_e64 v75, 0, v75, s17
	v_cmp_neq_f64_e64 s17, -1.0, v[73:74]
	s_delay_alu instid0(VALU_DEP_3) | instskip(NEXT) | instid1(VALU_DEP_1)
	v_cndmask_b32_e64 v76, 0x7ff00000, v76, s18
	v_cndmask_b32_e64 v76, 0x7ff80000, v76, s19
	s_wait_alu 0xf1ff
	s_delay_alu instid0(VALU_DEP_1) | instskip(NEXT) | instid1(VALU_DEP_1)
	v_cndmask_b32_e64 v76, 0xfff00000, v76, s17
	v_add_f64_e32 v[73:74], v[71:72], v[75:76]
.LBB71_260:
	s_or_b32 exec_lo, exec_lo, s33
	s_delay_alu instid0(VALU_DEP_1)
	v_dual_mov_b32 v75, v73 :: v_dual_mov_b32 v76, v74
	v_dual_mov_b32 v71, v73 :: v_dual_mov_b32 v72, v74
.LBB71_261:
	s_wait_alu 0xfffe
	s_or_b32 exec_lo, exec_lo, s29
	s_delay_alu instid0(VALU_DEP_2)
	v_mov_b32_dpp v73, v75 row_shr:4 row_mask:0xf bank_mask:0xf
	v_mov_b32_dpp v74, v76 row_shr:4 row_mask:0xf bank_mask:0xf
	s_mov_b32 s29, exec_lo
	v_cmpx_lt_u32_e32 3, v79
	s_cbranch_execz .LBB71_265
; %bb.262:
	s_delay_alu instid0(VALU_DEP_2) | instskip(SKIP_3) | instid1(VALU_DEP_3)
	v_max_num_f64_e32 v[75:76], v[73:74], v[73:74]
	v_max_num_f64_e32 v[79:80], v[71:72], v[71:72]
	v_cmp_u_f64_e64 s17, v[73:74], v[73:74]
	v_cmp_u_f64_e64 s18, v[71:72], v[71:72]
	v_min_num_f64_e32 v[81:82], v[75:76], v[79:80]
	v_max_num_f64_e32 v[75:76], v[75:76], v[79:80]
	s_wait_alu 0xf1ff
	s_delay_alu instid0(VALU_DEP_2) | instskip(NEXT) | instid1(VALU_DEP_3)
	v_cndmask_b32_e64 v79, v82, v74, s17
	v_cndmask_b32_e64 v80, v81, v73, s17
	s_delay_alu instid0(VALU_DEP_3) | instskip(NEXT) | instid1(VALU_DEP_4)
	v_cndmask_b32_e64 v81, v76, v74, s17
	v_cndmask_b32_e64 v82, v75, v73, s17
	s_delay_alu instid0(VALU_DEP_4) | instskip(NEXT) | instid1(VALU_DEP_4)
	v_cndmask_b32_e64 v76, v79, v72, s18
	v_cndmask_b32_e64 v75, v80, v71, s18
	s_delay_alu instid0(VALU_DEP_4) | instskip(NEXT) | instid1(VALU_DEP_4)
	v_cndmask_b32_e64 v72, v81, v72, s18
	v_cndmask_b32_e64 v71, v82, v71, s18
	s_delay_alu instid0(VALU_DEP_3) | instskip(NEXT) | instid1(VALU_DEP_2)
	v_cmp_class_f64_e64 s18, v[75:76], 0x1f8
	v_cmp_neq_f64_e64 s17, v[75:76], v[71:72]
	s_or_b32 s17, s17, s18
	s_wait_alu 0xfffe
	s_and_saveexec_b32 s33, s17
	s_cbranch_execz .LBB71_264
; %bb.263:
	v_add_f64_e64 v[73:74], v[75:76], -v[71:72]
	s_mov_b32 s18, 0x652b82fe
	s_mov_b32 s19, 0x3ff71547
	;; [unrolled: 1-line block ×10, first 2 shown]
	s_wait_alu 0xfffe
	s_delay_alu instid0(VALU_DEP_1) | instskip(SKIP_3) | instid1(VALU_DEP_2)
	v_mul_f64_e32 v[75:76], s[18:19], v[73:74]
	s_mov_b32 s18, 0xfca7ab0c
	s_mov_b32 s19, 0x3e928af3
	v_cmp_nlt_f64_e64 s17, 0x40900000, v[73:74]
	v_rndne_f64_e32 v[75:76], v[75:76]
	s_delay_alu instid0(VALU_DEP_1) | instskip(SKIP_2) | instid1(VALU_DEP_2)
	v_fma_f64 v[79:80], v[75:76], s[20:21], v[73:74]
	v_cvt_i32_f64_e32 v101, v[75:76]
	s_mov_b32 s21, 0x3fe62e42
	v_fma_f64 v[79:80], v[75:76], s[24:25], v[79:80]
	s_mov_b32 s25, 0x3c7abc9e
	s_wait_alu 0xfffe
	s_delay_alu instid0(VALU_DEP_1)
	v_fma_f64 v[81:82], v[79:80], s[42:43], s[18:19]
	s_mov_b32 s18, 0x623fde64
	s_mov_b32 s19, 0x3ec71dee
	;; [unrolled: 1-line block ×4, first 2 shown]
	s_wait_alu 0xfffe
	s_delay_alu instid0(VALU_DEP_1) | instskip(SKIP_3) | instid1(VALU_DEP_1)
	v_fma_f64 v[81:82], v[79:80], v[81:82], s[18:19]
	s_mov_b32 s18, 0x7c89e6b0
	s_mov_b32 s19, 0x3efa0199
	s_wait_alu 0xfffe
	v_fma_f64 v[81:82], v[79:80], v[81:82], s[18:19]
	s_mov_b32 s18, 0x14761f6e
	s_mov_b32 s19, 0x3f2a01a0
	s_wait_alu 0xfffe
	s_delay_alu instid0(VALU_DEP_1) | instskip(SKIP_3) | instid1(VALU_DEP_1)
	v_fma_f64 v[81:82], v[79:80], v[81:82], s[18:19]
	s_mov_b32 s18, 0x1852b7b0
	s_mov_b32 s19, 0x3f56c16c
	s_wait_alu 0xfffe
	v_fma_f64 v[81:82], v[79:80], v[81:82], s[18:19]
	s_mov_b32 s18, 0x11122322
	s_mov_b32 s19, 0x3f811111
	;; [unrolled: 9-line block ×3, first 2 shown]
	s_wait_alu 0xfffe
	s_delay_alu instid0(VALU_DEP_1) | instskip(SKIP_3) | instid1(VALU_DEP_1)
	v_fma_f64 v[81:82], v[79:80], v[81:82], s[18:19]
	s_mov_b32 s18, 11
	s_mov_b32 s19, 0x3fe00000
	s_wait_alu 0xfffe
	v_fma_f64 v[81:82], v[79:80], v[81:82], s[18:19]
	v_cmp_ngt_f64_e64 s18, 0xc090cc00, v[73:74]
	s_mov_b32 s19, 0x3fe55555
	v_fma_f64 v[81:82], v[79:80], v[81:82], 1.0
	s_delay_alu instid0(VALU_DEP_1) | instskip(NEXT) | instid1(VALU_DEP_1)
	v_fma_f64 v[75:76], v[79:80], v[81:82], 1.0
	v_ldexp_f64 v[75:76], v[75:76], v101
	s_wait_alu 0xf1ff
	s_delay_alu instid0(VALU_DEP_1) | instskip(SKIP_2) | instid1(VALU_DEP_2)
	v_cndmask_b32_e64 v76, 0x7ff00000, v76, s17
	s_and_b32 s17, s18, s17
	s_wait_alu 0xfffe
	v_cndmask_b32_e64 v73, 0, v75, s17
	s_delay_alu instid0(VALU_DEP_2) | instskip(SKIP_1) | instid1(VALU_DEP_1)
	v_cndmask_b32_e64 v74, 0, v76, s18
	s_mov_b32 s18, 0x55555555
	v_add_f64_e32 v[75:76], 1.0, v[73:74]
	s_delay_alu instid0(VALU_DEP_1) | instskip(SKIP_3) | instid1(VALU_DEP_3)
	v_frexp_mant_f64_e32 v[79:80], v[75:76]
	v_frexp_exp_i32_f64_e32 v101, v[75:76]
	v_add_f64_e32 v[81:82], -1.0, v[75:76]
	s_wait_alu 0xfffe
	v_cmp_gt_f64_e64 s17, s[18:19], v[79:80]
	s_mov_b32 s18, 0x55555780
	v_add_f64_e64 v[79:80], v[81:82], -v[75:76]
	v_add_f64_e64 v[81:82], v[73:74], -v[81:82]
	s_wait_alu 0xf1ff
	v_subrev_co_ci_u32_e64 v117, null, 0, v101, s17
	s_delay_alu instid0(VALU_DEP_3) | instskip(SKIP_1) | instid1(VALU_DEP_3)
	v_add_f64_e32 v[79:80], 1.0, v[79:80]
	v_cmp_nge_f64_e64 s17, -1.0, v[73:74]
	v_sub_nc_u32_e32 v103, 0, v117
	s_delay_alu instid0(VALU_DEP_1) | instskip(NEXT) | instid1(VALU_DEP_4)
	v_ldexp_f64 v[75:76], v[75:76], v103
	v_add_f64_e32 v[79:80], v[81:82], v[79:80]
	s_delay_alu instid0(VALU_DEP_2) | instskip(SKIP_1) | instid1(VALU_DEP_3)
	v_add_f64_e32 v[101:102], 1.0, v[75:76]
	v_add_f64_e32 v[107:108], -1.0, v[75:76]
	v_ldexp_f64 v[79:80], v[79:80], v103
	s_delay_alu instid0(VALU_DEP_3) | instskip(NEXT) | instid1(VALU_DEP_3)
	v_add_f64_e32 v[81:82], -1.0, v[101:102]
	v_add_f64_e32 v[109:110], 1.0, v[107:108]
	s_delay_alu instid0(VALU_DEP_2) | instskip(NEXT) | instid1(VALU_DEP_2)
	v_add_f64_e64 v[81:82], v[75:76], -v[81:82]
	v_add_f64_e64 v[75:76], v[75:76], -v[109:110]
	s_delay_alu instid0(VALU_DEP_2) | instskip(NEXT) | instid1(VALU_DEP_2)
	v_add_f64_e32 v[81:82], v[79:80], v[81:82]
	v_add_f64_e32 v[75:76], v[79:80], v[75:76]
	s_delay_alu instid0(VALU_DEP_2) | instskip(NEXT) | instid1(VALU_DEP_2)
	v_add_f64_e32 v[103:104], v[101:102], v[81:82]
	v_add_f64_e32 v[109:110], v[107:108], v[75:76]
	s_delay_alu instid0(VALU_DEP_2) | instskip(SKIP_1) | instid1(VALU_DEP_2)
	v_rcp_f64_e32 v[105:106], v[103:104]
	v_add_f64_e64 v[101:102], v[103:104], -v[101:102]
	v_add_f64_e64 v[107:108], v[109:110], -v[107:108]
	s_delay_alu instid0(VALU_DEP_2) | instskip(NEXT) | instid1(TRANS32_DEP_1)
	v_add_f64_e64 v[81:82], v[81:82], -v[101:102]
	v_fma_f64 v[111:112], -v[103:104], v[105:106], 1.0
	s_delay_alu instid0(VALU_DEP_3) | instskip(NEXT) | instid1(VALU_DEP_2)
	v_add_f64_e64 v[75:76], v[75:76], -v[107:108]
	v_fma_f64 v[105:106], v[111:112], v[105:106], v[105:106]
	s_delay_alu instid0(VALU_DEP_1) | instskip(NEXT) | instid1(VALU_DEP_1)
	v_fma_f64 v[79:80], -v[103:104], v[105:106], 1.0
	v_fma_f64 v[79:80], v[79:80], v[105:106], v[105:106]
	s_delay_alu instid0(VALU_DEP_1) | instskip(NEXT) | instid1(VALU_DEP_1)
	v_mul_f64_e32 v[105:106], v[109:110], v[79:80]
	v_mul_f64_e32 v[111:112], v[103:104], v[105:106]
	s_delay_alu instid0(VALU_DEP_1) | instskip(NEXT) | instid1(VALU_DEP_1)
	v_fma_f64 v[101:102], v[105:106], v[103:104], -v[111:112]
	v_fma_f64 v[101:102], v[105:106], v[81:82], v[101:102]
	s_delay_alu instid0(VALU_DEP_1) | instskip(NEXT) | instid1(VALU_DEP_1)
	v_add_f64_e32 v[113:114], v[111:112], v[101:102]
	v_add_f64_e64 v[115:116], v[109:110], -v[113:114]
	v_add_f64_e64 v[107:108], v[113:114], -v[111:112]
	s_delay_alu instid0(VALU_DEP_2) | instskip(NEXT) | instid1(VALU_DEP_2)
	v_add_f64_e64 v[109:110], v[109:110], -v[115:116]
	v_add_f64_e64 v[101:102], v[107:108], -v[101:102]
	s_delay_alu instid0(VALU_DEP_2) | instskip(NEXT) | instid1(VALU_DEP_1)
	v_add_f64_e64 v[109:110], v[109:110], -v[113:114]
	v_add_f64_e32 v[75:76], v[75:76], v[109:110]
	s_delay_alu instid0(VALU_DEP_1) | instskip(NEXT) | instid1(VALU_DEP_1)
	v_add_f64_e32 v[75:76], v[101:102], v[75:76]
	v_add_f64_e32 v[101:102], v[115:116], v[75:76]
	s_delay_alu instid0(VALU_DEP_1) | instskip(SKIP_1) | instid1(VALU_DEP_2)
	v_mul_f64_e32 v[107:108], v[79:80], v[101:102]
	v_add_f64_e64 v[113:114], v[115:116], -v[101:102]
	v_mul_f64_e32 v[109:110], v[103:104], v[107:108]
	s_delay_alu instid0(VALU_DEP_2) | instskip(NEXT) | instid1(VALU_DEP_2)
	v_add_f64_e32 v[75:76], v[75:76], v[113:114]
	v_fma_f64 v[103:104], v[107:108], v[103:104], -v[109:110]
	s_delay_alu instid0(VALU_DEP_1) | instskip(NEXT) | instid1(VALU_DEP_1)
	v_fma_f64 v[81:82], v[107:108], v[81:82], v[103:104]
	v_add_f64_e32 v[103:104], v[109:110], v[81:82]
	s_delay_alu instid0(VALU_DEP_1) | instskip(SKIP_1) | instid1(VALU_DEP_2)
	v_add_f64_e64 v[111:112], v[101:102], -v[103:104]
	v_add_f64_e64 v[109:110], v[103:104], -v[109:110]
	;; [unrolled: 1-line block ×3, first 2 shown]
	s_delay_alu instid0(VALU_DEP_2) | instskip(NEXT) | instid1(VALU_DEP_2)
	v_add_f64_e64 v[81:82], v[109:110], -v[81:82]
	v_add_f64_e64 v[101:102], v[101:102], -v[103:104]
	s_delay_alu instid0(VALU_DEP_1) | instskip(SKIP_1) | instid1(VALU_DEP_2)
	v_add_f64_e32 v[75:76], v[75:76], v[101:102]
	v_add_f64_e32 v[101:102], v[105:106], v[107:108]
	;; [unrolled: 1-line block ×3, first 2 shown]
	s_delay_alu instid0(VALU_DEP_2) | instskip(NEXT) | instid1(VALU_DEP_2)
	v_add_f64_e64 v[81:82], v[101:102], -v[105:106]
	v_add_f64_e32 v[75:76], v[111:112], v[75:76]
	s_delay_alu instid0(VALU_DEP_2) | instskip(NEXT) | instid1(VALU_DEP_2)
	v_add_f64_e64 v[81:82], v[107:108], -v[81:82]
	v_mul_f64_e32 v[75:76], v[79:80], v[75:76]
	s_delay_alu instid0(VALU_DEP_1) | instskip(NEXT) | instid1(VALU_DEP_1)
	v_add_f64_e32 v[75:76], v[81:82], v[75:76]
	v_add_f64_e32 v[79:80], v[101:102], v[75:76]
	s_delay_alu instid0(VALU_DEP_1) | instskip(NEXT) | instid1(VALU_DEP_1)
	v_mul_f64_e32 v[81:82], v[79:80], v[79:80]
	v_fma_f64 v[103:104], v[81:82], s[44:45], s[42:43]
	s_mov_b32 s42, 0xd7f4df2e
	s_mov_b32 s43, 0x3fc7474d
	v_mul_f64_e32 v[105:106], v[79:80], v[81:82]
	s_wait_alu 0xfffe
	s_delay_alu instid0(VALU_DEP_2) | instskip(SKIP_3) | instid1(VALU_DEP_1)
	v_fma_f64 v[103:104], v[81:82], v[103:104], s[42:43]
	s_mov_b32 s42, 0x16291751
	s_mov_b32 s43, 0x3fcc71c0
	s_wait_alu 0xfffe
	v_fma_f64 v[103:104], v[81:82], v[103:104], s[42:43]
	s_mov_b32 s42, 0x9b27acf1
	s_mov_b32 s43, 0x3fd24924
	s_wait_alu 0xfffe
	s_delay_alu instid0(VALU_DEP_1) | instskip(SKIP_3) | instid1(VALU_DEP_1)
	v_fma_f64 v[103:104], v[81:82], v[103:104], s[42:43]
	s_mov_b32 s42, 0x998ef7b6
	s_mov_b32 s43, 0x3fd99999
	s_wait_alu 0xfffe
	v_fma_f64 v[103:104], v[81:82], v[103:104], s[42:43]
	s_delay_alu instid0(VALU_DEP_1)
	v_fma_f64 v[81:82], v[81:82], v[103:104], s[18:19]
	v_ldexp_f64 v[103:104], v[79:80], 1
	v_add_f64_e64 v[79:80], v[79:80], -v[101:102]
	v_cmp_neq_f64_e64 s18, 0x7ff00000, v[73:74]
	v_cmp_ngt_f64_e64 s19, -1.0, v[73:74]
	v_mul_f64_e32 v[81:82], v[105:106], v[81:82]
	v_cvt_f64_i32_e32 v[105:106], v117
	v_add_f64_e64 v[75:76], v[75:76], -v[79:80]
	s_and_b32 s17, s17, s18
	s_delay_alu instid0(VALU_DEP_3) | instskip(NEXT) | instid1(VALU_DEP_3)
	v_add_f64_e32 v[101:102], v[103:104], v[81:82]
	v_mul_f64_e32 v[107:108], s[20:21], v[105:106]
	s_delay_alu instid0(VALU_DEP_3) | instskip(NEXT) | instid1(VALU_DEP_3)
	v_ldexp_f64 v[75:76], v[75:76], 1
	v_add_f64_e64 v[79:80], v[101:102], -v[103:104]
	s_delay_alu instid0(VALU_DEP_3) | instskip(NEXT) | instid1(VALU_DEP_2)
	v_fma_f64 v[103:104], v[105:106], s[20:21], -v[107:108]
	v_add_f64_e64 v[79:80], v[81:82], -v[79:80]
	s_delay_alu instid0(VALU_DEP_2) | instskip(NEXT) | instid1(VALU_DEP_2)
	v_fma_f64 v[81:82], v[105:106], s[24:25], v[103:104]
	v_add_f64_e32 v[75:76], v[75:76], v[79:80]
	s_delay_alu instid0(VALU_DEP_2) | instskip(NEXT) | instid1(VALU_DEP_2)
	v_add_f64_e32 v[79:80], v[107:108], v[81:82]
	v_add_f64_e32 v[103:104], v[101:102], v[75:76]
	s_delay_alu instid0(VALU_DEP_2) | instskip(NEXT) | instid1(VALU_DEP_2)
	v_add_f64_e64 v[107:108], v[79:80], -v[107:108]
	v_add_f64_e32 v[105:106], v[79:80], v[103:104]
	v_add_f64_e64 v[101:102], v[103:104], -v[101:102]
	s_delay_alu instid0(VALU_DEP_3) | instskip(NEXT) | instid1(VALU_DEP_3)
	v_add_f64_e64 v[81:82], v[81:82], -v[107:108]
	v_add_f64_e64 v[109:110], v[105:106], -v[79:80]
	s_delay_alu instid0(VALU_DEP_3) | instskip(NEXT) | instid1(VALU_DEP_2)
	v_add_f64_e64 v[75:76], v[75:76], -v[101:102]
	v_add_f64_e64 v[111:112], v[105:106], -v[109:110]
	;; [unrolled: 1-line block ×3, first 2 shown]
	s_delay_alu instid0(VALU_DEP_3) | instskip(NEXT) | instid1(VALU_DEP_3)
	v_add_f64_e32 v[103:104], v[81:82], v[75:76]
	v_add_f64_e64 v[79:80], v[79:80], -v[111:112]
	s_delay_alu instid0(VALU_DEP_1) | instskip(NEXT) | instid1(VALU_DEP_3)
	v_add_f64_e32 v[79:80], v[101:102], v[79:80]
	v_add_f64_e64 v[101:102], v[103:104], -v[81:82]
	s_delay_alu instid0(VALU_DEP_2) | instskip(NEXT) | instid1(VALU_DEP_2)
	v_add_f64_e32 v[79:80], v[103:104], v[79:80]
	v_add_f64_e64 v[103:104], v[103:104], -v[101:102]
	v_add_f64_e64 v[75:76], v[75:76], -v[101:102]
	s_delay_alu instid0(VALU_DEP_3) | instskip(NEXT) | instid1(VALU_DEP_3)
	v_add_f64_e32 v[107:108], v[105:106], v[79:80]
	v_add_f64_e64 v[81:82], v[81:82], -v[103:104]
	s_delay_alu instid0(VALU_DEP_2) | instskip(NEXT) | instid1(VALU_DEP_2)
	v_add_f64_e64 v[101:102], v[107:108], -v[105:106]
	v_add_f64_e32 v[75:76], v[75:76], v[81:82]
	s_delay_alu instid0(VALU_DEP_2) | instskip(NEXT) | instid1(VALU_DEP_1)
	v_add_f64_e64 v[79:80], v[79:80], -v[101:102]
	v_add_f64_e32 v[75:76], v[75:76], v[79:80]
	s_delay_alu instid0(VALU_DEP_1) | instskip(SKIP_1) | instid1(VALU_DEP_1)
	v_add_f64_e32 v[75:76], v[107:108], v[75:76]
	s_wait_alu 0xfffe
	v_cndmask_b32_e64 v75, 0, v75, s17
	v_cmp_neq_f64_e64 s17, -1.0, v[73:74]
	s_delay_alu instid0(VALU_DEP_3) | instskip(NEXT) | instid1(VALU_DEP_1)
	v_cndmask_b32_e64 v76, 0x7ff00000, v76, s18
	v_cndmask_b32_e64 v76, 0x7ff80000, v76, s19
	s_wait_alu 0xf1ff
	s_delay_alu instid0(VALU_DEP_1) | instskip(NEXT) | instid1(VALU_DEP_1)
	v_cndmask_b32_e64 v76, 0xfff00000, v76, s17
	v_add_f64_e32 v[73:74], v[71:72], v[75:76]
.LBB71_264:
	s_or_b32 exec_lo, exec_lo, s33
	s_delay_alu instid0(VALU_DEP_1)
	v_dual_mov_b32 v71, v73 :: v_dual_mov_b32 v72, v74
.LBB71_265:
	s_wait_alu 0xfffe
	s_or_b32 exec_lo, exec_lo, s29
	ds_store_b64 v98, v[71:72]
.LBB71_266:
	s_wait_alu 0xfffe
	s_or_b32 exec_lo, exec_lo, s28
	s_delay_alu instid0(SALU_CYCLE_1)
	s_mov_b32 s28, exec_lo
	s_wait_loadcnt_dscnt 0x0
	s_barrier_signal -1
	s_barrier_wait -1
	global_inv scope:SCOPE_SE
                                        ; implicit-def: $vgpr71_vgpr72
	v_cmpx_lt_u32_e32 31, v0
	s_cbranch_execz .LBB71_270
; %bb.267:
	v_lshl_add_u32 v71, v78, 3, -8
	v_max_num_f64_e32 v[73:74], v[69:70], v[69:70]
	v_cmp_u_f64_e64 s18, v[69:70], v[69:70]
	ds_load_b64 v[71:72], v71
	s_wait_dscnt 0x0
	v_max_num_f64_e32 v[75:76], v[71:72], v[71:72]
	v_cmp_u_f64_e64 s17, v[71:72], v[71:72]
	s_delay_alu instid0(VALU_DEP_2) | instskip(SKIP_2) | instid1(VALU_DEP_2)
	v_min_num_f64_e32 v[78:79], v[75:76], v[73:74]
	v_max_num_f64_e32 v[73:74], v[75:76], v[73:74]
	s_wait_alu 0xf1ff
	v_cndmask_b32_e64 v75, v78, v71, s17
	s_delay_alu instid0(VALU_DEP_3) | instskip(NEXT) | instid1(VALU_DEP_3)
	v_cndmask_b32_e64 v76, v79, v72, s17
	v_cndmask_b32_e64 v74, v74, v72, s17
	s_delay_alu instid0(VALU_DEP_4) | instskip(NEXT) | instid1(VALU_DEP_4)
	v_cndmask_b32_e64 v73, v73, v71, s17
	v_cndmask_b32_e64 v75, v75, v69, s18
	s_delay_alu instid0(VALU_DEP_4) | instskip(NEXT) | instid1(VALU_DEP_4)
	v_cndmask_b32_e64 v76, v76, v70, s18
	v_cndmask_b32_e64 v74, v74, v70, s18
	s_delay_alu instid0(VALU_DEP_4) | instskip(SKIP_1) | instid1(VALU_DEP_4)
	v_cndmask_b32_e64 v73, v73, v69, s18
	v_dual_mov_b32 v69, v71 :: v_dual_mov_b32 v70, v72
	v_cmp_class_f64_e64 s18, v[75:76], 0x1f8
	s_delay_alu instid0(VALU_DEP_3)
	v_cmp_neq_f64_e64 s17, v[75:76], v[73:74]
	s_or_b32 s17, s17, s18
	s_wait_alu 0xfffe
	s_and_saveexec_b32 s29, s17
	s_cbranch_execz .LBB71_269
; %bb.268:
	v_add_f64_e64 v[69:70], v[75:76], -v[73:74]
	s_mov_b32 s18, 0x652b82fe
	s_mov_b32 s19, 0x3ff71547
	;; [unrolled: 1-line block ×10, first 2 shown]
	s_wait_alu 0xfffe
	s_delay_alu instid0(VALU_DEP_1) | instskip(SKIP_3) | instid1(VALU_DEP_2)
	v_mul_f64_e32 v[75:76], s[18:19], v[69:70]
	s_mov_b32 s18, 0xfca7ab0c
	s_mov_b32 s19, 0x3e928af3
	v_cmp_nlt_f64_e64 s17, 0x40900000, v[69:70]
	v_rndne_f64_e32 v[75:76], v[75:76]
	s_delay_alu instid0(VALU_DEP_1) | instskip(SKIP_2) | instid1(VALU_DEP_2)
	v_fma_f64 v[78:79], v[75:76], s[20:21], v[69:70]
	v_cvt_i32_f64_e32 v82, v[75:76]
	s_mov_b32 s21, 0x3fe62e42
	v_fma_f64 v[78:79], v[75:76], s[24:25], v[78:79]
	s_mov_b32 s25, 0x3c7abc9e
	s_wait_alu 0xfffe
	s_delay_alu instid0(VALU_DEP_1)
	v_fma_f64 v[80:81], v[78:79], s[42:43], s[18:19]
	s_mov_b32 s18, 0x623fde64
	s_mov_b32 s19, 0x3ec71dee
	s_mov_b32 s42, 0x6b47b09a
	s_mov_b32 s43, 0x3fc38538
	s_wait_alu 0xfffe
	s_delay_alu instid0(VALU_DEP_1) | instskip(SKIP_3) | instid1(VALU_DEP_1)
	v_fma_f64 v[80:81], v[78:79], v[80:81], s[18:19]
	s_mov_b32 s18, 0x7c89e6b0
	s_mov_b32 s19, 0x3efa0199
	s_wait_alu 0xfffe
	v_fma_f64 v[80:81], v[78:79], v[80:81], s[18:19]
	s_mov_b32 s18, 0x14761f6e
	s_mov_b32 s19, 0x3f2a01a0
	s_wait_alu 0xfffe
	s_delay_alu instid0(VALU_DEP_1) | instskip(SKIP_3) | instid1(VALU_DEP_1)
	v_fma_f64 v[80:81], v[78:79], v[80:81], s[18:19]
	s_mov_b32 s18, 0x1852b7b0
	s_mov_b32 s19, 0x3f56c16c
	s_wait_alu 0xfffe
	v_fma_f64 v[80:81], v[78:79], v[80:81], s[18:19]
	s_mov_b32 s18, 0x11122322
	s_mov_b32 s19, 0x3f811111
	;; [unrolled: 9-line block ×3, first 2 shown]
	s_wait_alu 0xfffe
	s_delay_alu instid0(VALU_DEP_1) | instskip(SKIP_3) | instid1(VALU_DEP_1)
	v_fma_f64 v[80:81], v[78:79], v[80:81], s[18:19]
	s_mov_b32 s18, 11
	s_mov_b32 s19, 0x3fe00000
	s_wait_alu 0xfffe
	v_fma_f64 v[80:81], v[78:79], v[80:81], s[18:19]
	v_cmp_ngt_f64_e64 s18, 0xc090cc00, v[69:70]
	s_mov_b32 s19, 0x3fe55555
	v_fma_f64 v[80:81], v[78:79], v[80:81], 1.0
	s_delay_alu instid0(VALU_DEP_1) | instskip(NEXT) | instid1(VALU_DEP_1)
	v_fma_f64 v[75:76], v[78:79], v[80:81], 1.0
	v_ldexp_f64 v[75:76], v[75:76], v82
	s_wait_alu 0xf1ff
	s_delay_alu instid0(VALU_DEP_1) | instskip(SKIP_2) | instid1(VALU_DEP_2)
	v_cndmask_b32_e64 v76, 0x7ff00000, v76, s17
	s_and_b32 s17, s18, s17
	s_wait_alu 0xfffe
	v_cndmask_b32_e64 v69, 0, v75, s17
	s_delay_alu instid0(VALU_DEP_2) | instskip(SKIP_1) | instid1(VALU_DEP_1)
	v_cndmask_b32_e64 v70, 0, v76, s18
	s_mov_b32 s18, 0x55555555
	v_add_f64_e32 v[75:76], 1.0, v[69:70]
	s_delay_alu instid0(VALU_DEP_1) | instskip(SKIP_3) | instid1(VALU_DEP_3)
	v_frexp_mant_f64_e32 v[78:79], v[75:76]
	v_frexp_exp_i32_f64_e32 v82, v[75:76]
	v_add_f64_e32 v[80:81], -1.0, v[75:76]
	s_wait_alu 0xfffe
	v_cmp_gt_f64_e64 s17, s[18:19], v[78:79]
	s_mov_b32 s18, 0x55555780
	v_add_f64_e64 v[78:79], v[80:81], -v[75:76]
	v_add_f64_e64 v[80:81], v[69:70], -v[80:81]
	s_wait_alu 0xf1ff
	v_subrev_co_ci_u32_e64 v82, null, 0, v82, s17
	s_delay_alu instid0(VALU_DEP_3) | instskip(SKIP_1) | instid1(VALU_DEP_3)
	v_add_f64_e32 v[78:79], 1.0, v[78:79]
	v_cmp_nge_f64_e64 s17, -1.0, v[69:70]
	v_sub_nc_u32_e32 v103, 0, v82
	s_delay_alu instid0(VALU_DEP_1) | instskip(NEXT) | instid1(VALU_DEP_4)
	v_ldexp_f64 v[75:76], v[75:76], v103
	v_add_f64_e32 v[78:79], v[80:81], v[78:79]
	s_delay_alu instid0(VALU_DEP_2) | instskip(SKIP_1) | instid1(VALU_DEP_3)
	v_add_f64_e32 v[101:102], 1.0, v[75:76]
	v_add_f64_e32 v[107:108], -1.0, v[75:76]
	v_ldexp_f64 v[78:79], v[78:79], v103
	s_delay_alu instid0(VALU_DEP_3) | instskip(NEXT) | instid1(VALU_DEP_3)
	v_add_f64_e32 v[80:81], -1.0, v[101:102]
	v_add_f64_e32 v[109:110], 1.0, v[107:108]
	s_delay_alu instid0(VALU_DEP_2) | instskip(NEXT) | instid1(VALU_DEP_2)
	v_add_f64_e64 v[80:81], v[75:76], -v[80:81]
	v_add_f64_e64 v[75:76], v[75:76], -v[109:110]
	s_delay_alu instid0(VALU_DEP_2) | instskip(NEXT) | instid1(VALU_DEP_2)
	v_add_f64_e32 v[80:81], v[78:79], v[80:81]
	v_add_f64_e32 v[75:76], v[78:79], v[75:76]
	s_delay_alu instid0(VALU_DEP_2) | instskip(NEXT) | instid1(VALU_DEP_2)
	v_add_f64_e32 v[103:104], v[101:102], v[80:81]
	v_add_f64_e32 v[109:110], v[107:108], v[75:76]
	s_delay_alu instid0(VALU_DEP_2) | instskip(SKIP_1) | instid1(VALU_DEP_2)
	v_rcp_f64_e32 v[105:106], v[103:104]
	v_add_f64_e64 v[101:102], v[103:104], -v[101:102]
	v_add_f64_e64 v[107:108], v[109:110], -v[107:108]
	s_delay_alu instid0(VALU_DEP_2) | instskip(NEXT) | instid1(TRANS32_DEP_1)
	v_add_f64_e64 v[80:81], v[80:81], -v[101:102]
	v_fma_f64 v[111:112], -v[103:104], v[105:106], 1.0
	s_delay_alu instid0(VALU_DEP_3) | instskip(NEXT) | instid1(VALU_DEP_2)
	v_add_f64_e64 v[75:76], v[75:76], -v[107:108]
	v_fma_f64 v[105:106], v[111:112], v[105:106], v[105:106]
	s_delay_alu instid0(VALU_DEP_1) | instskip(NEXT) | instid1(VALU_DEP_1)
	v_fma_f64 v[78:79], -v[103:104], v[105:106], 1.0
	v_fma_f64 v[78:79], v[78:79], v[105:106], v[105:106]
	s_delay_alu instid0(VALU_DEP_1) | instskip(NEXT) | instid1(VALU_DEP_1)
	v_mul_f64_e32 v[105:106], v[109:110], v[78:79]
	v_mul_f64_e32 v[111:112], v[103:104], v[105:106]
	s_delay_alu instid0(VALU_DEP_1) | instskip(NEXT) | instid1(VALU_DEP_1)
	v_fma_f64 v[101:102], v[105:106], v[103:104], -v[111:112]
	v_fma_f64 v[101:102], v[105:106], v[80:81], v[101:102]
	s_delay_alu instid0(VALU_DEP_1) | instskip(NEXT) | instid1(VALU_DEP_1)
	v_add_f64_e32 v[113:114], v[111:112], v[101:102]
	v_add_f64_e64 v[115:116], v[109:110], -v[113:114]
	v_add_f64_e64 v[107:108], v[113:114], -v[111:112]
	s_delay_alu instid0(VALU_DEP_2) | instskip(NEXT) | instid1(VALU_DEP_2)
	v_add_f64_e64 v[109:110], v[109:110], -v[115:116]
	v_add_f64_e64 v[101:102], v[107:108], -v[101:102]
	s_delay_alu instid0(VALU_DEP_2) | instskip(NEXT) | instid1(VALU_DEP_1)
	v_add_f64_e64 v[109:110], v[109:110], -v[113:114]
	v_add_f64_e32 v[75:76], v[75:76], v[109:110]
	s_delay_alu instid0(VALU_DEP_1) | instskip(NEXT) | instid1(VALU_DEP_1)
	v_add_f64_e32 v[75:76], v[101:102], v[75:76]
	v_add_f64_e32 v[101:102], v[115:116], v[75:76]
	s_delay_alu instid0(VALU_DEP_1) | instskip(SKIP_1) | instid1(VALU_DEP_2)
	v_mul_f64_e32 v[107:108], v[78:79], v[101:102]
	v_add_f64_e64 v[113:114], v[115:116], -v[101:102]
	v_mul_f64_e32 v[109:110], v[103:104], v[107:108]
	s_delay_alu instid0(VALU_DEP_2) | instskip(NEXT) | instid1(VALU_DEP_2)
	v_add_f64_e32 v[75:76], v[75:76], v[113:114]
	v_fma_f64 v[103:104], v[107:108], v[103:104], -v[109:110]
	s_delay_alu instid0(VALU_DEP_1) | instskip(NEXT) | instid1(VALU_DEP_1)
	v_fma_f64 v[80:81], v[107:108], v[80:81], v[103:104]
	v_add_f64_e32 v[103:104], v[109:110], v[80:81]
	s_delay_alu instid0(VALU_DEP_1) | instskip(SKIP_1) | instid1(VALU_DEP_2)
	v_add_f64_e64 v[111:112], v[101:102], -v[103:104]
	v_add_f64_e64 v[109:110], v[103:104], -v[109:110]
	;; [unrolled: 1-line block ×3, first 2 shown]
	s_delay_alu instid0(VALU_DEP_2) | instskip(NEXT) | instid1(VALU_DEP_2)
	v_add_f64_e64 v[80:81], v[109:110], -v[80:81]
	v_add_f64_e64 v[101:102], v[101:102], -v[103:104]
	s_delay_alu instid0(VALU_DEP_1) | instskip(SKIP_1) | instid1(VALU_DEP_2)
	v_add_f64_e32 v[75:76], v[75:76], v[101:102]
	v_add_f64_e32 v[101:102], v[105:106], v[107:108]
	;; [unrolled: 1-line block ×3, first 2 shown]
	s_delay_alu instid0(VALU_DEP_2) | instskip(NEXT) | instid1(VALU_DEP_2)
	v_add_f64_e64 v[80:81], v[101:102], -v[105:106]
	v_add_f64_e32 v[75:76], v[111:112], v[75:76]
	s_delay_alu instid0(VALU_DEP_2) | instskip(NEXT) | instid1(VALU_DEP_2)
	v_add_f64_e64 v[80:81], v[107:108], -v[80:81]
	v_mul_f64_e32 v[75:76], v[78:79], v[75:76]
	s_delay_alu instid0(VALU_DEP_1) | instskip(NEXT) | instid1(VALU_DEP_1)
	v_add_f64_e32 v[75:76], v[80:81], v[75:76]
	v_add_f64_e32 v[78:79], v[101:102], v[75:76]
	s_delay_alu instid0(VALU_DEP_1) | instskip(NEXT) | instid1(VALU_DEP_1)
	v_mul_f64_e32 v[80:81], v[78:79], v[78:79]
	v_fma_f64 v[103:104], v[80:81], s[44:45], s[42:43]
	s_mov_b32 s42, 0xd7f4df2e
	s_mov_b32 s43, 0x3fc7474d
	v_mul_f64_e32 v[105:106], v[78:79], v[80:81]
	s_wait_alu 0xfffe
	s_delay_alu instid0(VALU_DEP_2) | instskip(SKIP_3) | instid1(VALU_DEP_1)
	v_fma_f64 v[103:104], v[80:81], v[103:104], s[42:43]
	s_mov_b32 s42, 0x16291751
	s_mov_b32 s43, 0x3fcc71c0
	s_wait_alu 0xfffe
	v_fma_f64 v[103:104], v[80:81], v[103:104], s[42:43]
	s_mov_b32 s42, 0x9b27acf1
	s_mov_b32 s43, 0x3fd24924
	s_wait_alu 0xfffe
	s_delay_alu instid0(VALU_DEP_1) | instskip(SKIP_3) | instid1(VALU_DEP_1)
	v_fma_f64 v[103:104], v[80:81], v[103:104], s[42:43]
	s_mov_b32 s42, 0x998ef7b6
	s_mov_b32 s43, 0x3fd99999
	s_wait_alu 0xfffe
	v_fma_f64 v[103:104], v[80:81], v[103:104], s[42:43]
	s_delay_alu instid0(VALU_DEP_1)
	v_fma_f64 v[80:81], v[80:81], v[103:104], s[18:19]
	v_ldexp_f64 v[103:104], v[78:79], 1
	v_add_f64_e64 v[78:79], v[78:79], -v[101:102]
	v_cmp_neq_f64_e64 s18, 0x7ff00000, v[69:70]
	v_cmp_ngt_f64_e64 s19, -1.0, v[69:70]
	v_mul_f64_e32 v[80:81], v[105:106], v[80:81]
	v_cvt_f64_i32_e32 v[105:106], v82
	v_add_f64_e64 v[75:76], v[75:76], -v[78:79]
	s_and_b32 s17, s17, s18
	s_delay_alu instid0(VALU_DEP_3) | instskip(NEXT) | instid1(VALU_DEP_3)
	v_add_f64_e32 v[101:102], v[103:104], v[80:81]
	v_mul_f64_e32 v[107:108], s[20:21], v[105:106]
	s_delay_alu instid0(VALU_DEP_3) | instskip(NEXT) | instid1(VALU_DEP_3)
	v_ldexp_f64 v[75:76], v[75:76], 1
	v_add_f64_e64 v[78:79], v[101:102], -v[103:104]
	s_delay_alu instid0(VALU_DEP_3) | instskip(NEXT) | instid1(VALU_DEP_2)
	v_fma_f64 v[103:104], v[105:106], s[20:21], -v[107:108]
	v_add_f64_e64 v[78:79], v[80:81], -v[78:79]
	s_delay_alu instid0(VALU_DEP_2) | instskip(NEXT) | instid1(VALU_DEP_2)
	v_fma_f64 v[80:81], v[105:106], s[24:25], v[103:104]
	v_add_f64_e32 v[75:76], v[75:76], v[78:79]
	s_delay_alu instid0(VALU_DEP_2) | instskip(NEXT) | instid1(VALU_DEP_2)
	v_add_f64_e32 v[78:79], v[107:108], v[80:81]
	v_add_f64_e32 v[103:104], v[101:102], v[75:76]
	s_delay_alu instid0(VALU_DEP_2) | instskip(NEXT) | instid1(VALU_DEP_2)
	v_add_f64_e64 v[107:108], v[78:79], -v[107:108]
	v_add_f64_e32 v[105:106], v[78:79], v[103:104]
	v_add_f64_e64 v[101:102], v[103:104], -v[101:102]
	s_delay_alu instid0(VALU_DEP_3) | instskip(NEXT) | instid1(VALU_DEP_3)
	v_add_f64_e64 v[80:81], v[80:81], -v[107:108]
	v_add_f64_e64 v[109:110], v[105:106], -v[78:79]
	s_delay_alu instid0(VALU_DEP_3) | instskip(NEXT) | instid1(VALU_DEP_2)
	v_add_f64_e64 v[75:76], v[75:76], -v[101:102]
	v_add_f64_e64 v[111:112], v[105:106], -v[109:110]
	;; [unrolled: 1-line block ×3, first 2 shown]
	s_delay_alu instid0(VALU_DEP_3) | instskip(NEXT) | instid1(VALU_DEP_3)
	v_add_f64_e32 v[103:104], v[80:81], v[75:76]
	v_add_f64_e64 v[78:79], v[78:79], -v[111:112]
	s_delay_alu instid0(VALU_DEP_1) | instskip(NEXT) | instid1(VALU_DEP_3)
	v_add_f64_e32 v[78:79], v[101:102], v[78:79]
	v_add_f64_e64 v[101:102], v[103:104], -v[80:81]
	s_delay_alu instid0(VALU_DEP_2) | instskip(NEXT) | instid1(VALU_DEP_2)
	v_add_f64_e32 v[78:79], v[103:104], v[78:79]
	v_add_f64_e64 v[103:104], v[103:104], -v[101:102]
	v_add_f64_e64 v[75:76], v[75:76], -v[101:102]
	s_delay_alu instid0(VALU_DEP_3) | instskip(NEXT) | instid1(VALU_DEP_3)
	v_add_f64_e32 v[107:108], v[105:106], v[78:79]
	v_add_f64_e64 v[80:81], v[80:81], -v[103:104]
	s_delay_alu instid0(VALU_DEP_2) | instskip(NEXT) | instid1(VALU_DEP_2)
	v_add_f64_e64 v[101:102], v[107:108], -v[105:106]
	v_add_f64_e32 v[75:76], v[75:76], v[80:81]
	s_delay_alu instid0(VALU_DEP_2) | instskip(NEXT) | instid1(VALU_DEP_1)
	v_add_f64_e64 v[78:79], v[78:79], -v[101:102]
	v_add_f64_e32 v[75:76], v[75:76], v[78:79]
	s_delay_alu instid0(VALU_DEP_1) | instskip(SKIP_1) | instid1(VALU_DEP_1)
	v_add_f64_e32 v[75:76], v[107:108], v[75:76]
	s_wait_alu 0xfffe
	v_cndmask_b32_e64 v75, 0, v75, s17
	v_cmp_neq_f64_e64 s17, -1.0, v[69:70]
	s_delay_alu instid0(VALU_DEP_3) | instskip(NEXT) | instid1(VALU_DEP_1)
	v_cndmask_b32_e64 v76, 0x7ff00000, v76, s18
	v_cndmask_b32_e64 v76, 0x7ff80000, v76, s19
	s_wait_alu 0xf1ff
	s_delay_alu instid0(VALU_DEP_1) | instskip(NEXT) | instid1(VALU_DEP_1)
	v_cndmask_b32_e64 v76, 0xfff00000, v76, s17
	v_add_f64_e32 v[69:70], v[73:74], v[75:76]
.LBB71_269:
	s_wait_alu 0xfffe
	s_or_b32 exec_lo, exec_lo, s29
.LBB71_270:
	s_wait_alu 0xfffe
	s_or_b32 exec_lo, exec_lo, s28
	v_add_nc_u32_e32 v73, -1, v77
	s_delay_alu instid0(VALU_DEP_1) | instskip(SKIP_1) | instid1(VALU_DEP_1)
	v_cmp_gt_i32_e64 s17, 0, v73
	s_wait_alu 0xf1ff
	v_cndmask_b32_e64 v73, v73, v77, s17
	s_delay_alu instid0(VALU_DEP_1)
	v_lshlrev_b32_e32 v73, 2, v73
	ds_bpermute_b32 v69, v73, v69
	ds_bpermute_b32 v70, v73, v70
	s_and_saveexec_b32 s24, s2
	s_cbranch_execz .LBB71_274
; %bb.271:
	v_cmp_eq_u32_e64 s2, 0, v77
	s_wait_dscnt 0x0
	s_wait_alu 0xf1ff
	s_delay_alu instid0(VALU_DEP_1) | instskip(SKIP_1) | instid1(VALU_DEP_1)
	v_cndmask_b32_e64 v70, v70, v72, s2
	v_cndmask_b32_e64 v69, v69, v71, s2
	v_max_num_f64_e32 v[35:36], v[69:70], v[69:70]
	v_cmp_u_f64_e64 s2, v[69:70], v[69:70]
	s_delay_alu instid0(VALU_DEP_2) | instskip(SKIP_2) | instid1(VALU_DEP_2)
	v_min_num_f64_e32 v[67:68], v[35:36], v[33:34]
	v_max_num_f64_e32 v[33:34], v[35:36], v[33:34]
	s_wait_alu 0xf1ff
	v_cndmask_b32_e64 v35, v68, v70, s2
	s_delay_alu instid0(VALU_DEP_3) | instskip(NEXT) | instid1(VALU_DEP_3)
	v_cndmask_b32_e64 v36, v67, v69, s2
	v_cndmask_b32_e64 v67, v34, v70, s2
	s_delay_alu instid0(VALU_DEP_4) | instskip(NEXT) | instid1(VALU_DEP_4)
	v_cndmask_b32_e64 v68, v33, v69, s2
	v_cndmask_b32_e64 v34, v35, v2, s16
	s_delay_alu instid0(VALU_DEP_4) | instskip(NEXT) | instid1(VALU_DEP_4)
	v_cndmask_b32_e64 v33, v36, v1, s16
	v_cndmask_b32_e64 v2, v67, v2, s16
	s_delay_alu instid0(VALU_DEP_4) | instskip(NEXT) | instid1(VALU_DEP_3)
	v_cndmask_b32_e64 v1, v68, v1, s16
	v_cmp_class_f64_e64 s16, v[33:34], 0x1f8
	s_delay_alu instid0(VALU_DEP_2)
	v_cmp_neq_f64_e64 s2, v[33:34], v[1:2]
	s_or_b32 s2, s2, s16
	s_wait_alu 0xfffe
	s_and_saveexec_b32 s25, s2
	s_cbranch_execz .LBB71_273
; %bb.272:
	v_add_f64_e64 v[33:34], v[33:34], -v[1:2]
	s_mov_b32 s16, 0x652b82fe
	s_mov_b32 s17, 0x3ff71547
	;; [unrolled: 1-line block ×10, first 2 shown]
	s_wait_alu 0xfffe
	s_delay_alu instid0(VALU_DEP_1) | instskip(SKIP_3) | instid1(VALU_DEP_2)
	v_mul_f64_e32 v[35:36], s[16:17], v[33:34]
	s_mov_b32 s16, 0xfca7ab0c
	s_mov_b32 s17, 0x3e928af3
	v_cmp_nlt_f64_e64 s2, 0x40900000, v[33:34]
	v_rndne_f64_e32 v[35:36], v[35:36]
	s_delay_alu instid0(VALU_DEP_1) | instskip(SKIP_2) | instid1(VALU_DEP_2)
	v_fma_f64 v[67:68], v[35:36], s[18:19], v[33:34]
	v_cvt_i32_f64_e32 v71, v[35:36]
	s_mov_b32 s19, 0x3fe62e42
	v_fma_f64 v[67:68], v[35:36], s[20:21], v[67:68]
	s_mov_b32 s21, 0x3c7abc9e
	s_wait_alu 0xfffe
	s_delay_alu instid0(VALU_DEP_1)
	v_fma_f64 v[69:70], v[67:68], s[28:29], s[16:17]
	s_mov_b32 s16, 0x623fde64
	s_mov_b32 s17, 0x3ec71dee
	;; [unrolled: 1-line block ×4, first 2 shown]
	s_wait_alu 0xfffe
	s_delay_alu instid0(VALU_DEP_1) | instskip(SKIP_3) | instid1(VALU_DEP_1)
	v_fma_f64 v[69:70], v[67:68], v[69:70], s[16:17]
	s_mov_b32 s16, 0x7c89e6b0
	s_mov_b32 s17, 0x3efa0199
	s_wait_alu 0xfffe
	v_fma_f64 v[69:70], v[67:68], v[69:70], s[16:17]
	s_mov_b32 s16, 0x14761f6e
	s_mov_b32 s17, 0x3f2a01a0
	s_wait_alu 0xfffe
	s_delay_alu instid0(VALU_DEP_1) | instskip(SKIP_3) | instid1(VALU_DEP_1)
	v_fma_f64 v[69:70], v[67:68], v[69:70], s[16:17]
	s_mov_b32 s16, 0x1852b7b0
	s_mov_b32 s17, 0x3f56c16c
	s_wait_alu 0xfffe
	v_fma_f64 v[69:70], v[67:68], v[69:70], s[16:17]
	s_mov_b32 s16, 0x11122322
	s_mov_b32 s17, 0x3f811111
	;; [unrolled: 9-line block ×3, first 2 shown]
	s_wait_alu 0xfffe
	s_delay_alu instid0(VALU_DEP_1) | instskip(SKIP_3) | instid1(VALU_DEP_1)
	v_fma_f64 v[69:70], v[67:68], v[69:70], s[16:17]
	s_mov_b32 s16, 11
	s_mov_b32 s17, 0x3fe00000
	s_wait_alu 0xfffe
	v_fma_f64 v[69:70], v[67:68], v[69:70], s[16:17]
	v_cmp_ngt_f64_e64 s16, 0xc090cc00, v[33:34]
	s_mov_b32 s17, 0x3fe55555
	v_fma_f64 v[69:70], v[67:68], v[69:70], 1.0
	s_delay_alu instid0(VALU_DEP_1) | instskip(NEXT) | instid1(VALU_DEP_1)
	v_fma_f64 v[35:36], v[67:68], v[69:70], 1.0
	v_ldexp_f64 v[35:36], v[35:36], v71
	s_wait_alu 0xf1ff
	s_delay_alu instid0(VALU_DEP_1) | instskip(SKIP_2) | instid1(VALU_DEP_2)
	v_cndmask_b32_e64 v36, 0x7ff00000, v36, s2
	s_and_b32 s2, s16, s2
	s_wait_alu 0xfffe
	v_cndmask_b32_e64 v33, 0, v35, s2
	s_delay_alu instid0(VALU_DEP_2) | instskip(SKIP_1) | instid1(VALU_DEP_1)
	v_cndmask_b32_e64 v34, 0, v36, s16
	s_mov_b32 s16, 0x55555555
	v_add_f64_e32 v[35:36], 1.0, v[33:34]
	s_delay_alu instid0(VALU_DEP_1) | instskip(SKIP_3) | instid1(VALU_DEP_3)
	v_frexp_mant_f64_e32 v[67:68], v[35:36]
	v_frexp_exp_i32_f64_e32 v71, v[35:36]
	v_add_f64_e32 v[69:70], -1.0, v[35:36]
	s_wait_alu 0xfffe
	v_cmp_gt_f64_e64 s2, s[16:17], v[67:68]
	s_mov_b32 s16, 0x55555780
	v_add_f64_e64 v[67:68], v[69:70], -v[35:36]
	v_add_f64_e64 v[69:70], v[33:34], -v[69:70]
	s_wait_alu 0xf1ff
	v_subrev_co_ci_u32_e64 v105, null, 0, v71, s2
	s_delay_alu instid0(VALU_DEP_3) | instskip(SKIP_1) | instid1(VALU_DEP_3)
	v_add_f64_e32 v[67:68], 1.0, v[67:68]
	v_cmp_nge_f64_e64 s2, -1.0, v[33:34]
	v_sub_nc_u32_e32 v73, 0, v105
	s_delay_alu instid0(VALU_DEP_1) | instskip(NEXT) | instid1(VALU_DEP_4)
	v_ldexp_f64 v[35:36], v[35:36], v73
	v_add_f64_e32 v[67:68], v[69:70], v[67:68]
	s_delay_alu instid0(VALU_DEP_2) | instskip(SKIP_1) | instid1(VALU_DEP_3)
	v_add_f64_e32 v[71:72], 1.0, v[35:36]
	v_add_f64_e32 v[77:78], -1.0, v[35:36]
	v_ldexp_f64 v[67:68], v[67:68], v73
	s_delay_alu instid0(VALU_DEP_3) | instskip(NEXT) | instid1(VALU_DEP_3)
	v_add_f64_e32 v[69:70], -1.0, v[71:72]
	v_add_f64_e32 v[79:80], 1.0, v[77:78]
	s_delay_alu instid0(VALU_DEP_2) | instskip(NEXT) | instid1(VALU_DEP_2)
	v_add_f64_e64 v[69:70], v[35:36], -v[69:70]
	v_add_f64_e64 v[35:36], v[35:36], -v[79:80]
	s_delay_alu instid0(VALU_DEP_2) | instskip(NEXT) | instid1(VALU_DEP_2)
	v_add_f64_e32 v[69:70], v[67:68], v[69:70]
	v_add_f64_e32 v[35:36], v[67:68], v[35:36]
	s_delay_alu instid0(VALU_DEP_2) | instskip(NEXT) | instid1(VALU_DEP_2)
	v_add_f64_e32 v[73:74], v[71:72], v[69:70]
	v_add_f64_e32 v[79:80], v[77:78], v[35:36]
	s_delay_alu instid0(VALU_DEP_2) | instskip(SKIP_1) | instid1(VALU_DEP_2)
	v_rcp_f64_e32 v[75:76], v[73:74]
	v_add_f64_e64 v[71:72], v[73:74], -v[71:72]
	v_add_f64_e64 v[77:78], v[79:80], -v[77:78]
	s_delay_alu instid0(VALU_DEP_2) | instskip(NEXT) | instid1(TRANS32_DEP_1)
	v_add_f64_e64 v[69:70], v[69:70], -v[71:72]
	v_fma_f64 v[81:82], -v[73:74], v[75:76], 1.0
	s_delay_alu instid0(VALU_DEP_3) | instskip(NEXT) | instid1(VALU_DEP_2)
	v_add_f64_e64 v[35:36], v[35:36], -v[77:78]
	v_fma_f64 v[75:76], v[81:82], v[75:76], v[75:76]
	s_delay_alu instid0(VALU_DEP_1) | instskip(NEXT) | instid1(VALU_DEP_1)
	v_fma_f64 v[67:68], -v[73:74], v[75:76], 1.0
	v_fma_f64 v[67:68], v[67:68], v[75:76], v[75:76]
	s_delay_alu instid0(VALU_DEP_1) | instskip(NEXT) | instid1(VALU_DEP_1)
	v_mul_f64_e32 v[75:76], v[79:80], v[67:68]
	v_mul_f64_e32 v[81:82], v[73:74], v[75:76]
	s_delay_alu instid0(VALU_DEP_1) | instskip(NEXT) | instid1(VALU_DEP_1)
	v_fma_f64 v[71:72], v[75:76], v[73:74], -v[81:82]
	v_fma_f64 v[71:72], v[75:76], v[69:70], v[71:72]
	s_delay_alu instid0(VALU_DEP_1) | instskip(NEXT) | instid1(VALU_DEP_1)
	v_add_f64_e32 v[101:102], v[81:82], v[71:72]
	v_add_f64_e64 v[103:104], v[79:80], -v[101:102]
	v_add_f64_e64 v[77:78], v[101:102], -v[81:82]
	s_delay_alu instid0(VALU_DEP_2) | instskip(NEXT) | instid1(VALU_DEP_2)
	v_add_f64_e64 v[79:80], v[79:80], -v[103:104]
	v_add_f64_e64 v[71:72], v[77:78], -v[71:72]
	s_delay_alu instid0(VALU_DEP_2) | instskip(NEXT) | instid1(VALU_DEP_1)
	v_add_f64_e64 v[79:80], v[79:80], -v[101:102]
	v_add_f64_e32 v[35:36], v[35:36], v[79:80]
	s_delay_alu instid0(VALU_DEP_1) | instskip(NEXT) | instid1(VALU_DEP_1)
	v_add_f64_e32 v[35:36], v[71:72], v[35:36]
	v_add_f64_e32 v[71:72], v[103:104], v[35:36]
	s_delay_alu instid0(VALU_DEP_1) | instskip(SKIP_1) | instid1(VALU_DEP_2)
	v_mul_f64_e32 v[77:78], v[67:68], v[71:72]
	v_add_f64_e64 v[101:102], v[103:104], -v[71:72]
	v_mul_f64_e32 v[79:80], v[73:74], v[77:78]
	s_delay_alu instid0(VALU_DEP_2) | instskip(NEXT) | instid1(VALU_DEP_2)
	v_add_f64_e32 v[35:36], v[35:36], v[101:102]
	v_fma_f64 v[73:74], v[77:78], v[73:74], -v[79:80]
	s_delay_alu instid0(VALU_DEP_1) | instskip(NEXT) | instid1(VALU_DEP_1)
	v_fma_f64 v[69:70], v[77:78], v[69:70], v[73:74]
	v_add_f64_e32 v[73:74], v[79:80], v[69:70]
	s_delay_alu instid0(VALU_DEP_1) | instskip(SKIP_1) | instid1(VALU_DEP_2)
	v_add_f64_e64 v[81:82], v[71:72], -v[73:74]
	v_add_f64_e64 v[79:80], v[73:74], -v[79:80]
	;; [unrolled: 1-line block ×3, first 2 shown]
	s_delay_alu instid0(VALU_DEP_2) | instskip(NEXT) | instid1(VALU_DEP_2)
	v_add_f64_e64 v[69:70], v[79:80], -v[69:70]
	v_add_f64_e64 v[71:72], v[71:72], -v[73:74]
	s_delay_alu instid0(VALU_DEP_1) | instskip(SKIP_1) | instid1(VALU_DEP_2)
	v_add_f64_e32 v[35:36], v[35:36], v[71:72]
	v_add_f64_e32 v[71:72], v[75:76], v[77:78]
	;; [unrolled: 1-line block ×3, first 2 shown]
	s_delay_alu instid0(VALU_DEP_2) | instskip(NEXT) | instid1(VALU_DEP_2)
	v_add_f64_e64 v[69:70], v[71:72], -v[75:76]
	v_add_f64_e32 v[35:36], v[81:82], v[35:36]
	s_delay_alu instid0(VALU_DEP_2) | instskip(NEXT) | instid1(VALU_DEP_2)
	v_add_f64_e64 v[69:70], v[77:78], -v[69:70]
	v_mul_f64_e32 v[35:36], v[67:68], v[35:36]
	s_delay_alu instid0(VALU_DEP_1) | instskip(NEXT) | instid1(VALU_DEP_1)
	v_add_f64_e32 v[35:36], v[69:70], v[35:36]
	v_add_f64_e32 v[67:68], v[71:72], v[35:36]
	s_delay_alu instid0(VALU_DEP_1) | instskip(NEXT) | instid1(VALU_DEP_1)
	v_mul_f64_e32 v[69:70], v[67:68], v[67:68]
	v_fma_f64 v[73:74], v[69:70], s[42:43], s[28:29]
	s_mov_b32 s28, 0xd7f4df2e
	s_mov_b32 s29, 0x3fc7474d
	v_mul_f64_e32 v[75:76], v[67:68], v[69:70]
	s_wait_alu 0xfffe
	s_delay_alu instid0(VALU_DEP_2) | instskip(SKIP_3) | instid1(VALU_DEP_1)
	v_fma_f64 v[73:74], v[69:70], v[73:74], s[28:29]
	s_mov_b32 s28, 0x16291751
	s_mov_b32 s29, 0x3fcc71c0
	s_wait_alu 0xfffe
	v_fma_f64 v[73:74], v[69:70], v[73:74], s[28:29]
	s_mov_b32 s28, 0x9b27acf1
	s_mov_b32 s29, 0x3fd24924
	s_wait_alu 0xfffe
	s_delay_alu instid0(VALU_DEP_1) | instskip(SKIP_3) | instid1(VALU_DEP_1)
	v_fma_f64 v[73:74], v[69:70], v[73:74], s[28:29]
	s_mov_b32 s28, 0x998ef7b6
	s_mov_b32 s29, 0x3fd99999
	s_wait_alu 0xfffe
	v_fma_f64 v[73:74], v[69:70], v[73:74], s[28:29]
	s_delay_alu instid0(VALU_DEP_1)
	v_fma_f64 v[69:70], v[69:70], v[73:74], s[16:17]
	v_ldexp_f64 v[73:74], v[67:68], 1
	v_add_f64_e64 v[67:68], v[67:68], -v[71:72]
	v_cmp_neq_f64_e64 s16, 0x7ff00000, v[33:34]
	v_cmp_ngt_f64_e64 s17, -1.0, v[33:34]
	v_mul_f64_e32 v[69:70], v[75:76], v[69:70]
	v_cvt_f64_i32_e32 v[75:76], v105
	v_add_f64_e64 v[35:36], v[35:36], -v[67:68]
	s_and_b32 s2, s2, s16
	s_delay_alu instid0(VALU_DEP_3) | instskip(NEXT) | instid1(VALU_DEP_3)
	v_add_f64_e32 v[71:72], v[73:74], v[69:70]
	v_mul_f64_e32 v[77:78], s[18:19], v[75:76]
	s_delay_alu instid0(VALU_DEP_3) | instskip(NEXT) | instid1(VALU_DEP_3)
	v_ldexp_f64 v[35:36], v[35:36], 1
	v_add_f64_e64 v[67:68], v[71:72], -v[73:74]
	s_delay_alu instid0(VALU_DEP_3) | instskip(NEXT) | instid1(VALU_DEP_2)
	v_fma_f64 v[73:74], v[75:76], s[18:19], -v[77:78]
	v_add_f64_e64 v[67:68], v[69:70], -v[67:68]
	s_delay_alu instid0(VALU_DEP_2) | instskip(NEXT) | instid1(VALU_DEP_2)
	v_fma_f64 v[69:70], v[75:76], s[20:21], v[73:74]
	v_add_f64_e32 v[35:36], v[35:36], v[67:68]
	s_delay_alu instid0(VALU_DEP_2) | instskip(NEXT) | instid1(VALU_DEP_2)
	v_add_f64_e32 v[67:68], v[77:78], v[69:70]
	v_add_f64_e32 v[73:74], v[71:72], v[35:36]
	s_delay_alu instid0(VALU_DEP_2) | instskip(NEXT) | instid1(VALU_DEP_2)
	v_add_f64_e64 v[77:78], v[67:68], -v[77:78]
	v_add_f64_e32 v[75:76], v[67:68], v[73:74]
	v_add_f64_e64 v[71:72], v[73:74], -v[71:72]
	s_delay_alu instid0(VALU_DEP_3) | instskip(NEXT) | instid1(VALU_DEP_3)
	v_add_f64_e64 v[69:70], v[69:70], -v[77:78]
	v_add_f64_e64 v[79:80], v[75:76], -v[67:68]
	s_delay_alu instid0(VALU_DEP_3) | instskip(NEXT) | instid1(VALU_DEP_2)
	v_add_f64_e64 v[35:36], v[35:36], -v[71:72]
	v_add_f64_e64 v[81:82], v[75:76], -v[79:80]
	;; [unrolled: 1-line block ×3, first 2 shown]
	s_delay_alu instid0(VALU_DEP_3) | instskip(NEXT) | instid1(VALU_DEP_3)
	v_add_f64_e32 v[73:74], v[69:70], v[35:36]
	v_add_f64_e64 v[67:68], v[67:68], -v[81:82]
	s_delay_alu instid0(VALU_DEP_1) | instskip(NEXT) | instid1(VALU_DEP_3)
	v_add_f64_e32 v[67:68], v[71:72], v[67:68]
	v_add_f64_e64 v[71:72], v[73:74], -v[69:70]
	s_delay_alu instid0(VALU_DEP_2) | instskip(NEXT) | instid1(VALU_DEP_2)
	v_add_f64_e32 v[67:68], v[73:74], v[67:68]
	v_add_f64_e64 v[73:74], v[73:74], -v[71:72]
	v_add_f64_e64 v[35:36], v[35:36], -v[71:72]
	s_delay_alu instid0(VALU_DEP_3) | instskip(NEXT) | instid1(VALU_DEP_3)
	v_add_f64_e32 v[77:78], v[75:76], v[67:68]
	v_add_f64_e64 v[69:70], v[69:70], -v[73:74]
	s_delay_alu instid0(VALU_DEP_2) | instskip(NEXT) | instid1(VALU_DEP_2)
	v_add_f64_e64 v[71:72], v[77:78], -v[75:76]
	v_add_f64_e32 v[35:36], v[35:36], v[69:70]
	s_delay_alu instid0(VALU_DEP_2) | instskip(NEXT) | instid1(VALU_DEP_1)
	v_add_f64_e64 v[67:68], v[67:68], -v[71:72]
	v_add_f64_e32 v[35:36], v[35:36], v[67:68]
	s_delay_alu instid0(VALU_DEP_1) | instskip(SKIP_1) | instid1(VALU_DEP_1)
	v_add_f64_e32 v[35:36], v[77:78], v[35:36]
	s_wait_alu 0xfffe
	v_cndmask_b32_e64 v35, 0, v35, s2
	v_cmp_neq_f64_e64 s2, -1.0, v[33:34]
	s_delay_alu instid0(VALU_DEP_3) | instskip(NEXT) | instid1(VALU_DEP_1)
	v_cndmask_b32_e64 v36, 0x7ff00000, v36, s16
	v_cndmask_b32_e64 v36, 0x7ff80000, v36, s17
	s_wait_alu 0xf1ff
	s_delay_alu instid0(VALU_DEP_1) | instskip(NEXT) | instid1(VALU_DEP_1)
	v_cndmask_b32_e64 v36, 0xfff00000, v36, s2
	v_add_f64_e32 v[69:70], v[1:2], v[35:36]
.LBB71_273:
	s_wait_alu 0xfffe
	s_or_b32 exec_lo, exec_lo, s25
	s_delay_alu instid0(VALU_DEP_1) | instskip(SKIP_1) | instid1(VALU_DEP_1)
	v_max_num_f64_e32 v[1:2], v[69:70], v[69:70]
	;;#ASMSTART
	;;#ASMEND
	v_min_num_f64_e32 v[35:36], v[1:2], v[65:66]
	v_max_num_f64_e32 v[67:68], v[1:2], v[65:66]
	v_dual_mov_b32 v1, v69 :: v_dual_mov_b32 v2, v70
.LBB71_274:
	s_wait_alu 0xfffe
	s_or_b32 exec_lo, exec_lo, s24
	s_delay_alu instid0(VALU_DEP_1) | instskip(SKIP_1) | instid1(VALU_DEP_1)
	v_cmp_u_f64_e64 s2, v[1:2], v[1:2]
	s_wait_alu 0xf1ff
	v_cndmask_b32_e64 v33, v35, v1, s2
	v_cndmask_b32_e64 v34, v36, v2, s2
	v_cndmask_b32_e64 v65, v68, v2, s2
	v_cndmask_b32_e64 v66, v67, v1, s2
	s_delay_alu instid0(VALU_DEP_3) | instskip(NEXT) | instid1(VALU_DEP_2)
	v_dual_cndmask_b32 v35, v33, v3 :: v_dual_cndmask_b32 v36, v34, v4
	v_dual_cndmask_b32 v34, v65, v4 :: v_dual_cndmask_b32 v33, v66, v3
	v_dual_mov_b32 v4, v2 :: v_dual_mov_b32 v3, v1
	s_delay_alu instid0(VALU_DEP_3) | instskip(NEXT) | instid1(VALU_DEP_3)
	v_cmp_class_f64_e64 s2, v[35:36], 0x1f8
	v_cmp_neq_f64_e32 vcc_lo, v[35:36], v[33:34]
	s_or_b32 s2, vcc_lo, s2
	s_wait_alu 0xfffe
	s_and_saveexec_b32 s24, s2
	s_cbranch_execz .LBB71_276
; %bb.275:
	v_add_f64_e64 v[3:4], v[35:36], -v[33:34]
	s_mov_b32 s16, 0x652b82fe
	s_mov_b32 s17, 0x3ff71547
	;; [unrolled: 1-line block ×10, first 2 shown]
	s_wait_alu 0xfffe
	s_delay_alu instid0(VALU_DEP_1) | instskip(SKIP_4) | instid1(VALU_DEP_3)
	v_mul_f64_e32 v[35:36], s[16:17], v[3:4]
	s_mov_b32 s17, 0xbfe62e42
	s_mov_b32 s16, 0xfefa39ef
	v_cmp_nlt_f64_e32 vcc_lo, 0x40900000, v[3:4]
	v_cmp_ngt_f64_e64 s2, 0xc090cc00, v[3:4]
	v_rndne_f64_e32 v[35:36], v[35:36]
	s_wait_alu 0xfffe
	s_delay_alu instid0(VALU_DEP_1) | instskip(SKIP_3) | instid1(VALU_DEP_2)
	v_fma_f64 v[65:66], v[35:36], s[16:17], v[3:4]
	s_wait_dscnt 0x1
	v_cvt_i32_f64_e32 v69, v[35:36]
	s_mov_b32 s17, 0x3fe62e42
	v_fma_f64 v[65:66], v[35:36], s[18:19], v[65:66]
	s_mov_b32 s19, 0x3c7abc9e
	s_delay_alu instid0(VALU_DEP_1)
	v_fma_f64 v[67:68], v[65:66], s[28:29], s[20:21]
	s_mov_b32 s20, 0x623fde64
	s_mov_b32 s21, 0x3ec71dee
	s_mov_b32 s28, 0x6b47b09a
	s_mov_b32 s29, 0x3fc38538
	s_wait_alu 0xfffe
	s_delay_alu instid0(VALU_DEP_1) | instskip(SKIP_3) | instid1(VALU_DEP_1)
	v_fma_f64 v[67:68], v[65:66], v[67:68], s[20:21]
	s_mov_b32 s20, 0x7c89e6b0
	s_mov_b32 s21, 0x3efa0199
	s_wait_alu 0xfffe
	v_fma_f64 v[67:68], v[65:66], v[67:68], s[20:21]
	s_mov_b32 s20, 0x14761f6e
	s_mov_b32 s21, 0x3f2a01a0
	s_wait_alu 0xfffe
	s_delay_alu instid0(VALU_DEP_1) | instskip(SKIP_3) | instid1(VALU_DEP_1)
	v_fma_f64 v[67:68], v[65:66], v[67:68], s[20:21]
	s_mov_b32 s20, 0x1852b7b0
	s_mov_b32 s21, 0x3f56c16c
	s_wait_alu 0xfffe
	v_fma_f64 v[67:68], v[65:66], v[67:68], s[20:21]
	s_mov_b32 s20, 0x11122322
	s_mov_b32 s21, 0x3f811111
	;; [unrolled: 9-line block ×4, first 2 shown]
	s_delay_alu instid0(VALU_DEP_1) | instskip(NEXT) | instid1(VALU_DEP_1)
	v_fma_f64 v[67:68], v[65:66], v[67:68], 1.0
	v_fma_f64 v[35:36], v[65:66], v[67:68], 1.0
	s_delay_alu instid0(VALU_DEP_1) | instskip(SKIP_1) | instid1(VALU_DEP_1)
	v_ldexp_f64 v[35:36], v[35:36], v69
	s_wait_alu 0xfffd
	v_cndmask_b32_e32 v36, 0x7ff00000, v36, vcc_lo
	s_and_b32 vcc_lo, s2, vcc_lo
	s_wait_alu 0xfffe
	s_delay_alu instid0(VALU_DEP_2) | instskip(NEXT) | instid1(VALU_DEP_2)
	v_cndmask_b32_e32 v3, 0, v35, vcc_lo
	v_cndmask_b32_e64 v4, 0, v36, s2
	s_delay_alu instid0(VALU_DEP_1) | instskip(SKIP_1) | instid1(VALU_DEP_2)
	v_add_f64_e32 v[35:36], 1.0, v[3:4]
	v_cmp_neq_f64_e64 s2, 0x7ff00000, v[3:4]
	v_frexp_mant_f64_e32 v[65:66], v[35:36]
	v_frexp_exp_i32_f64_e32 v69, v[35:36]
	v_add_f64_e32 v[67:68], -1.0, v[35:36]
	s_delay_alu instid0(VALU_DEP_3) | instskip(SKIP_1) | instid1(VALU_DEP_2)
	v_cmp_gt_f64_e32 vcc_lo, s[20:21], v[65:66]
	s_mov_b32 s20, 0x55555780
	v_add_f64_e64 v[65:66], v[67:68], -v[35:36]
	v_add_f64_e64 v[67:68], v[3:4], -v[67:68]
	s_wait_alu 0xfffd
	v_subrev_co_ci_u32_e64 v103, null, 0, v69, vcc_lo
	s_delay_alu instid0(VALU_DEP_3) | instskip(SKIP_1) | instid1(VALU_DEP_3)
	v_add_f64_e32 v[65:66], 1.0, v[65:66]
	v_cmp_nge_f64_e32 vcc_lo, -1.0, v[3:4]
	v_sub_nc_u32_e32 v71, 0, v103
	s_delay_alu instid0(VALU_DEP_1) | instskip(NEXT) | instid1(VALU_DEP_4)
	v_ldexp_f64 v[35:36], v[35:36], v71
	v_add_f64_e32 v[65:66], v[67:68], v[65:66]
	s_and_b32 vcc_lo, vcc_lo, s2
	s_wait_dscnt 0x0
	s_delay_alu instid0(VALU_DEP_2) | instskip(SKIP_1) | instid1(VALU_DEP_3)
	v_add_f64_e32 v[69:70], 1.0, v[35:36]
	v_add_f64_e32 v[75:76], -1.0, v[35:36]
	v_ldexp_f64 v[65:66], v[65:66], v71
	s_delay_alu instid0(VALU_DEP_3) | instskip(NEXT) | instid1(VALU_DEP_3)
	v_add_f64_e32 v[67:68], -1.0, v[69:70]
	v_add_f64_e32 v[77:78], 1.0, v[75:76]
	s_delay_alu instid0(VALU_DEP_2) | instskip(NEXT) | instid1(VALU_DEP_2)
	v_add_f64_e64 v[67:68], v[35:36], -v[67:68]
	v_add_f64_e64 v[35:36], v[35:36], -v[77:78]
	s_delay_alu instid0(VALU_DEP_2) | instskip(NEXT) | instid1(VALU_DEP_2)
	v_add_f64_e32 v[67:68], v[65:66], v[67:68]
	v_add_f64_e32 v[35:36], v[65:66], v[35:36]
	s_delay_alu instid0(VALU_DEP_2) | instskip(NEXT) | instid1(VALU_DEP_2)
	v_add_f64_e32 v[71:72], v[69:70], v[67:68]
	v_add_f64_e32 v[77:78], v[75:76], v[35:36]
	s_delay_alu instid0(VALU_DEP_2) | instskip(SKIP_1) | instid1(VALU_DEP_2)
	v_rcp_f64_e32 v[73:74], v[71:72]
	v_add_f64_e64 v[69:70], v[71:72], -v[69:70]
	v_add_f64_e64 v[75:76], v[77:78], -v[75:76]
	s_delay_alu instid0(VALU_DEP_2) | instskip(NEXT) | instid1(TRANS32_DEP_1)
	v_add_f64_e64 v[67:68], v[67:68], -v[69:70]
	v_fma_f64 v[79:80], -v[71:72], v[73:74], 1.0
	s_delay_alu instid0(VALU_DEP_3) | instskip(NEXT) | instid1(VALU_DEP_2)
	v_add_f64_e64 v[35:36], v[35:36], -v[75:76]
	v_fma_f64 v[73:74], v[79:80], v[73:74], v[73:74]
	s_delay_alu instid0(VALU_DEP_1) | instskip(NEXT) | instid1(VALU_DEP_1)
	v_fma_f64 v[65:66], -v[71:72], v[73:74], 1.0
	v_fma_f64 v[65:66], v[65:66], v[73:74], v[73:74]
	s_delay_alu instid0(VALU_DEP_1) | instskip(NEXT) | instid1(VALU_DEP_1)
	v_mul_f64_e32 v[73:74], v[77:78], v[65:66]
	v_mul_f64_e32 v[79:80], v[71:72], v[73:74]
	s_delay_alu instid0(VALU_DEP_1) | instskip(NEXT) | instid1(VALU_DEP_1)
	v_fma_f64 v[69:70], v[73:74], v[71:72], -v[79:80]
	v_fma_f64 v[69:70], v[73:74], v[67:68], v[69:70]
	s_delay_alu instid0(VALU_DEP_1) | instskip(NEXT) | instid1(VALU_DEP_1)
	v_add_f64_e32 v[81:82], v[79:80], v[69:70]
	v_add_f64_e64 v[101:102], v[77:78], -v[81:82]
	v_add_f64_e64 v[75:76], v[81:82], -v[79:80]
	s_delay_alu instid0(VALU_DEP_2) | instskip(NEXT) | instid1(VALU_DEP_2)
	v_add_f64_e64 v[77:78], v[77:78], -v[101:102]
	v_add_f64_e64 v[69:70], v[75:76], -v[69:70]
	s_delay_alu instid0(VALU_DEP_2) | instskip(NEXT) | instid1(VALU_DEP_1)
	v_add_f64_e64 v[77:78], v[77:78], -v[81:82]
	v_add_f64_e32 v[35:36], v[35:36], v[77:78]
	s_delay_alu instid0(VALU_DEP_1) | instskip(NEXT) | instid1(VALU_DEP_1)
	v_add_f64_e32 v[35:36], v[69:70], v[35:36]
	v_add_f64_e32 v[69:70], v[101:102], v[35:36]
	s_delay_alu instid0(VALU_DEP_1) | instskip(SKIP_1) | instid1(VALU_DEP_2)
	v_mul_f64_e32 v[75:76], v[65:66], v[69:70]
	v_add_f64_e64 v[81:82], v[101:102], -v[69:70]
	v_mul_f64_e32 v[77:78], v[71:72], v[75:76]
	s_delay_alu instid0(VALU_DEP_2) | instskip(NEXT) | instid1(VALU_DEP_2)
	v_add_f64_e32 v[35:36], v[35:36], v[81:82]
	v_fma_f64 v[71:72], v[75:76], v[71:72], -v[77:78]
	s_delay_alu instid0(VALU_DEP_1) | instskip(NEXT) | instid1(VALU_DEP_1)
	v_fma_f64 v[67:68], v[75:76], v[67:68], v[71:72]
	v_add_f64_e32 v[71:72], v[77:78], v[67:68]
	s_delay_alu instid0(VALU_DEP_1) | instskip(SKIP_1) | instid1(VALU_DEP_2)
	v_add_f64_e64 v[79:80], v[69:70], -v[71:72]
	v_add_f64_e64 v[77:78], v[71:72], -v[77:78]
	;; [unrolled: 1-line block ×3, first 2 shown]
	s_delay_alu instid0(VALU_DEP_2) | instskip(NEXT) | instid1(VALU_DEP_2)
	v_add_f64_e64 v[67:68], v[77:78], -v[67:68]
	v_add_f64_e64 v[69:70], v[69:70], -v[71:72]
	s_delay_alu instid0(VALU_DEP_1) | instskip(SKIP_1) | instid1(VALU_DEP_2)
	v_add_f64_e32 v[35:36], v[35:36], v[69:70]
	v_add_f64_e32 v[69:70], v[73:74], v[75:76]
	;; [unrolled: 1-line block ×3, first 2 shown]
	s_delay_alu instid0(VALU_DEP_2) | instskip(NEXT) | instid1(VALU_DEP_2)
	v_add_f64_e64 v[67:68], v[69:70], -v[73:74]
	v_add_f64_e32 v[35:36], v[79:80], v[35:36]
	s_delay_alu instid0(VALU_DEP_2) | instskip(NEXT) | instid1(VALU_DEP_2)
	v_add_f64_e64 v[67:68], v[75:76], -v[67:68]
	v_mul_f64_e32 v[35:36], v[65:66], v[35:36]
	s_delay_alu instid0(VALU_DEP_1) | instskip(NEXT) | instid1(VALU_DEP_1)
	v_add_f64_e32 v[35:36], v[67:68], v[35:36]
	v_add_f64_e32 v[65:66], v[69:70], v[35:36]
	s_delay_alu instid0(VALU_DEP_1) | instskip(NEXT) | instid1(VALU_DEP_1)
	v_mul_f64_e32 v[67:68], v[65:66], v[65:66]
	v_fma_f64 v[71:72], v[67:68], s[42:43], s[28:29]
	s_mov_b32 s28, 0xd7f4df2e
	s_mov_b32 s29, 0x3fc7474d
	v_mul_f64_e32 v[73:74], v[65:66], v[67:68]
	s_wait_alu 0xfffe
	s_delay_alu instid0(VALU_DEP_2) | instskip(SKIP_3) | instid1(VALU_DEP_1)
	v_fma_f64 v[71:72], v[67:68], v[71:72], s[28:29]
	s_mov_b32 s28, 0x16291751
	s_mov_b32 s29, 0x3fcc71c0
	s_wait_alu 0xfffe
	v_fma_f64 v[71:72], v[67:68], v[71:72], s[28:29]
	s_mov_b32 s28, 0x9b27acf1
	s_mov_b32 s29, 0x3fd24924
	s_wait_alu 0xfffe
	s_delay_alu instid0(VALU_DEP_1) | instskip(SKIP_3) | instid1(VALU_DEP_1)
	v_fma_f64 v[71:72], v[67:68], v[71:72], s[28:29]
	s_mov_b32 s28, 0x998ef7b6
	s_mov_b32 s29, 0x3fd99999
	s_wait_alu 0xfffe
	v_fma_f64 v[71:72], v[67:68], v[71:72], s[28:29]
	s_delay_alu instid0(VALU_DEP_1) | instskip(SKIP_2) | instid1(VALU_DEP_3)
	v_fma_f64 v[67:68], v[67:68], v[71:72], s[20:21]
	v_ldexp_f64 v[71:72], v[65:66], 1
	v_add_f64_e64 v[65:66], v[65:66], -v[69:70]
	v_mul_f64_e32 v[67:68], v[73:74], v[67:68]
	v_cvt_f64_i32_e32 v[73:74], v103
	s_delay_alu instid0(VALU_DEP_3) | instskip(NEXT) | instid1(VALU_DEP_3)
	v_add_f64_e64 v[35:36], v[35:36], -v[65:66]
	v_add_f64_e32 v[69:70], v[71:72], v[67:68]
	s_delay_alu instid0(VALU_DEP_3) | instskip(NEXT) | instid1(VALU_DEP_3)
	v_mul_f64_e32 v[75:76], s[16:17], v[73:74]
	v_ldexp_f64 v[35:36], v[35:36], 1
	s_delay_alu instid0(VALU_DEP_3) | instskip(NEXT) | instid1(VALU_DEP_3)
	v_add_f64_e64 v[65:66], v[69:70], -v[71:72]
	v_fma_f64 v[71:72], v[73:74], s[16:17], -v[75:76]
	v_cmp_ngt_f64_e64 s16, -1.0, v[3:4]
	s_delay_alu instid0(VALU_DEP_3) | instskip(NEXT) | instid1(VALU_DEP_3)
	v_add_f64_e64 v[65:66], v[67:68], -v[65:66]
	v_fma_f64 v[67:68], v[73:74], s[18:19], v[71:72]
	s_delay_alu instid0(VALU_DEP_2) | instskip(NEXT) | instid1(VALU_DEP_2)
	v_add_f64_e32 v[35:36], v[35:36], v[65:66]
	v_add_f64_e32 v[65:66], v[75:76], v[67:68]
	s_delay_alu instid0(VALU_DEP_2) | instskip(NEXT) | instid1(VALU_DEP_2)
	v_add_f64_e32 v[71:72], v[69:70], v[35:36]
	v_add_f64_e64 v[75:76], v[65:66], -v[75:76]
	s_delay_alu instid0(VALU_DEP_2) | instskip(SKIP_1) | instid1(VALU_DEP_3)
	v_add_f64_e32 v[73:74], v[65:66], v[71:72]
	v_add_f64_e64 v[69:70], v[71:72], -v[69:70]
	v_add_f64_e64 v[67:68], v[67:68], -v[75:76]
	s_delay_alu instid0(VALU_DEP_3) | instskip(NEXT) | instid1(VALU_DEP_3)
	v_add_f64_e64 v[77:78], v[73:74], -v[65:66]
	v_add_f64_e64 v[35:36], v[35:36], -v[69:70]
	s_delay_alu instid0(VALU_DEP_2) | instskip(SKIP_1) | instid1(VALU_DEP_3)
	v_add_f64_e64 v[79:80], v[73:74], -v[77:78]
	v_add_f64_e64 v[69:70], v[71:72], -v[77:78]
	v_add_f64_e32 v[71:72], v[67:68], v[35:36]
	s_delay_alu instid0(VALU_DEP_3) | instskip(NEXT) | instid1(VALU_DEP_1)
	v_add_f64_e64 v[65:66], v[65:66], -v[79:80]
	v_add_f64_e32 v[65:66], v[69:70], v[65:66]
	s_delay_alu instid0(VALU_DEP_3) | instskip(NEXT) | instid1(VALU_DEP_2)
	v_add_f64_e64 v[69:70], v[71:72], -v[67:68]
	v_add_f64_e32 v[65:66], v[71:72], v[65:66]
	s_delay_alu instid0(VALU_DEP_2) | instskip(SKIP_1) | instid1(VALU_DEP_3)
	v_add_f64_e64 v[71:72], v[71:72], -v[69:70]
	v_add_f64_e64 v[35:36], v[35:36], -v[69:70]
	v_add_f64_e32 v[75:76], v[73:74], v[65:66]
	s_delay_alu instid0(VALU_DEP_3) | instskip(NEXT) | instid1(VALU_DEP_2)
	v_add_f64_e64 v[67:68], v[67:68], -v[71:72]
	v_add_f64_e64 v[69:70], v[75:76], -v[73:74]
	s_delay_alu instid0(VALU_DEP_2) | instskip(NEXT) | instid1(VALU_DEP_2)
	v_add_f64_e32 v[35:36], v[35:36], v[67:68]
	v_add_f64_e64 v[65:66], v[65:66], -v[69:70]
	s_delay_alu instid0(VALU_DEP_1) | instskip(NEXT) | instid1(VALU_DEP_1)
	v_add_f64_e32 v[35:36], v[35:36], v[65:66]
	v_add_f64_e32 v[35:36], v[75:76], v[35:36]
	s_delay_alu instid0(VALU_DEP_1) | instskip(SKIP_1) | instid1(VALU_DEP_3)
	v_cndmask_b32_e32 v35, 0, v35, vcc_lo
	v_cmp_neq_f64_e32 vcc_lo, -1.0, v[3:4]
	v_cndmask_b32_e64 v36, 0x7ff00000, v36, s2
	s_wait_alu 0xf1ff
	s_delay_alu instid0(VALU_DEP_1) | instskip(SKIP_1) | instid1(VALU_DEP_1)
	v_cndmask_b32_e64 v36, 0x7ff80000, v36, s16
	s_wait_alu 0xfffd
	v_cndmask_b32_e32 v36, 0xfff00000, v36, vcc_lo
	s_delay_alu instid0(VALU_DEP_1)
	v_add_f64_e32 v[3:4], v[33:34], v[35:36]
.LBB71_276:
	s_wait_alu 0xfffe
	s_or_b32 exec_lo, exec_lo, s24
	s_delay_alu instid0(VALU_DEP_1) | instskip(SKIP_1) | instid1(VALU_DEP_2)
	v_max_num_f64_e32 v[33:34], v[3:4], v[3:4]
	v_cmp_u_f64_e32 vcc_lo, v[3:4], v[3:4]
	v_min_num_f64_e32 v[35:36], v[33:34], v[5:6]
	v_max_num_f64_e32 v[5:6], v[33:34], v[5:6]
	s_wait_alu 0xfffd
	s_delay_alu instid0(VALU_DEP_2) | instskip(NEXT) | instid1(VALU_DEP_2)
	v_dual_cndmask_b32 v33, v35, v3 :: v_dual_cndmask_b32 v34, v36, v4
	v_dual_cndmask_b32 v6, v6, v4 :: v_dual_cndmask_b32 v5, v5, v3
	s_delay_alu instid0(VALU_DEP_2) | instskip(NEXT) | instid1(VALU_DEP_3)
	v_cndmask_b32_e64 v35, v33, v61, s1
	v_cndmask_b32_e64 v36, v34, v62, s1
	s_delay_alu instid0(VALU_DEP_3) | instskip(NEXT) | instid1(VALU_DEP_4)
	v_cndmask_b32_e64 v34, v6, v62, s1
	v_cndmask_b32_e64 v33, v5, v61, s1
	v_dual_mov_b32 v6, v4 :: v_dual_mov_b32 v5, v3
	s_delay_alu instid0(VALU_DEP_4) | instskip(NEXT) | instid1(VALU_DEP_3)
	v_cmp_class_f64_e64 s1, v[35:36], 0x1f8
	v_cmp_neq_f64_e32 vcc_lo, v[35:36], v[33:34]
	s_or_b32 s1, vcc_lo, s1
	s_wait_alu 0xfffe
	s_and_saveexec_b32 s24, s1
	s_cbranch_execz .LBB71_278
; %bb.277:
	v_add_f64_e64 v[5:6], v[35:36], -v[33:34]
	s_mov_b32 s16, 0x652b82fe
	s_mov_b32 s17, 0x3ff71547
	;; [unrolled: 1-line block ×10, first 2 shown]
	s_wait_alu 0xfffe
	s_delay_alu instid0(VALU_DEP_1) | instskip(SKIP_4) | instid1(VALU_DEP_3)
	v_mul_f64_e32 v[35:36], s[16:17], v[5:6]
	s_mov_b32 s17, 0xbfe62e42
	s_mov_b32 s16, 0xfefa39ef
	v_cmp_nlt_f64_e32 vcc_lo, 0x40900000, v[5:6]
	v_cmp_ngt_f64_e64 s1, 0xc090cc00, v[5:6]
	v_rndne_f64_e32 v[35:36], v[35:36]
	s_wait_alu 0xfffe
	s_delay_alu instid0(VALU_DEP_1) | instskip(SKIP_2) | instid1(VALU_DEP_2)
	v_fma_f64 v[61:62], v[35:36], s[16:17], v[5:6]
	v_cvt_i32_f64_e32 v67, v[35:36]
	s_mov_b32 s17, 0x3fe62e42
	v_fma_f64 v[61:62], v[35:36], s[18:19], v[61:62]
	s_mov_b32 s19, 0x3c7abc9e
	s_delay_alu instid0(VALU_DEP_1)
	v_fma_f64 v[65:66], v[61:62], s[28:29], s[20:21]
	s_mov_b32 s20, 0x623fde64
	s_mov_b32 s21, 0x3ec71dee
	;; [unrolled: 1-line block ×4, first 2 shown]
	s_wait_alu 0xfffe
	s_delay_alu instid0(VALU_DEP_1) | instskip(SKIP_3) | instid1(VALU_DEP_1)
	v_fma_f64 v[65:66], v[61:62], v[65:66], s[20:21]
	s_mov_b32 s20, 0x7c89e6b0
	s_mov_b32 s21, 0x3efa0199
	s_wait_alu 0xfffe
	v_fma_f64 v[65:66], v[61:62], v[65:66], s[20:21]
	s_mov_b32 s20, 0x14761f6e
	s_mov_b32 s21, 0x3f2a01a0
	s_wait_alu 0xfffe
	s_delay_alu instid0(VALU_DEP_1) | instskip(SKIP_3) | instid1(VALU_DEP_1)
	v_fma_f64 v[65:66], v[61:62], v[65:66], s[20:21]
	s_mov_b32 s20, 0x1852b7b0
	s_mov_b32 s21, 0x3f56c16c
	s_wait_alu 0xfffe
	v_fma_f64 v[65:66], v[61:62], v[65:66], s[20:21]
	s_mov_b32 s20, 0x11122322
	s_mov_b32 s21, 0x3f811111
	;; [unrolled: 9-line block ×4, first 2 shown]
	s_delay_alu instid0(VALU_DEP_1) | instskip(NEXT) | instid1(VALU_DEP_1)
	v_fma_f64 v[65:66], v[61:62], v[65:66], 1.0
	v_fma_f64 v[35:36], v[61:62], v[65:66], 1.0
	s_delay_alu instid0(VALU_DEP_1) | instskip(SKIP_1) | instid1(VALU_DEP_1)
	v_ldexp_f64 v[35:36], v[35:36], v67
	s_wait_alu 0xfffd
	v_cndmask_b32_e32 v36, 0x7ff00000, v36, vcc_lo
	s_and_b32 vcc_lo, s1, vcc_lo
	s_wait_alu 0xfffe
	s_delay_alu instid0(VALU_DEP_2) | instskip(NEXT) | instid1(VALU_DEP_2)
	v_cndmask_b32_e32 v5, 0, v35, vcc_lo
	v_cndmask_b32_e64 v6, 0, v36, s1
	s_delay_alu instid0(VALU_DEP_1) | instskip(SKIP_2) | instid1(VALU_DEP_3)
	v_add_f64_e32 v[35:36], 1.0, v[5:6]
	v_cmp_neq_f64_e64 s1, 0x7ff00000, v[5:6]
	v_cmp_ngt_f64_e64 s2, -1.0, v[5:6]
	v_frexp_mant_f64_e32 v[61:62], v[35:36]
	v_frexp_exp_i32_f64_e32 v67, v[35:36]
	v_add_f64_e32 v[65:66], -1.0, v[35:36]
	s_delay_alu instid0(VALU_DEP_3) | instskip(SKIP_1) | instid1(VALU_DEP_2)
	v_cmp_gt_f64_e32 vcc_lo, s[20:21], v[61:62]
	s_mov_b32 s20, 0x55555780
	v_add_f64_e64 v[61:62], v[65:66], -v[35:36]
	v_add_f64_e64 v[65:66], v[5:6], -v[65:66]
	s_wait_alu 0xfffd
	v_subrev_co_ci_u32_e64 v101, null, 0, v67, vcc_lo
	s_delay_alu instid0(VALU_DEP_3) | instskip(SKIP_2) | instid1(VALU_DEP_3)
	v_add_f64_e32 v[61:62], 1.0, v[61:62]
	v_cmp_nge_f64_e32 vcc_lo, -1.0, v[5:6]
	s_wait_dscnt 0x1
	v_sub_nc_u32_e32 v69, 0, v101
	s_delay_alu instid0(VALU_DEP_1) | instskip(NEXT) | instid1(VALU_DEP_4)
	v_ldexp_f64 v[35:36], v[35:36], v69
	v_add_f64_e32 v[61:62], v[65:66], v[61:62]
	s_and_b32 vcc_lo, vcc_lo, s1
	s_delay_alu instid0(VALU_DEP_2) | instskip(SKIP_1) | instid1(VALU_DEP_3)
	v_add_f64_e32 v[67:68], 1.0, v[35:36]
	v_add_f64_e32 v[73:74], -1.0, v[35:36]
	v_ldexp_f64 v[61:62], v[61:62], v69
	s_delay_alu instid0(VALU_DEP_3) | instskip(NEXT) | instid1(VALU_DEP_3)
	v_add_f64_e32 v[65:66], -1.0, v[67:68]
	v_add_f64_e32 v[75:76], 1.0, v[73:74]
	s_delay_alu instid0(VALU_DEP_2) | instskip(NEXT) | instid1(VALU_DEP_2)
	v_add_f64_e64 v[65:66], v[35:36], -v[65:66]
	v_add_f64_e64 v[35:36], v[35:36], -v[75:76]
	s_delay_alu instid0(VALU_DEP_2) | instskip(NEXT) | instid1(VALU_DEP_2)
	v_add_f64_e32 v[65:66], v[61:62], v[65:66]
	v_add_f64_e32 v[35:36], v[61:62], v[35:36]
	s_wait_dscnt 0x0
	s_delay_alu instid0(VALU_DEP_2) | instskip(NEXT) | instid1(VALU_DEP_2)
	v_add_f64_e32 v[69:70], v[67:68], v[65:66]
	v_add_f64_e32 v[75:76], v[73:74], v[35:36]
	s_delay_alu instid0(VALU_DEP_2) | instskip(SKIP_1) | instid1(VALU_DEP_2)
	v_rcp_f64_e32 v[71:72], v[69:70]
	v_add_f64_e64 v[67:68], v[69:70], -v[67:68]
	v_add_f64_e64 v[73:74], v[75:76], -v[73:74]
	s_delay_alu instid0(VALU_DEP_2) | instskip(NEXT) | instid1(TRANS32_DEP_1)
	v_add_f64_e64 v[65:66], v[65:66], -v[67:68]
	v_fma_f64 v[77:78], -v[69:70], v[71:72], 1.0
	s_delay_alu instid0(VALU_DEP_3) | instskip(NEXT) | instid1(VALU_DEP_2)
	v_add_f64_e64 v[35:36], v[35:36], -v[73:74]
	v_fma_f64 v[71:72], v[77:78], v[71:72], v[71:72]
	s_delay_alu instid0(VALU_DEP_1) | instskip(NEXT) | instid1(VALU_DEP_1)
	v_fma_f64 v[61:62], -v[69:70], v[71:72], 1.0
	v_fma_f64 v[61:62], v[61:62], v[71:72], v[71:72]
	s_delay_alu instid0(VALU_DEP_1) | instskip(NEXT) | instid1(VALU_DEP_1)
	v_mul_f64_e32 v[71:72], v[75:76], v[61:62]
	v_mul_f64_e32 v[77:78], v[69:70], v[71:72]
	s_delay_alu instid0(VALU_DEP_1) | instskip(NEXT) | instid1(VALU_DEP_1)
	v_fma_f64 v[67:68], v[71:72], v[69:70], -v[77:78]
	v_fma_f64 v[67:68], v[71:72], v[65:66], v[67:68]
	s_delay_alu instid0(VALU_DEP_1) | instskip(NEXT) | instid1(VALU_DEP_1)
	v_add_f64_e32 v[79:80], v[77:78], v[67:68]
	v_add_f64_e64 v[81:82], v[75:76], -v[79:80]
	v_add_f64_e64 v[73:74], v[79:80], -v[77:78]
	s_delay_alu instid0(VALU_DEP_2) | instskip(NEXT) | instid1(VALU_DEP_2)
	v_add_f64_e64 v[75:76], v[75:76], -v[81:82]
	v_add_f64_e64 v[67:68], v[73:74], -v[67:68]
	s_delay_alu instid0(VALU_DEP_2) | instskip(NEXT) | instid1(VALU_DEP_1)
	v_add_f64_e64 v[75:76], v[75:76], -v[79:80]
	v_add_f64_e32 v[35:36], v[35:36], v[75:76]
	s_delay_alu instid0(VALU_DEP_1) | instskip(NEXT) | instid1(VALU_DEP_1)
	v_add_f64_e32 v[35:36], v[67:68], v[35:36]
	v_add_f64_e32 v[67:68], v[81:82], v[35:36]
	s_delay_alu instid0(VALU_DEP_1) | instskip(SKIP_1) | instid1(VALU_DEP_2)
	v_mul_f64_e32 v[73:74], v[61:62], v[67:68]
	v_add_f64_e64 v[79:80], v[81:82], -v[67:68]
	v_mul_f64_e32 v[75:76], v[69:70], v[73:74]
	s_delay_alu instid0(VALU_DEP_2) | instskip(NEXT) | instid1(VALU_DEP_2)
	v_add_f64_e32 v[35:36], v[35:36], v[79:80]
	v_fma_f64 v[69:70], v[73:74], v[69:70], -v[75:76]
	s_delay_alu instid0(VALU_DEP_1) | instskip(NEXT) | instid1(VALU_DEP_1)
	v_fma_f64 v[65:66], v[73:74], v[65:66], v[69:70]
	v_add_f64_e32 v[69:70], v[75:76], v[65:66]
	s_delay_alu instid0(VALU_DEP_1) | instskip(SKIP_1) | instid1(VALU_DEP_2)
	v_add_f64_e64 v[77:78], v[67:68], -v[69:70]
	v_add_f64_e64 v[75:76], v[69:70], -v[75:76]
	;; [unrolled: 1-line block ×3, first 2 shown]
	s_delay_alu instid0(VALU_DEP_2) | instskip(NEXT) | instid1(VALU_DEP_2)
	v_add_f64_e64 v[65:66], v[75:76], -v[65:66]
	v_add_f64_e64 v[67:68], v[67:68], -v[69:70]
	s_delay_alu instid0(VALU_DEP_1) | instskip(SKIP_1) | instid1(VALU_DEP_2)
	v_add_f64_e32 v[35:36], v[35:36], v[67:68]
	v_add_f64_e32 v[67:68], v[71:72], v[73:74]
	;; [unrolled: 1-line block ×3, first 2 shown]
	s_delay_alu instid0(VALU_DEP_2) | instskip(NEXT) | instid1(VALU_DEP_2)
	v_add_f64_e64 v[65:66], v[67:68], -v[71:72]
	v_add_f64_e32 v[35:36], v[77:78], v[35:36]
	s_delay_alu instid0(VALU_DEP_2) | instskip(NEXT) | instid1(VALU_DEP_2)
	v_add_f64_e64 v[65:66], v[73:74], -v[65:66]
	v_mul_f64_e32 v[35:36], v[61:62], v[35:36]
	s_delay_alu instid0(VALU_DEP_1) | instskip(NEXT) | instid1(VALU_DEP_1)
	v_add_f64_e32 v[35:36], v[65:66], v[35:36]
	v_add_f64_e32 v[61:62], v[67:68], v[35:36]
	s_delay_alu instid0(VALU_DEP_1) | instskip(NEXT) | instid1(VALU_DEP_1)
	v_mul_f64_e32 v[65:66], v[61:62], v[61:62]
	v_fma_f64 v[69:70], v[65:66], s[42:43], s[28:29]
	s_mov_b32 s28, 0xd7f4df2e
	s_mov_b32 s29, 0x3fc7474d
	v_mul_f64_e32 v[71:72], v[61:62], v[65:66]
	s_wait_alu 0xfffe
	s_delay_alu instid0(VALU_DEP_2) | instskip(SKIP_3) | instid1(VALU_DEP_1)
	v_fma_f64 v[69:70], v[65:66], v[69:70], s[28:29]
	s_mov_b32 s28, 0x16291751
	s_mov_b32 s29, 0x3fcc71c0
	s_wait_alu 0xfffe
	v_fma_f64 v[69:70], v[65:66], v[69:70], s[28:29]
	s_mov_b32 s28, 0x9b27acf1
	s_mov_b32 s29, 0x3fd24924
	s_wait_alu 0xfffe
	s_delay_alu instid0(VALU_DEP_1) | instskip(SKIP_3) | instid1(VALU_DEP_1)
	v_fma_f64 v[69:70], v[65:66], v[69:70], s[28:29]
	s_mov_b32 s28, 0x998ef7b6
	s_mov_b32 s29, 0x3fd99999
	s_wait_alu 0xfffe
	v_fma_f64 v[69:70], v[65:66], v[69:70], s[28:29]
	s_delay_alu instid0(VALU_DEP_1) | instskip(SKIP_2) | instid1(VALU_DEP_3)
	v_fma_f64 v[65:66], v[65:66], v[69:70], s[20:21]
	v_ldexp_f64 v[69:70], v[61:62], 1
	v_add_f64_e64 v[61:62], v[61:62], -v[67:68]
	v_mul_f64_e32 v[65:66], v[71:72], v[65:66]
	v_cvt_f64_i32_e32 v[71:72], v101
	s_delay_alu instid0(VALU_DEP_3) | instskip(NEXT) | instid1(VALU_DEP_3)
	v_add_f64_e64 v[35:36], v[35:36], -v[61:62]
	v_add_f64_e32 v[67:68], v[69:70], v[65:66]
	s_delay_alu instid0(VALU_DEP_3) | instskip(NEXT) | instid1(VALU_DEP_3)
	v_mul_f64_e32 v[73:74], s[16:17], v[71:72]
	v_ldexp_f64 v[35:36], v[35:36], 1
	s_delay_alu instid0(VALU_DEP_3) | instskip(NEXT) | instid1(VALU_DEP_3)
	v_add_f64_e64 v[61:62], v[67:68], -v[69:70]
	v_fma_f64 v[69:70], v[71:72], s[16:17], -v[73:74]
	s_delay_alu instid0(VALU_DEP_2) | instskip(NEXT) | instid1(VALU_DEP_2)
	v_add_f64_e64 v[61:62], v[65:66], -v[61:62]
	v_fma_f64 v[65:66], v[71:72], s[18:19], v[69:70]
	s_delay_alu instid0(VALU_DEP_2) | instskip(NEXT) | instid1(VALU_DEP_2)
	v_add_f64_e32 v[35:36], v[35:36], v[61:62]
	v_add_f64_e32 v[61:62], v[73:74], v[65:66]
	s_delay_alu instid0(VALU_DEP_2) | instskip(NEXT) | instid1(VALU_DEP_2)
	v_add_f64_e32 v[69:70], v[67:68], v[35:36]
	v_add_f64_e64 v[73:74], v[61:62], -v[73:74]
	s_delay_alu instid0(VALU_DEP_2) | instskip(SKIP_1) | instid1(VALU_DEP_3)
	v_add_f64_e32 v[71:72], v[61:62], v[69:70]
	v_add_f64_e64 v[67:68], v[69:70], -v[67:68]
	v_add_f64_e64 v[65:66], v[65:66], -v[73:74]
	s_delay_alu instid0(VALU_DEP_3) | instskip(NEXT) | instid1(VALU_DEP_3)
	v_add_f64_e64 v[75:76], v[71:72], -v[61:62]
	v_add_f64_e64 v[35:36], v[35:36], -v[67:68]
	s_delay_alu instid0(VALU_DEP_2) | instskip(SKIP_1) | instid1(VALU_DEP_3)
	v_add_f64_e64 v[77:78], v[71:72], -v[75:76]
	v_add_f64_e64 v[67:68], v[69:70], -v[75:76]
	v_add_f64_e32 v[69:70], v[65:66], v[35:36]
	s_delay_alu instid0(VALU_DEP_3) | instskip(NEXT) | instid1(VALU_DEP_1)
	v_add_f64_e64 v[61:62], v[61:62], -v[77:78]
	v_add_f64_e32 v[61:62], v[67:68], v[61:62]
	s_delay_alu instid0(VALU_DEP_3) | instskip(NEXT) | instid1(VALU_DEP_2)
	v_add_f64_e64 v[67:68], v[69:70], -v[65:66]
	v_add_f64_e32 v[61:62], v[69:70], v[61:62]
	s_delay_alu instid0(VALU_DEP_2) | instskip(SKIP_1) | instid1(VALU_DEP_3)
	v_add_f64_e64 v[69:70], v[69:70], -v[67:68]
	v_add_f64_e64 v[35:36], v[35:36], -v[67:68]
	v_add_f64_e32 v[73:74], v[71:72], v[61:62]
	s_delay_alu instid0(VALU_DEP_3) | instskip(NEXT) | instid1(VALU_DEP_2)
	v_add_f64_e64 v[65:66], v[65:66], -v[69:70]
	v_add_f64_e64 v[67:68], v[73:74], -v[71:72]
	s_delay_alu instid0(VALU_DEP_2) | instskip(NEXT) | instid1(VALU_DEP_2)
	v_add_f64_e32 v[35:36], v[35:36], v[65:66]
	v_add_f64_e64 v[61:62], v[61:62], -v[67:68]
	s_delay_alu instid0(VALU_DEP_1) | instskip(NEXT) | instid1(VALU_DEP_1)
	v_add_f64_e32 v[35:36], v[35:36], v[61:62]
	v_add_f64_e32 v[35:36], v[73:74], v[35:36]
	s_delay_alu instid0(VALU_DEP_1) | instskip(SKIP_1) | instid1(VALU_DEP_3)
	v_cndmask_b32_e32 v35, 0, v35, vcc_lo
	v_cmp_neq_f64_e32 vcc_lo, -1.0, v[5:6]
	v_cndmask_b32_e64 v36, 0x7ff00000, v36, s1
	s_delay_alu instid0(VALU_DEP_1) | instskip(SKIP_1) | instid1(VALU_DEP_1)
	v_cndmask_b32_e64 v36, 0x7ff80000, v36, s2
	s_wait_alu 0xfffd
	v_cndmask_b32_e32 v36, 0xfff00000, v36, vcc_lo
	s_delay_alu instid0(VALU_DEP_1)
	v_add_f64_e32 v[5:6], v[33:34], v[35:36]
.LBB71_278:
	s_wait_alu 0xfffe
	s_or_b32 exec_lo, exec_lo, s24
	s_delay_alu instid0(VALU_DEP_1) | instskip(SKIP_1) | instid1(VALU_DEP_2)
	v_max_num_f64_e32 v[33:34], v[5:6], v[5:6]
	v_cmp_u_f64_e32 vcc_lo, v[5:6], v[5:6]
	v_min_num_f64_e32 v[35:36], v[33:34], v[7:8]
	v_max_num_f64_e32 v[7:8], v[33:34], v[7:8]
	s_wait_alu 0xfffd
	s_delay_alu instid0(VALU_DEP_2) | instskip(NEXT) | instid1(VALU_DEP_2)
	v_dual_cndmask_b32 v33, v35, v5 :: v_dual_cndmask_b32 v34, v36, v6
	v_dual_cndmask_b32 v8, v8, v6 :: v_dual_cndmask_b32 v7, v7, v5
	s_delay_alu instid0(VALU_DEP_2) | instskip(NEXT) | instid1(VALU_DEP_3)
	v_cndmask_b32_e64 v35, v33, v63, s3
	v_cndmask_b32_e64 v36, v34, v64, s3
	s_delay_alu instid0(VALU_DEP_3) | instskip(NEXT) | instid1(VALU_DEP_4)
	v_cndmask_b32_e64 v34, v8, v64, s3
	v_cndmask_b32_e64 v33, v7, v63, s3
	v_dual_mov_b32 v8, v6 :: v_dual_mov_b32 v7, v5
	s_delay_alu instid0(VALU_DEP_4) | instskip(NEXT) | instid1(VALU_DEP_3)
	v_cmp_class_f64_e64 s1, v[35:36], 0x1f8
	v_cmp_neq_f64_e32 vcc_lo, v[35:36], v[33:34]
	s_or_b32 s1, vcc_lo, s1
	s_wait_alu 0xfffe
	s_and_saveexec_b32 s20, s1
	s_cbranch_execz .LBB71_280
; %bb.279:
	v_add_f64_e64 v[7:8], v[35:36], -v[33:34]
	s_mov_b32 s2, 0x652b82fe
	s_mov_b32 s3, 0x3ff71547
	s_mov_b32 s17, 0xbc7abc9e
	s_mov_b32 s16, 0x3b39803f
	s_mov_b32 s18, 0xfca7ab0c
	s_mov_b32 s24, 0x6a5dcb37
	s_mov_b32 s19, 0x3e928af3
	s_mov_b32 s25, 0x3e5ade15
	s_mov_b32 s28, 0xbf559e2b
	s_mov_b32 s29, 0x3fc3ab76
	s_wait_alu 0xfffe
	s_delay_alu instid0(VALU_DEP_1) | instskip(SKIP_4) | instid1(VALU_DEP_3)
	v_mul_f64_e32 v[35:36], s[2:3], v[7:8]
	s_mov_b32 s3, 0xbfe62e42
	s_mov_b32 s2, 0xfefa39ef
	v_cmp_nlt_f64_e32 vcc_lo, 0x40900000, v[7:8]
	v_cmp_ngt_f64_e64 s1, 0xc090cc00, v[7:8]
	v_rndne_f64_e32 v[35:36], v[35:36]
	s_wait_alu 0xfffe
	s_delay_alu instid0(VALU_DEP_1) | instskip(SKIP_2) | instid1(VALU_DEP_2)
	v_fma_f64 v[61:62], v[35:36], s[2:3], v[7:8]
	v_cvt_i32_f64_e32 v65, v[35:36]
	s_mov_b32 s3, 0x3fe62e42
	v_fma_f64 v[61:62], v[35:36], s[16:17], v[61:62]
	s_mov_b32 s17, 0x3c7abc9e
	s_delay_alu instid0(VALU_DEP_1)
	v_fma_f64 v[63:64], v[61:62], s[24:25], s[18:19]
	s_mov_b32 s18, 0x623fde64
	s_mov_b32 s19, 0x3ec71dee
	;; [unrolled: 1-line block ×4, first 2 shown]
	s_wait_alu 0xfffe
	s_delay_alu instid0(VALU_DEP_1) | instskip(SKIP_3) | instid1(VALU_DEP_1)
	v_fma_f64 v[63:64], v[61:62], v[63:64], s[18:19]
	s_mov_b32 s18, 0x7c89e6b0
	s_mov_b32 s19, 0x3efa0199
	s_wait_alu 0xfffe
	v_fma_f64 v[63:64], v[61:62], v[63:64], s[18:19]
	s_mov_b32 s18, 0x14761f6e
	s_mov_b32 s19, 0x3f2a01a0
	s_wait_alu 0xfffe
	s_delay_alu instid0(VALU_DEP_1) | instskip(SKIP_3) | instid1(VALU_DEP_1)
	v_fma_f64 v[63:64], v[61:62], v[63:64], s[18:19]
	s_mov_b32 s18, 0x1852b7b0
	s_mov_b32 s19, 0x3f56c16c
	s_wait_alu 0xfffe
	v_fma_f64 v[63:64], v[61:62], v[63:64], s[18:19]
	s_mov_b32 s18, 0x11122322
	s_mov_b32 s19, 0x3f811111
	;; [unrolled: 9-line block ×4, first 2 shown]
	s_delay_alu instid0(VALU_DEP_1) | instskip(NEXT) | instid1(VALU_DEP_1)
	v_fma_f64 v[63:64], v[61:62], v[63:64], 1.0
	v_fma_f64 v[35:36], v[61:62], v[63:64], 1.0
	s_delay_alu instid0(VALU_DEP_1) | instskip(SKIP_1) | instid1(VALU_DEP_1)
	v_ldexp_f64 v[35:36], v[35:36], v65
	s_wait_alu 0xfffd
	v_cndmask_b32_e32 v36, 0x7ff00000, v36, vcc_lo
	s_and_b32 vcc_lo, s1, vcc_lo
	s_wait_alu 0xfffe
	s_delay_alu instid0(VALU_DEP_2) | instskip(NEXT) | instid1(VALU_DEP_2)
	v_cndmask_b32_e32 v7, 0, v35, vcc_lo
	v_cndmask_b32_e64 v8, 0, v36, s1
	s_delay_alu instid0(VALU_DEP_1) | instskip(SKIP_1) | instid1(VALU_DEP_2)
	v_add_f64_e32 v[35:36], 1.0, v[7:8]
	v_cmp_neq_f64_e64 s1, 0x7ff00000, v[7:8]
	v_frexp_mant_f64_e32 v[61:62], v[35:36]
	v_frexp_exp_i32_f64_e32 v65, v[35:36]
	v_add_f64_e32 v[63:64], -1.0, v[35:36]
	s_delay_alu instid0(VALU_DEP_3) | instskip(SKIP_1) | instid1(VALU_DEP_2)
	v_cmp_gt_f64_e32 vcc_lo, s[18:19], v[61:62]
	s_mov_b32 s18, 0x55555780
	v_add_f64_e64 v[61:62], v[63:64], -v[35:36]
	v_add_f64_e64 v[63:64], v[7:8], -v[63:64]
	s_wait_alu 0xfffd
	v_subrev_co_ci_u32_e64 v81, null, 0, v65, vcc_lo
	s_delay_alu instid0(VALU_DEP_3) | instskip(SKIP_1) | instid1(VALU_DEP_3)
	v_add_f64_e32 v[61:62], 1.0, v[61:62]
	v_cmp_nge_f64_e32 vcc_lo, -1.0, v[7:8]
	v_sub_nc_u32_e32 v67, 0, v81
	s_delay_alu instid0(VALU_DEP_1) | instskip(NEXT) | instid1(VALU_DEP_4)
	v_ldexp_f64 v[35:36], v[35:36], v67
	v_add_f64_e32 v[61:62], v[63:64], v[61:62]
	s_and_b32 vcc_lo, vcc_lo, s1
	s_delay_alu instid0(VALU_DEP_2) | instskip(SKIP_1) | instid1(VALU_DEP_3)
	v_add_f64_e32 v[65:66], 1.0, v[35:36]
	v_add_f64_e32 v[71:72], -1.0, v[35:36]
	v_ldexp_f64 v[61:62], v[61:62], v67
	s_delay_alu instid0(VALU_DEP_3) | instskip(NEXT) | instid1(VALU_DEP_3)
	v_add_f64_e32 v[63:64], -1.0, v[65:66]
	v_add_f64_e32 v[73:74], 1.0, v[71:72]
	s_delay_alu instid0(VALU_DEP_2) | instskip(NEXT) | instid1(VALU_DEP_2)
	v_add_f64_e64 v[63:64], v[35:36], -v[63:64]
	v_add_f64_e64 v[35:36], v[35:36], -v[73:74]
	s_delay_alu instid0(VALU_DEP_2) | instskip(NEXT) | instid1(VALU_DEP_2)
	v_add_f64_e32 v[63:64], v[61:62], v[63:64]
	v_add_f64_e32 v[35:36], v[61:62], v[35:36]
	s_delay_alu instid0(VALU_DEP_2) | instskip(NEXT) | instid1(VALU_DEP_2)
	v_add_f64_e32 v[67:68], v[65:66], v[63:64]
	v_add_f64_e32 v[73:74], v[71:72], v[35:36]
	s_wait_dscnt 0x0
	s_delay_alu instid0(VALU_DEP_2) | instskip(SKIP_1) | instid1(VALU_DEP_2)
	v_rcp_f64_e32 v[69:70], v[67:68]
	v_add_f64_e64 v[65:66], v[67:68], -v[65:66]
	v_add_f64_e64 v[71:72], v[73:74], -v[71:72]
	s_delay_alu instid0(VALU_DEP_2) | instskip(NEXT) | instid1(TRANS32_DEP_1)
	v_add_f64_e64 v[63:64], v[63:64], -v[65:66]
	v_fma_f64 v[75:76], -v[67:68], v[69:70], 1.0
	s_delay_alu instid0(VALU_DEP_3) | instskip(NEXT) | instid1(VALU_DEP_2)
	v_add_f64_e64 v[35:36], v[35:36], -v[71:72]
	v_fma_f64 v[69:70], v[75:76], v[69:70], v[69:70]
	s_delay_alu instid0(VALU_DEP_1) | instskip(NEXT) | instid1(VALU_DEP_1)
	v_fma_f64 v[61:62], -v[67:68], v[69:70], 1.0
	v_fma_f64 v[61:62], v[61:62], v[69:70], v[69:70]
	s_delay_alu instid0(VALU_DEP_1) | instskip(NEXT) | instid1(VALU_DEP_1)
	v_mul_f64_e32 v[69:70], v[73:74], v[61:62]
	v_mul_f64_e32 v[75:76], v[67:68], v[69:70]
	s_delay_alu instid0(VALU_DEP_1) | instskip(NEXT) | instid1(VALU_DEP_1)
	v_fma_f64 v[65:66], v[69:70], v[67:68], -v[75:76]
	v_fma_f64 v[65:66], v[69:70], v[63:64], v[65:66]
	s_delay_alu instid0(VALU_DEP_1) | instskip(NEXT) | instid1(VALU_DEP_1)
	v_add_f64_e32 v[77:78], v[75:76], v[65:66]
	v_add_f64_e64 v[79:80], v[73:74], -v[77:78]
	v_add_f64_e64 v[71:72], v[77:78], -v[75:76]
	s_delay_alu instid0(VALU_DEP_2) | instskip(NEXT) | instid1(VALU_DEP_2)
	v_add_f64_e64 v[73:74], v[73:74], -v[79:80]
	v_add_f64_e64 v[65:66], v[71:72], -v[65:66]
	s_delay_alu instid0(VALU_DEP_2) | instskip(NEXT) | instid1(VALU_DEP_1)
	v_add_f64_e64 v[73:74], v[73:74], -v[77:78]
	v_add_f64_e32 v[35:36], v[35:36], v[73:74]
	s_delay_alu instid0(VALU_DEP_1) | instskip(NEXT) | instid1(VALU_DEP_1)
	v_add_f64_e32 v[35:36], v[65:66], v[35:36]
	v_add_f64_e32 v[65:66], v[79:80], v[35:36]
	s_delay_alu instid0(VALU_DEP_1) | instskip(SKIP_1) | instid1(VALU_DEP_2)
	v_mul_f64_e32 v[71:72], v[61:62], v[65:66]
	v_add_f64_e64 v[77:78], v[79:80], -v[65:66]
	v_mul_f64_e32 v[73:74], v[67:68], v[71:72]
	s_delay_alu instid0(VALU_DEP_2) | instskip(NEXT) | instid1(VALU_DEP_2)
	v_add_f64_e32 v[35:36], v[35:36], v[77:78]
	v_fma_f64 v[67:68], v[71:72], v[67:68], -v[73:74]
	s_delay_alu instid0(VALU_DEP_1) | instskip(NEXT) | instid1(VALU_DEP_1)
	v_fma_f64 v[63:64], v[71:72], v[63:64], v[67:68]
	v_add_f64_e32 v[67:68], v[73:74], v[63:64]
	s_delay_alu instid0(VALU_DEP_1) | instskip(SKIP_1) | instid1(VALU_DEP_2)
	v_add_f64_e64 v[75:76], v[65:66], -v[67:68]
	v_add_f64_e64 v[73:74], v[67:68], -v[73:74]
	;; [unrolled: 1-line block ×3, first 2 shown]
	s_delay_alu instid0(VALU_DEP_2) | instskip(NEXT) | instid1(VALU_DEP_2)
	v_add_f64_e64 v[63:64], v[73:74], -v[63:64]
	v_add_f64_e64 v[65:66], v[65:66], -v[67:68]
	s_delay_alu instid0(VALU_DEP_1) | instskip(SKIP_1) | instid1(VALU_DEP_2)
	v_add_f64_e32 v[35:36], v[35:36], v[65:66]
	v_add_f64_e32 v[65:66], v[69:70], v[71:72]
	;; [unrolled: 1-line block ×3, first 2 shown]
	s_delay_alu instid0(VALU_DEP_2) | instskip(NEXT) | instid1(VALU_DEP_2)
	v_add_f64_e64 v[63:64], v[65:66], -v[69:70]
	v_add_f64_e32 v[35:36], v[75:76], v[35:36]
	s_delay_alu instid0(VALU_DEP_2) | instskip(NEXT) | instid1(VALU_DEP_2)
	v_add_f64_e64 v[63:64], v[71:72], -v[63:64]
	v_mul_f64_e32 v[35:36], v[61:62], v[35:36]
	s_delay_alu instid0(VALU_DEP_1) | instskip(NEXT) | instid1(VALU_DEP_1)
	v_add_f64_e32 v[35:36], v[63:64], v[35:36]
	v_add_f64_e32 v[61:62], v[65:66], v[35:36]
	s_delay_alu instid0(VALU_DEP_1) | instskip(NEXT) | instid1(VALU_DEP_1)
	v_mul_f64_e32 v[63:64], v[61:62], v[61:62]
	v_fma_f64 v[67:68], v[63:64], s[28:29], s[24:25]
	s_mov_b32 s24, 0xd7f4df2e
	s_mov_b32 s25, 0x3fc7474d
	v_mul_f64_e32 v[69:70], v[61:62], v[63:64]
	s_wait_alu 0xfffe
	s_delay_alu instid0(VALU_DEP_2) | instskip(SKIP_3) | instid1(VALU_DEP_1)
	v_fma_f64 v[67:68], v[63:64], v[67:68], s[24:25]
	s_mov_b32 s24, 0x16291751
	s_mov_b32 s25, 0x3fcc71c0
	s_wait_alu 0xfffe
	v_fma_f64 v[67:68], v[63:64], v[67:68], s[24:25]
	s_mov_b32 s24, 0x9b27acf1
	s_mov_b32 s25, 0x3fd24924
	s_wait_alu 0xfffe
	s_delay_alu instid0(VALU_DEP_1) | instskip(SKIP_3) | instid1(VALU_DEP_1)
	v_fma_f64 v[67:68], v[63:64], v[67:68], s[24:25]
	s_mov_b32 s24, 0x998ef7b6
	s_mov_b32 s25, 0x3fd99999
	s_wait_alu 0xfffe
	v_fma_f64 v[67:68], v[63:64], v[67:68], s[24:25]
	s_delay_alu instid0(VALU_DEP_1) | instskip(SKIP_2) | instid1(VALU_DEP_3)
	v_fma_f64 v[63:64], v[63:64], v[67:68], s[18:19]
	v_ldexp_f64 v[67:68], v[61:62], 1
	v_add_f64_e64 v[61:62], v[61:62], -v[65:66]
	v_mul_f64_e32 v[63:64], v[69:70], v[63:64]
	v_cvt_f64_i32_e32 v[69:70], v81
	s_delay_alu instid0(VALU_DEP_3) | instskip(NEXT) | instid1(VALU_DEP_3)
	v_add_f64_e64 v[35:36], v[35:36], -v[61:62]
	v_add_f64_e32 v[65:66], v[67:68], v[63:64]
	s_delay_alu instid0(VALU_DEP_3) | instskip(NEXT) | instid1(VALU_DEP_3)
	v_mul_f64_e32 v[71:72], s[2:3], v[69:70]
	v_ldexp_f64 v[35:36], v[35:36], 1
	s_delay_alu instid0(VALU_DEP_3) | instskip(NEXT) | instid1(VALU_DEP_3)
	v_add_f64_e64 v[61:62], v[65:66], -v[67:68]
	v_fma_f64 v[67:68], v[69:70], s[2:3], -v[71:72]
	v_cmp_ngt_f64_e64 s2, -1.0, v[7:8]
	s_delay_alu instid0(VALU_DEP_3) | instskip(NEXT) | instid1(VALU_DEP_3)
	v_add_f64_e64 v[61:62], v[63:64], -v[61:62]
	v_fma_f64 v[63:64], v[69:70], s[16:17], v[67:68]
	s_delay_alu instid0(VALU_DEP_2) | instskip(NEXT) | instid1(VALU_DEP_2)
	v_add_f64_e32 v[35:36], v[35:36], v[61:62]
	v_add_f64_e32 v[61:62], v[71:72], v[63:64]
	s_delay_alu instid0(VALU_DEP_2) | instskip(NEXT) | instid1(VALU_DEP_2)
	v_add_f64_e32 v[67:68], v[65:66], v[35:36]
	v_add_f64_e64 v[71:72], v[61:62], -v[71:72]
	s_delay_alu instid0(VALU_DEP_2) | instskip(SKIP_1) | instid1(VALU_DEP_3)
	v_add_f64_e32 v[69:70], v[61:62], v[67:68]
	v_add_f64_e64 v[65:66], v[67:68], -v[65:66]
	v_add_f64_e64 v[63:64], v[63:64], -v[71:72]
	s_delay_alu instid0(VALU_DEP_3) | instskip(NEXT) | instid1(VALU_DEP_3)
	v_add_f64_e64 v[73:74], v[69:70], -v[61:62]
	v_add_f64_e64 v[35:36], v[35:36], -v[65:66]
	s_delay_alu instid0(VALU_DEP_2) | instskip(SKIP_1) | instid1(VALU_DEP_3)
	v_add_f64_e64 v[75:76], v[69:70], -v[73:74]
	v_add_f64_e64 v[65:66], v[67:68], -v[73:74]
	v_add_f64_e32 v[67:68], v[63:64], v[35:36]
	s_delay_alu instid0(VALU_DEP_3) | instskip(NEXT) | instid1(VALU_DEP_1)
	v_add_f64_e64 v[61:62], v[61:62], -v[75:76]
	v_add_f64_e32 v[61:62], v[65:66], v[61:62]
	s_delay_alu instid0(VALU_DEP_3) | instskip(NEXT) | instid1(VALU_DEP_2)
	v_add_f64_e64 v[65:66], v[67:68], -v[63:64]
	v_add_f64_e32 v[61:62], v[67:68], v[61:62]
	s_delay_alu instid0(VALU_DEP_2) | instskip(SKIP_1) | instid1(VALU_DEP_3)
	v_add_f64_e64 v[67:68], v[67:68], -v[65:66]
	v_add_f64_e64 v[35:36], v[35:36], -v[65:66]
	v_add_f64_e32 v[71:72], v[69:70], v[61:62]
	s_delay_alu instid0(VALU_DEP_3) | instskip(NEXT) | instid1(VALU_DEP_2)
	v_add_f64_e64 v[63:64], v[63:64], -v[67:68]
	v_add_f64_e64 v[65:66], v[71:72], -v[69:70]
	s_delay_alu instid0(VALU_DEP_2) | instskip(NEXT) | instid1(VALU_DEP_2)
	v_add_f64_e32 v[35:36], v[35:36], v[63:64]
	v_add_f64_e64 v[61:62], v[61:62], -v[65:66]
	s_delay_alu instid0(VALU_DEP_1) | instskip(NEXT) | instid1(VALU_DEP_1)
	v_add_f64_e32 v[35:36], v[35:36], v[61:62]
	v_add_f64_e32 v[35:36], v[71:72], v[35:36]
	s_delay_alu instid0(VALU_DEP_1) | instskip(SKIP_1) | instid1(VALU_DEP_3)
	v_cndmask_b32_e32 v35, 0, v35, vcc_lo
	v_cmp_neq_f64_e32 vcc_lo, -1.0, v[7:8]
	v_cndmask_b32_e64 v36, 0x7ff00000, v36, s1
	s_wait_alu 0xf1ff
	s_delay_alu instid0(VALU_DEP_1) | instskip(SKIP_1) | instid1(VALU_DEP_1)
	v_cndmask_b32_e64 v36, 0x7ff80000, v36, s2
	s_wait_alu 0xfffd
	v_cndmask_b32_e32 v36, 0xfff00000, v36, vcc_lo
	s_delay_alu instid0(VALU_DEP_1)
	v_add_f64_e32 v[7:8], v[33:34], v[35:36]
.LBB71_280:
	s_wait_alu 0xfffe
	s_or_b32 exec_lo, exec_lo, s20
	s_delay_alu instid0(VALU_DEP_1) | instskip(SKIP_1) | instid1(VALU_DEP_2)
	v_max_num_f64_e32 v[33:34], v[7:8], v[7:8]
	v_cmp_u_f64_e32 vcc_lo, v[7:8], v[7:8]
	v_min_num_f64_e32 v[35:36], v[33:34], v[9:10]
	v_max_num_f64_e32 v[9:10], v[33:34], v[9:10]
	s_wait_alu 0xfffd
	s_delay_alu instid0(VALU_DEP_2) | instskip(NEXT) | instid1(VALU_DEP_2)
	v_dual_cndmask_b32 v33, v35, v7 :: v_dual_cndmask_b32 v34, v36, v8
	v_dual_cndmask_b32 v10, v10, v8 :: v_dual_cndmask_b32 v9, v9, v7
	s_delay_alu instid0(VALU_DEP_2) | instskip(NEXT) | instid1(VALU_DEP_3)
	v_cndmask_b32_e64 v35, v33, v57, s4
	v_cndmask_b32_e64 v36, v34, v58, s4
	s_delay_alu instid0(VALU_DEP_3) | instskip(NEXT) | instid1(VALU_DEP_4)
	v_cndmask_b32_e64 v34, v10, v58, s4
	v_cndmask_b32_e64 v33, v9, v57, s4
	v_dual_mov_b32 v10, v8 :: v_dual_mov_b32 v9, v7
	s_delay_alu instid0(VALU_DEP_4) | instskip(NEXT) | instid1(VALU_DEP_3)
	v_cmp_class_f64_e64 s1, v[35:36], 0x1f8
	v_cmp_neq_f64_e32 vcc_lo, v[35:36], v[33:34]
	s_or_b32 s1, vcc_lo, s1
	s_wait_alu 0xfffe
	s_and_saveexec_b32 s4, s1
	s_cbranch_execz .LBB71_282
; %bb.281:
	v_add_f64_e64 v[9:10], v[35:36], -v[33:34]
	s_mov_b32 s2, 0x652b82fe
	s_mov_b32 s3, 0x3ff71547
	s_mov_b32 s17, 0xbc7abc9e
	s_mov_b32 s16, 0x3b39803f
	s_mov_b32 s18, 0xfca7ab0c
	s_mov_b32 s20, 0x6a5dcb37
	s_mov_b32 s19, 0x3e928af3
	s_mov_b32 s21, 0x3e5ade15
	s_mov_b32 s24, 0xbf559e2b
	s_mov_b32 s25, 0x3fc3ab76
	s_wait_alu 0xfffe
	s_delay_alu instid0(VALU_DEP_1) | instskip(SKIP_4) | instid1(VALU_DEP_3)
	v_mul_f64_e32 v[35:36], s[2:3], v[9:10]
	s_mov_b32 s3, 0xbfe62e42
	s_mov_b32 s2, 0xfefa39ef
	v_cmp_nlt_f64_e32 vcc_lo, 0x40900000, v[9:10]
	v_cmp_ngt_f64_e64 s1, 0xc090cc00, v[9:10]
	v_rndne_f64_e32 v[35:36], v[35:36]
	s_wait_alu 0xfffe
	s_delay_alu instid0(VALU_DEP_1) | instskip(SKIP_2) | instid1(VALU_DEP_2)
	v_fma_f64 v[57:58], v[35:36], s[2:3], v[9:10]
	v_cvt_i32_f64_e32 v63, v[35:36]
	s_mov_b32 s3, 0x3fe62e42
	v_fma_f64 v[57:58], v[35:36], s[16:17], v[57:58]
	s_mov_b32 s17, 0x3c7abc9e
	s_delay_alu instid0(VALU_DEP_1)
	v_fma_f64 v[61:62], v[57:58], s[20:21], s[18:19]
	s_mov_b32 s18, 0x623fde64
	s_mov_b32 s19, 0x3ec71dee
	;; [unrolled: 1-line block ×4, first 2 shown]
	s_wait_alu 0xfffe
	s_delay_alu instid0(VALU_DEP_1) | instskip(SKIP_3) | instid1(VALU_DEP_1)
	v_fma_f64 v[61:62], v[57:58], v[61:62], s[18:19]
	s_mov_b32 s18, 0x7c89e6b0
	s_mov_b32 s19, 0x3efa0199
	s_wait_alu 0xfffe
	v_fma_f64 v[61:62], v[57:58], v[61:62], s[18:19]
	s_mov_b32 s18, 0x14761f6e
	s_mov_b32 s19, 0x3f2a01a0
	s_wait_alu 0xfffe
	s_delay_alu instid0(VALU_DEP_1) | instskip(SKIP_3) | instid1(VALU_DEP_1)
	v_fma_f64 v[61:62], v[57:58], v[61:62], s[18:19]
	s_mov_b32 s18, 0x1852b7b0
	s_mov_b32 s19, 0x3f56c16c
	s_wait_alu 0xfffe
	v_fma_f64 v[61:62], v[57:58], v[61:62], s[18:19]
	s_mov_b32 s18, 0x11122322
	s_mov_b32 s19, 0x3f811111
	;; [unrolled: 9-line block ×4, first 2 shown]
	s_delay_alu instid0(VALU_DEP_1) | instskip(NEXT) | instid1(VALU_DEP_1)
	v_fma_f64 v[61:62], v[57:58], v[61:62], 1.0
	v_fma_f64 v[35:36], v[57:58], v[61:62], 1.0
	s_delay_alu instid0(VALU_DEP_1) | instskip(SKIP_1) | instid1(VALU_DEP_1)
	v_ldexp_f64 v[35:36], v[35:36], v63
	s_wait_alu 0xfffd
	v_cndmask_b32_e32 v36, 0x7ff00000, v36, vcc_lo
	s_and_b32 vcc_lo, s1, vcc_lo
	s_wait_alu 0xfffe
	s_delay_alu instid0(VALU_DEP_2) | instskip(NEXT) | instid1(VALU_DEP_2)
	v_cndmask_b32_e32 v9, 0, v35, vcc_lo
	v_cndmask_b32_e64 v10, 0, v36, s1
	s_delay_alu instid0(VALU_DEP_1) | instskip(SKIP_1) | instid1(VALU_DEP_2)
	v_add_f64_e32 v[35:36], 1.0, v[9:10]
	v_cmp_neq_f64_e64 s1, 0x7ff00000, v[9:10]
	v_frexp_mant_f64_e32 v[57:58], v[35:36]
	v_frexp_exp_i32_f64_e32 v63, v[35:36]
	v_add_f64_e32 v[61:62], -1.0, v[35:36]
	s_delay_alu instid0(VALU_DEP_3) | instskip(SKIP_1) | instid1(VALU_DEP_2)
	v_cmp_gt_f64_e32 vcc_lo, s[18:19], v[57:58]
	s_mov_b32 s18, 0x55555780
	v_add_f64_e64 v[57:58], v[61:62], -v[35:36]
	v_add_f64_e64 v[61:62], v[9:10], -v[61:62]
	s_wait_alu 0xfffd
	v_subrev_co_ci_u32_e64 v79, null, 0, v63, vcc_lo
	s_delay_alu instid0(VALU_DEP_3) | instskip(SKIP_1) | instid1(VALU_DEP_3)
	v_add_f64_e32 v[57:58], 1.0, v[57:58]
	v_cmp_nge_f64_e32 vcc_lo, -1.0, v[9:10]
	v_sub_nc_u32_e32 v65, 0, v79
	s_delay_alu instid0(VALU_DEP_1) | instskip(NEXT) | instid1(VALU_DEP_4)
	v_ldexp_f64 v[35:36], v[35:36], v65
	v_add_f64_e32 v[57:58], v[61:62], v[57:58]
	s_and_b32 vcc_lo, vcc_lo, s1
	s_delay_alu instid0(VALU_DEP_2) | instskip(SKIP_2) | instid1(VALU_DEP_3)
	v_add_f64_e32 v[63:64], 1.0, v[35:36]
	s_wait_dscnt 0x0
	v_add_f64_e32 v[69:70], -1.0, v[35:36]
	v_ldexp_f64 v[57:58], v[57:58], v65
	s_delay_alu instid0(VALU_DEP_3) | instskip(NEXT) | instid1(VALU_DEP_3)
	v_add_f64_e32 v[61:62], -1.0, v[63:64]
	v_add_f64_e32 v[71:72], 1.0, v[69:70]
	s_delay_alu instid0(VALU_DEP_2) | instskip(NEXT) | instid1(VALU_DEP_2)
	v_add_f64_e64 v[61:62], v[35:36], -v[61:62]
	v_add_f64_e64 v[35:36], v[35:36], -v[71:72]
	s_delay_alu instid0(VALU_DEP_2) | instskip(NEXT) | instid1(VALU_DEP_2)
	v_add_f64_e32 v[61:62], v[57:58], v[61:62]
	v_add_f64_e32 v[35:36], v[57:58], v[35:36]
	s_delay_alu instid0(VALU_DEP_2) | instskip(NEXT) | instid1(VALU_DEP_2)
	v_add_f64_e32 v[65:66], v[63:64], v[61:62]
	v_add_f64_e32 v[71:72], v[69:70], v[35:36]
	s_delay_alu instid0(VALU_DEP_2) | instskip(SKIP_1) | instid1(VALU_DEP_2)
	v_rcp_f64_e32 v[67:68], v[65:66]
	v_add_f64_e64 v[63:64], v[65:66], -v[63:64]
	v_add_f64_e64 v[69:70], v[71:72], -v[69:70]
	s_delay_alu instid0(VALU_DEP_2) | instskip(NEXT) | instid1(TRANS32_DEP_1)
	v_add_f64_e64 v[61:62], v[61:62], -v[63:64]
	v_fma_f64 v[73:74], -v[65:66], v[67:68], 1.0
	s_delay_alu instid0(VALU_DEP_3) | instskip(NEXT) | instid1(VALU_DEP_2)
	v_add_f64_e64 v[35:36], v[35:36], -v[69:70]
	v_fma_f64 v[67:68], v[73:74], v[67:68], v[67:68]
	s_delay_alu instid0(VALU_DEP_1) | instskip(NEXT) | instid1(VALU_DEP_1)
	v_fma_f64 v[57:58], -v[65:66], v[67:68], 1.0
	v_fma_f64 v[57:58], v[57:58], v[67:68], v[67:68]
	s_delay_alu instid0(VALU_DEP_1) | instskip(NEXT) | instid1(VALU_DEP_1)
	v_mul_f64_e32 v[67:68], v[71:72], v[57:58]
	v_mul_f64_e32 v[73:74], v[65:66], v[67:68]
	s_delay_alu instid0(VALU_DEP_1) | instskip(NEXT) | instid1(VALU_DEP_1)
	v_fma_f64 v[63:64], v[67:68], v[65:66], -v[73:74]
	v_fma_f64 v[63:64], v[67:68], v[61:62], v[63:64]
	s_delay_alu instid0(VALU_DEP_1) | instskip(NEXT) | instid1(VALU_DEP_1)
	v_add_f64_e32 v[75:76], v[73:74], v[63:64]
	v_add_f64_e64 v[77:78], v[71:72], -v[75:76]
	v_add_f64_e64 v[69:70], v[75:76], -v[73:74]
	s_delay_alu instid0(VALU_DEP_2) | instskip(NEXT) | instid1(VALU_DEP_2)
	v_add_f64_e64 v[71:72], v[71:72], -v[77:78]
	v_add_f64_e64 v[63:64], v[69:70], -v[63:64]
	s_delay_alu instid0(VALU_DEP_2) | instskip(NEXT) | instid1(VALU_DEP_1)
	v_add_f64_e64 v[71:72], v[71:72], -v[75:76]
	v_add_f64_e32 v[35:36], v[35:36], v[71:72]
	s_delay_alu instid0(VALU_DEP_1) | instskip(NEXT) | instid1(VALU_DEP_1)
	v_add_f64_e32 v[35:36], v[63:64], v[35:36]
	v_add_f64_e32 v[63:64], v[77:78], v[35:36]
	s_delay_alu instid0(VALU_DEP_1) | instskip(SKIP_1) | instid1(VALU_DEP_2)
	v_mul_f64_e32 v[69:70], v[57:58], v[63:64]
	v_add_f64_e64 v[75:76], v[77:78], -v[63:64]
	v_mul_f64_e32 v[71:72], v[65:66], v[69:70]
	s_delay_alu instid0(VALU_DEP_2) | instskip(NEXT) | instid1(VALU_DEP_2)
	v_add_f64_e32 v[35:36], v[35:36], v[75:76]
	v_fma_f64 v[65:66], v[69:70], v[65:66], -v[71:72]
	s_delay_alu instid0(VALU_DEP_1) | instskip(NEXT) | instid1(VALU_DEP_1)
	v_fma_f64 v[61:62], v[69:70], v[61:62], v[65:66]
	v_add_f64_e32 v[65:66], v[71:72], v[61:62]
	s_delay_alu instid0(VALU_DEP_1) | instskip(SKIP_1) | instid1(VALU_DEP_2)
	v_add_f64_e64 v[73:74], v[63:64], -v[65:66]
	v_add_f64_e64 v[71:72], v[65:66], -v[71:72]
	;; [unrolled: 1-line block ×3, first 2 shown]
	s_delay_alu instid0(VALU_DEP_2) | instskip(NEXT) | instid1(VALU_DEP_2)
	v_add_f64_e64 v[61:62], v[71:72], -v[61:62]
	v_add_f64_e64 v[63:64], v[63:64], -v[65:66]
	s_delay_alu instid0(VALU_DEP_1) | instskip(SKIP_1) | instid1(VALU_DEP_2)
	v_add_f64_e32 v[35:36], v[35:36], v[63:64]
	v_add_f64_e32 v[63:64], v[67:68], v[69:70]
	;; [unrolled: 1-line block ×3, first 2 shown]
	s_delay_alu instid0(VALU_DEP_2) | instskip(NEXT) | instid1(VALU_DEP_2)
	v_add_f64_e64 v[61:62], v[63:64], -v[67:68]
	v_add_f64_e32 v[35:36], v[73:74], v[35:36]
	s_delay_alu instid0(VALU_DEP_2) | instskip(NEXT) | instid1(VALU_DEP_2)
	v_add_f64_e64 v[61:62], v[69:70], -v[61:62]
	v_mul_f64_e32 v[35:36], v[57:58], v[35:36]
	s_delay_alu instid0(VALU_DEP_1) | instskip(NEXT) | instid1(VALU_DEP_1)
	v_add_f64_e32 v[35:36], v[61:62], v[35:36]
	v_add_f64_e32 v[57:58], v[63:64], v[35:36]
	s_delay_alu instid0(VALU_DEP_1) | instskip(NEXT) | instid1(VALU_DEP_1)
	v_mul_f64_e32 v[61:62], v[57:58], v[57:58]
	v_fma_f64 v[65:66], v[61:62], s[24:25], s[20:21]
	s_mov_b32 s20, 0xd7f4df2e
	s_mov_b32 s21, 0x3fc7474d
	v_mul_f64_e32 v[67:68], v[57:58], v[61:62]
	s_wait_alu 0xfffe
	s_delay_alu instid0(VALU_DEP_2) | instskip(SKIP_3) | instid1(VALU_DEP_1)
	v_fma_f64 v[65:66], v[61:62], v[65:66], s[20:21]
	s_mov_b32 s20, 0x16291751
	s_mov_b32 s21, 0x3fcc71c0
	s_wait_alu 0xfffe
	v_fma_f64 v[65:66], v[61:62], v[65:66], s[20:21]
	s_mov_b32 s20, 0x9b27acf1
	s_mov_b32 s21, 0x3fd24924
	s_wait_alu 0xfffe
	s_delay_alu instid0(VALU_DEP_1) | instskip(SKIP_3) | instid1(VALU_DEP_1)
	v_fma_f64 v[65:66], v[61:62], v[65:66], s[20:21]
	s_mov_b32 s20, 0x998ef7b6
	s_mov_b32 s21, 0x3fd99999
	s_wait_alu 0xfffe
	v_fma_f64 v[65:66], v[61:62], v[65:66], s[20:21]
	s_delay_alu instid0(VALU_DEP_1) | instskip(SKIP_2) | instid1(VALU_DEP_3)
	v_fma_f64 v[61:62], v[61:62], v[65:66], s[18:19]
	v_ldexp_f64 v[65:66], v[57:58], 1
	v_add_f64_e64 v[57:58], v[57:58], -v[63:64]
	v_mul_f64_e32 v[61:62], v[67:68], v[61:62]
	v_cvt_f64_i32_e32 v[67:68], v79
	s_delay_alu instid0(VALU_DEP_3) | instskip(NEXT) | instid1(VALU_DEP_3)
	v_add_f64_e64 v[35:36], v[35:36], -v[57:58]
	v_add_f64_e32 v[63:64], v[65:66], v[61:62]
	s_delay_alu instid0(VALU_DEP_3) | instskip(NEXT) | instid1(VALU_DEP_3)
	v_mul_f64_e32 v[69:70], s[2:3], v[67:68]
	v_ldexp_f64 v[35:36], v[35:36], 1
	s_delay_alu instid0(VALU_DEP_3) | instskip(NEXT) | instid1(VALU_DEP_3)
	v_add_f64_e64 v[57:58], v[63:64], -v[65:66]
	v_fma_f64 v[65:66], v[67:68], s[2:3], -v[69:70]
	v_cmp_ngt_f64_e64 s2, -1.0, v[9:10]
	s_delay_alu instid0(VALU_DEP_3) | instskip(NEXT) | instid1(VALU_DEP_3)
	v_add_f64_e64 v[57:58], v[61:62], -v[57:58]
	v_fma_f64 v[61:62], v[67:68], s[16:17], v[65:66]
	s_delay_alu instid0(VALU_DEP_2) | instskip(NEXT) | instid1(VALU_DEP_2)
	v_add_f64_e32 v[35:36], v[35:36], v[57:58]
	v_add_f64_e32 v[57:58], v[69:70], v[61:62]
	s_delay_alu instid0(VALU_DEP_2) | instskip(NEXT) | instid1(VALU_DEP_2)
	v_add_f64_e32 v[65:66], v[63:64], v[35:36]
	v_add_f64_e64 v[69:70], v[57:58], -v[69:70]
	s_delay_alu instid0(VALU_DEP_2) | instskip(SKIP_1) | instid1(VALU_DEP_3)
	v_add_f64_e32 v[67:68], v[57:58], v[65:66]
	v_add_f64_e64 v[63:64], v[65:66], -v[63:64]
	v_add_f64_e64 v[61:62], v[61:62], -v[69:70]
	s_delay_alu instid0(VALU_DEP_3) | instskip(NEXT) | instid1(VALU_DEP_3)
	v_add_f64_e64 v[71:72], v[67:68], -v[57:58]
	v_add_f64_e64 v[35:36], v[35:36], -v[63:64]
	s_delay_alu instid0(VALU_DEP_2) | instskip(SKIP_1) | instid1(VALU_DEP_3)
	v_add_f64_e64 v[73:74], v[67:68], -v[71:72]
	v_add_f64_e64 v[63:64], v[65:66], -v[71:72]
	v_add_f64_e32 v[65:66], v[61:62], v[35:36]
	s_delay_alu instid0(VALU_DEP_3) | instskip(NEXT) | instid1(VALU_DEP_1)
	v_add_f64_e64 v[57:58], v[57:58], -v[73:74]
	v_add_f64_e32 v[57:58], v[63:64], v[57:58]
	s_delay_alu instid0(VALU_DEP_3) | instskip(NEXT) | instid1(VALU_DEP_2)
	v_add_f64_e64 v[63:64], v[65:66], -v[61:62]
	v_add_f64_e32 v[57:58], v[65:66], v[57:58]
	s_delay_alu instid0(VALU_DEP_2) | instskip(SKIP_1) | instid1(VALU_DEP_3)
	v_add_f64_e64 v[65:66], v[65:66], -v[63:64]
	v_add_f64_e64 v[35:36], v[35:36], -v[63:64]
	v_add_f64_e32 v[69:70], v[67:68], v[57:58]
	s_delay_alu instid0(VALU_DEP_3) | instskip(NEXT) | instid1(VALU_DEP_2)
	v_add_f64_e64 v[61:62], v[61:62], -v[65:66]
	v_add_f64_e64 v[63:64], v[69:70], -v[67:68]
	s_delay_alu instid0(VALU_DEP_2) | instskip(NEXT) | instid1(VALU_DEP_2)
	v_add_f64_e32 v[35:36], v[35:36], v[61:62]
	v_add_f64_e64 v[57:58], v[57:58], -v[63:64]
	s_delay_alu instid0(VALU_DEP_1) | instskip(NEXT) | instid1(VALU_DEP_1)
	v_add_f64_e32 v[35:36], v[35:36], v[57:58]
	v_add_f64_e32 v[35:36], v[69:70], v[35:36]
	s_delay_alu instid0(VALU_DEP_1) | instskip(SKIP_1) | instid1(VALU_DEP_3)
	v_cndmask_b32_e32 v35, 0, v35, vcc_lo
	v_cmp_neq_f64_e32 vcc_lo, -1.0, v[9:10]
	v_cndmask_b32_e64 v36, 0x7ff00000, v36, s1
	s_wait_alu 0xf1ff
	s_delay_alu instid0(VALU_DEP_1) | instskip(SKIP_1) | instid1(VALU_DEP_1)
	v_cndmask_b32_e64 v36, 0x7ff80000, v36, s2
	s_wait_alu 0xfffd
	v_cndmask_b32_e32 v36, 0xfff00000, v36, vcc_lo
	s_delay_alu instid0(VALU_DEP_1)
	v_add_f64_e32 v[9:10], v[33:34], v[35:36]
.LBB71_282:
	s_wait_alu 0xfffe
	s_or_b32 exec_lo, exec_lo, s4
	s_delay_alu instid0(VALU_DEP_1) | instskip(SKIP_1) | instid1(VALU_DEP_2)
	v_max_num_f64_e32 v[33:34], v[9:10], v[9:10]
	v_cmp_u_f64_e32 vcc_lo, v[9:10], v[9:10]
	v_min_num_f64_e32 v[35:36], v[33:34], v[11:12]
	v_max_num_f64_e32 v[11:12], v[33:34], v[11:12]
	s_wait_alu 0xfffd
	s_delay_alu instid0(VALU_DEP_2) | instskip(NEXT) | instid1(VALU_DEP_2)
	v_dual_cndmask_b32 v33, v35, v9 :: v_dual_cndmask_b32 v34, v36, v10
	v_dual_cndmask_b32 v12, v12, v10 :: v_dual_cndmask_b32 v11, v11, v9
	s_delay_alu instid0(VALU_DEP_2) | instskip(NEXT) | instid1(VALU_DEP_3)
	v_cndmask_b32_e64 v35, v33, v59, s5
	v_cndmask_b32_e64 v36, v34, v60, s5
	s_delay_alu instid0(VALU_DEP_3) | instskip(NEXT) | instid1(VALU_DEP_4)
	v_cndmask_b32_e64 v34, v12, v60, s5
	v_cndmask_b32_e64 v33, v11, v59, s5
	v_dual_mov_b32 v12, v10 :: v_dual_mov_b32 v11, v9
	s_delay_alu instid0(VALU_DEP_4) | instskip(NEXT) | instid1(VALU_DEP_3)
	v_cmp_class_f64_e64 s1, v[35:36], 0x1f8
	v_cmp_neq_f64_e32 vcc_lo, v[35:36], v[33:34]
	s_or_b32 s1, vcc_lo, s1
	s_wait_alu 0xfffe
	s_and_saveexec_b32 s18, s1
	s_cbranch_execz .LBB71_284
; %bb.283:
	v_add_f64_e64 v[11:12], v[35:36], -v[33:34]
	s_mov_b32 s2, 0x652b82fe
	s_mov_b32 s3, 0x3ff71547
	;; [unrolled: 1-line block ×10, first 2 shown]
	s_wait_alu 0xfffe
	s_delay_alu instid0(VALU_DEP_1) | instskip(SKIP_4) | instid1(VALU_DEP_3)
	v_mul_f64_e32 v[35:36], s[2:3], v[11:12]
	s_mov_b32 s3, 0xbfe62e42
	s_mov_b32 s2, 0xfefa39ef
	v_cmp_nlt_f64_e32 vcc_lo, 0x40900000, v[11:12]
	v_cmp_ngt_f64_e64 s1, 0xc090cc00, v[11:12]
	v_rndne_f64_e32 v[35:36], v[35:36]
	s_wait_alu 0xfffe
	s_delay_alu instid0(VALU_DEP_1) | instskip(SKIP_2) | instid1(VALU_DEP_2)
	v_fma_f64 v[57:58], v[35:36], s[2:3], v[11:12]
	v_cvt_i32_f64_e32 v61, v[35:36]
	s_mov_b32 s3, 0x3fe62e42
	v_fma_f64 v[57:58], v[35:36], s[4:5], v[57:58]
	s_mov_b32 s5, 0x3c7abc9e
	s_delay_alu instid0(VALU_DEP_1)
	v_fma_f64 v[59:60], v[57:58], s[20:21], s[16:17]
	s_mov_b32 s16, 0x623fde64
	s_mov_b32 s17, 0x3ec71dee
	;; [unrolled: 1-line block ×4, first 2 shown]
	s_wait_alu 0xfffe
	s_delay_alu instid0(VALU_DEP_1) | instskip(SKIP_3) | instid1(VALU_DEP_1)
	v_fma_f64 v[59:60], v[57:58], v[59:60], s[16:17]
	s_mov_b32 s16, 0x7c89e6b0
	s_mov_b32 s17, 0x3efa0199
	s_wait_alu 0xfffe
	v_fma_f64 v[59:60], v[57:58], v[59:60], s[16:17]
	s_mov_b32 s16, 0x14761f6e
	s_mov_b32 s17, 0x3f2a01a0
	s_wait_alu 0xfffe
	s_delay_alu instid0(VALU_DEP_1) | instskip(SKIP_3) | instid1(VALU_DEP_1)
	v_fma_f64 v[59:60], v[57:58], v[59:60], s[16:17]
	s_mov_b32 s16, 0x1852b7b0
	s_mov_b32 s17, 0x3f56c16c
	s_wait_alu 0xfffe
	v_fma_f64 v[59:60], v[57:58], v[59:60], s[16:17]
	s_mov_b32 s16, 0x11122322
	s_mov_b32 s17, 0x3f811111
	;; [unrolled: 9-line block ×4, first 2 shown]
	s_delay_alu instid0(VALU_DEP_1) | instskip(NEXT) | instid1(VALU_DEP_1)
	v_fma_f64 v[59:60], v[57:58], v[59:60], 1.0
	v_fma_f64 v[35:36], v[57:58], v[59:60], 1.0
	s_delay_alu instid0(VALU_DEP_1) | instskip(SKIP_1) | instid1(VALU_DEP_1)
	v_ldexp_f64 v[35:36], v[35:36], v61
	s_wait_alu 0xfffd
	v_cndmask_b32_e32 v36, 0x7ff00000, v36, vcc_lo
	s_and_b32 vcc_lo, s1, vcc_lo
	s_wait_alu 0xfffe
	s_delay_alu instid0(VALU_DEP_2) | instskip(NEXT) | instid1(VALU_DEP_2)
	v_cndmask_b32_e32 v11, 0, v35, vcc_lo
	v_cndmask_b32_e64 v12, 0, v36, s1
	s_delay_alu instid0(VALU_DEP_1) | instskip(SKIP_1) | instid1(VALU_DEP_2)
	v_add_f64_e32 v[35:36], 1.0, v[11:12]
	v_cmp_neq_f64_e64 s1, 0x7ff00000, v[11:12]
	v_frexp_mant_f64_e32 v[57:58], v[35:36]
	v_frexp_exp_i32_f64_e32 v61, v[35:36]
	v_add_f64_e32 v[59:60], -1.0, v[35:36]
	s_delay_alu instid0(VALU_DEP_3) | instskip(SKIP_1) | instid1(VALU_DEP_2)
	v_cmp_gt_f64_e32 vcc_lo, s[16:17], v[57:58]
	s_mov_b32 s16, 0x55555780
	v_add_f64_e64 v[57:58], v[59:60], -v[35:36]
	v_add_f64_e64 v[59:60], v[11:12], -v[59:60]
	s_wait_alu 0xfffd
	v_subrev_co_ci_u32_e64 v77, null, 0, v61, vcc_lo
	s_delay_alu instid0(VALU_DEP_3) | instskip(SKIP_1) | instid1(VALU_DEP_3)
	v_add_f64_e32 v[57:58], 1.0, v[57:58]
	v_cmp_nge_f64_e32 vcc_lo, -1.0, v[11:12]
	v_sub_nc_u32_e32 v63, 0, v77
	s_delay_alu instid0(VALU_DEP_1) | instskip(NEXT) | instid1(VALU_DEP_4)
	v_ldexp_f64 v[35:36], v[35:36], v63
	v_add_f64_e32 v[57:58], v[59:60], v[57:58]
	s_and_b32 vcc_lo, vcc_lo, s1
	s_delay_alu instid0(VALU_DEP_2) | instskip(SKIP_1) | instid1(VALU_DEP_3)
	v_add_f64_e32 v[61:62], 1.0, v[35:36]
	v_add_f64_e32 v[67:68], -1.0, v[35:36]
	v_ldexp_f64 v[57:58], v[57:58], v63
	s_delay_alu instid0(VALU_DEP_3) | instskip(SKIP_1) | instid1(VALU_DEP_3)
	v_add_f64_e32 v[59:60], -1.0, v[61:62]
	s_wait_dscnt 0x0
	v_add_f64_e32 v[69:70], 1.0, v[67:68]
	s_delay_alu instid0(VALU_DEP_2) | instskip(NEXT) | instid1(VALU_DEP_2)
	v_add_f64_e64 v[59:60], v[35:36], -v[59:60]
	v_add_f64_e64 v[35:36], v[35:36], -v[69:70]
	s_delay_alu instid0(VALU_DEP_2) | instskip(NEXT) | instid1(VALU_DEP_2)
	v_add_f64_e32 v[59:60], v[57:58], v[59:60]
	v_add_f64_e32 v[35:36], v[57:58], v[35:36]
	s_delay_alu instid0(VALU_DEP_2) | instskip(NEXT) | instid1(VALU_DEP_2)
	v_add_f64_e32 v[63:64], v[61:62], v[59:60]
	v_add_f64_e32 v[69:70], v[67:68], v[35:36]
	s_delay_alu instid0(VALU_DEP_2) | instskip(SKIP_1) | instid1(VALU_DEP_2)
	v_rcp_f64_e32 v[65:66], v[63:64]
	v_add_f64_e64 v[61:62], v[63:64], -v[61:62]
	v_add_f64_e64 v[67:68], v[69:70], -v[67:68]
	s_delay_alu instid0(VALU_DEP_2) | instskip(NEXT) | instid1(TRANS32_DEP_1)
	v_add_f64_e64 v[59:60], v[59:60], -v[61:62]
	v_fma_f64 v[71:72], -v[63:64], v[65:66], 1.0
	s_delay_alu instid0(VALU_DEP_3) | instskip(NEXT) | instid1(VALU_DEP_2)
	v_add_f64_e64 v[35:36], v[35:36], -v[67:68]
	v_fma_f64 v[65:66], v[71:72], v[65:66], v[65:66]
	s_delay_alu instid0(VALU_DEP_1) | instskip(NEXT) | instid1(VALU_DEP_1)
	v_fma_f64 v[57:58], -v[63:64], v[65:66], 1.0
	v_fma_f64 v[57:58], v[57:58], v[65:66], v[65:66]
	s_delay_alu instid0(VALU_DEP_1) | instskip(NEXT) | instid1(VALU_DEP_1)
	v_mul_f64_e32 v[65:66], v[69:70], v[57:58]
	v_mul_f64_e32 v[71:72], v[63:64], v[65:66]
	s_delay_alu instid0(VALU_DEP_1) | instskip(NEXT) | instid1(VALU_DEP_1)
	v_fma_f64 v[61:62], v[65:66], v[63:64], -v[71:72]
	v_fma_f64 v[61:62], v[65:66], v[59:60], v[61:62]
	s_delay_alu instid0(VALU_DEP_1) | instskip(NEXT) | instid1(VALU_DEP_1)
	v_add_f64_e32 v[73:74], v[71:72], v[61:62]
	v_add_f64_e64 v[75:76], v[69:70], -v[73:74]
	v_add_f64_e64 v[67:68], v[73:74], -v[71:72]
	s_delay_alu instid0(VALU_DEP_2) | instskip(NEXT) | instid1(VALU_DEP_2)
	v_add_f64_e64 v[69:70], v[69:70], -v[75:76]
	v_add_f64_e64 v[61:62], v[67:68], -v[61:62]
	s_delay_alu instid0(VALU_DEP_2) | instskip(NEXT) | instid1(VALU_DEP_1)
	v_add_f64_e64 v[69:70], v[69:70], -v[73:74]
	v_add_f64_e32 v[35:36], v[35:36], v[69:70]
	s_delay_alu instid0(VALU_DEP_1) | instskip(NEXT) | instid1(VALU_DEP_1)
	v_add_f64_e32 v[35:36], v[61:62], v[35:36]
	v_add_f64_e32 v[61:62], v[75:76], v[35:36]
	s_delay_alu instid0(VALU_DEP_1) | instskip(SKIP_1) | instid1(VALU_DEP_2)
	v_mul_f64_e32 v[67:68], v[57:58], v[61:62]
	v_add_f64_e64 v[73:74], v[75:76], -v[61:62]
	v_mul_f64_e32 v[69:70], v[63:64], v[67:68]
	s_delay_alu instid0(VALU_DEP_2) | instskip(NEXT) | instid1(VALU_DEP_2)
	v_add_f64_e32 v[35:36], v[35:36], v[73:74]
	v_fma_f64 v[63:64], v[67:68], v[63:64], -v[69:70]
	s_delay_alu instid0(VALU_DEP_1) | instskip(NEXT) | instid1(VALU_DEP_1)
	v_fma_f64 v[59:60], v[67:68], v[59:60], v[63:64]
	v_add_f64_e32 v[63:64], v[69:70], v[59:60]
	s_delay_alu instid0(VALU_DEP_1) | instskip(SKIP_1) | instid1(VALU_DEP_2)
	v_add_f64_e64 v[71:72], v[61:62], -v[63:64]
	v_add_f64_e64 v[69:70], v[63:64], -v[69:70]
	;; [unrolled: 1-line block ×3, first 2 shown]
	s_delay_alu instid0(VALU_DEP_2) | instskip(NEXT) | instid1(VALU_DEP_2)
	v_add_f64_e64 v[59:60], v[69:70], -v[59:60]
	v_add_f64_e64 v[61:62], v[61:62], -v[63:64]
	s_delay_alu instid0(VALU_DEP_1) | instskip(SKIP_1) | instid1(VALU_DEP_2)
	v_add_f64_e32 v[35:36], v[35:36], v[61:62]
	v_add_f64_e32 v[61:62], v[65:66], v[67:68]
	v_add_f64_e32 v[35:36], v[59:60], v[35:36]
	s_delay_alu instid0(VALU_DEP_2) | instskip(NEXT) | instid1(VALU_DEP_2)
	v_add_f64_e64 v[59:60], v[61:62], -v[65:66]
	v_add_f64_e32 v[35:36], v[71:72], v[35:36]
	s_delay_alu instid0(VALU_DEP_2) | instskip(NEXT) | instid1(VALU_DEP_2)
	v_add_f64_e64 v[59:60], v[67:68], -v[59:60]
	v_mul_f64_e32 v[35:36], v[57:58], v[35:36]
	s_delay_alu instid0(VALU_DEP_1) | instskip(NEXT) | instid1(VALU_DEP_1)
	v_add_f64_e32 v[35:36], v[59:60], v[35:36]
	v_add_f64_e32 v[57:58], v[61:62], v[35:36]
	s_delay_alu instid0(VALU_DEP_1) | instskip(NEXT) | instid1(VALU_DEP_1)
	v_mul_f64_e32 v[59:60], v[57:58], v[57:58]
	v_fma_f64 v[63:64], v[59:60], s[24:25], s[20:21]
	s_mov_b32 s20, 0xd7f4df2e
	s_mov_b32 s21, 0x3fc7474d
	v_mul_f64_e32 v[65:66], v[57:58], v[59:60]
	s_wait_alu 0xfffe
	s_delay_alu instid0(VALU_DEP_2) | instskip(SKIP_3) | instid1(VALU_DEP_1)
	v_fma_f64 v[63:64], v[59:60], v[63:64], s[20:21]
	s_mov_b32 s20, 0x16291751
	s_mov_b32 s21, 0x3fcc71c0
	s_wait_alu 0xfffe
	v_fma_f64 v[63:64], v[59:60], v[63:64], s[20:21]
	s_mov_b32 s20, 0x9b27acf1
	s_mov_b32 s21, 0x3fd24924
	s_wait_alu 0xfffe
	s_delay_alu instid0(VALU_DEP_1) | instskip(SKIP_3) | instid1(VALU_DEP_1)
	v_fma_f64 v[63:64], v[59:60], v[63:64], s[20:21]
	s_mov_b32 s20, 0x998ef7b6
	s_mov_b32 s21, 0x3fd99999
	s_wait_alu 0xfffe
	v_fma_f64 v[63:64], v[59:60], v[63:64], s[20:21]
	s_delay_alu instid0(VALU_DEP_1) | instskip(SKIP_2) | instid1(VALU_DEP_3)
	v_fma_f64 v[59:60], v[59:60], v[63:64], s[16:17]
	v_ldexp_f64 v[63:64], v[57:58], 1
	v_add_f64_e64 v[57:58], v[57:58], -v[61:62]
	v_mul_f64_e32 v[59:60], v[65:66], v[59:60]
	v_cvt_f64_i32_e32 v[65:66], v77
	s_delay_alu instid0(VALU_DEP_3) | instskip(NEXT) | instid1(VALU_DEP_3)
	v_add_f64_e64 v[35:36], v[35:36], -v[57:58]
	v_add_f64_e32 v[61:62], v[63:64], v[59:60]
	s_delay_alu instid0(VALU_DEP_3) | instskip(NEXT) | instid1(VALU_DEP_3)
	v_mul_f64_e32 v[67:68], s[2:3], v[65:66]
	v_ldexp_f64 v[35:36], v[35:36], 1
	s_delay_alu instid0(VALU_DEP_3) | instskip(NEXT) | instid1(VALU_DEP_3)
	v_add_f64_e64 v[57:58], v[61:62], -v[63:64]
	v_fma_f64 v[63:64], v[65:66], s[2:3], -v[67:68]
	v_cmp_ngt_f64_e64 s2, -1.0, v[11:12]
	s_delay_alu instid0(VALU_DEP_3) | instskip(NEXT) | instid1(VALU_DEP_3)
	v_add_f64_e64 v[57:58], v[59:60], -v[57:58]
	v_fma_f64 v[59:60], v[65:66], s[4:5], v[63:64]
	s_delay_alu instid0(VALU_DEP_2) | instskip(NEXT) | instid1(VALU_DEP_2)
	v_add_f64_e32 v[35:36], v[35:36], v[57:58]
	v_add_f64_e32 v[57:58], v[67:68], v[59:60]
	s_delay_alu instid0(VALU_DEP_2) | instskip(NEXT) | instid1(VALU_DEP_2)
	v_add_f64_e32 v[63:64], v[61:62], v[35:36]
	v_add_f64_e64 v[67:68], v[57:58], -v[67:68]
	s_delay_alu instid0(VALU_DEP_2) | instskip(SKIP_1) | instid1(VALU_DEP_3)
	v_add_f64_e32 v[65:66], v[57:58], v[63:64]
	v_add_f64_e64 v[61:62], v[63:64], -v[61:62]
	v_add_f64_e64 v[59:60], v[59:60], -v[67:68]
	s_delay_alu instid0(VALU_DEP_3) | instskip(NEXT) | instid1(VALU_DEP_3)
	v_add_f64_e64 v[69:70], v[65:66], -v[57:58]
	v_add_f64_e64 v[35:36], v[35:36], -v[61:62]
	s_delay_alu instid0(VALU_DEP_2) | instskip(SKIP_1) | instid1(VALU_DEP_3)
	v_add_f64_e64 v[71:72], v[65:66], -v[69:70]
	v_add_f64_e64 v[61:62], v[63:64], -v[69:70]
	v_add_f64_e32 v[63:64], v[59:60], v[35:36]
	s_delay_alu instid0(VALU_DEP_3) | instskip(NEXT) | instid1(VALU_DEP_1)
	v_add_f64_e64 v[57:58], v[57:58], -v[71:72]
	v_add_f64_e32 v[57:58], v[61:62], v[57:58]
	s_delay_alu instid0(VALU_DEP_3) | instskip(NEXT) | instid1(VALU_DEP_2)
	v_add_f64_e64 v[61:62], v[63:64], -v[59:60]
	v_add_f64_e32 v[57:58], v[63:64], v[57:58]
	s_delay_alu instid0(VALU_DEP_2) | instskip(SKIP_1) | instid1(VALU_DEP_3)
	v_add_f64_e64 v[63:64], v[63:64], -v[61:62]
	v_add_f64_e64 v[35:36], v[35:36], -v[61:62]
	v_add_f64_e32 v[67:68], v[65:66], v[57:58]
	s_delay_alu instid0(VALU_DEP_3) | instskip(NEXT) | instid1(VALU_DEP_2)
	v_add_f64_e64 v[59:60], v[59:60], -v[63:64]
	v_add_f64_e64 v[61:62], v[67:68], -v[65:66]
	s_delay_alu instid0(VALU_DEP_2) | instskip(NEXT) | instid1(VALU_DEP_2)
	v_add_f64_e32 v[35:36], v[35:36], v[59:60]
	v_add_f64_e64 v[57:58], v[57:58], -v[61:62]
	s_delay_alu instid0(VALU_DEP_1) | instskip(NEXT) | instid1(VALU_DEP_1)
	v_add_f64_e32 v[35:36], v[35:36], v[57:58]
	v_add_f64_e32 v[35:36], v[67:68], v[35:36]
	s_delay_alu instid0(VALU_DEP_1) | instskip(SKIP_1) | instid1(VALU_DEP_3)
	v_cndmask_b32_e32 v35, 0, v35, vcc_lo
	v_cmp_neq_f64_e32 vcc_lo, -1.0, v[11:12]
	v_cndmask_b32_e64 v36, 0x7ff00000, v36, s1
	s_wait_alu 0xf1ff
	s_delay_alu instid0(VALU_DEP_1) | instskip(SKIP_1) | instid1(VALU_DEP_1)
	v_cndmask_b32_e64 v36, 0x7ff80000, v36, s2
	s_wait_alu 0xfffd
	v_cndmask_b32_e32 v36, 0xfff00000, v36, vcc_lo
	s_delay_alu instid0(VALU_DEP_1)
	v_add_f64_e32 v[11:12], v[33:34], v[35:36]
.LBB71_284:
	s_wait_alu 0xfffe
	s_or_b32 exec_lo, exec_lo, s18
	s_delay_alu instid0(VALU_DEP_1) | instskip(SKIP_1) | instid1(VALU_DEP_2)
	v_max_num_f64_e32 v[33:34], v[11:12], v[11:12]
	v_cmp_u_f64_e32 vcc_lo, v[11:12], v[11:12]
	v_min_num_f64_e32 v[35:36], v[33:34], v[13:14]
	v_max_num_f64_e32 v[13:14], v[33:34], v[13:14]
	s_wait_alu 0xfffd
	s_delay_alu instid0(VALU_DEP_2) | instskip(NEXT) | instid1(VALU_DEP_2)
	v_dual_cndmask_b32 v33, v35, v11 :: v_dual_cndmask_b32 v34, v36, v12
	v_dual_cndmask_b32 v14, v14, v12 :: v_dual_cndmask_b32 v13, v13, v11
	s_delay_alu instid0(VALU_DEP_2) | instskip(NEXT) | instid1(VALU_DEP_3)
	v_cndmask_b32_e64 v35, v33, v53, s6
	v_cndmask_b32_e64 v36, v34, v54, s6
	s_delay_alu instid0(VALU_DEP_3) | instskip(NEXT) | instid1(VALU_DEP_4)
	v_cndmask_b32_e64 v34, v14, v54, s6
	v_cndmask_b32_e64 v33, v13, v53, s6
	v_dual_mov_b32 v14, v12 :: v_dual_mov_b32 v13, v11
	s_delay_alu instid0(VALU_DEP_4) | instskip(NEXT) | instid1(VALU_DEP_3)
	v_cmp_class_f64_e64 s1, v[35:36], 0x1f8
	v_cmp_neq_f64_e32 vcc_lo, v[35:36], v[33:34]
	s_or_b32 s1, vcc_lo, s1
	s_wait_alu 0xfffe
	s_and_saveexec_b32 s6, s1
	s_cbranch_execz .LBB71_286
; %bb.285:
	v_add_f64_e64 v[13:14], v[35:36], -v[33:34]
	s_mov_b32 s2, 0x652b82fe
	s_mov_b32 s3, 0x3ff71547
	;; [unrolled: 1-line block ×10, first 2 shown]
	s_wait_alu 0xfffe
	s_delay_alu instid0(VALU_DEP_1) | instskip(SKIP_4) | instid1(VALU_DEP_3)
	v_mul_f64_e32 v[35:36], s[2:3], v[13:14]
	s_mov_b32 s3, 0xbfe62e42
	s_mov_b32 s2, 0xfefa39ef
	v_cmp_nlt_f64_e32 vcc_lo, 0x40900000, v[13:14]
	v_cmp_ngt_f64_e64 s1, 0xc090cc00, v[13:14]
	v_rndne_f64_e32 v[35:36], v[35:36]
	s_wait_alu 0xfffe
	s_delay_alu instid0(VALU_DEP_1) | instskip(SKIP_2) | instid1(VALU_DEP_2)
	v_fma_f64 v[53:54], v[35:36], s[2:3], v[13:14]
	v_cvt_i32_f64_e32 v59, v[35:36]
	s_mov_b32 s3, 0x3fe62e42
	v_fma_f64 v[53:54], v[35:36], s[4:5], v[53:54]
	s_mov_b32 s5, 0x3c7abc9e
	s_delay_alu instid0(VALU_DEP_1)
	v_fma_f64 v[57:58], v[53:54], s[18:19], s[16:17]
	s_mov_b32 s16, 0x623fde64
	s_mov_b32 s17, 0x3ec71dee
	;; [unrolled: 1-line block ×4, first 2 shown]
	s_wait_alu 0xfffe
	s_delay_alu instid0(VALU_DEP_1) | instskip(SKIP_3) | instid1(VALU_DEP_1)
	v_fma_f64 v[57:58], v[53:54], v[57:58], s[16:17]
	s_mov_b32 s16, 0x7c89e6b0
	s_mov_b32 s17, 0x3efa0199
	s_wait_alu 0xfffe
	v_fma_f64 v[57:58], v[53:54], v[57:58], s[16:17]
	s_mov_b32 s16, 0x14761f6e
	s_mov_b32 s17, 0x3f2a01a0
	s_wait_alu 0xfffe
	s_delay_alu instid0(VALU_DEP_1) | instskip(SKIP_3) | instid1(VALU_DEP_1)
	v_fma_f64 v[57:58], v[53:54], v[57:58], s[16:17]
	s_mov_b32 s16, 0x1852b7b0
	s_mov_b32 s17, 0x3f56c16c
	s_wait_alu 0xfffe
	v_fma_f64 v[57:58], v[53:54], v[57:58], s[16:17]
	s_mov_b32 s16, 0x11122322
	s_mov_b32 s17, 0x3f811111
	;; [unrolled: 9-line block ×4, first 2 shown]
	s_delay_alu instid0(VALU_DEP_1) | instskip(NEXT) | instid1(VALU_DEP_1)
	v_fma_f64 v[57:58], v[53:54], v[57:58], 1.0
	v_fma_f64 v[35:36], v[53:54], v[57:58], 1.0
	s_delay_alu instid0(VALU_DEP_1) | instskip(SKIP_1) | instid1(VALU_DEP_1)
	v_ldexp_f64 v[35:36], v[35:36], v59
	s_wait_alu 0xfffd
	v_cndmask_b32_e32 v36, 0x7ff00000, v36, vcc_lo
	s_and_b32 vcc_lo, s1, vcc_lo
	s_wait_alu 0xfffe
	s_delay_alu instid0(VALU_DEP_2) | instskip(NEXT) | instid1(VALU_DEP_2)
	v_cndmask_b32_e32 v13, 0, v35, vcc_lo
	v_cndmask_b32_e64 v14, 0, v36, s1
	s_delay_alu instid0(VALU_DEP_1) | instskip(SKIP_1) | instid1(VALU_DEP_2)
	v_add_f64_e32 v[35:36], 1.0, v[13:14]
	v_cmp_neq_f64_e64 s1, 0x7ff00000, v[13:14]
	v_frexp_mant_f64_e32 v[53:54], v[35:36]
	v_frexp_exp_i32_f64_e32 v59, v[35:36]
	v_add_f64_e32 v[57:58], -1.0, v[35:36]
	s_delay_alu instid0(VALU_DEP_3) | instskip(SKIP_1) | instid1(VALU_DEP_2)
	v_cmp_gt_f64_e32 vcc_lo, s[16:17], v[53:54]
	s_mov_b32 s16, 0x55555780
	v_add_f64_e64 v[53:54], v[57:58], -v[35:36]
	v_add_f64_e64 v[57:58], v[13:14], -v[57:58]
	s_wait_alu 0xfffd
	v_subrev_co_ci_u32_e64 v75, null, 0, v59, vcc_lo
	s_delay_alu instid0(VALU_DEP_3) | instskip(SKIP_1) | instid1(VALU_DEP_3)
	v_add_f64_e32 v[53:54], 1.0, v[53:54]
	v_cmp_nge_f64_e32 vcc_lo, -1.0, v[13:14]
	v_sub_nc_u32_e32 v61, 0, v75
	s_delay_alu instid0(VALU_DEP_1) | instskip(NEXT) | instid1(VALU_DEP_4)
	v_ldexp_f64 v[35:36], v[35:36], v61
	v_add_f64_e32 v[53:54], v[57:58], v[53:54]
	s_and_b32 vcc_lo, vcc_lo, s1
	s_delay_alu instid0(VALU_DEP_2) | instskip(SKIP_1) | instid1(VALU_DEP_3)
	v_add_f64_e32 v[59:60], 1.0, v[35:36]
	v_add_f64_e32 v[65:66], -1.0, v[35:36]
	v_ldexp_f64 v[53:54], v[53:54], v61
	s_delay_alu instid0(VALU_DEP_3) | instskip(NEXT) | instid1(VALU_DEP_3)
	v_add_f64_e32 v[57:58], -1.0, v[59:60]
	v_add_f64_e32 v[67:68], 1.0, v[65:66]
	s_delay_alu instid0(VALU_DEP_2) | instskip(NEXT) | instid1(VALU_DEP_2)
	v_add_f64_e64 v[57:58], v[35:36], -v[57:58]
	v_add_f64_e64 v[35:36], v[35:36], -v[67:68]
	s_delay_alu instid0(VALU_DEP_2) | instskip(NEXT) | instid1(VALU_DEP_2)
	v_add_f64_e32 v[57:58], v[53:54], v[57:58]
	v_add_f64_e32 v[35:36], v[53:54], v[35:36]
	s_delay_alu instid0(VALU_DEP_2) | instskip(NEXT) | instid1(VALU_DEP_2)
	v_add_f64_e32 v[61:62], v[59:60], v[57:58]
	v_add_f64_e32 v[67:68], v[65:66], v[35:36]
	s_delay_alu instid0(VALU_DEP_2) | instskip(SKIP_1) | instid1(VALU_DEP_2)
	v_rcp_f64_e32 v[63:64], v[61:62]
	v_add_f64_e64 v[59:60], v[61:62], -v[59:60]
	v_add_f64_e64 v[65:66], v[67:68], -v[65:66]
	s_delay_alu instid0(VALU_DEP_2) | instskip(SKIP_1) | instid1(TRANS32_DEP_1)
	v_add_f64_e64 v[57:58], v[57:58], -v[59:60]
	s_wait_dscnt 0x0
	v_fma_f64 v[69:70], -v[61:62], v[63:64], 1.0
	s_delay_alu instid0(VALU_DEP_3) | instskip(NEXT) | instid1(VALU_DEP_2)
	v_add_f64_e64 v[35:36], v[35:36], -v[65:66]
	v_fma_f64 v[63:64], v[69:70], v[63:64], v[63:64]
	s_delay_alu instid0(VALU_DEP_1) | instskip(NEXT) | instid1(VALU_DEP_1)
	v_fma_f64 v[53:54], -v[61:62], v[63:64], 1.0
	v_fma_f64 v[53:54], v[53:54], v[63:64], v[63:64]
	s_delay_alu instid0(VALU_DEP_1) | instskip(NEXT) | instid1(VALU_DEP_1)
	v_mul_f64_e32 v[63:64], v[67:68], v[53:54]
	v_mul_f64_e32 v[69:70], v[61:62], v[63:64]
	s_delay_alu instid0(VALU_DEP_1) | instskip(NEXT) | instid1(VALU_DEP_1)
	v_fma_f64 v[59:60], v[63:64], v[61:62], -v[69:70]
	v_fma_f64 v[59:60], v[63:64], v[57:58], v[59:60]
	s_delay_alu instid0(VALU_DEP_1) | instskip(NEXT) | instid1(VALU_DEP_1)
	v_add_f64_e32 v[71:72], v[69:70], v[59:60]
	v_add_f64_e64 v[73:74], v[67:68], -v[71:72]
	v_add_f64_e64 v[65:66], v[71:72], -v[69:70]
	s_delay_alu instid0(VALU_DEP_2) | instskip(NEXT) | instid1(VALU_DEP_2)
	v_add_f64_e64 v[67:68], v[67:68], -v[73:74]
	v_add_f64_e64 v[59:60], v[65:66], -v[59:60]
	s_delay_alu instid0(VALU_DEP_2) | instskip(NEXT) | instid1(VALU_DEP_1)
	v_add_f64_e64 v[67:68], v[67:68], -v[71:72]
	v_add_f64_e32 v[35:36], v[35:36], v[67:68]
	s_delay_alu instid0(VALU_DEP_1) | instskip(NEXT) | instid1(VALU_DEP_1)
	v_add_f64_e32 v[35:36], v[59:60], v[35:36]
	v_add_f64_e32 v[59:60], v[73:74], v[35:36]
	s_delay_alu instid0(VALU_DEP_1) | instskip(SKIP_1) | instid1(VALU_DEP_2)
	v_mul_f64_e32 v[65:66], v[53:54], v[59:60]
	v_add_f64_e64 v[71:72], v[73:74], -v[59:60]
	v_mul_f64_e32 v[67:68], v[61:62], v[65:66]
	s_delay_alu instid0(VALU_DEP_2) | instskip(NEXT) | instid1(VALU_DEP_2)
	v_add_f64_e32 v[35:36], v[35:36], v[71:72]
	v_fma_f64 v[61:62], v[65:66], v[61:62], -v[67:68]
	s_delay_alu instid0(VALU_DEP_1) | instskip(NEXT) | instid1(VALU_DEP_1)
	v_fma_f64 v[57:58], v[65:66], v[57:58], v[61:62]
	v_add_f64_e32 v[61:62], v[67:68], v[57:58]
	s_delay_alu instid0(VALU_DEP_1) | instskip(SKIP_1) | instid1(VALU_DEP_2)
	v_add_f64_e64 v[69:70], v[59:60], -v[61:62]
	v_add_f64_e64 v[67:68], v[61:62], -v[67:68]
	;; [unrolled: 1-line block ×3, first 2 shown]
	s_delay_alu instid0(VALU_DEP_2) | instskip(NEXT) | instid1(VALU_DEP_2)
	v_add_f64_e64 v[57:58], v[67:68], -v[57:58]
	v_add_f64_e64 v[59:60], v[59:60], -v[61:62]
	s_delay_alu instid0(VALU_DEP_1) | instskip(SKIP_1) | instid1(VALU_DEP_2)
	v_add_f64_e32 v[35:36], v[35:36], v[59:60]
	v_add_f64_e32 v[59:60], v[63:64], v[65:66]
	;; [unrolled: 1-line block ×3, first 2 shown]
	s_delay_alu instid0(VALU_DEP_2) | instskip(NEXT) | instid1(VALU_DEP_2)
	v_add_f64_e64 v[57:58], v[59:60], -v[63:64]
	v_add_f64_e32 v[35:36], v[69:70], v[35:36]
	s_delay_alu instid0(VALU_DEP_2) | instskip(NEXT) | instid1(VALU_DEP_2)
	v_add_f64_e64 v[57:58], v[65:66], -v[57:58]
	v_mul_f64_e32 v[35:36], v[53:54], v[35:36]
	s_delay_alu instid0(VALU_DEP_1) | instskip(NEXT) | instid1(VALU_DEP_1)
	v_add_f64_e32 v[35:36], v[57:58], v[35:36]
	v_add_f64_e32 v[53:54], v[59:60], v[35:36]
	s_delay_alu instid0(VALU_DEP_1) | instskip(NEXT) | instid1(VALU_DEP_1)
	v_mul_f64_e32 v[57:58], v[53:54], v[53:54]
	v_fma_f64 v[61:62], v[57:58], s[20:21], s[18:19]
	s_mov_b32 s18, 0xd7f4df2e
	s_mov_b32 s19, 0x3fc7474d
	v_mul_f64_e32 v[63:64], v[53:54], v[57:58]
	s_wait_alu 0xfffe
	s_delay_alu instid0(VALU_DEP_2) | instskip(SKIP_3) | instid1(VALU_DEP_1)
	v_fma_f64 v[61:62], v[57:58], v[61:62], s[18:19]
	s_mov_b32 s18, 0x16291751
	s_mov_b32 s19, 0x3fcc71c0
	s_wait_alu 0xfffe
	v_fma_f64 v[61:62], v[57:58], v[61:62], s[18:19]
	s_mov_b32 s18, 0x9b27acf1
	s_mov_b32 s19, 0x3fd24924
	s_wait_alu 0xfffe
	s_delay_alu instid0(VALU_DEP_1) | instskip(SKIP_3) | instid1(VALU_DEP_1)
	v_fma_f64 v[61:62], v[57:58], v[61:62], s[18:19]
	s_mov_b32 s18, 0x998ef7b6
	s_mov_b32 s19, 0x3fd99999
	s_wait_alu 0xfffe
	v_fma_f64 v[61:62], v[57:58], v[61:62], s[18:19]
	s_delay_alu instid0(VALU_DEP_1) | instskip(SKIP_2) | instid1(VALU_DEP_3)
	v_fma_f64 v[57:58], v[57:58], v[61:62], s[16:17]
	v_ldexp_f64 v[61:62], v[53:54], 1
	v_add_f64_e64 v[53:54], v[53:54], -v[59:60]
	v_mul_f64_e32 v[57:58], v[63:64], v[57:58]
	v_cvt_f64_i32_e32 v[63:64], v75
	s_delay_alu instid0(VALU_DEP_3) | instskip(NEXT) | instid1(VALU_DEP_3)
	v_add_f64_e64 v[35:36], v[35:36], -v[53:54]
	v_add_f64_e32 v[59:60], v[61:62], v[57:58]
	s_delay_alu instid0(VALU_DEP_3) | instskip(NEXT) | instid1(VALU_DEP_3)
	v_mul_f64_e32 v[65:66], s[2:3], v[63:64]
	v_ldexp_f64 v[35:36], v[35:36], 1
	s_delay_alu instid0(VALU_DEP_3) | instskip(NEXT) | instid1(VALU_DEP_3)
	v_add_f64_e64 v[53:54], v[59:60], -v[61:62]
	v_fma_f64 v[61:62], v[63:64], s[2:3], -v[65:66]
	v_cmp_ngt_f64_e64 s2, -1.0, v[13:14]
	s_delay_alu instid0(VALU_DEP_3) | instskip(NEXT) | instid1(VALU_DEP_3)
	v_add_f64_e64 v[53:54], v[57:58], -v[53:54]
	v_fma_f64 v[57:58], v[63:64], s[4:5], v[61:62]
	s_delay_alu instid0(VALU_DEP_2) | instskip(NEXT) | instid1(VALU_DEP_2)
	v_add_f64_e32 v[35:36], v[35:36], v[53:54]
	v_add_f64_e32 v[53:54], v[65:66], v[57:58]
	s_delay_alu instid0(VALU_DEP_2) | instskip(NEXT) | instid1(VALU_DEP_2)
	v_add_f64_e32 v[61:62], v[59:60], v[35:36]
	v_add_f64_e64 v[65:66], v[53:54], -v[65:66]
	s_delay_alu instid0(VALU_DEP_2) | instskip(SKIP_1) | instid1(VALU_DEP_3)
	v_add_f64_e32 v[63:64], v[53:54], v[61:62]
	v_add_f64_e64 v[59:60], v[61:62], -v[59:60]
	v_add_f64_e64 v[57:58], v[57:58], -v[65:66]
	s_delay_alu instid0(VALU_DEP_3) | instskip(NEXT) | instid1(VALU_DEP_3)
	v_add_f64_e64 v[67:68], v[63:64], -v[53:54]
	v_add_f64_e64 v[35:36], v[35:36], -v[59:60]
	s_delay_alu instid0(VALU_DEP_2) | instskip(SKIP_1) | instid1(VALU_DEP_3)
	v_add_f64_e64 v[69:70], v[63:64], -v[67:68]
	v_add_f64_e64 v[59:60], v[61:62], -v[67:68]
	v_add_f64_e32 v[61:62], v[57:58], v[35:36]
	s_delay_alu instid0(VALU_DEP_3) | instskip(NEXT) | instid1(VALU_DEP_1)
	v_add_f64_e64 v[53:54], v[53:54], -v[69:70]
	v_add_f64_e32 v[53:54], v[59:60], v[53:54]
	s_delay_alu instid0(VALU_DEP_3) | instskip(NEXT) | instid1(VALU_DEP_2)
	v_add_f64_e64 v[59:60], v[61:62], -v[57:58]
	v_add_f64_e32 v[53:54], v[61:62], v[53:54]
	s_delay_alu instid0(VALU_DEP_2) | instskip(SKIP_1) | instid1(VALU_DEP_3)
	v_add_f64_e64 v[61:62], v[61:62], -v[59:60]
	v_add_f64_e64 v[35:36], v[35:36], -v[59:60]
	v_add_f64_e32 v[65:66], v[63:64], v[53:54]
	s_delay_alu instid0(VALU_DEP_3) | instskip(NEXT) | instid1(VALU_DEP_2)
	v_add_f64_e64 v[57:58], v[57:58], -v[61:62]
	v_add_f64_e64 v[59:60], v[65:66], -v[63:64]
	s_delay_alu instid0(VALU_DEP_2) | instskip(NEXT) | instid1(VALU_DEP_2)
	v_add_f64_e32 v[35:36], v[35:36], v[57:58]
	v_add_f64_e64 v[53:54], v[53:54], -v[59:60]
	s_delay_alu instid0(VALU_DEP_1) | instskip(NEXT) | instid1(VALU_DEP_1)
	v_add_f64_e32 v[35:36], v[35:36], v[53:54]
	v_add_f64_e32 v[35:36], v[65:66], v[35:36]
	s_delay_alu instid0(VALU_DEP_1) | instskip(SKIP_1) | instid1(VALU_DEP_3)
	v_cndmask_b32_e32 v35, 0, v35, vcc_lo
	v_cmp_neq_f64_e32 vcc_lo, -1.0, v[13:14]
	v_cndmask_b32_e64 v36, 0x7ff00000, v36, s1
	s_wait_alu 0xf1ff
	s_delay_alu instid0(VALU_DEP_1) | instskip(SKIP_1) | instid1(VALU_DEP_1)
	v_cndmask_b32_e64 v36, 0x7ff80000, v36, s2
	s_wait_alu 0xfffd
	v_cndmask_b32_e32 v36, 0xfff00000, v36, vcc_lo
	s_delay_alu instid0(VALU_DEP_1)
	v_add_f64_e32 v[13:14], v[33:34], v[35:36]
.LBB71_286:
	s_wait_alu 0xfffe
	s_or_b32 exec_lo, exec_lo, s6
	s_delay_alu instid0(VALU_DEP_1) | instskip(SKIP_1) | instid1(VALU_DEP_2)
	v_max_num_f64_e32 v[33:34], v[13:14], v[13:14]
	v_cmp_u_f64_e32 vcc_lo, v[13:14], v[13:14]
	v_min_num_f64_e32 v[35:36], v[33:34], v[15:16]
	v_max_num_f64_e32 v[15:16], v[33:34], v[15:16]
	s_wait_alu 0xfffd
	s_delay_alu instid0(VALU_DEP_2) | instskip(NEXT) | instid1(VALU_DEP_2)
	v_dual_cndmask_b32 v33, v35, v13 :: v_dual_cndmask_b32 v34, v36, v14
	v_dual_cndmask_b32 v16, v16, v14 :: v_dual_cndmask_b32 v15, v15, v13
	s_delay_alu instid0(VALU_DEP_2) | instskip(NEXT) | instid1(VALU_DEP_3)
	v_cndmask_b32_e64 v35, v33, v55, s7
	v_cndmask_b32_e64 v36, v34, v56, s7
	s_delay_alu instid0(VALU_DEP_3) | instskip(NEXT) | instid1(VALU_DEP_4)
	v_cndmask_b32_e64 v34, v16, v56, s7
	v_cndmask_b32_e64 v33, v15, v55, s7
	v_dual_mov_b32 v16, v14 :: v_dual_mov_b32 v15, v13
	s_delay_alu instid0(VALU_DEP_4) | instskip(NEXT) | instid1(VALU_DEP_3)
	v_cmp_class_f64_e64 s1, v[35:36], 0x1f8
	v_cmp_neq_f64_e32 vcc_lo, v[35:36], v[33:34]
	s_or_b32 s1, vcc_lo, s1
	s_wait_alu 0xfffe
	s_and_saveexec_b32 s16, s1
	s_cbranch_execz .LBB71_288
; %bb.287:
	v_add_f64_e64 v[15:16], v[35:36], -v[33:34]
	s_mov_b32 s2, 0x652b82fe
	s_mov_b32 s3, 0x3ff71547
	;; [unrolled: 1-line block ×10, first 2 shown]
	s_wait_alu 0xfffe
	s_delay_alu instid0(VALU_DEP_1) | instskip(SKIP_4) | instid1(VALU_DEP_3)
	v_mul_f64_e32 v[35:36], s[2:3], v[15:16]
	s_mov_b32 s3, 0xbfe62e42
	s_mov_b32 s2, 0xfefa39ef
	v_cmp_nlt_f64_e32 vcc_lo, 0x40900000, v[15:16]
	v_cmp_ngt_f64_e64 s1, 0xc090cc00, v[15:16]
	v_rndne_f64_e32 v[35:36], v[35:36]
	s_wait_alu 0xfffe
	s_delay_alu instid0(VALU_DEP_1) | instskip(SKIP_2) | instid1(VALU_DEP_2)
	v_fma_f64 v[53:54], v[35:36], s[2:3], v[15:16]
	v_cvt_i32_f64_e32 v57, v[35:36]
	s_mov_b32 s3, 0x3fe62e42
	v_fma_f64 v[53:54], v[35:36], s[4:5], v[53:54]
	s_mov_b32 s5, 0x3c7abc9e
	s_delay_alu instid0(VALU_DEP_1)
	v_fma_f64 v[55:56], v[53:54], s[18:19], s[6:7]
	s_mov_b32 s6, 0x623fde64
	s_mov_b32 s7, 0x3ec71dee
	;; [unrolled: 1-line block ×4, first 2 shown]
	s_wait_alu 0xfffe
	s_delay_alu instid0(VALU_DEP_1) | instskip(SKIP_3) | instid1(VALU_DEP_1)
	v_fma_f64 v[55:56], v[53:54], v[55:56], s[6:7]
	s_mov_b32 s6, 0x7c89e6b0
	s_mov_b32 s7, 0x3efa0199
	s_wait_alu 0xfffe
	v_fma_f64 v[55:56], v[53:54], v[55:56], s[6:7]
	s_mov_b32 s6, 0x14761f6e
	s_mov_b32 s7, 0x3f2a01a0
	s_wait_alu 0xfffe
	s_delay_alu instid0(VALU_DEP_1) | instskip(SKIP_3) | instid1(VALU_DEP_1)
	v_fma_f64 v[55:56], v[53:54], v[55:56], s[6:7]
	s_mov_b32 s6, 0x1852b7b0
	s_mov_b32 s7, 0x3f56c16c
	s_wait_alu 0xfffe
	v_fma_f64 v[55:56], v[53:54], v[55:56], s[6:7]
	s_mov_b32 s6, 0x11122322
	s_mov_b32 s7, 0x3f811111
	s_wait_alu 0xfffe
	s_delay_alu instid0(VALU_DEP_1) | instskip(SKIP_3) | instid1(VALU_DEP_1)
	v_fma_f64 v[55:56], v[53:54], v[55:56], s[6:7]
	s_mov_b32 s6, 0x555502a1
	s_mov_b32 s7, 0x3fa55555
	s_wait_alu 0xfffe
	v_fma_f64 v[55:56], v[53:54], v[55:56], s[6:7]
	s_mov_b32 s6, 0x55555511
	s_mov_b32 s7, 0x3fc55555
	s_wait_alu 0xfffe
	s_delay_alu instid0(VALU_DEP_1) | instskip(SKIP_3) | instid1(VALU_DEP_1)
	v_fma_f64 v[55:56], v[53:54], v[55:56], s[6:7]
	s_mov_b32 s6, 11
	s_mov_b32 s7, 0x3fe00000
	s_wait_alu 0xfffe
	v_fma_f64 v[55:56], v[53:54], v[55:56], s[6:7]
	s_mov_b32 s7, 0x3fe55555
	s_mov_b32 s6, 0x55555555
	s_delay_alu instid0(VALU_DEP_1) | instskip(NEXT) | instid1(VALU_DEP_1)
	v_fma_f64 v[55:56], v[53:54], v[55:56], 1.0
	v_fma_f64 v[35:36], v[53:54], v[55:56], 1.0
	s_delay_alu instid0(VALU_DEP_1) | instskip(SKIP_1) | instid1(VALU_DEP_1)
	v_ldexp_f64 v[35:36], v[35:36], v57
	s_wait_alu 0xfffd
	v_cndmask_b32_e32 v36, 0x7ff00000, v36, vcc_lo
	s_and_b32 vcc_lo, s1, vcc_lo
	s_wait_alu 0xfffe
	s_delay_alu instid0(VALU_DEP_2) | instskip(NEXT) | instid1(VALU_DEP_2)
	v_cndmask_b32_e32 v15, 0, v35, vcc_lo
	v_cndmask_b32_e64 v16, 0, v36, s1
	s_delay_alu instid0(VALU_DEP_1) | instskip(SKIP_1) | instid1(VALU_DEP_2)
	v_add_f64_e32 v[35:36], 1.0, v[15:16]
	v_cmp_neq_f64_e64 s1, 0x7ff00000, v[15:16]
	v_frexp_mant_f64_e32 v[53:54], v[35:36]
	v_frexp_exp_i32_f64_e32 v57, v[35:36]
	v_add_f64_e32 v[55:56], -1.0, v[35:36]
	s_delay_alu instid0(VALU_DEP_3) | instskip(SKIP_1) | instid1(VALU_DEP_2)
	v_cmp_gt_f64_e32 vcc_lo, s[6:7], v[53:54]
	s_mov_b32 s6, 0x55555780
	v_add_f64_e64 v[53:54], v[55:56], -v[35:36]
	v_add_f64_e64 v[55:56], v[15:16], -v[55:56]
	s_wait_alu 0xfffd
	v_subrev_co_ci_u32_e64 v73, null, 0, v57, vcc_lo
	s_delay_alu instid0(VALU_DEP_3) | instskip(SKIP_1) | instid1(VALU_DEP_3)
	v_add_f64_e32 v[53:54], 1.0, v[53:54]
	v_cmp_nge_f64_e32 vcc_lo, -1.0, v[15:16]
	v_sub_nc_u32_e32 v59, 0, v73
	s_delay_alu instid0(VALU_DEP_1) | instskip(NEXT) | instid1(VALU_DEP_4)
	v_ldexp_f64 v[35:36], v[35:36], v59
	v_add_f64_e32 v[53:54], v[55:56], v[53:54]
	s_and_b32 vcc_lo, vcc_lo, s1
	s_delay_alu instid0(VALU_DEP_2) | instskip(SKIP_1) | instid1(VALU_DEP_3)
	v_add_f64_e32 v[57:58], 1.0, v[35:36]
	v_add_f64_e32 v[63:64], -1.0, v[35:36]
	v_ldexp_f64 v[53:54], v[53:54], v59
	s_delay_alu instid0(VALU_DEP_3) | instskip(NEXT) | instid1(VALU_DEP_3)
	v_add_f64_e32 v[55:56], -1.0, v[57:58]
	v_add_f64_e32 v[65:66], 1.0, v[63:64]
	s_delay_alu instid0(VALU_DEP_2) | instskip(NEXT) | instid1(VALU_DEP_2)
	v_add_f64_e64 v[55:56], v[35:36], -v[55:56]
	v_add_f64_e64 v[35:36], v[35:36], -v[65:66]
	s_delay_alu instid0(VALU_DEP_2) | instskip(NEXT) | instid1(VALU_DEP_2)
	v_add_f64_e32 v[55:56], v[53:54], v[55:56]
	v_add_f64_e32 v[35:36], v[53:54], v[35:36]
	s_delay_alu instid0(VALU_DEP_2) | instskip(NEXT) | instid1(VALU_DEP_2)
	v_add_f64_e32 v[59:60], v[57:58], v[55:56]
	v_add_f64_e32 v[65:66], v[63:64], v[35:36]
	s_delay_alu instid0(VALU_DEP_2) | instskip(SKIP_1) | instid1(VALU_DEP_2)
	v_rcp_f64_e32 v[61:62], v[59:60]
	v_add_f64_e64 v[57:58], v[59:60], -v[57:58]
	v_add_f64_e64 v[63:64], v[65:66], -v[63:64]
	s_delay_alu instid0(VALU_DEP_2) | instskip(NEXT) | instid1(TRANS32_DEP_1)
	v_add_f64_e64 v[55:56], v[55:56], -v[57:58]
	v_fma_f64 v[67:68], -v[59:60], v[61:62], 1.0
	s_delay_alu instid0(VALU_DEP_3) | instskip(NEXT) | instid1(VALU_DEP_2)
	v_add_f64_e64 v[35:36], v[35:36], -v[63:64]
	v_fma_f64 v[61:62], v[67:68], v[61:62], v[61:62]
	s_delay_alu instid0(VALU_DEP_1) | instskip(NEXT) | instid1(VALU_DEP_1)
	v_fma_f64 v[53:54], -v[59:60], v[61:62], 1.0
	v_fma_f64 v[53:54], v[53:54], v[61:62], v[61:62]
	s_delay_alu instid0(VALU_DEP_1) | instskip(NEXT) | instid1(VALU_DEP_1)
	v_mul_f64_e32 v[61:62], v[65:66], v[53:54]
	v_mul_f64_e32 v[67:68], v[59:60], v[61:62]
	s_delay_alu instid0(VALU_DEP_1) | instskip(NEXT) | instid1(VALU_DEP_1)
	v_fma_f64 v[57:58], v[61:62], v[59:60], -v[67:68]
	v_fma_f64 v[57:58], v[61:62], v[55:56], v[57:58]
	s_wait_dscnt 0x0
	s_delay_alu instid0(VALU_DEP_1) | instskip(NEXT) | instid1(VALU_DEP_1)
	v_add_f64_e32 v[69:70], v[67:68], v[57:58]
	v_add_f64_e64 v[71:72], v[65:66], -v[69:70]
	v_add_f64_e64 v[63:64], v[69:70], -v[67:68]
	s_delay_alu instid0(VALU_DEP_2) | instskip(NEXT) | instid1(VALU_DEP_2)
	v_add_f64_e64 v[65:66], v[65:66], -v[71:72]
	v_add_f64_e64 v[57:58], v[63:64], -v[57:58]
	s_delay_alu instid0(VALU_DEP_2) | instskip(NEXT) | instid1(VALU_DEP_1)
	v_add_f64_e64 v[65:66], v[65:66], -v[69:70]
	v_add_f64_e32 v[35:36], v[35:36], v[65:66]
	s_delay_alu instid0(VALU_DEP_1) | instskip(NEXT) | instid1(VALU_DEP_1)
	v_add_f64_e32 v[35:36], v[57:58], v[35:36]
	v_add_f64_e32 v[57:58], v[71:72], v[35:36]
	s_delay_alu instid0(VALU_DEP_1) | instskip(SKIP_1) | instid1(VALU_DEP_2)
	v_mul_f64_e32 v[63:64], v[53:54], v[57:58]
	v_add_f64_e64 v[69:70], v[71:72], -v[57:58]
	v_mul_f64_e32 v[65:66], v[59:60], v[63:64]
	s_delay_alu instid0(VALU_DEP_2) | instskip(NEXT) | instid1(VALU_DEP_2)
	v_add_f64_e32 v[35:36], v[35:36], v[69:70]
	v_fma_f64 v[59:60], v[63:64], v[59:60], -v[65:66]
	s_delay_alu instid0(VALU_DEP_1) | instskip(NEXT) | instid1(VALU_DEP_1)
	v_fma_f64 v[55:56], v[63:64], v[55:56], v[59:60]
	v_add_f64_e32 v[59:60], v[65:66], v[55:56]
	s_delay_alu instid0(VALU_DEP_1) | instskip(SKIP_1) | instid1(VALU_DEP_2)
	v_add_f64_e64 v[67:68], v[57:58], -v[59:60]
	v_add_f64_e64 v[65:66], v[59:60], -v[65:66]
	;; [unrolled: 1-line block ×3, first 2 shown]
	s_delay_alu instid0(VALU_DEP_2) | instskip(NEXT) | instid1(VALU_DEP_2)
	v_add_f64_e64 v[55:56], v[65:66], -v[55:56]
	v_add_f64_e64 v[57:58], v[57:58], -v[59:60]
	s_delay_alu instid0(VALU_DEP_1) | instskip(SKIP_1) | instid1(VALU_DEP_2)
	v_add_f64_e32 v[35:36], v[35:36], v[57:58]
	v_add_f64_e32 v[57:58], v[61:62], v[63:64]
	;; [unrolled: 1-line block ×3, first 2 shown]
	s_delay_alu instid0(VALU_DEP_2) | instskip(NEXT) | instid1(VALU_DEP_2)
	v_add_f64_e64 v[55:56], v[57:58], -v[61:62]
	v_add_f64_e32 v[35:36], v[67:68], v[35:36]
	s_delay_alu instid0(VALU_DEP_2) | instskip(NEXT) | instid1(VALU_DEP_2)
	v_add_f64_e64 v[55:56], v[63:64], -v[55:56]
	v_mul_f64_e32 v[35:36], v[53:54], v[35:36]
	s_delay_alu instid0(VALU_DEP_1) | instskip(NEXT) | instid1(VALU_DEP_1)
	v_add_f64_e32 v[35:36], v[55:56], v[35:36]
	v_add_f64_e32 v[53:54], v[57:58], v[35:36]
	s_delay_alu instid0(VALU_DEP_1) | instskip(NEXT) | instid1(VALU_DEP_1)
	v_mul_f64_e32 v[55:56], v[53:54], v[53:54]
	v_fma_f64 v[59:60], v[55:56], s[20:21], s[18:19]
	s_mov_b32 s18, 0xd7f4df2e
	s_mov_b32 s19, 0x3fc7474d
	v_mul_f64_e32 v[61:62], v[53:54], v[55:56]
	s_wait_alu 0xfffe
	s_delay_alu instid0(VALU_DEP_2) | instskip(SKIP_3) | instid1(VALU_DEP_1)
	v_fma_f64 v[59:60], v[55:56], v[59:60], s[18:19]
	s_mov_b32 s18, 0x16291751
	s_mov_b32 s19, 0x3fcc71c0
	s_wait_alu 0xfffe
	v_fma_f64 v[59:60], v[55:56], v[59:60], s[18:19]
	s_mov_b32 s18, 0x9b27acf1
	s_mov_b32 s19, 0x3fd24924
	s_wait_alu 0xfffe
	s_delay_alu instid0(VALU_DEP_1) | instskip(SKIP_3) | instid1(VALU_DEP_1)
	v_fma_f64 v[59:60], v[55:56], v[59:60], s[18:19]
	s_mov_b32 s18, 0x998ef7b6
	s_mov_b32 s19, 0x3fd99999
	s_wait_alu 0xfffe
	v_fma_f64 v[59:60], v[55:56], v[59:60], s[18:19]
	s_delay_alu instid0(VALU_DEP_1) | instskip(SKIP_2) | instid1(VALU_DEP_3)
	v_fma_f64 v[55:56], v[55:56], v[59:60], s[6:7]
	v_ldexp_f64 v[59:60], v[53:54], 1
	v_add_f64_e64 v[53:54], v[53:54], -v[57:58]
	v_mul_f64_e32 v[55:56], v[61:62], v[55:56]
	v_cvt_f64_i32_e32 v[61:62], v73
	s_delay_alu instid0(VALU_DEP_3) | instskip(NEXT) | instid1(VALU_DEP_3)
	v_add_f64_e64 v[35:36], v[35:36], -v[53:54]
	v_add_f64_e32 v[57:58], v[59:60], v[55:56]
	s_delay_alu instid0(VALU_DEP_3) | instskip(NEXT) | instid1(VALU_DEP_3)
	v_mul_f64_e32 v[63:64], s[2:3], v[61:62]
	v_ldexp_f64 v[35:36], v[35:36], 1
	s_delay_alu instid0(VALU_DEP_3) | instskip(NEXT) | instid1(VALU_DEP_3)
	v_add_f64_e64 v[53:54], v[57:58], -v[59:60]
	v_fma_f64 v[59:60], v[61:62], s[2:3], -v[63:64]
	v_cmp_ngt_f64_e64 s2, -1.0, v[15:16]
	s_delay_alu instid0(VALU_DEP_3) | instskip(NEXT) | instid1(VALU_DEP_3)
	v_add_f64_e64 v[53:54], v[55:56], -v[53:54]
	v_fma_f64 v[55:56], v[61:62], s[4:5], v[59:60]
	s_delay_alu instid0(VALU_DEP_2) | instskip(NEXT) | instid1(VALU_DEP_2)
	v_add_f64_e32 v[35:36], v[35:36], v[53:54]
	v_add_f64_e32 v[53:54], v[63:64], v[55:56]
	s_delay_alu instid0(VALU_DEP_2) | instskip(NEXT) | instid1(VALU_DEP_2)
	v_add_f64_e32 v[59:60], v[57:58], v[35:36]
	v_add_f64_e64 v[63:64], v[53:54], -v[63:64]
	s_delay_alu instid0(VALU_DEP_2) | instskip(SKIP_1) | instid1(VALU_DEP_3)
	v_add_f64_e32 v[61:62], v[53:54], v[59:60]
	v_add_f64_e64 v[57:58], v[59:60], -v[57:58]
	v_add_f64_e64 v[55:56], v[55:56], -v[63:64]
	s_delay_alu instid0(VALU_DEP_3) | instskip(NEXT) | instid1(VALU_DEP_3)
	v_add_f64_e64 v[65:66], v[61:62], -v[53:54]
	v_add_f64_e64 v[35:36], v[35:36], -v[57:58]
	s_delay_alu instid0(VALU_DEP_2) | instskip(SKIP_1) | instid1(VALU_DEP_3)
	v_add_f64_e64 v[67:68], v[61:62], -v[65:66]
	v_add_f64_e64 v[57:58], v[59:60], -v[65:66]
	v_add_f64_e32 v[59:60], v[55:56], v[35:36]
	s_delay_alu instid0(VALU_DEP_3) | instskip(NEXT) | instid1(VALU_DEP_1)
	v_add_f64_e64 v[53:54], v[53:54], -v[67:68]
	v_add_f64_e32 v[53:54], v[57:58], v[53:54]
	s_delay_alu instid0(VALU_DEP_3) | instskip(NEXT) | instid1(VALU_DEP_2)
	v_add_f64_e64 v[57:58], v[59:60], -v[55:56]
	v_add_f64_e32 v[53:54], v[59:60], v[53:54]
	s_delay_alu instid0(VALU_DEP_2) | instskip(SKIP_1) | instid1(VALU_DEP_3)
	v_add_f64_e64 v[59:60], v[59:60], -v[57:58]
	v_add_f64_e64 v[35:36], v[35:36], -v[57:58]
	v_add_f64_e32 v[63:64], v[61:62], v[53:54]
	s_delay_alu instid0(VALU_DEP_3) | instskip(NEXT) | instid1(VALU_DEP_2)
	v_add_f64_e64 v[55:56], v[55:56], -v[59:60]
	v_add_f64_e64 v[57:58], v[63:64], -v[61:62]
	s_delay_alu instid0(VALU_DEP_2) | instskip(NEXT) | instid1(VALU_DEP_2)
	v_add_f64_e32 v[35:36], v[35:36], v[55:56]
	v_add_f64_e64 v[53:54], v[53:54], -v[57:58]
	s_delay_alu instid0(VALU_DEP_1) | instskip(NEXT) | instid1(VALU_DEP_1)
	v_add_f64_e32 v[35:36], v[35:36], v[53:54]
	v_add_f64_e32 v[35:36], v[63:64], v[35:36]
	s_delay_alu instid0(VALU_DEP_1) | instskip(SKIP_1) | instid1(VALU_DEP_3)
	v_cndmask_b32_e32 v35, 0, v35, vcc_lo
	v_cmp_neq_f64_e32 vcc_lo, -1.0, v[15:16]
	v_cndmask_b32_e64 v36, 0x7ff00000, v36, s1
	s_wait_alu 0xf1ff
	s_delay_alu instid0(VALU_DEP_1) | instskip(SKIP_1) | instid1(VALU_DEP_1)
	v_cndmask_b32_e64 v36, 0x7ff80000, v36, s2
	s_wait_alu 0xfffd
	v_cndmask_b32_e32 v36, 0xfff00000, v36, vcc_lo
	s_delay_alu instid0(VALU_DEP_1)
	v_add_f64_e32 v[15:16], v[33:34], v[35:36]
.LBB71_288:
	s_wait_alu 0xfffe
	s_or_b32 exec_lo, exec_lo, s16
	s_delay_alu instid0(VALU_DEP_1) | instskip(SKIP_1) | instid1(VALU_DEP_2)
	v_max_num_f64_e32 v[33:34], v[15:16], v[15:16]
	v_cmp_u_f64_e32 vcc_lo, v[15:16], v[15:16]
	v_min_num_f64_e32 v[35:36], v[33:34], v[17:18]
	v_max_num_f64_e32 v[17:18], v[33:34], v[17:18]
	s_wait_alu 0xfffd
	s_delay_alu instid0(VALU_DEP_2) | instskip(NEXT) | instid1(VALU_DEP_2)
	v_dual_cndmask_b32 v33, v35, v15 :: v_dual_cndmask_b32 v34, v36, v16
	v_dual_cndmask_b32 v18, v18, v16 :: v_dual_cndmask_b32 v17, v17, v15
	s_delay_alu instid0(VALU_DEP_2) | instskip(NEXT) | instid1(VALU_DEP_3)
	v_cndmask_b32_e64 v35, v33, v49, s8
	v_cndmask_b32_e64 v36, v34, v50, s8
	s_delay_alu instid0(VALU_DEP_3) | instskip(NEXT) | instid1(VALU_DEP_4)
	v_cndmask_b32_e64 v34, v18, v50, s8
	v_cndmask_b32_e64 v33, v17, v49, s8
	v_dual_mov_b32 v18, v16 :: v_dual_mov_b32 v17, v15
	s_delay_alu instid0(VALU_DEP_4) | instskip(NEXT) | instid1(VALU_DEP_3)
	v_cmp_class_f64_e64 s1, v[35:36], 0x1f8
	v_cmp_neq_f64_e32 vcc_lo, v[35:36], v[33:34]
	s_or_b32 s1, vcc_lo, s1
	s_wait_alu 0xfffe
	s_and_saveexec_b32 s8, s1
	s_cbranch_execz .LBB71_290
; %bb.289:
	v_add_f64_e64 v[17:18], v[35:36], -v[33:34]
	s_mov_b32 s2, 0x652b82fe
	s_mov_b32 s3, 0x3ff71547
	;; [unrolled: 1-line block ×10, first 2 shown]
	s_wait_alu 0xfffe
	s_delay_alu instid0(VALU_DEP_1) | instskip(SKIP_4) | instid1(VALU_DEP_3)
	v_mul_f64_e32 v[35:36], s[2:3], v[17:18]
	s_mov_b32 s3, 0xbfe62e42
	s_mov_b32 s2, 0xfefa39ef
	v_cmp_nlt_f64_e32 vcc_lo, 0x40900000, v[17:18]
	v_cmp_ngt_f64_e64 s1, 0xc090cc00, v[17:18]
	v_rndne_f64_e32 v[35:36], v[35:36]
	s_wait_alu 0xfffe
	s_delay_alu instid0(VALU_DEP_1) | instskip(SKIP_2) | instid1(VALU_DEP_2)
	v_fma_f64 v[49:50], v[35:36], s[2:3], v[17:18]
	v_cvt_i32_f64_e32 v55, v[35:36]
	s_mov_b32 s3, 0x3fe62e42
	v_fma_f64 v[49:50], v[35:36], s[4:5], v[49:50]
	s_mov_b32 s5, 0x3c7abc9e
	s_delay_alu instid0(VALU_DEP_1)
	v_fma_f64 v[53:54], v[49:50], s[16:17], s[6:7]
	s_mov_b32 s6, 0x623fde64
	s_mov_b32 s7, 0x3ec71dee
	;; [unrolled: 1-line block ×4, first 2 shown]
	s_wait_alu 0xfffe
	s_delay_alu instid0(VALU_DEP_1) | instskip(SKIP_3) | instid1(VALU_DEP_1)
	v_fma_f64 v[53:54], v[49:50], v[53:54], s[6:7]
	s_mov_b32 s6, 0x7c89e6b0
	s_mov_b32 s7, 0x3efa0199
	s_wait_alu 0xfffe
	v_fma_f64 v[53:54], v[49:50], v[53:54], s[6:7]
	s_mov_b32 s6, 0x14761f6e
	s_mov_b32 s7, 0x3f2a01a0
	s_wait_alu 0xfffe
	s_delay_alu instid0(VALU_DEP_1) | instskip(SKIP_3) | instid1(VALU_DEP_1)
	v_fma_f64 v[53:54], v[49:50], v[53:54], s[6:7]
	s_mov_b32 s6, 0x1852b7b0
	s_mov_b32 s7, 0x3f56c16c
	s_wait_alu 0xfffe
	v_fma_f64 v[53:54], v[49:50], v[53:54], s[6:7]
	s_mov_b32 s6, 0x11122322
	s_mov_b32 s7, 0x3f811111
	;; [unrolled: 9-line block ×4, first 2 shown]
	s_delay_alu instid0(VALU_DEP_1) | instskip(NEXT) | instid1(VALU_DEP_1)
	v_fma_f64 v[53:54], v[49:50], v[53:54], 1.0
	v_fma_f64 v[35:36], v[49:50], v[53:54], 1.0
	s_delay_alu instid0(VALU_DEP_1) | instskip(SKIP_1) | instid1(VALU_DEP_1)
	v_ldexp_f64 v[35:36], v[35:36], v55
	s_wait_alu 0xfffd
	v_cndmask_b32_e32 v36, 0x7ff00000, v36, vcc_lo
	s_and_b32 vcc_lo, s1, vcc_lo
	s_wait_alu 0xfffe
	s_delay_alu instid0(VALU_DEP_2) | instskip(NEXT) | instid1(VALU_DEP_2)
	v_cndmask_b32_e32 v17, 0, v35, vcc_lo
	v_cndmask_b32_e64 v18, 0, v36, s1
	s_delay_alu instid0(VALU_DEP_1) | instskip(SKIP_1) | instid1(VALU_DEP_2)
	v_add_f64_e32 v[35:36], 1.0, v[17:18]
	v_cmp_neq_f64_e64 s1, 0x7ff00000, v[17:18]
	v_frexp_mant_f64_e32 v[49:50], v[35:36]
	v_frexp_exp_i32_f64_e32 v55, v[35:36]
	v_add_f64_e32 v[53:54], -1.0, v[35:36]
	s_delay_alu instid0(VALU_DEP_3) | instskip(SKIP_1) | instid1(VALU_DEP_2)
	v_cmp_gt_f64_e32 vcc_lo, s[6:7], v[49:50]
	s_mov_b32 s6, 0x55555780
	v_add_f64_e64 v[49:50], v[53:54], -v[35:36]
	v_add_f64_e64 v[53:54], v[17:18], -v[53:54]
	s_wait_alu 0xfffd
	v_subrev_co_ci_u32_e64 v71, null, 0, v55, vcc_lo
	s_delay_alu instid0(VALU_DEP_3) | instskip(SKIP_1) | instid1(VALU_DEP_3)
	v_add_f64_e32 v[49:50], 1.0, v[49:50]
	v_cmp_nge_f64_e32 vcc_lo, -1.0, v[17:18]
	v_sub_nc_u32_e32 v57, 0, v71
	s_delay_alu instid0(VALU_DEP_1) | instskip(NEXT) | instid1(VALU_DEP_4)
	v_ldexp_f64 v[35:36], v[35:36], v57
	v_add_f64_e32 v[49:50], v[53:54], v[49:50]
	s_and_b32 vcc_lo, vcc_lo, s1
	s_delay_alu instid0(VALU_DEP_2) | instskip(SKIP_1) | instid1(VALU_DEP_3)
	v_add_f64_e32 v[55:56], 1.0, v[35:36]
	v_add_f64_e32 v[61:62], -1.0, v[35:36]
	v_ldexp_f64 v[49:50], v[49:50], v57
	s_delay_alu instid0(VALU_DEP_3) | instskip(NEXT) | instid1(VALU_DEP_3)
	v_add_f64_e32 v[53:54], -1.0, v[55:56]
	v_add_f64_e32 v[63:64], 1.0, v[61:62]
	s_delay_alu instid0(VALU_DEP_2) | instskip(NEXT) | instid1(VALU_DEP_2)
	v_add_f64_e64 v[53:54], v[35:36], -v[53:54]
	v_add_f64_e64 v[35:36], v[35:36], -v[63:64]
	s_delay_alu instid0(VALU_DEP_2) | instskip(NEXT) | instid1(VALU_DEP_2)
	v_add_f64_e32 v[53:54], v[49:50], v[53:54]
	v_add_f64_e32 v[35:36], v[49:50], v[35:36]
	s_delay_alu instid0(VALU_DEP_2) | instskip(NEXT) | instid1(VALU_DEP_2)
	v_add_f64_e32 v[57:58], v[55:56], v[53:54]
	v_add_f64_e32 v[63:64], v[61:62], v[35:36]
	s_delay_alu instid0(VALU_DEP_2) | instskip(SKIP_1) | instid1(VALU_DEP_2)
	v_rcp_f64_e32 v[59:60], v[57:58]
	v_add_f64_e64 v[55:56], v[57:58], -v[55:56]
	v_add_f64_e64 v[61:62], v[63:64], -v[61:62]
	s_delay_alu instid0(VALU_DEP_2) | instskip(NEXT) | instid1(TRANS32_DEP_1)
	v_add_f64_e64 v[53:54], v[53:54], -v[55:56]
	v_fma_f64 v[65:66], -v[57:58], v[59:60], 1.0
	s_delay_alu instid0(VALU_DEP_3) | instskip(NEXT) | instid1(VALU_DEP_2)
	v_add_f64_e64 v[35:36], v[35:36], -v[61:62]
	v_fma_f64 v[59:60], v[65:66], v[59:60], v[59:60]
	s_delay_alu instid0(VALU_DEP_1) | instskip(NEXT) | instid1(VALU_DEP_1)
	v_fma_f64 v[49:50], -v[57:58], v[59:60], 1.0
	v_fma_f64 v[49:50], v[49:50], v[59:60], v[59:60]
	s_delay_alu instid0(VALU_DEP_1) | instskip(NEXT) | instid1(VALU_DEP_1)
	v_mul_f64_e32 v[59:60], v[63:64], v[49:50]
	v_mul_f64_e32 v[65:66], v[57:58], v[59:60]
	s_delay_alu instid0(VALU_DEP_1) | instskip(NEXT) | instid1(VALU_DEP_1)
	v_fma_f64 v[55:56], v[59:60], v[57:58], -v[65:66]
	v_fma_f64 v[55:56], v[59:60], v[53:54], v[55:56]
	s_delay_alu instid0(VALU_DEP_1) | instskip(SKIP_1) | instid1(VALU_DEP_1)
	v_add_f64_e32 v[67:68], v[65:66], v[55:56]
	s_wait_dscnt 0x0
	v_add_f64_e64 v[69:70], v[63:64], -v[67:68]
	v_add_f64_e64 v[61:62], v[67:68], -v[65:66]
	s_delay_alu instid0(VALU_DEP_2) | instskip(NEXT) | instid1(VALU_DEP_2)
	v_add_f64_e64 v[63:64], v[63:64], -v[69:70]
	v_add_f64_e64 v[55:56], v[61:62], -v[55:56]
	s_delay_alu instid0(VALU_DEP_2) | instskip(NEXT) | instid1(VALU_DEP_1)
	v_add_f64_e64 v[63:64], v[63:64], -v[67:68]
	v_add_f64_e32 v[35:36], v[35:36], v[63:64]
	s_delay_alu instid0(VALU_DEP_1) | instskip(NEXT) | instid1(VALU_DEP_1)
	v_add_f64_e32 v[35:36], v[55:56], v[35:36]
	v_add_f64_e32 v[55:56], v[69:70], v[35:36]
	s_delay_alu instid0(VALU_DEP_1) | instskip(SKIP_1) | instid1(VALU_DEP_2)
	v_mul_f64_e32 v[61:62], v[49:50], v[55:56]
	v_add_f64_e64 v[67:68], v[69:70], -v[55:56]
	v_mul_f64_e32 v[63:64], v[57:58], v[61:62]
	s_delay_alu instid0(VALU_DEP_2) | instskip(NEXT) | instid1(VALU_DEP_2)
	v_add_f64_e32 v[35:36], v[35:36], v[67:68]
	v_fma_f64 v[57:58], v[61:62], v[57:58], -v[63:64]
	s_delay_alu instid0(VALU_DEP_1) | instskip(NEXT) | instid1(VALU_DEP_1)
	v_fma_f64 v[53:54], v[61:62], v[53:54], v[57:58]
	v_add_f64_e32 v[57:58], v[63:64], v[53:54]
	s_delay_alu instid0(VALU_DEP_1) | instskip(SKIP_1) | instid1(VALU_DEP_2)
	v_add_f64_e64 v[65:66], v[55:56], -v[57:58]
	v_add_f64_e64 v[63:64], v[57:58], -v[63:64]
	;; [unrolled: 1-line block ×3, first 2 shown]
	s_delay_alu instid0(VALU_DEP_2) | instskip(NEXT) | instid1(VALU_DEP_2)
	v_add_f64_e64 v[53:54], v[63:64], -v[53:54]
	v_add_f64_e64 v[55:56], v[55:56], -v[57:58]
	s_delay_alu instid0(VALU_DEP_1) | instskip(SKIP_1) | instid1(VALU_DEP_2)
	v_add_f64_e32 v[35:36], v[35:36], v[55:56]
	v_add_f64_e32 v[55:56], v[59:60], v[61:62]
	;; [unrolled: 1-line block ×3, first 2 shown]
	s_delay_alu instid0(VALU_DEP_2) | instskip(NEXT) | instid1(VALU_DEP_2)
	v_add_f64_e64 v[53:54], v[55:56], -v[59:60]
	v_add_f64_e32 v[35:36], v[65:66], v[35:36]
	s_delay_alu instid0(VALU_DEP_2) | instskip(NEXT) | instid1(VALU_DEP_2)
	v_add_f64_e64 v[53:54], v[61:62], -v[53:54]
	v_mul_f64_e32 v[35:36], v[49:50], v[35:36]
	s_delay_alu instid0(VALU_DEP_1) | instskip(NEXT) | instid1(VALU_DEP_1)
	v_add_f64_e32 v[35:36], v[53:54], v[35:36]
	v_add_f64_e32 v[49:50], v[55:56], v[35:36]
	s_delay_alu instid0(VALU_DEP_1) | instskip(NEXT) | instid1(VALU_DEP_1)
	v_mul_f64_e32 v[53:54], v[49:50], v[49:50]
	v_fma_f64 v[57:58], v[53:54], s[18:19], s[16:17]
	s_mov_b32 s16, 0xd7f4df2e
	s_mov_b32 s17, 0x3fc7474d
	v_mul_f64_e32 v[59:60], v[49:50], v[53:54]
	s_wait_alu 0xfffe
	s_delay_alu instid0(VALU_DEP_2) | instskip(SKIP_3) | instid1(VALU_DEP_1)
	v_fma_f64 v[57:58], v[53:54], v[57:58], s[16:17]
	s_mov_b32 s16, 0x16291751
	s_mov_b32 s17, 0x3fcc71c0
	s_wait_alu 0xfffe
	v_fma_f64 v[57:58], v[53:54], v[57:58], s[16:17]
	s_mov_b32 s16, 0x9b27acf1
	s_mov_b32 s17, 0x3fd24924
	s_wait_alu 0xfffe
	s_delay_alu instid0(VALU_DEP_1) | instskip(SKIP_3) | instid1(VALU_DEP_1)
	v_fma_f64 v[57:58], v[53:54], v[57:58], s[16:17]
	s_mov_b32 s16, 0x998ef7b6
	s_mov_b32 s17, 0x3fd99999
	s_wait_alu 0xfffe
	v_fma_f64 v[57:58], v[53:54], v[57:58], s[16:17]
	s_delay_alu instid0(VALU_DEP_1) | instskip(SKIP_2) | instid1(VALU_DEP_3)
	v_fma_f64 v[53:54], v[53:54], v[57:58], s[6:7]
	v_ldexp_f64 v[57:58], v[49:50], 1
	v_add_f64_e64 v[49:50], v[49:50], -v[55:56]
	v_mul_f64_e32 v[53:54], v[59:60], v[53:54]
	v_cvt_f64_i32_e32 v[59:60], v71
	s_delay_alu instid0(VALU_DEP_3) | instskip(NEXT) | instid1(VALU_DEP_3)
	v_add_f64_e64 v[35:36], v[35:36], -v[49:50]
	v_add_f64_e32 v[55:56], v[57:58], v[53:54]
	s_delay_alu instid0(VALU_DEP_3) | instskip(NEXT) | instid1(VALU_DEP_3)
	v_mul_f64_e32 v[61:62], s[2:3], v[59:60]
	v_ldexp_f64 v[35:36], v[35:36], 1
	s_delay_alu instid0(VALU_DEP_3) | instskip(NEXT) | instid1(VALU_DEP_3)
	v_add_f64_e64 v[49:50], v[55:56], -v[57:58]
	v_fma_f64 v[57:58], v[59:60], s[2:3], -v[61:62]
	v_cmp_ngt_f64_e64 s2, -1.0, v[17:18]
	s_delay_alu instid0(VALU_DEP_3) | instskip(NEXT) | instid1(VALU_DEP_3)
	v_add_f64_e64 v[49:50], v[53:54], -v[49:50]
	v_fma_f64 v[53:54], v[59:60], s[4:5], v[57:58]
	s_delay_alu instid0(VALU_DEP_2) | instskip(NEXT) | instid1(VALU_DEP_2)
	v_add_f64_e32 v[35:36], v[35:36], v[49:50]
	v_add_f64_e32 v[49:50], v[61:62], v[53:54]
	s_delay_alu instid0(VALU_DEP_2) | instskip(NEXT) | instid1(VALU_DEP_2)
	v_add_f64_e32 v[57:58], v[55:56], v[35:36]
	v_add_f64_e64 v[61:62], v[49:50], -v[61:62]
	s_delay_alu instid0(VALU_DEP_2) | instskip(SKIP_1) | instid1(VALU_DEP_3)
	v_add_f64_e32 v[59:60], v[49:50], v[57:58]
	v_add_f64_e64 v[55:56], v[57:58], -v[55:56]
	v_add_f64_e64 v[53:54], v[53:54], -v[61:62]
	s_delay_alu instid0(VALU_DEP_3) | instskip(NEXT) | instid1(VALU_DEP_3)
	v_add_f64_e64 v[63:64], v[59:60], -v[49:50]
	v_add_f64_e64 v[35:36], v[35:36], -v[55:56]
	s_delay_alu instid0(VALU_DEP_2) | instskip(SKIP_1) | instid1(VALU_DEP_3)
	v_add_f64_e64 v[65:66], v[59:60], -v[63:64]
	v_add_f64_e64 v[55:56], v[57:58], -v[63:64]
	v_add_f64_e32 v[57:58], v[53:54], v[35:36]
	s_delay_alu instid0(VALU_DEP_3) | instskip(NEXT) | instid1(VALU_DEP_1)
	v_add_f64_e64 v[49:50], v[49:50], -v[65:66]
	v_add_f64_e32 v[49:50], v[55:56], v[49:50]
	s_delay_alu instid0(VALU_DEP_3) | instskip(NEXT) | instid1(VALU_DEP_2)
	v_add_f64_e64 v[55:56], v[57:58], -v[53:54]
	v_add_f64_e32 v[49:50], v[57:58], v[49:50]
	s_delay_alu instid0(VALU_DEP_2) | instskip(SKIP_1) | instid1(VALU_DEP_3)
	v_add_f64_e64 v[57:58], v[57:58], -v[55:56]
	v_add_f64_e64 v[35:36], v[35:36], -v[55:56]
	v_add_f64_e32 v[61:62], v[59:60], v[49:50]
	s_delay_alu instid0(VALU_DEP_3) | instskip(NEXT) | instid1(VALU_DEP_2)
	v_add_f64_e64 v[53:54], v[53:54], -v[57:58]
	v_add_f64_e64 v[55:56], v[61:62], -v[59:60]
	s_delay_alu instid0(VALU_DEP_2) | instskip(NEXT) | instid1(VALU_DEP_2)
	v_add_f64_e32 v[35:36], v[35:36], v[53:54]
	v_add_f64_e64 v[49:50], v[49:50], -v[55:56]
	s_delay_alu instid0(VALU_DEP_1) | instskip(NEXT) | instid1(VALU_DEP_1)
	v_add_f64_e32 v[35:36], v[35:36], v[49:50]
	v_add_f64_e32 v[35:36], v[61:62], v[35:36]
	s_delay_alu instid0(VALU_DEP_1) | instskip(SKIP_1) | instid1(VALU_DEP_3)
	v_cndmask_b32_e32 v35, 0, v35, vcc_lo
	v_cmp_neq_f64_e32 vcc_lo, -1.0, v[17:18]
	v_cndmask_b32_e64 v36, 0x7ff00000, v36, s1
	s_wait_alu 0xf1ff
	s_delay_alu instid0(VALU_DEP_1) | instskip(SKIP_1) | instid1(VALU_DEP_1)
	v_cndmask_b32_e64 v36, 0x7ff80000, v36, s2
	s_wait_alu 0xfffd
	v_cndmask_b32_e32 v36, 0xfff00000, v36, vcc_lo
	s_delay_alu instid0(VALU_DEP_1)
	v_add_f64_e32 v[17:18], v[33:34], v[35:36]
.LBB71_290:
	s_wait_alu 0xfffe
	s_or_b32 exec_lo, exec_lo, s8
	s_delay_alu instid0(VALU_DEP_1) | instskip(SKIP_1) | instid1(VALU_DEP_2)
	v_max_num_f64_e32 v[33:34], v[17:18], v[17:18]
	v_cmp_u_f64_e32 vcc_lo, v[17:18], v[17:18]
	v_min_num_f64_e32 v[35:36], v[33:34], v[19:20]
	v_max_num_f64_e32 v[19:20], v[33:34], v[19:20]
	s_wait_alu 0xfffd
	s_delay_alu instid0(VALU_DEP_2) | instskip(NEXT) | instid1(VALU_DEP_2)
	v_dual_cndmask_b32 v33, v35, v17 :: v_dual_cndmask_b32 v34, v36, v18
	v_dual_cndmask_b32 v20, v20, v18 :: v_dual_cndmask_b32 v19, v19, v17
	s_delay_alu instid0(VALU_DEP_2) | instskip(NEXT) | instid1(VALU_DEP_3)
	v_cndmask_b32_e64 v35, v33, v51, s9
	v_cndmask_b32_e64 v36, v34, v52, s9
	s_delay_alu instid0(VALU_DEP_3) | instskip(NEXT) | instid1(VALU_DEP_4)
	v_cndmask_b32_e64 v34, v20, v52, s9
	v_cndmask_b32_e64 v33, v19, v51, s9
	v_dual_mov_b32 v20, v18 :: v_dual_mov_b32 v19, v17
	s_delay_alu instid0(VALU_DEP_4) | instskip(NEXT) | instid1(VALU_DEP_3)
	v_cmp_class_f64_e64 s1, v[35:36], 0x1f8
	v_cmp_neq_f64_e32 vcc_lo, v[35:36], v[33:34]
	s_or_b32 s1, vcc_lo, s1
	s_wait_alu 0xfffe
	s_and_saveexec_b32 s8, s1
	s_cbranch_execz .LBB71_292
; %bb.291:
	v_add_f64_e64 v[19:20], v[35:36], -v[33:34]
	s_mov_b32 s2, 0x652b82fe
	s_mov_b32 s3, 0x3ff71547
	;; [unrolled: 1-line block ×10, first 2 shown]
	s_wait_alu 0xfffe
	s_delay_alu instid0(VALU_DEP_1) | instskip(SKIP_4) | instid1(VALU_DEP_3)
	v_mul_f64_e32 v[35:36], s[2:3], v[19:20]
	s_mov_b32 s3, 0xbfe62e42
	s_mov_b32 s2, 0xfefa39ef
	v_cmp_nlt_f64_e32 vcc_lo, 0x40900000, v[19:20]
	v_cmp_ngt_f64_e64 s1, 0xc090cc00, v[19:20]
	v_rndne_f64_e32 v[35:36], v[35:36]
	s_wait_alu 0xfffe
	s_delay_alu instid0(VALU_DEP_1) | instskip(SKIP_2) | instid1(VALU_DEP_2)
	v_fma_f64 v[49:50], v[35:36], s[2:3], v[19:20]
	v_cvt_i32_f64_e32 v53, v[35:36]
	s_mov_b32 s3, 0x3fe62e42
	v_fma_f64 v[49:50], v[35:36], s[4:5], v[49:50]
	s_mov_b32 s5, 0x3c7abc9e
	s_delay_alu instid0(VALU_DEP_1)
	v_fma_f64 v[51:52], v[49:50], s[16:17], s[6:7]
	s_mov_b32 s6, 0x623fde64
	s_mov_b32 s7, 0x3ec71dee
	;; [unrolled: 1-line block ×4, first 2 shown]
	s_wait_alu 0xfffe
	s_delay_alu instid0(VALU_DEP_1) | instskip(SKIP_3) | instid1(VALU_DEP_1)
	v_fma_f64 v[51:52], v[49:50], v[51:52], s[6:7]
	s_mov_b32 s6, 0x7c89e6b0
	s_mov_b32 s7, 0x3efa0199
	s_wait_alu 0xfffe
	v_fma_f64 v[51:52], v[49:50], v[51:52], s[6:7]
	s_mov_b32 s6, 0x14761f6e
	s_mov_b32 s7, 0x3f2a01a0
	s_wait_alu 0xfffe
	s_delay_alu instid0(VALU_DEP_1) | instskip(SKIP_3) | instid1(VALU_DEP_1)
	v_fma_f64 v[51:52], v[49:50], v[51:52], s[6:7]
	s_mov_b32 s6, 0x1852b7b0
	s_mov_b32 s7, 0x3f56c16c
	s_wait_alu 0xfffe
	v_fma_f64 v[51:52], v[49:50], v[51:52], s[6:7]
	s_mov_b32 s6, 0x11122322
	s_mov_b32 s7, 0x3f811111
	;; [unrolled: 9-line block ×4, first 2 shown]
	s_delay_alu instid0(VALU_DEP_1) | instskip(NEXT) | instid1(VALU_DEP_1)
	v_fma_f64 v[51:52], v[49:50], v[51:52], 1.0
	v_fma_f64 v[35:36], v[49:50], v[51:52], 1.0
	s_delay_alu instid0(VALU_DEP_1) | instskip(SKIP_1) | instid1(VALU_DEP_1)
	v_ldexp_f64 v[35:36], v[35:36], v53
	s_wait_alu 0xfffd
	v_cndmask_b32_e32 v36, 0x7ff00000, v36, vcc_lo
	s_and_b32 vcc_lo, s1, vcc_lo
	s_wait_alu 0xfffe
	s_delay_alu instid0(VALU_DEP_2) | instskip(NEXT) | instid1(VALU_DEP_2)
	v_cndmask_b32_e32 v19, 0, v35, vcc_lo
	v_cndmask_b32_e64 v20, 0, v36, s1
	s_delay_alu instid0(VALU_DEP_1) | instskip(SKIP_1) | instid1(VALU_DEP_2)
	v_add_f64_e32 v[35:36], 1.0, v[19:20]
	v_cmp_neq_f64_e64 s1, 0x7ff00000, v[19:20]
	v_frexp_mant_f64_e32 v[49:50], v[35:36]
	v_frexp_exp_i32_f64_e32 v53, v[35:36]
	v_add_f64_e32 v[51:52], -1.0, v[35:36]
	s_delay_alu instid0(VALU_DEP_3) | instskip(SKIP_1) | instid1(VALU_DEP_2)
	v_cmp_gt_f64_e32 vcc_lo, s[6:7], v[49:50]
	s_mov_b32 s6, 0x55555780
	v_add_f64_e64 v[49:50], v[51:52], -v[35:36]
	v_add_f64_e64 v[51:52], v[19:20], -v[51:52]
	s_wait_dscnt 0x1
	s_wait_alu 0xfffd
	v_subrev_co_ci_u32_e64 v69, null, 0, v53, vcc_lo
	s_delay_alu instid0(VALU_DEP_3) | instskip(SKIP_1) | instid1(VALU_DEP_3)
	v_add_f64_e32 v[49:50], 1.0, v[49:50]
	v_cmp_nge_f64_e32 vcc_lo, -1.0, v[19:20]
	v_sub_nc_u32_e32 v55, 0, v69
	s_delay_alu instid0(VALU_DEP_1) | instskip(NEXT) | instid1(VALU_DEP_4)
	v_ldexp_f64 v[35:36], v[35:36], v55
	v_add_f64_e32 v[49:50], v[51:52], v[49:50]
	s_and_b32 vcc_lo, vcc_lo, s1
	s_delay_alu instid0(VALU_DEP_2) | instskip(SKIP_1) | instid1(VALU_DEP_3)
	v_add_f64_e32 v[53:54], 1.0, v[35:36]
	v_add_f64_e32 v[59:60], -1.0, v[35:36]
	v_ldexp_f64 v[49:50], v[49:50], v55
	s_delay_alu instid0(VALU_DEP_3) | instskip(NEXT) | instid1(VALU_DEP_3)
	v_add_f64_e32 v[51:52], -1.0, v[53:54]
	v_add_f64_e32 v[61:62], 1.0, v[59:60]
	s_delay_alu instid0(VALU_DEP_2) | instskip(NEXT) | instid1(VALU_DEP_2)
	v_add_f64_e64 v[51:52], v[35:36], -v[51:52]
	v_add_f64_e64 v[35:36], v[35:36], -v[61:62]
	s_delay_alu instid0(VALU_DEP_2) | instskip(NEXT) | instid1(VALU_DEP_2)
	v_add_f64_e32 v[51:52], v[49:50], v[51:52]
	v_add_f64_e32 v[35:36], v[49:50], v[35:36]
	s_delay_alu instid0(VALU_DEP_2) | instskip(NEXT) | instid1(VALU_DEP_2)
	v_add_f64_e32 v[55:56], v[53:54], v[51:52]
	v_add_f64_e32 v[61:62], v[59:60], v[35:36]
	s_delay_alu instid0(VALU_DEP_2) | instskip(SKIP_1) | instid1(VALU_DEP_2)
	v_rcp_f64_e32 v[57:58], v[55:56]
	v_add_f64_e64 v[53:54], v[55:56], -v[53:54]
	v_add_f64_e64 v[59:60], v[61:62], -v[59:60]
	s_delay_alu instid0(VALU_DEP_2) | instskip(NEXT) | instid1(TRANS32_DEP_1)
	v_add_f64_e64 v[51:52], v[51:52], -v[53:54]
	v_fma_f64 v[63:64], -v[55:56], v[57:58], 1.0
	s_delay_alu instid0(VALU_DEP_3) | instskip(NEXT) | instid1(VALU_DEP_2)
	v_add_f64_e64 v[35:36], v[35:36], -v[59:60]
	v_fma_f64 v[57:58], v[63:64], v[57:58], v[57:58]
	s_delay_alu instid0(VALU_DEP_1) | instskip(NEXT) | instid1(VALU_DEP_1)
	v_fma_f64 v[49:50], -v[55:56], v[57:58], 1.0
	v_fma_f64 v[49:50], v[49:50], v[57:58], v[57:58]
	s_delay_alu instid0(VALU_DEP_1) | instskip(NEXT) | instid1(VALU_DEP_1)
	v_mul_f64_e32 v[57:58], v[61:62], v[49:50]
	v_mul_f64_e32 v[63:64], v[55:56], v[57:58]
	s_delay_alu instid0(VALU_DEP_1) | instskip(NEXT) | instid1(VALU_DEP_1)
	v_fma_f64 v[53:54], v[57:58], v[55:56], -v[63:64]
	v_fma_f64 v[53:54], v[57:58], v[51:52], v[53:54]
	s_delay_alu instid0(VALU_DEP_1) | instskip(NEXT) | instid1(VALU_DEP_1)
	v_add_f64_e32 v[65:66], v[63:64], v[53:54]
	v_add_f64_e64 v[67:68], v[61:62], -v[65:66]
	v_add_f64_e64 v[59:60], v[65:66], -v[63:64]
	s_delay_alu instid0(VALU_DEP_2) | instskip(NEXT) | instid1(VALU_DEP_2)
	v_add_f64_e64 v[61:62], v[61:62], -v[67:68]
	v_add_f64_e64 v[53:54], v[59:60], -v[53:54]
	s_delay_alu instid0(VALU_DEP_2) | instskip(NEXT) | instid1(VALU_DEP_1)
	v_add_f64_e64 v[61:62], v[61:62], -v[65:66]
	v_add_f64_e32 v[35:36], v[35:36], v[61:62]
	s_delay_alu instid0(VALU_DEP_1) | instskip(NEXT) | instid1(VALU_DEP_1)
	v_add_f64_e32 v[35:36], v[53:54], v[35:36]
	v_add_f64_e32 v[53:54], v[67:68], v[35:36]
	s_delay_alu instid0(VALU_DEP_1) | instskip(SKIP_1) | instid1(VALU_DEP_2)
	v_mul_f64_e32 v[59:60], v[49:50], v[53:54]
	v_add_f64_e64 v[65:66], v[67:68], -v[53:54]
	v_mul_f64_e32 v[61:62], v[55:56], v[59:60]
	s_delay_alu instid0(VALU_DEP_2) | instskip(NEXT) | instid1(VALU_DEP_2)
	v_add_f64_e32 v[35:36], v[35:36], v[65:66]
	v_fma_f64 v[55:56], v[59:60], v[55:56], -v[61:62]
	s_delay_alu instid0(VALU_DEP_1) | instskip(NEXT) | instid1(VALU_DEP_1)
	v_fma_f64 v[51:52], v[59:60], v[51:52], v[55:56]
	v_add_f64_e32 v[55:56], v[61:62], v[51:52]
	s_delay_alu instid0(VALU_DEP_1) | instskip(SKIP_1) | instid1(VALU_DEP_2)
	v_add_f64_e64 v[63:64], v[53:54], -v[55:56]
	v_add_f64_e64 v[61:62], v[55:56], -v[61:62]
	;; [unrolled: 1-line block ×3, first 2 shown]
	s_delay_alu instid0(VALU_DEP_2) | instskip(NEXT) | instid1(VALU_DEP_2)
	v_add_f64_e64 v[51:52], v[61:62], -v[51:52]
	v_add_f64_e64 v[53:54], v[53:54], -v[55:56]
	s_delay_alu instid0(VALU_DEP_1) | instskip(SKIP_1) | instid1(VALU_DEP_2)
	v_add_f64_e32 v[35:36], v[35:36], v[53:54]
	v_add_f64_e32 v[53:54], v[57:58], v[59:60]
	;; [unrolled: 1-line block ×3, first 2 shown]
	s_delay_alu instid0(VALU_DEP_2) | instskip(NEXT) | instid1(VALU_DEP_2)
	v_add_f64_e64 v[51:52], v[53:54], -v[57:58]
	v_add_f64_e32 v[35:36], v[63:64], v[35:36]
	s_delay_alu instid0(VALU_DEP_2) | instskip(NEXT) | instid1(VALU_DEP_2)
	v_add_f64_e64 v[51:52], v[59:60], -v[51:52]
	v_mul_f64_e32 v[35:36], v[49:50], v[35:36]
	s_delay_alu instid0(VALU_DEP_1) | instskip(NEXT) | instid1(VALU_DEP_1)
	v_add_f64_e32 v[35:36], v[51:52], v[35:36]
	v_add_f64_e32 v[49:50], v[53:54], v[35:36]
	s_delay_alu instid0(VALU_DEP_1) | instskip(NEXT) | instid1(VALU_DEP_1)
	v_mul_f64_e32 v[51:52], v[49:50], v[49:50]
	v_fma_f64 v[55:56], v[51:52], s[18:19], s[16:17]
	s_mov_b32 s16, 0xd7f4df2e
	s_mov_b32 s17, 0x3fc7474d
	v_mul_f64_e32 v[57:58], v[49:50], v[51:52]
	s_wait_alu 0xfffe
	s_delay_alu instid0(VALU_DEP_2) | instskip(SKIP_3) | instid1(VALU_DEP_1)
	v_fma_f64 v[55:56], v[51:52], v[55:56], s[16:17]
	s_mov_b32 s16, 0x16291751
	s_mov_b32 s17, 0x3fcc71c0
	s_wait_alu 0xfffe
	v_fma_f64 v[55:56], v[51:52], v[55:56], s[16:17]
	s_mov_b32 s16, 0x9b27acf1
	s_mov_b32 s17, 0x3fd24924
	s_wait_alu 0xfffe
	s_delay_alu instid0(VALU_DEP_1) | instskip(SKIP_3) | instid1(VALU_DEP_1)
	v_fma_f64 v[55:56], v[51:52], v[55:56], s[16:17]
	s_mov_b32 s16, 0x998ef7b6
	s_mov_b32 s17, 0x3fd99999
	s_wait_alu 0xfffe
	v_fma_f64 v[55:56], v[51:52], v[55:56], s[16:17]
	s_delay_alu instid0(VALU_DEP_1) | instskip(SKIP_2) | instid1(VALU_DEP_3)
	v_fma_f64 v[51:52], v[51:52], v[55:56], s[6:7]
	v_ldexp_f64 v[55:56], v[49:50], 1
	v_add_f64_e64 v[49:50], v[49:50], -v[53:54]
	v_mul_f64_e32 v[51:52], v[57:58], v[51:52]
	v_cvt_f64_i32_e32 v[57:58], v69
	s_delay_alu instid0(VALU_DEP_3) | instskip(NEXT) | instid1(VALU_DEP_3)
	v_add_f64_e64 v[35:36], v[35:36], -v[49:50]
	v_add_f64_e32 v[53:54], v[55:56], v[51:52]
	s_delay_alu instid0(VALU_DEP_3) | instskip(NEXT) | instid1(VALU_DEP_3)
	v_mul_f64_e32 v[59:60], s[2:3], v[57:58]
	v_ldexp_f64 v[35:36], v[35:36], 1
	s_delay_alu instid0(VALU_DEP_3) | instskip(NEXT) | instid1(VALU_DEP_3)
	v_add_f64_e64 v[49:50], v[53:54], -v[55:56]
	v_fma_f64 v[55:56], v[57:58], s[2:3], -v[59:60]
	v_cmp_ngt_f64_e64 s2, -1.0, v[19:20]
	s_delay_alu instid0(VALU_DEP_3) | instskip(NEXT) | instid1(VALU_DEP_3)
	v_add_f64_e64 v[49:50], v[51:52], -v[49:50]
	v_fma_f64 v[51:52], v[57:58], s[4:5], v[55:56]
	s_delay_alu instid0(VALU_DEP_2) | instskip(NEXT) | instid1(VALU_DEP_2)
	v_add_f64_e32 v[35:36], v[35:36], v[49:50]
	v_add_f64_e32 v[49:50], v[59:60], v[51:52]
	s_delay_alu instid0(VALU_DEP_2) | instskip(NEXT) | instid1(VALU_DEP_2)
	v_add_f64_e32 v[55:56], v[53:54], v[35:36]
	v_add_f64_e64 v[59:60], v[49:50], -v[59:60]
	s_delay_alu instid0(VALU_DEP_2) | instskip(SKIP_1) | instid1(VALU_DEP_3)
	v_add_f64_e32 v[57:58], v[49:50], v[55:56]
	v_add_f64_e64 v[53:54], v[55:56], -v[53:54]
	v_add_f64_e64 v[51:52], v[51:52], -v[59:60]
	s_delay_alu instid0(VALU_DEP_3) | instskip(NEXT) | instid1(VALU_DEP_3)
	v_add_f64_e64 v[61:62], v[57:58], -v[49:50]
	v_add_f64_e64 v[35:36], v[35:36], -v[53:54]
	s_delay_alu instid0(VALU_DEP_2) | instskip(SKIP_1) | instid1(VALU_DEP_3)
	v_add_f64_e64 v[63:64], v[57:58], -v[61:62]
	v_add_f64_e64 v[53:54], v[55:56], -v[61:62]
	v_add_f64_e32 v[55:56], v[51:52], v[35:36]
	s_delay_alu instid0(VALU_DEP_3) | instskip(NEXT) | instid1(VALU_DEP_1)
	v_add_f64_e64 v[49:50], v[49:50], -v[63:64]
	v_add_f64_e32 v[49:50], v[53:54], v[49:50]
	s_delay_alu instid0(VALU_DEP_3) | instskip(NEXT) | instid1(VALU_DEP_2)
	v_add_f64_e64 v[53:54], v[55:56], -v[51:52]
	v_add_f64_e32 v[49:50], v[55:56], v[49:50]
	s_delay_alu instid0(VALU_DEP_2) | instskip(SKIP_1) | instid1(VALU_DEP_3)
	v_add_f64_e64 v[55:56], v[55:56], -v[53:54]
	v_add_f64_e64 v[35:36], v[35:36], -v[53:54]
	v_add_f64_e32 v[59:60], v[57:58], v[49:50]
	s_delay_alu instid0(VALU_DEP_3) | instskip(NEXT) | instid1(VALU_DEP_2)
	v_add_f64_e64 v[51:52], v[51:52], -v[55:56]
	v_add_f64_e64 v[53:54], v[59:60], -v[57:58]
	s_delay_alu instid0(VALU_DEP_2) | instskip(NEXT) | instid1(VALU_DEP_2)
	v_add_f64_e32 v[35:36], v[35:36], v[51:52]
	v_add_f64_e64 v[49:50], v[49:50], -v[53:54]
	s_delay_alu instid0(VALU_DEP_1) | instskip(NEXT) | instid1(VALU_DEP_1)
	v_add_f64_e32 v[35:36], v[35:36], v[49:50]
	v_add_f64_e32 v[35:36], v[59:60], v[35:36]
	s_delay_alu instid0(VALU_DEP_1) | instskip(SKIP_1) | instid1(VALU_DEP_3)
	v_cndmask_b32_e32 v35, 0, v35, vcc_lo
	v_cmp_neq_f64_e32 vcc_lo, -1.0, v[19:20]
	v_cndmask_b32_e64 v36, 0x7ff00000, v36, s1
	s_wait_alu 0xf1ff
	s_delay_alu instid0(VALU_DEP_1) | instskip(SKIP_1) | instid1(VALU_DEP_1)
	v_cndmask_b32_e64 v36, 0x7ff80000, v36, s2
	s_wait_alu 0xfffd
	v_cndmask_b32_e32 v36, 0xfff00000, v36, vcc_lo
	s_delay_alu instid0(VALU_DEP_1)
	v_add_f64_e32 v[19:20], v[33:34], v[35:36]
.LBB71_292:
	s_wait_alu 0xfffe
	s_or_b32 exec_lo, exec_lo, s8
	s_delay_alu instid0(VALU_DEP_1) | instskip(SKIP_1) | instid1(VALU_DEP_2)
	v_max_num_f64_e32 v[33:34], v[19:20], v[19:20]
	v_cmp_u_f64_e32 vcc_lo, v[19:20], v[19:20]
	v_min_num_f64_e32 v[35:36], v[33:34], v[21:22]
	v_max_num_f64_e32 v[21:22], v[33:34], v[21:22]
	s_wait_alu 0xfffd
	s_delay_alu instid0(VALU_DEP_2) | instskip(NEXT) | instid1(VALU_DEP_2)
	v_dual_cndmask_b32 v33, v35, v19 :: v_dual_cndmask_b32 v34, v36, v20
	v_dual_cndmask_b32 v22, v22, v20 :: v_dual_cndmask_b32 v21, v21, v19
	s_delay_alu instid0(VALU_DEP_2) | instskip(NEXT) | instid1(VALU_DEP_3)
	v_cndmask_b32_e64 v35, v33, v45, s10
	v_cndmask_b32_e64 v36, v34, v46, s10
	s_delay_alu instid0(VALU_DEP_3) | instskip(NEXT) | instid1(VALU_DEP_4)
	v_cndmask_b32_e64 v34, v22, v46, s10
	v_cndmask_b32_e64 v33, v21, v45, s10
	v_dual_mov_b32 v22, v20 :: v_dual_mov_b32 v21, v19
	s_delay_alu instid0(VALU_DEP_4) | instskip(NEXT) | instid1(VALU_DEP_3)
	v_cmp_class_f64_e64 s1, v[35:36], 0x1f8
	v_cmp_neq_f64_e32 vcc_lo, v[35:36], v[33:34]
	s_or_b32 s1, vcc_lo, s1
	s_wait_alu 0xfffe
	s_and_saveexec_b32 s8, s1
	s_cbranch_execz .LBB71_294
; %bb.293:
	v_add_f64_e64 v[21:22], v[35:36], -v[33:34]
	s_mov_b32 s2, 0x652b82fe
	s_mov_b32 s3, 0x3ff71547
	;; [unrolled: 1-line block ×10, first 2 shown]
	s_wait_alu 0xfffe
	s_delay_alu instid0(VALU_DEP_1) | instskip(SKIP_4) | instid1(VALU_DEP_3)
	v_mul_f64_e32 v[35:36], s[2:3], v[21:22]
	s_mov_b32 s3, 0xbfe62e42
	s_mov_b32 s2, 0xfefa39ef
	v_cmp_nlt_f64_e32 vcc_lo, 0x40900000, v[21:22]
	v_cmp_ngt_f64_e64 s1, 0xc090cc00, v[21:22]
	v_rndne_f64_e32 v[35:36], v[35:36]
	s_wait_alu 0xfffe
	s_delay_alu instid0(VALU_DEP_1) | instskip(SKIP_2) | instid1(VALU_DEP_2)
	v_fma_f64 v[45:46], v[35:36], s[2:3], v[21:22]
	v_cvt_i32_f64_e32 v51, v[35:36]
	s_mov_b32 s3, 0x3fe62e42
	v_fma_f64 v[45:46], v[35:36], s[4:5], v[45:46]
	s_mov_b32 s5, 0x3c7abc9e
	s_delay_alu instid0(VALU_DEP_1)
	v_fma_f64 v[49:50], v[45:46], s[16:17], s[6:7]
	s_mov_b32 s6, 0x623fde64
	s_mov_b32 s7, 0x3ec71dee
	s_mov_b32 s16, 0x6b47b09a
	s_mov_b32 s17, 0x3fc38538
	s_wait_alu 0xfffe
	s_delay_alu instid0(VALU_DEP_1) | instskip(SKIP_3) | instid1(VALU_DEP_1)
	v_fma_f64 v[49:50], v[45:46], v[49:50], s[6:7]
	s_mov_b32 s6, 0x7c89e6b0
	s_mov_b32 s7, 0x3efa0199
	s_wait_alu 0xfffe
	v_fma_f64 v[49:50], v[45:46], v[49:50], s[6:7]
	s_mov_b32 s6, 0x14761f6e
	s_mov_b32 s7, 0x3f2a01a0
	s_wait_alu 0xfffe
	s_delay_alu instid0(VALU_DEP_1) | instskip(SKIP_3) | instid1(VALU_DEP_1)
	v_fma_f64 v[49:50], v[45:46], v[49:50], s[6:7]
	s_mov_b32 s6, 0x1852b7b0
	s_mov_b32 s7, 0x3f56c16c
	s_wait_alu 0xfffe
	v_fma_f64 v[49:50], v[45:46], v[49:50], s[6:7]
	s_mov_b32 s6, 0x11122322
	s_mov_b32 s7, 0x3f811111
	;; [unrolled: 9-line block ×4, first 2 shown]
	s_delay_alu instid0(VALU_DEP_1) | instskip(NEXT) | instid1(VALU_DEP_1)
	v_fma_f64 v[49:50], v[45:46], v[49:50], 1.0
	v_fma_f64 v[35:36], v[45:46], v[49:50], 1.0
	s_delay_alu instid0(VALU_DEP_1) | instskip(SKIP_1) | instid1(VALU_DEP_1)
	v_ldexp_f64 v[35:36], v[35:36], v51
	s_wait_alu 0xfffd
	v_cndmask_b32_e32 v36, 0x7ff00000, v36, vcc_lo
	s_and_b32 vcc_lo, s1, vcc_lo
	s_wait_alu 0xfffe
	s_delay_alu instid0(VALU_DEP_2) | instskip(NEXT) | instid1(VALU_DEP_2)
	v_cndmask_b32_e32 v21, 0, v35, vcc_lo
	v_cndmask_b32_e64 v22, 0, v36, s1
	s_delay_alu instid0(VALU_DEP_1) | instskip(SKIP_1) | instid1(VALU_DEP_2)
	v_add_f64_e32 v[35:36], 1.0, v[21:22]
	v_cmp_neq_f64_e64 s1, 0x7ff00000, v[21:22]
	v_frexp_mant_f64_e32 v[45:46], v[35:36]
	v_frexp_exp_i32_f64_e32 v51, v[35:36]
	v_add_f64_e32 v[49:50], -1.0, v[35:36]
	s_delay_alu instid0(VALU_DEP_3) | instskip(SKIP_1) | instid1(VALU_DEP_2)
	v_cmp_gt_f64_e32 vcc_lo, s[6:7], v[45:46]
	s_mov_b32 s6, 0x55555780
	v_add_f64_e64 v[45:46], v[49:50], -v[35:36]
	v_add_f64_e64 v[49:50], v[21:22], -v[49:50]
	s_wait_alu 0xfffd
	v_subrev_co_ci_u32_e64 v67, null, 0, v51, vcc_lo
	s_delay_alu instid0(VALU_DEP_3) | instskip(SKIP_1) | instid1(VALU_DEP_3)
	v_add_f64_e32 v[45:46], 1.0, v[45:46]
	v_cmp_nge_f64_e32 vcc_lo, -1.0, v[21:22]
	v_sub_nc_u32_e32 v53, 0, v67
	s_delay_alu instid0(VALU_DEP_1) | instskip(NEXT) | instid1(VALU_DEP_4)
	v_ldexp_f64 v[35:36], v[35:36], v53
	v_add_f64_e32 v[45:46], v[49:50], v[45:46]
	s_and_b32 vcc_lo, vcc_lo, s1
	s_delay_alu instid0(VALU_DEP_2) | instskip(SKIP_1) | instid1(VALU_DEP_3)
	v_add_f64_e32 v[51:52], 1.0, v[35:36]
	v_add_f64_e32 v[57:58], -1.0, v[35:36]
	v_ldexp_f64 v[45:46], v[45:46], v53
	s_delay_alu instid0(VALU_DEP_3) | instskip(NEXT) | instid1(VALU_DEP_3)
	v_add_f64_e32 v[49:50], -1.0, v[51:52]
	v_add_f64_e32 v[59:60], 1.0, v[57:58]
	s_delay_alu instid0(VALU_DEP_2) | instskip(NEXT) | instid1(VALU_DEP_2)
	v_add_f64_e64 v[49:50], v[35:36], -v[49:50]
	v_add_f64_e64 v[35:36], v[35:36], -v[59:60]
	s_delay_alu instid0(VALU_DEP_2) | instskip(NEXT) | instid1(VALU_DEP_2)
	v_add_f64_e32 v[49:50], v[45:46], v[49:50]
	v_add_f64_e32 v[35:36], v[45:46], v[35:36]
	s_delay_alu instid0(VALU_DEP_2) | instskip(NEXT) | instid1(VALU_DEP_2)
	v_add_f64_e32 v[53:54], v[51:52], v[49:50]
	v_add_f64_e32 v[59:60], v[57:58], v[35:36]
	s_delay_alu instid0(VALU_DEP_2) | instskip(SKIP_1) | instid1(VALU_DEP_2)
	v_rcp_f64_e32 v[55:56], v[53:54]
	v_add_f64_e64 v[51:52], v[53:54], -v[51:52]
	v_add_f64_e64 v[57:58], v[59:60], -v[57:58]
	s_delay_alu instid0(VALU_DEP_2) | instskip(NEXT) | instid1(TRANS32_DEP_1)
	v_add_f64_e64 v[49:50], v[49:50], -v[51:52]
	v_fma_f64 v[61:62], -v[53:54], v[55:56], 1.0
	s_delay_alu instid0(VALU_DEP_3) | instskip(NEXT) | instid1(VALU_DEP_2)
	v_add_f64_e64 v[35:36], v[35:36], -v[57:58]
	v_fma_f64 v[55:56], v[61:62], v[55:56], v[55:56]
	s_delay_alu instid0(VALU_DEP_1) | instskip(NEXT) | instid1(VALU_DEP_1)
	v_fma_f64 v[45:46], -v[53:54], v[55:56], 1.0
	v_fma_f64 v[45:46], v[45:46], v[55:56], v[55:56]
	s_delay_alu instid0(VALU_DEP_1) | instskip(NEXT) | instid1(VALU_DEP_1)
	v_mul_f64_e32 v[55:56], v[59:60], v[45:46]
	v_mul_f64_e32 v[61:62], v[53:54], v[55:56]
	s_delay_alu instid0(VALU_DEP_1) | instskip(NEXT) | instid1(VALU_DEP_1)
	v_fma_f64 v[51:52], v[55:56], v[53:54], -v[61:62]
	v_fma_f64 v[51:52], v[55:56], v[49:50], v[51:52]
	s_delay_alu instid0(VALU_DEP_1) | instskip(NEXT) | instid1(VALU_DEP_1)
	v_add_f64_e32 v[63:64], v[61:62], v[51:52]
	v_add_f64_e64 v[65:66], v[59:60], -v[63:64]
	v_add_f64_e64 v[57:58], v[63:64], -v[61:62]
	s_delay_alu instid0(VALU_DEP_2) | instskip(NEXT) | instid1(VALU_DEP_2)
	v_add_f64_e64 v[59:60], v[59:60], -v[65:66]
	v_add_f64_e64 v[51:52], v[57:58], -v[51:52]
	s_delay_alu instid0(VALU_DEP_2) | instskip(NEXT) | instid1(VALU_DEP_1)
	v_add_f64_e64 v[59:60], v[59:60], -v[63:64]
	v_add_f64_e32 v[35:36], v[35:36], v[59:60]
	s_delay_alu instid0(VALU_DEP_1) | instskip(NEXT) | instid1(VALU_DEP_1)
	v_add_f64_e32 v[35:36], v[51:52], v[35:36]
	v_add_f64_e32 v[51:52], v[65:66], v[35:36]
	s_delay_alu instid0(VALU_DEP_1) | instskip(SKIP_1) | instid1(VALU_DEP_2)
	v_mul_f64_e32 v[57:58], v[45:46], v[51:52]
	v_add_f64_e64 v[63:64], v[65:66], -v[51:52]
	v_mul_f64_e32 v[59:60], v[53:54], v[57:58]
	s_delay_alu instid0(VALU_DEP_2) | instskip(NEXT) | instid1(VALU_DEP_2)
	v_add_f64_e32 v[35:36], v[35:36], v[63:64]
	v_fma_f64 v[53:54], v[57:58], v[53:54], -v[59:60]
	s_delay_alu instid0(VALU_DEP_1) | instskip(NEXT) | instid1(VALU_DEP_1)
	v_fma_f64 v[49:50], v[57:58], v[49:50], v[53:54]
	v_add_f64_e32 v[53:54], v[59:60], v[49:50]
	s_delay_alu instid0(VALU_DEP_1) | instskip(SKIP_1) | instid1(VALU_DEP_2)
	v_add_f64_e64 v[61:62], v[51:52], -v[53:54]
	v_add_f64_e64 v[59:60], v[53:54], -v[59:60]
	;; [unrolled: 1-line block ×3, first 2 shown]
	s_delay_alu instid0(VALU_DEP_2) | instskip(NEXT) | instid1(VALU_DEP_2)
	v_add_f64_e64 v[49:50], v[59:60], -v[49:50]
	v_add_f64_e64 v[51:52], v[51:52], -v[53:54]
	s_delay_alu instid0(VALU_DEP_1) | instskip(SKIP_1) | instid1(VALU_DEP_2)
	v_add_f64_e32 v[35:36], v[35:36], v[51:52]
	v_add_f64_e32 v[51:52], v[55:56], v[57:58]
	v_add_f64_e32 v[35:36], v[49:50], v[35:36]
	s_delay_alu instid0(VALU_DEP_2) | instskip(NEXT) | instid1(VALU_DEP_2)
	v_add_f64_e64 v[49:50], v[51:52], -v[55:56]
	v_add_f64_e32 v[35:36], v[61:62], v[35:36]
	s_delay_alu instid0(VALU_DEP_2) | instskip(NEXT) | instid1(VALU_DEP_2)
	v_add_f64_e64 v[49:50], v[57:58], -v[49:50]
	v_mul_f64_e32 v[35:36], v[45:46], v[35:36]
	s_delay_alu instid0(VALU_DEP_1) | instskip(NEXT) | instid1(VALU_DEP_1)
	v_add_f64_e32 v[35:36], v[49:50], v[35:36]
	v_add_f64_e32 v[45:46], v[51:52], v[35:36]
	s_delay_alu instid0(VALU_DEP_1) | instskip(NEXT) | instid1(VALU_DEP_1)
	v_mul_f64_e32 v[49:50], v[45:46], v[45:46]
	v_fma_f64 v[53:54], v[49:50], s[18:19], s[16:17]
	s_mov_b32 s16, 0xd7f4df2e
	s_mov_b32 s17, 0x3fc7474d
	v_mul_f64_e32 v[55:56], v[45:46], v[49:50]
	s_wait_alu 0xfffe
	s_delay_alu instid0(VALU_DEP_2) | instskip(SKIP_3) | instid1(VALU_DEP_1)
	v_fma_f64 v[53:54], v[49:50], v[53:54], s[16:17]
	s_mov_b32 s16, 0x16291751
	s_mov_b32 s17, 0x3fcc71c0
	s_wait_alu 0xfffe
	v_fma_f64 v[53:54], v[49:50], v[53:54], s[16:17]
	s_mov_b32 s16, 0x9b27acf1
	s_mov_b32 s17, 0x3fd24924
	s_wait_alu 0xfffe
	s_delay_alu instid0(VALU_DEP_1) | instskip(SKIP_3) | instid1(VALU_DEP_1)
	v_fma_f64 v[53:54], v[49:50], v[53:54], s[16:17]
	s_mov_b32 s16, 0x998ef7b6
	s_mov_b32 s17, 0x3fd99999
	s_wait_alu 0xfffe
	v_fma_f64 v[53:54], v[49:50], v[53:54], s[16:17]
	s_delay_alu instid0(VALU_DEP_1) | instskip(SKIP_2) | instid1(VALU_DEP_3)
	v_fma_f64 v[49:50], v[49:50], v[53:54], s[6:7]
	v_ldexp_f64 v[53:54], v[45:46], 1
	v_add_f64_e64 v[45:46], v[45:46], -v[51:52]
	v_mul_f64_e32 v[49:50], v[55:56], v[49:50]
	v_cvt_f64_i32_e32 v[55:56], v67
	s_delay_alu instid0(VALU_DEP_3) | instskip(NEXT) | instid1(VALU_DEP_3)
	v_add_f64_e64 v[35:36], v[35:36], -v[45:46]
	v_add_f64_e32 v[51:52], v[53:54], v[49:50]
	s_delay_alu instid0(VALU_DEP_3) | instskip(NEXT) | instid1(VALU_DEP_3)
	v_mul_f64_e32 v[57:58], s[2:3], v[55:56]
	v_ldexp_f64 v[35:36], v[35:36], 1
	s_delay_alu instid0(VALU_DEP_3) | instskip(NEXT) | instid1(VALU_DEP_3)
	v_add_f64_e64 v[45:46], v[51:52], -v[53:54]
	v_fma_f64 v[53:54], v[55:56], s[2:3], -v[57:58]
	v_cmp_ngt_f64_e64 s2, -1.0, v[21:22]
	s_delay_alu instid0(VALU_DEP_3) | instskip(NEXT) | instid1(VALU_DEP_3)
	v_add_f64_e64 v[45:46], v[49:50], -v[45:46]
	v_fma_f64 v[49:50], v[55:56], s[4:5], v[53:54]
	s_delay_alu instid0(VALU_DEP_2) | instskip(NEXT) | instid1(VALU_DEP_2)
	v_add_f64_e32 v[35:36], v[35:36], v[45:46]
	v_add_f64_e32 v[45:46], v[57:58], v[49:50]
	s_delay_alu instid0(VALU_DEP_2) | instskip(NEXT) | instid1(VALU_DEP_2)
	v_add_f64_e32 v[53:54], v[51:52], v[35:36]
	v_add_f64_e64 v[57:58], v[45:46], -v[57:58]
	s_delay_alu instid0(VALU_DEP_2) | instskip(SKIP_1) | instid1(VALU_DEP_3)
	v_add_f64_e32 v[55:56], v[45:46], v[53:54]
	v_add_f64_e64 v[51:52], v[53:54], -v[51:52]
	v_add_f64_e64 v[49:50], v[49:50], -v[57:58]
	s_delay_alu instid0(VALU_DEP_3) | instskip(NEXT) | instid1(VALU_DEP_3)
	v_add_f64_e64 v[59:60], v[55:56], -v[45:46]
	v_add_f64_e64 v[35:36], v[35:36], -v[51:52]
	s_delay_alu instid0(VALU_DEP_2) | instskip(SKIP_1) | instid1(VALU_DEP_3)
	v_add_f64_e64 v[61:62], v[55:56], -v[59:60]
	v_add_f64_e64 v[51:52], v[53:54], -v[59:60]
	v_add_f64_e32 v[53:54], v[49:50], v[35:36]
	s_delay_alu instid0(VALU_DEP_3) | instskip(NEXT) | instid1(VALU_DEP_1)
	v_add_f64_e64 v[45:46], v[45:46], -v[61:62]
	v_add_f64_e32 v[45:46], v[51:52], v[45:46]
	s_delay_alu instid0(VALU_DEP_3) | instskip(NEXT) | instid1(VALU_DEP_2)
	v_add_f64_e64 v[51:52], v[53:54], -v[49:50]
	v_add_f64_e32 v[45:46], v[53:54], v[45:46]
	s_delay_alu instid0(VALU_DEP_2) | instskip(SKIP_1) | instid1(VALU_DEP_3)
	v_add_f64_e64 v[53:54], v[53:54], -v[51:52]
	v_add_f64_e64 v[35:36], v[35:36], -v[51:52]
	v_add_f64_e32 v[57:58], v[55:56], v[45:46]
	s_delay_alu instid0(VALU_DEP_3) | instskip(NEXT) | instid1(VALU_DEP_2)
	v_add_f64_e64 v[49:50], v[49:50], -v[53:54]
	v_add_f64_e64 v[51:52], v[57:58], -v[55:56]
	s_delay_alu instid0(VALU_DEP_2) | instskip(NEXT) | instid1(VALU_DEP_2)
	v_add_f64_e32 v[35:36], v[35:36], v[49:50]
	v_add_f64_e64 v[45:46], v[45:46], -v[51:52]
	s_delay_alu instid0(VALU_DEP_1) | instskip(NEXT) | instid1(VALU_DEP_1)
	v_add_f64_e32 v[35:36], v[35:36], v[45:46]
	v_add_f64_e32 v[35:36], v[57:58], v[35:36]
	s_delay_alu instid0(VALU_DEP_1) | instskip(SKIP_1) | instid1(VALU_DEP_3)
	v_cndmask_b32_e32 v35, 0, v35, vcc_lo
	v_cmp_neq_f64_e32 vcc_lo, -1.0, v[21:22]
	v_cndmask_b32_e64 v36, 0x7ff00000, v36, s1
	s_wait_alu 0xf1ff
	s_delay_alu instid0(VALU_DEP_1) | instskip(SKIP_1) | instid1(VALU_DEP_1)
	v_cndmask_b32_e64 v36, 0x7ff80000, v36, s2
	s_wait_alu 0xfffd
	v_cndmask_b32_e32 v36, 0xfff00000, v36, vcc_lo
	s_delay_alu instid0(VALU_DEP_1)
	v_add_f64_e32 v[21:22], v[33:34], v[35:36]
.LBB71_294:
	s_wait_alu 0xfffe
	s_or_b32 exec_lo, exec_lo, s8
	s_delay_alu instid0(VALU_DEP_1) | instskip(SKIP_1) | instid1(VALU_DEP_2)
	v_max_num_f64_e32 v[33:34], v[21:22], v[21:22]
	v_cmp_u_f64_e32 vcc_lo, v[21:22], v[21:22]
	v_min_num_f64_e32 v[35:36], v[33:34], v[23:24]
	v_max_num_f64_e32 v[23:24], v[33:34], v[23:24]
	s_wait_alu 0xfffd
	s_delay_alu instid0(VALU_DEP_2) | instskip(NEXT) | instid1(VALU_DEP_2)
	v_dual_cndmask_b32 v33, v35, v21 :: v_dual_cndmask_b32 v34, v36, v22
	v_dual_cndmask_b32 v24, v24, v22 :: v_dual_cndmask_b32 v23, v23, v21
	s_delay_alu instid0(VALU_DEP_2) | instskip(NEXT) | instid1(VALU_DEP_3)
	v_cndmask_b32_e64 v35, v33, v47, s11
	v_cndmask_b32_e64 v36, v34, v48, s11
	s_delay_alu instid0(VALU_DEP_3) | instskip(NEXT) | instid1(VALU_DEP_4)
	v_cndmask_b32_e64 v34, v24, v48, s11
	v_cndmask_b32_e64 v33, v23, v47, s11
	v_dual_mov_b32 v24, v22 :: v_dual_mov_b32 v23, v21
	s_delay_alu instid0(VALU_DEP_4) | instskip(NEXT) | instid1(VALU_DEP_3)
	v_cmp_class_f64_e64 s1, v[35:36], 0x1f8
	v_cmp_neq_f64_e32 vcc_lo, v[35:36], v[33:34]
	s_or_b32 s1, vcc_lo, s1
	s_wait_alu 0xfffe
	s_and_saveexec_b32 s8, s1
	s_cbranch_execz .LBB71_296
; %bb.295:
	v_add_f64_e64 v[23:24], v[35:36], -v[33:34]
	s_mov_b32 s2, 0x652b82fe
	s_mov_b32 s3, 0x3ff71547
	;; [unrolled: 1-line block ×10, first 2 shown]
	s_wait_alu 0xfffe
	s_delay_alu instid0(VALU_DEP_1) | instskip(SKIP_4) | instid1(VALU_DEP_3)
	v_mul_f64_e32 v[35:36], s[2:3], v[23:24]
	s_mov_b32 s3, 0xbfe62e42
	s_mov_b32 s2, 0xfefa39ef
	v_cmp_nlt_f64_e32 vcc_lo, 0x40900000, v[23:24]
	v_cmp_ngt_f64_e64 s1, 0xc090cc00, v[23:24]
	v_rndne_f64_e32 v[35:36], v[35:36]
	s_wait_alu 0xfffe
	s_delay_alu instid0(VALU_DEP_1) | instskip(SKIP_2) | instid1(VALU_DEP_2)
	v_fma_f64 v[45:46], v[35:36], s[2:3], v[23:24]
	v_cvt_i32_f64_e32 v49, v[35:36]
	s_mov_b32 s3, 0x3fe62e42
	v_fma_f64 v[45:46], v[35:36], s[4:5], v[45:46]
	s_mov_b32 s5, 0x3c7abc9e
	s_delay_alu instid0(VALU_DEP_1)
	v_fma_f64 v[47:48], v[45:46], s[10:11], s[6:7]
	s_mov_b32 s6, 0x623fde64
	s_mov_b32 s7, 0x3ec71dee
	;; [unrolled: 1-line block ×4, first 2 shown]
	s_wait_alu 0xfffe
	s_delay_alu instid0(VALU_DEP_1) | instskip(SKIP_3) | instid1(VALU_DEP_1)
	v_fma_f64 v[47:48], v[45:46], v[47:48], s[6:7]
	s_mov_b32 s6, 0x7c89e6b0
	s_mov_b32 s7, 0x3efa0199
	s_wait_alu 0xfffe
	v_fma_f64 v[47:48], v[45:46], v[47:48], s[6:7]
	s_mov_b32 s6, 0x14761f6e
	s_mov_b32 s7, 0x3f2a01a0
	s_wait_alu 0xfffe
	s_delay_alu instid0(VALU_DEP_1) | instskip(SKIP_3) | instid1(VALU_DEP_1)
	v_fma_f64 v[47:48], v[45:46], v[47:48], s[6:7]
	s_mov_b32 s6, 0x1852b7b0
	s_mov_b32 s7, 0x3f56c16c
	s_wait_alu 0xfffe
	v_fma_f64 v[47:48], v[45:46], v[47:48], s[6:7]
	s_mov_b32 s6, 0x11122322
	s_mov_b32 s7, 0x3f811111
	;; [unrolled: 9-line block ×4, first 2 shown]
	s_delay_alu instid0(VALU_DEP_1) | instskip(NEXT) | instid1(VALU_DEP_1)
	v_fma_f64 v[47:48], v[45:46], v[47:48], 1.0
	v_fma_f64 v[35:36], v[45:46], v[47:48], 1.0
	s_delay_alu instid0(VALU_DEP_1) | instskip(SKIP_1) | instid1(VALU_DEP_1)
	v_ldexp_f64 v[35:36], v[35:36], v49
	s_wait_alu 0xfffd
	v_cndmask_b32_e32 v36, 0x7ff00000, v36, vcc_lo
	s_and_b32 vcc_lo, s1, vcc_lo
	s_wait_alu 0xfffe
	s_delay_alu instid0(VALU_DEP_2) | instskip(NEXT) | instid1(VALU_DEP_2)
	v_cndmask_b32_e32 v23, 0, v35, vcc_lo
	v_cndmask_b32_e64 v24, 0, v36, s1
	s_delay_alu instid0(VALU_DEP_1) | instskip(SKIP_1) | instid1(VALU_DEP_2)
	v_add_f64_e32 v[35:36], 1.0, v[23:24]
	v_cmp_neq_f64_e64 s1, 0x7ff00000, v[23:24]
	v_frexp_mant_f64_e32 v[45:46], v[35:36]
	v_frexp_exp_i32_f64_e32 v49, v[35:36]
	v_add_f64_e32 v[47:48], -1.0, v[35:36]
	s_delay_alu instid0(VALU_DEP_3) | instskip(SKIP_1) | instid1(VALU_DEP_2)
	v_cmp_gt_f64_e32 vcc_lo, s[6:7], v[45:46]
	s_mov_b32 s6, 0x55555780
	v_add_f64_e64 v[45:46], v[47:48], -v[35:36]
	v_add_f64_e64 v[47:48], v[23:24], -v[47:48]
	s_wait_alu 0xfffd
	v_subrev_co_ci_u32_e64 v65, null, 0, v49, vcc_lo
	s_delay_alu instid0(VALU_DEP_3) | instskip(SKIP_1) | instid1(VALU_DEP_3)
	v_add_f64_e32 v[45:46], 1.0, v[45:46]
	v_cmp_nge_f64_e32 vcc_lo, -1.0, v[23:24]
	v_sub_nc_u32_e32 v51, 0, v65
	s_delay_alu instid0(VALU_DEP_1) | instskip(NEXT) | instid1(VALU_DEP_4)
	v_ldexp_f64 v[35:36], v[35:36], v51
	v_add_f64_e32 v[45:46], v[47:48], v[45:46]
	s_and_b32 vcc_lo, vcc_lo, s1
	s_delay_alu instid0(VALU_DEP_2) | instskip(SKIP_1) | instid1(VALU_DEP_3)
	v_add_f64_e32 v[49:50], 1.0, v[35:36]
	v_add_f64_e32 v[55:56], -1.0, v[35:36]
	v_ldexp_f64 v[45:46], v[45:46], v51
	s_delay_alu instid0(VALU_DEP_3) | instskip(NEXT) | instid1(VALU_DEP_3)
	v_add_f64_e32 v[47:48], -1.0, v[49:50]
	v_add_f64_e32 v[57:58], 1.0, v[55:56]
	s_delay_alu instid0(VALU_DEP_2) | instskip(NEXT) | instid1(VALU_DEP_2)
	v_add_f64_e64 v[47:48], v[35:36], -v[47:48]
	v_add_f64_e64 v[35:36], v[35:36], -v[57:58]
	s_delay_alu instid0(VALU_DEP_2) | instskip(NEXT) | instid1(VALU_DEP_2)
	v_add_f64_e32 v[47:48], v[45:46], v[47:48]
	v_add_f64_e32 v[35:36], v[45:46], v[35:36]
	s_delay_alu instid0(VALU_DEP_2) | instskip(NEXT) | instid1(VALU_DEP_2)
	v_add_f64_e32 v[51:52], v[49:50], v[47:48]
	v_add_f64_e32 v[57:58], v[55:56], v[35:36]
	s_delay_alu instid0(VALU_DEP_2) | instskip(SKIP_1) | instid1(VALU_DEP_2)
	v_rcp_f64_e32 v[53:54], v[51:52]
	v_add_f64_e64 v[49:50], v[51:52], -v[49:50]
	v_add_f64_e64 v[55:56], v[57:58], -v[55:56]
	s_delay_alu instid0(VALU_DEP_2) | instskip(NEXT) | instid1(TRANS32_DEP_1)
	v_add_f64_e64 v[47:48], v[47:48], -v[49:50]
	v_fma_f64 v[59:60], -v[51:52], v[53:54], 1.0
	s_delay_alu instid0(VALU_DEP_3) | instskip(NEXT) | instid1(VALU_DEP_2)
	v_add_f64_e64 v[35:36], v[35:36], -v[55:56]
	v_fma_f64 v[53:54], v[59:60], v[53:54], v[53:54]
	s_delay_alu instid0(VALU_DEP_1) | instskip(NEXT) | instid1(VALU_DEP_1)
	v_fma_f64 v[45:46], -v[51:52], v[53:54], 1.0
	v_fma_f64 v[45:46], v[45:46], v[53:54], v[53:54]
	s_delay_alu instid0(VALU_DEP_1) | instskip(NEXT) | instid1(VALU_DEP_1)
	v_mul_f64_e32 v[53:54], v[57:58], v[45:46]
	v_mul_f64_e32 v[59:60], v[51:52], v[53:54]
	s_delay_alu instid0(VALU_DEP_1) | instskip(NEXT) | instid1(VALU_DEP_1)
	v_fma_f64 v[49:50], v[53:54], v[51:52], -v[59:60]
	v_fma_f64 v[49:50], v[53:54], v[47:48], v[49:50]
	s_delay_alu instid0(VALU_DEP_1) | instskip(NEXT) | instid1(VALU_DEP_1)
	v_add_f64_e32 v[61:62], v[59:60], v[49:50]
	v_add_f64_e64 v[63:64], v[57:58], -v[61:62]
	v_add_f64_e64 v[55:56], v[61:62], -v[59:60]
	s_delay_alu instid0(VALU_DEP_2) | instskip(NEXT) | instid1(VALU_DEP_2)
	v_add_f64_e64 v[57:58], v[57:58], -v[63:64]
	v_add_f64_e64 v[49:50], v[55:56], -v[49:50]
	s_delay_alu instid0(VALU_DEP_2) | instskip(NEXT) | instid1(VALU_DEP_1)
	v_add_f64_e64 v[57:58], v[57:58], -v[61:62]
	v_add_f64_e32 v[35:36], v[35:36], v[57:58]
	s_delay_alu instid0(VALU_DEP_1) | instskip(NEXT) | instid1(VALU_DEP_1)
	v_add_f64_e32 v[35:36], v[49:50], v[35:36]
	v_add_f64_e32 v[49:50], v[63:64], v[35:36]
	s_delay_alu instid0(VALU_DEP_1) | instskip(SKIP_1) | instid1(VALU_DEP_2)
	v_mul_f64_e32 v[55:56], v[45:46], v[49:50]
	v_add_f64_e64 v[61:62], v[63:64], -v[49:50]
	v_mul_f64_e32 v[57:58], v[51:52], v[55:56]
	s_delay_alu instid0(VALU_DEP_2) | instskip(NEXT) | instid1(VALU_DEP_2)
	v_add_f64_e32 v[35:36], v[35:36], v[61:62]
	v_fma_f64 v[51:52], v[55:56], v[51:52], -v[57:58]
	s_delay_alu instid0(VALU_DEP_1) | instskip(NEXT) | instid1(VALU_DEP_1)
	v_fma_f64 v[47:48], v[55:56], v[47:48], v[51:52]
	v_add_f64_e32 v[51:52], v[57:58], v[47:48]
	s_delay_alu instid0(VALU_DEP_1) | instskip(SKIP_1) | instid1(VALU_DEP_2)
	v_add_f64_e64 v[59:60], v[49:50], -v[51:52]
	v_add_f64_e64 v[57:58], v[51:52], -v[57:58]
	;; [unrolled: 1-line block ×3, first 2 shown]
	s_delay_alu instid0(VALU_DEP_2) | instskip(NEXT) | instid1(VALU_DEP_2)
	v_add_f64_e64 v[47:48], v[57:58], -v[47:48]
	v_add_f64_e64 v[49:50], v[49:50], -v[51:52]
	s_delay_alu instid0(VALU_DEP_1) | instskip(SKIP_1) | instid1(VALU_DEP_2)
	v_add_f64_e32 v[35:36], v[35:36], v[49:50]
	v_add_f64_e32 v[49:50], v[53:54], v[55:56]
	;; [unrolled: 1-line block ×3, first 2 shown]
	s_delay_alu instid0(VALU_DEP_2) | instskip(NEXT) | instid1(VALU_DEP_2)
	v_add_f64_e64 v[47:48], v[49:50], -v[53:54]
	v_add_f64_e32 v[35:36], v[59:60], v[35:36]
	s_delay_alu instid0(VALU_DEP_2) | instskip(NEXT) | instid1(VALU_DEP_2)
	v_add_f64_e64 v[47:48], v[55:56], -v[47:48]
	v_mul_f64_e32 v[35:36], v[45:46], v[35:36]
	s_delay_alu instid0(VALU_DEP_1) | instskip(NEXT) | instid1(VALU_DEP_1)
	v_add_f64_e32 v[35:36], v[47:48], v[35:36]
	v_add_f64_e32 v[45:46], v[49:50], v[35:36]
	s_delay_alu instid0(VALU_DEP_1) | instskip(NEXT) | instid1(VALU_DEP_1)
	v_mul_f64_e32 v[47:48], v[45:46], v[45:46]
	v_fma_f64 v[51:52], v[47:48], s[16:17], s[10:11]
	s_mov_b32 s10, 0xd7f4df2e
	s_mov_b32 s11, 0x3fc7474d
	v_mul_f64_e32 v[53:54], v[45:46], v[47:48]
	s_wait_alu 0xfffe
	s_delay_alu instid0(VALU_DEP_2) | instskip(SKIP_3) | instid1(VALU_DEP_1)
	v_fma_f64 v[51:52], v[47:48], v[51:52], s[10:11]
	s_mov_b32 s10, 0x16291751
	s_mov_b32 s11, 0x3fcc71c0
	s_wait_alu 0xfffe
	v_fma_f64 v[51:52], v[47:48], v[51:52], s[10:11]
	s_mov_b32 s10, 0x9b27acf1
	s_mov_b32 s11, 0x3fd24924
	s_wait_alu 0xfffe
	s_delay_alu instid0(VALU_DEP_1) | instskip(SKIP_3) | instid1(VALU_DEP_1)
	v_fma_f64 v[51:52], v[47:48], v[51:52], s[10:11]
	s_mov_b32 s10, 0x998ef7b6
	s_mov_b32 s11, 0x3fd99999
	s_wait_alu 0xfffe
	v_fma_f64 v[51:52], v[47:48], v[51:52], s[10:11]
	s_delay_alu instid0(VALU_DEP_1) | instskip(SKIP_2) | instid1(VALU_DEP_3)
	v_fma_f64 v[47:48], v[47:48], v[51:52], s[6:7]
	v_ldexp_f64 v[51:52], v[45:46], 1
	v_add_f64_e64 v[45:46], v[45:46], -v[49:50]
	v_mul_f64_e32 v[47:48], v[53:54], v[47:48]
	v_cvt_f64_i32_e32 v[53:54], v65
	s_delay_alu instid0(VALU_DEP_3) | instskip(NEXT) | instid1(VALU_DEP_3)
	v_add_f64_e64 v[35:36], v[35:36], -v[45:46]
	v_add_f64_e32 v[49:50], v[51:52], v[47:48]
	s_delay_alu instid0(VALU_DEP_3) | instskip(NEXT) | instid1(VALU_DEP_3)
	v_mul_f64_e32 v[55:56], s[2:3], v[53:54]
	v_ldexp_f64 v[35:36], v[35:36], 1
	s_delay_alu instid0(VALU_DEP_3) | instskip(NEXT) | instid1(VALU_DEP_3)
	v_add_f64_e64 v[45:46], v[49:50], -v[51:52]
	v_fma_f64 v[51:52], v[53:54], s[2:3], -v[55:56]
	v_cmp_ngt_f64_e64 s2, -1.0, v[23:24]
	s_delay_alu instid0(VALU_DEP_3) | instskip(NEXT) | instid1(VALU_DEP_3)
	v_add_f64_e64 v[45:46], v[47:48], -v[45:46]
	v_fma_f64 v[47:48], v[53:54], s[4:5], v[51:52]
	s_delay_alu instid0(VALU_DEP_2) | instskip(NEXT) | instid1(VALU_DEP_2)
	v_add_f64_e32 v[35:36], v[35:36], v[45:46]
	v_add_f64_e32 v[45:46], v[55:56], v[47:48]
	s_delay_alu instid0(VALU_DEP_2) | instskip(NEXT) | instid1(VALU_DEP_2)
	v_add_f64_e32 v[51:52], v[49:50], v[35:36]
	v_add_f64_e64 v[55:56], v[45:46], -v[55:56]
	s_delay_alu instid0(VALU_DEP_2) | instskip(SKIP_1) | instid1(VALU_DEP_3)
	v_add_f64_e32 v[53:54], v[45:46], v[51:52]
	v_add_f64_e64 v[49:50], v[51:52], -v[49:50]
	v_add_f64_e64 v[47:48], v[47:48], -v[55:56]
	s_delay_alu instid0(VALU_DEP_3) | instskip(NEXT) | instid1(VALU_DEP_3)
	v_add_f64_e64 v[57:58], v[53:54], -v[45:46]
	v_add_f64_e64 v[35:36], v[35:36], -v[49:50]
	s_delay_alu instid0(VALU_DEP_2) | instskip(SKIP_1) | instid1(VALU_DEP_3)
	v_add_f64_e64 v[59:60], v[53:54], -v[57:58]
	v_add_f64_e64 v[49:50], v[51:52], -v[57:58]
	v_add_f64_e32 v[51:52], v[47:48], v[35:36]
	s_delay_alu instid0(VALU_DEP_3) | instskip(NEXT) | instid1(VALU_DEP_1)
	v_add_f64_e64 v[45:46], v[45:46], -v[59:60]
	v_add_f64_e32 v[45:46], v[49:50], v[45:46]
	s_delay_alu instid0(VALU_DEP_3) | instskip(NEXT) | instid1(VALU_DEP_2)
	v_add_f64_e64 v[49:50], v[51:52], -v[47:48]
	v_add_f64_e32 v[45:46], v[51:52], v[45:46]
	s_delay_alu instid0(VALU_DEP_2) | instskip(SKIP_1) | instid1(VALU_DEP_3)
	v_add_f64_e64 v[51:52], v[51:52], -v[49:50]
	v_add_f64_e64 v[35:36], v[35:36], -v[49:50]
	v_add_f64_e32 v[55:56], v[53:54], v[45:46]
	s_delay_alu instid0(VALU_DEP_3) | instskip(NEXT) | instid1(VALU_DEP_2)
	v_add_f64_e64 v[47:48], v[47:48], -v[51:52]
	v_add_f64_e64 v[49:50], v[55:56], -v[53:54]
	s_delay_alu instid0(VALU_DEP_2) | instskip(NEXT) | instid1(VALU_DEP_2)
	v_add_f64_e32 v[35:36], v[35:36], v[47:48]
	v_add_f64_e64 v[45:46], v[45:46], -v[49:50]
	s_delay_alu instid0(VALU_DEP_1) | instskip(NEXT) | instid1(VALU_DEP_1)
	v_add_f64_e32 v[35:36], v[35:36], v[45:46]
	v_add_f64_e32 v[35:36], v[55:56], v[35:36]
	s_delay_alu instid0(VALU_DEP_1) | instskip(SKIP_1) | instid1(VALU_DEP_3)
	v_cndmask_b32_e32 v35, 0, v35, vcc_lo
	v_cmp_neq_f64_e32 vcc_lo, -1.0, v[23:24]
	v_cndmask_b32_e64 v36, 0x7ff00000, v36, s1
	s_wait_alu 0xf1ff
	s_delay_alu instid0(VALU_DEP_1) | instskip(SKIP_1) | instid1(VALU_DEP_1)
	v_cndmask_b32_e64 v36, 0x7ff80000, v36, s2
	s_wait_alu 0xfffd
	v_cndmask_b32_e32 v36, 0xfff00000, v36, vcc_lo
	s_delay_alu instid0(VALU_DEP_1)
	v_add_f64_e32 v[23:24], v[33:34], v[35:36]
.LBB71_296:
	s_wait_alu 0xfffe
	s_or_b32 exec_lo, exec_lo, s8
	s_delay_alu instid0(VALU_DEP_1) | instskip(SKIP_1) | instid1(VALU_DEP_2)
	v_max_num_f64_e32 v[33:34], v[23:24], v[23:24]
	v_cmp_u_f64_e32 vcc_lo, v[23:24], v[23:24]
	v_min_num_f64_e32 v[35:36], v[33:34], v[25:26]
	v_max_num_f64_e32 v[25:26], v[33:34], v[25:26]
	s_wait_alu 0xfffd
	s_delay_alu instid0(VALU_DEP_2) | instskip(NEXT) | instid1(VALU_DEP_2)
	v_dual_cndmask_b32 v33, v35, v23 :: v_dual_cndmask_b32 v34, v36, v24
	v_dual_cndmask_b32 v26, v26, v24 :: v_dual_cndmask_b32 v25, v25, v23
	s_delay_alu instid0(VALU_DEP_2) | instskip(NEXT) | instid1(VALU_DEP_3)
	v_cndmask_b32_e64 v35, v33, v41, s12
	v_cndmask_b32_e64 v36, v34, v42, s12
	s_delay_alu instid0(VALU_DEP_3) | instskip(NEXT) | instid1(VALU_DEP_4)
	v_cndmask_b32_e64 v34, v26, v42, s12
	v_cndmask_b32_e64 v33, v25, v41, s12
	v_dual_mov_b32 v26, v24 :: v_dual_mov_b32 v25, v23
	s_delay_alu instid0(VALU_DEP_4) | instskip(NEXT) | instid1(VALU_DEP_3)
	v_cmp_class_f64_e64 s1, v[35:36], 0x1f8
	v_cmp_neq_f64_e32 vcc_lo, v[35:36], v[33:34]
	s_or_b32 s1, vcc_lo, s1
	s_wait_alu 0xfffe
	s_and_saveexec_b32 s8, s1
	s_cbranch_execz .LBB71_298
; %bb.297:
	v_add_f64_e64 v[25:26], v[35:36], -v[33:34]
	s_mov_b32 s2, 0x652b82fe
	s_mov_b32 s3, 0x3ff71547
	;; [unrolled: 1-line block ×10, first 2 shown]
	s_wait_alu 0xfffe
	s_delay_alu instid0(VALU_DEP_1) | instskip(SKIP_4) | instid1(VALU_DEP_3)
	v_mul_f64_e32 v[35:36], s[2:3], v[25:26]
	s_mov_b32 s3, 0xbfe62e42
	s_mov_b32 s2, 0xfefa39ef
	v_cmp_nlt_f64_e32 vcc_lo, 0x40900000, v[25:26]
	v_cmp_ngt_f64_e64 s1, 0xc090cc00, v[25:26]
	v_rndne_f64_e32 v[35:36], v[35:36]
	s_wait_alu 0xfffe
	s_delay_alu instid0(VALU_DEP_1) | instskip(SKIP_2) | instid1(VALU_DEP_2)
	v_fma_f64 v[41:42], v[35:36], s[2:3], v[25:26]
	v_cvt_i32_f64_e32 v47, v[35:36]
	s_mov_b32 s3, 0x3fe62e42
	v_fma_f64 v[41:42], v[35:36], s[4:5], v[41:42]
	s_mov_b32 s5, 0x3c7abc9e
	s_delay_alu instid0(VALU_DEP_1)
	v_fma_f64 v[45:46], v[41:42], s[10:11], s[6:7]
	s_mov_b32 s6, 0x623fde64
	s_mov_b32 s7, 0x3ec71dee
	;; [unrolled: 1-line block ×4, first 2 shown]
	s_wait_alu 0xfffe
	s_delay_alu instid0(VALU_DEP_1) | instskip(SKIP_3) | instid1(VALU_DEP_1)
	v_fma_f64 v[45:46], v[41:42], v[45:46], s[6:7]
	s_mov_b32 s6, 0x7c89e6b0
	s_mov_b32 s7, 0x3efa0199
	s_wait_alu 0xfffe
	v_fma_f64 v[45:46], v[41:42], v[45:46], s[6:7]
	s_mov_b32 s6, 0x14761f6e
	s_mov_b32 s7, 0x3f2a01a0
	s_wait_alu 0xfffe
	s_delay_alu instid0(VALU_DEP_1) | instskip(SKIP_3) | instid1(VALU_DEP_1)
	v_fma_f64 v[45:46], v[41:42], v[45:46], s[6:7]
	s_mov_b32 s6, 0x1852b7b0
	s_mov_b32 s7, 0x3f56c16c
	s_wait_alu 0xfffe
	v_fma_f64 v[45:46], v[41:42], v[45:46], s[6:7]
	s_mov_b32 s6, 0x11122322
	s_mov_b32 s7, 0x3f811111
	;; [unrolled: 9-line block ×4, first 2 shown]
	s_delay_alu instid0(VALU_DEP_1) | instskip(NEXT) | instid1(VALU_DEP_1)
	v_fma_f64 v[45:46], v[41:42], v[45:46], 1.0
	v_fma_f64 v[35:36], v[41:42], v[45:46], 1.0
	s_delay_alu instid0(VALU_DEP_1) | instskip(SKIP_1) | instid1(VALU_DEP_1)
	v_ldexp_f64 v[35:36], v[35:36], v47
	s_wait_alu 0xfffd
	v_cndmask_b32_e32 v36, 0x7ff00000, v36, vcc_lo
	s_and_b32 vcc_lo, s1, vcc_lo
	s_wait_alu 0xfffe
	s_delay_alu instid0(VALU_DEP_2) | instskip(NEXT) | instid1(VALU_DEP_2)
	v_cndmask_b32_e32 v25, 0, v35, vcc_lo
	v_cndmask_b32_e64 v26, 0, v36, s1
	s_delay_alu instid0(VALU_DEP_1) | instskip(SKIP_1) | instid1(VALU_DEP_2)
	v_add_f64_e32 v[35:36], 1.0, v[25:26]
	v_cmp_neq_f64_e64 s1, 0x7ff00000, v[25:26]
	v_frexp_mant_f64_e32 v[41:42], v[35:36]
	v_frexp_exp_i32_f64_e32 v47, v[35:36]
	v_add_f64_e32 v[45:46], -1.0, v[35:36]
	s_delay_alu instid0(VALU_DEP_3) | instskip(SKIP_1) | instid1(VALU_DEP_2)
	v_cmp_gt_f64_e32 vcc_lo, s[6:7], v[41:42]
	s_mov_b32 s6, 0x55555780
	v_add_f64_e64 v[41:42], v[45:46], -v[35:36]
	v_add_f64_e64 v[45:46], v[25:26], -v[45:46]
	s_wait_alu 0xfffd
	v_subrev_co_ci_u32_e64 v63, null, 0, v47, vcc_lo
	s_delay_alu instid0(VALU_DEP_3) | instskip(SKIP_1) | instid1(VALU_DEP_3)
	v_add_f64_e32 v[41:42], 1.0, v[41:42]
	v_cmp_nge_f64_e32 vcc_lo, -1.0, v[25:26]
	v_sub_nc_u32_e32 v49, 0, v63
	s_delay_alu instid0(VALU_DEP_1) | instskip(NEXT) | instid1(VALU_DEP_4)
	v_ldexp_f64 v[35:36], v[35:36], v49
	v_add_f64_e32 v[41:42], v[45:46], v[41:42]
	s_and_b32 vcc_lo, vcc_lo, s1
	s_delay_alu instid0(VALU_DEP_2) | instskip(SKIP_1) | instid1(VALU_DEP_3)
	v_add_f64_e32 v[47:48], 1.0, v[35:36]
	v_add_f64_e32 v[53:54], -1.0, v[35:36]
	v_ldexp_f64 v[41:42], v[41:42], v49
	s_delay_alu instid0(VALU_DEP_3) | instskip(NEXT) | instid1(VALU_DEP_3)
	v_add_f64_e32 v[45:46], -1.0, v[47:48]
	v_add_f64_e32 v[55:56], 1.0, v[53:54]
	s_delay_alu instid0(VALU_DEP_2) | instskip(NEXT) | instid1(VALU_DEP_2)
	v_add_f64_e64 v[45:46], v[35:36], -v[45:46]
	v_add_f64_e64 v[35:36], v[35:36], -v[55:56]
	s_delay_alu instid0(VALU_DEP_2) | instskip(NEXT) | instid1(VALU_DEP_2)
	v_add_f64_e32 v[45:46], v[41:42], v[45:46]
	v_add_f64_e32 v[35:36], v[41:42], v[35:36]
	s_delay_alu instid0(VALU_DEP_2) | instskip(NEXT) | instid1(VALU_DEP_2)
	v_add_f64_e32 v[49:50], v[47:48], v[45:46]
	v_add_f64_e32 v[55:56], v[53:54], v[35:36]
	s_delay_alu instid0(VALU_DEP_2) | instskip(SKIP_1) | instid1(VALU_DEP_2)
	v_rcp_f64_e32 v[51:52], v[49:50]
	v_add_f64_e64 v[47:48], v[49:50], -v[47:48]
	v_add_f64_e64 v[53:54], v[55:56], -v[53:54]
	s_delay_alu instid0(VALU_DEP_2) | instskip(NEXT) | instid1(TRANS32_DEP_1)
	v_add_f64_e64 v[45:46], v[45:46], -v[47:48]
	v_fma_f64 v[57:58], -v[49:50], v[51:52], 1.0
	s_delay_alu instid0(VALU_DEP_3) | instskip(NEXT) | instid1(VALU_DEP_2)
	v_add_f64_e64 v[35:36], v[35:36], -v[53:54]
	v_fma_f64 v[51:52], v[57:58], v[51:52], v[51:52]
	s_delay_alu instid0(VALU_DEP_1) | instskip(NEXT) | instid1(VALU_DEP_1)
	v_fma_f64 v[41:42], -v[49:50], v[51:52], 1.0
	v_fma_f64 v[41:42], v[41:42], v[51:52], v[51:52]
	s_delay_alu instid0(VALU_DEP_1) | instskip(NEXT) | instid1(VALU_DEP_1)
	v_mul_f64_e32 v[51:52], v[55:56], v[41:42]
	v_mul_f64_e32 v[57:58], v[49:50], v[51:52]
	s_delay_alu instid0(VALU_DEP_1) | instskip(NEXT) | instid1(VALU_DEP_1)
	v_fma_f64 v[47:48], v[51:52], v[49:50], -v[57:58]
	v_fma_f64 v[47:48], v[51:52], v[45:46], v[47:48]
	s_delay_alu instid0(VALU_DEP_1) | instskip(NEXT) | instid1(VALU_DEP_1)
	v_add_f64_e32 v[59:60], v[57:58], v[47:48]
	v_add_f64_e64 v[61:62], v[55:56], -v[59:60]
	v_add_f64_e64 v[53:54], v[59:60], -v[57:58]
	s_delay_alu instid0(VALU_DEP_2) | instskip(NEXT) | instid1(VALU_DEP_2)
	v_add_f64_e64 v[55:56], v[55:56], -v[61:62]
	v_add_f64_e64 v[47:48], v[53:54], -v[47:48]
	s_delay_alu instid0(VALU_DEP_2) | instskip(NEXT) | instid1(VALU_DEP_1)
	v_add_f64_e64 v[55:56], v[55:56], -v[59:60]
	v_add_f64_e32 v[35:36], v[35:36], v[55:56]
	s_delay_alu instid0(VALU_DEP_1) | instskip(NEXT) | instid1(VALU_DEP_1)
	v_add_f64_e32 v[35:36], v[47:48], v[35:36]
	v_add_f64_e32 v[47:48], v[61:62], v[35:36]
	s_delay_alu instid0(VALU_DEP_1) | instskip(SKIP_1) | instid1(VALU_DEP_2)
	v_mul_f64_e32 v[53:54], v[41:42], v[47:48]
	v_add_f64_e64 v[59:60], v[61:62], -v[47:48]
	v_mul_f64_e32 v[55:56], v[49:50], v[53:54]
	s_delay_alu instid0(VALU_DEP_2) | instskip(NEXT) | instid1(VALU_DEP_2)
	v_add_f64_e32 v[35:36], v[35:36], v[59:60]
	v_fma_f64 v[49:50], v[53:54], v[49:50], -v[55:56]
	s_delay_alu instid0(VALU_DEP_1) | instskip(NEXT) | instid1(VALU_DEP_1)
	v_fma_f64 v[45:46], v[53:54], v[45:46], v[49:50]
	v_add_f64_e32 v[49:50], v[55:56], v[45:46]
	s_delay_alu instid0(VALU_DEP_1) | instskip(SKIP_1) | instid1(VALU_DEP_2)
	v_add_f64_e64 v[57:58], v[47:48], -v[49:50]
	v_add_f64_e64 v[55:56], v[49:50], -v[55:56]
	;; [unrolled: 1-line block ×3, first 2 shown]
	s_delay_alu instid0(VALU_DEP_2) | instskip(NEXT) | instid1(VALU_DEP_2)
	v_add_f64_e64 v[45:46], v[55:56], -v[45:46]
	v_add_f64_e64 v[47:48], v[47:48], -v[49:50]
	s_delay_alu instid0(VALU_DEP_1) | instskip(SKIP_1) | instid1(VALU_DEP_2)
	v_add_f64_e32 v[35:36], v[35:36], v[47:48]
	v_add_f64_e32 v[47:48], v[51:52], v[53:54]
	;; [unrolled: 1-line block ×3, first 2 shown]
	s_delay_alu instid0(VALU_DEP_2) | instskip(NEXT) | instid1(VALU_DEP_2)
	v_add_f64_e64 v[45:46], v[47:48], -v[51:52]
	v_add_f64_e32 v[35:36], v[57:58], v[35:36]
	s_delay_alu instid0(VALU_DEP_2) | instskip(NEXT) | instid1(VALU_DEP_2)
	v_add_f64_e64 v[45:46], v[53:54], -v[45:46]
	v_mul_f64_e32 v[35:36], v[41:42], v[35:36]
	s_delay_alu instid0(VALU_DEP_1) | instskip(NEXT) | instid1(VALU_DEP_1)
	v_add_f64_e32 v[35:36], v[45:46], v[35:36]
	v_add_f64_e32 v[41:42], v[47:48], v[35:36]
	s_delay_alu instid0(VALU_DEP_1) | instskip(NEXT) | instid1(VALU_DEP_1)
	v_mul_f64_e32 v[45:46], v[41:42], v[41:42]
	v_fma_f64 v[49:50], v[45:46], s[16:17], s[10:11]
	s_mov_b32 s10, 0xd7f4df2e
	s_mov_b32 s11, 0x3fc7474d
	v_mul_f64_e32 v[51:52], v[41:42], v[45:46]
	s_wait_alu 0xfffe
	s_delay_alu instid0(VALU_DEP_2) | instskip(SKIP_3) | instid1(VALU_DEP_1)
	v_fma_f64 v[49:50], v[45:46], v[49:50], s[10:11]
	s_mov_b32 s10, 0x16291751
	s_mov_b32 s11, 0x3fcc71c0
	s_wait_alu 0xfffe
	v_fma_f64 v[49:50], v[45:46], v[49:50], s[10:11]
	s_mov_b32 s10, 0x9b27acf1
	s_mov_b32 s11, 0x3fd24924
	s_wait_alu 0xfffe
	s_delay_alu instid0(VALU_DEP_1) | instskip(SKIP_3) | instid1(VALU_DEP_1)
	v_fma_f64 v[49:50], v[45:46], v[49:50], s[10:11]
	s_mov_b32 s10, 0x998ef7b6
	s_mov_b32 s11, 0x3fd99999
	s_wait_alu 0xfffe
	v_fma_f64 v[49:50], v[45:46], v[49:50], s[10:11]
	s_delay_alu instid0(VALU_DEP_1) | instskip(SKIP_2) | instid1(VALU_DEP_3)
	v_fma_f64 v[45:46], v[45:46], v[49:50], s[6:7]
	v_ldexp_f64 v[49:50], v[41:42], 1
	v_add_f64_e64 v[41:42], v[41:42], -v[47:48]
	v_mul_f64_e32 v[45:46], v[51:52], v[45:46]
	v_cvt_f64_i32_e32 v[51:52], v63
	s_delay_alu instid0(VALU_DEP_3) | instskip(NEXT) | instid1(VALU_DEP_3)
	v_add_f64_e64 v[35:36], v[35:36], -v[41:42]
	v_add_f64_e32 v[47:48], v[49:50], v[45:46]
	s_delay_alu instid0(VALU_DEP_3) | instskip(NEXT) | instid1(VALU_DEP_3)
	v_mul_f64_e32 v[53:54], s[2:3], v[51:52]
	v_ldexp_f64 v[35:36], v[35:36], 1
	s_delay_alu instid0(VALU_DEP_3) | instskip(NEXT) | instid1(VALU_DEP_3)
	v_add_f64_e64 v[41:42], v[47:48], -v[49:50]
	v_fma_f64 v[49:50], v[51:52], s[2:3], -v[53:54]
	v_cmp_ngt_f64_e64 s2, -1.0, v[25:26]
	s_delay_alu instid0(VALU_DEP_3) | instskip(NEXT) | instid1(VALU_DEP_3)
	v_add_f64_e64 v[41:42], v[45:46], -v[41:42]
	v_fma_f64 v[45:46], v[51:52], s[4:5], v[49:50]
	s_delay_alu instid0(VALU_DEP_2) | instskip(NEXT) | instid1(VALU_DEP_2)
	v_add_f64_e32 v[35:36], v[35:36], v[41:42]
	v_add_f64_e32 v[41:42], v[53:54], v[45:46]
	s_delay_alu instid0(VALU_DEP_2) | instskip(NEXT) | instid1(VALU_DEP_2)
	v_add_f64_e32 v[49:50], v[47:48], v[35:36]
	v_add_f64_e64 v[53:54], v[41:42], -v[53:54]
	s_delay_alu instid0(VALU_DEP_2) | instskip(SKIP_1) | instid1(VALU_DEP_3)
	v_add_f64_e32 v[51:52], v[41:42], v[49:50]
	v_add_f64_e64 v[47:48], v[49:50], -v[47:48]
	v_add_f64_e64 v[45:46], v[45:46], -v[53:54]
	s_delay_alu instid0(VALU_DEP_3) | instskip(NEXT) | instid1(VALU_DEP_3)
	v_add_f64_e64 v[55:56], v[51:52], -v[41:42]
	v_add_f64_e64 v[35:36], v[35:36], -v[47:48]
	s_delay_alu instid0(VALU_DEP_2) | instskip(SKIP_1) | instid1(VALU_DEP_3)
	v_add_f64_e64 v[57:58], v[51:52], -v[55:56]
	v_add_f64_e64 v[47:48], v[49:50], -v[55:56]
	v_add_f64_e32 v[49:50], v[45:46], v[35:36]
	s_delay_alu instid0(VALU_DEP_3) | instskip(NEXT) | instid1(VALU_DEP_1)
	v_add_f64_e64 v[41:42], v[41:42], -v[57:58]
	v_add_f64_e32 v[41:42], v[47:48], v[41:42]
	s_delay_alu instid0(VALU_DEP_3) | instskip(NEXT) | instid1(VALU_DEP_2)
	v_add_f64_e64 v[47:48], v[49:50], -v[45:46]
	v_add_f64_e32 v[41:42], v[49:50], v[41:42]
	s_delay_alu instid0(VALU_DEP_2) | instskip(SKIP_1) | instid1(VALU_DEP_3)
	v_add_f64_e64 v[49:50], v[49:50], -v[47:48]
	v_add_f64_e64 v[35:36], v[35:36], -v[47:48]
	v_add_f64_e32 v[53:54], v[51:52], v[41:42]
	s_delay_alu instid0(VALU_DEP_3) | instskip(NEXT) | instid1(VALU_DEP_2)
	v_add_f64_e64 v[45:46], v[45:46], -v[49:50]
	v_add_f64_e64 v[47:48], v[53:54], -v[51:52]
	s_delay_alu instid0(VALU_DEP_2) | instskip(NEXT) | instid1(VALU_DEP_2)
	v_add_f64_e32 v[35:36], v[35:36], v[45:46]
	v_add_f64_e64 v[41:42], v[41:42], -v[47:48]
	s_delay_alu instid0(VALU_DEP_1) | instskip(NEXT) | instid1(VALU_DEP_1)
	v_add_f64_e32 v[35:36], v[35:36], v[41:42]
	v_add_f64_e32 v[35:36], v[53:54], v[35:36]
	s_delay_alu instid0(VALU_DEP_1) | instskip(SKIP_1) | instid1(VALU_DEP_3)
	v_cndmask_b32_e32 v35, 0, v35, vcc_lo
	v_cmp_neq_f64_e32 vcc_lo, -1.0, v[25:26]
	v_cndmask_b32_e64 v36, 0x7ff00000, v36, s1
	s_wait_alu 0xf1ff
	s_delay_alu instid0(VALU_DEP_1) | instskip(SKIP_1) | instid1(VALU_DEP_1)
	v_cndmask_b32_e64 v36, 0x7ff80000, v36, s2
	s_wait_alu 0xfffd
	v_cndmask_b32_e32 v36, 0xfff00000, v36, vcc_lo
	s_delay_alu instid0(VALU_DEP_1)
	v_add_f64_e32 v[25:26], v[33:34], v[35:36]
.LBB71_298:
	s_wait_alu 0xfffe
	s_or_b32 exec_lo, exec_lo, s8
	s_delay_alu instid0(VALU_DEP_1) | instskip(SKIP_1) | instid1(VALU_DEP_2)
	v_max_num_f64_e32 v[33:34], v[25:26], v[25:26]
	v_cmp_u_f64_e32 vcc_lo, v[25:26], v[25:26]
	v_min_num_f64_e32 v[35:36], v[33:34], v[27:28]
	v_max_num_f64_e32 v[27:28], v[33:34], v[27:28]
	s_wait_alu 0xfffd
	s_delay_alu instid0(VALU_DEP_2) | instskip(NEXT) | instid1(VALU_DEP_2)
	v_dual_cndmask_b32 v33, v35, v25 :: v_dual_cndmask_b32 v34, v36, v26
	v_dual_cndmask_b32 v28, v28, v26 :: v_dual_cndmask_b32 v27, v27, v25
	s_delay_alu instid0(VALU_DEP_2) | instskip(NEXT) | instid1(VALU_DEP_3)
	v_cndmask_b32_e64 v35, v33, v43, s13
	v_cndmask_b32_e64 v36, v34, v44, s13
	s_delay_alu instid0(VALU_DEP_3) | instskip(NEXT) | instid1(VALU_DEP_4)
	v_cndmask_b32_e64 v34, v28, v44, s13
	v_cndmask_b32_e64 v33, v27, v43, s13
	v_dual_mov_b32 v28, v26 :: v_dual_mov_b32 v27, v25
	s_delay_alu instid0(VALU_DEP_4) | instskip(NEXT) | instid1(VALU_DEP_3)
	v_cmp_class_f64_e64 s1, v[35:36], 0x1f8
	v_cmp_neq_f64_e32 vcc_lo, v[35:36], v[33:34]
	s_or_b32 s1, vcc_lo, s1
	s_wait_alu 0xfffe
	s_and_saveexec_b32 s8, s1
	s_cbranch_execz .LBB71_300
; %bb.299:
	v_add_f64_e64 v[27:28], v[35:36], -v[33:34]
	s_mov_b32 s2, 0x652b82fe
	s_mov_b32 s3, 0x3ff71547
	;; [unrolled: 1-line block ×10, first 2 shown]
	s_wait_alu 0xfffe
	s_delay_alu instid0(VALU_DEP_1) | instskip(SKIP_4) | instid1(VALU_DEP_3)
	v_mul_f64_e32 v[35:36], s[2:3], v[27:28]
	s_mov_b32 s3, 0xbfe62e42
	s_mov_b32 s2, 0xfefa39ef
	v_cmp_nlt_f64_e32 vcc_lo, 0x40900000, v[27:28]
	v_cmp_ngt_f64_e64 s1, 0xc090cc00, v[27:28]
	v_rndne_f64_e32 v[35:36], v[35:36]
	s_wait_alu 0xfffe
	s_delay_alu instid0(VALU_DEP_1) | instskip(SKIP_2) | instid1(VALU_DEP_2)
	v_fma_f64 v[41:42], v[35:36], s[2:3], v[27:28]
	v_cvt_i32_f64_e32 v45, v[35:36]
	s_mov_b32 s3, 0x3fe62e42
	v_fma_f64 v[41:42], v[35:36], s[4:5], v[41:42]
	s_mov_b32 s5, 0x3c7abc9e
	s_delay_alu instid0(VALU_DEP_1)
	v_fma_f64 v[43:44], v[41:42], s[10:11], s[6:7]
	s_mov_b32 s6, 0x623fde64
	s_mov_b32 s7, 0x3ec71dee
	;; [unrolled: 1-line block ×4, first 2 shown]
	s_wait_alu 0xfffe
	s_delay_alu instid0(VALU_DEP_1) | instskip(SKIP_3) | instid1(VALU_DEP_1)
	v_fma_f64 v[43:44], v[41:42], v[43:44], s[6:7]
	s_mov_b32 s6, 0x7c89e6b0
	s_mov_b32 s7, 0x3efa0199
	s_wait_alu 0xfffe
	v_fma_f64 v[43:44], v[41:42], v[43:44], s[6:7]
	s_mov_b32 s6, 0x14761f6e
	s_mov_b32 s7, 0x3f2a01a0
	s_wait_alu 0xfffe
	s_delay_alu instid0(VALU_DEP_1) | instskip(SKIP_3) | instid1(VALU_DEP_1)
	v_fma_f64 v[43:44], v[41:42], v[43:44], s[6:7]
	s_mov_b32 s6, 0x1852b7b0
	s_mov_b32 s7, 0x3f56c16c
	s_wait_alu 0xfffe
	v_fma_f64 v[43:44], v[41:42], v[43:44], s[6:7]
	s_mov_b32 s6, 0x11122322
	s_mov_b32 s7, 0x3f811111
	;; [unrolled: 9-line block ×4, first 2 shown]
	s_delay_alu instid0(VALU_DEP_1) | instskip(NEXT) | instid1(VALU_DEP_1)
	v_fma_f64 v[43:44], v[41:42], v[43:44], 1.0
	v_fma_f64 v[35:36], v[41:42], v[43:44], 1.0
	s_delay_alu instid0(VALU_DEP_1) | instskip(SKIP_1) | instid1(VALU_DEP_1)
	v_ldexp_f64 v[35:36], v[35:36], v45
	s_wait_alu 0xfffd
	v_cndmask_b32_e32 v36, 0x7ff00000, v36, vcc_lo
	s_and_b32 vcc_lo, s1, vcc_lo
	s_wait_alu 0xfffe
	s_delay_alu instid0(VALU_DEP_2) | instskip(NEXT) | instid1(VALU_DEP_2)
	v_cndmask_b32_e32 v27, 0, v35, vcc_lo
	v_cndmask_b32_e64 v28, 0, v36, s1
	s_delay_alu instid0(VALU_DEP_1) | instskip(SKIP_1) | instid1(VALU_DEP_2)
	v_add_f64_e32 v[35:36], 1.0, v[27:28]
	v_cmp_neq_f64_e64 s1, 0x7ff00000, v[27:28]
	v_frexp_mant_f64_e32 v[41:42], v[35:36]
	v_frexp_exp_i32_f64_e32 v45, v[35:36]
	v_add_f64_e32 v[43:44], -1.0, v[35:36]
	s_delay_alu instid0(VALU_DEP_3) | instskip(SKIP_1) | instid1(VALU_DEP_2)
	v_cmp_gt_f64_e32 vcc_lo, s[6:7], v[41:42]
	s_mov_b32 s6, 0x55555780
	v_add_f64_e64 v[41:42], v[43:44], -v[35:36]
	v_add_f64_e64 v[43:44], v[27:28], -v[43:44]
	s_wait_alu 0xfffd
	v_subrev_co_ci_u32_e64 v61, null, 0, v45, vcc_lo
	s_delay_alu instid0(VALU_DEP_3) | instskip(SKIP_1) | instid1(VALU_DEP_3)
	v_add_f64_e32 v[41:42], 1.0, v[41:42]
	v_cmp_nge_f64_e32 vcc_lo, -1.0, v[27:28]
	v_sub_nc_u32_e32 v47, 0, v61
	s_delay_alu instid0(VALU_DEP_1) | instskip(NEXT) | instid1(VALU_DEP_4)
	v_ldexp_f64 v[35:36], v[35:36], v47
	v_add_f64_e32 v[41:42], v[43:44], v[41:42]
	s_and_b32 vcc_lo, vcc_lo, s1
	s_delay_alu instid0(VALU_DEP_2) | instskip(SKIP_1) | instid1(VALU_DEP_3)
	v_add_f64_e32 v[45:46], 1.0, v[35:36]
	v_add_f64_e32 v[51:52], -1.0, v[35:36]
	v_ldexp_f64 v[41:42], v[41:42], v47
	s_delay_alu instid0(VALU_DEP_3) | instskip(NEXT) | instid1(VALU_DEP_3)
	v_add_f64_e32 v[43:44], -1.0, v[45:46]
	v_add_f64_e32 v[53:54], 1.0, v[51:52]
	s_delay_alu instid0(VALU_DEP_2) | instskip(NEXT) | instid1(VALU_DEP_2)
	v_add_f64_e64 v[43:44], v[35:36], -v[43:44]
	v_add_f64_e64 v[35:36], v[35:36], -v[53:54]
	s_delay_alu instid0(VALU_DEP_2) | instskip(NEXT) | instid1(VALU_DEP_2)
	v_add_f64_e32 v[43:44], v[41:42], v[43:44]
	v_add_f64_e32 v[35:36], v[41:42], v[35:36]
	s_delay_alu instid0(VALU_DEP_2) | instskip(NEXT) | instid1(VALU_DEP_2)
	v_add_f64_e32 v[47:48], v[45:46], v[43:44]
	v_add_f64_e32 v[53:54], v[51:52], v[35:36]
	s_delay_alu instid0(VALU_DEP_2) | instskip(SKIP_1) | instid1(VALU_DEP_2)
	v_rcp_f64_e32 v[49:50], v[47:48]
	v_add_f64_e64 v[45:46], v[47:48], -v[45:46]
	v_add_f64_e64 v[51:52], v[53:54], -v[51:52]
	s_delay_alu instid0(VALU_DEP_2) | instskip(NEXT) | instid1(TRANS32_DEP_1)
	v_add_f64_e64 v[43:44], v[43:44], -v[45:46]
	v_fma_f64 v[55:56], -v[47:48], v[49:50], 1.0
	s_delay_alu instid0(VALU_DEP_3) | instskip(NEXT) | instid1(VALU_DEP_2)
	v_add_f64_e64 v[35:36], v[35:36], -v[51:52]
	v_fma_f64 v[49:50], v[55:56], v[49:50], v[49:50]
	s_delay_alu instid0(VALU_DEP_1) | instskip(NEXT) | instid1(VALU_DEP_1)
	v_fma_f64 v[41:42], -v[47:48], v[49:50], 1.0
	v_fma_f64 v[41:42], v[41:42], v[49:50], v[49:50]
	s_delay_alu instid0(VALU_DEP_1) | instskip(NEXT) | instid1(VALU_DEP_1)
	v_mul_f64_e32 v[49:50], v[53:54], v[41:42]
	v_mul_f64_e32 v[55:56], v[47:48], v[49:50]
	s_delay_alu instid0(VALU_DEP_1) | instskip(NEXT) | instid1(VALU_DEP_1)
	v_fma_f64 v[45:46], v[49:50], v[47:48], -v[55:56]
	v_fma_f64 v[45:46], v[49:50], v[43:44], v[45:46]
	s_delay_alu instid0(VALU_DEP_1) | instskip(NEXT) | instid1(VALU_DEP_1)
	v_add_f64_e32 v[57:58], v[55:56], v[45:46]
	v_add_f64_e64 v[59:60], v[53:54], -v[57:58]
	v_add_f64_e64 v[51:52], v[57:58], -v[55:56]
	s_delay_alu instid0(VALU_DEP_2) | instskip(NEXT) | instid1(VALU_DEP_2)
	v_add_f64_e64 v[53:54], v[53:54], -v[59:60]
	v_add_f64_e64 v[45:46], v[51:52], -v[45:46]
	s_delay_alu instid0(VALU_DEP_2) | instskip(NEXT) | instid1(VALU_DEP_1)
	v_add_f64_e64 v[53:54], v[53:54], -v[57:58]
	v_add_f64_e32 v[35:36], v[35:36], v[53:54]
	s_delay_alu instid0(VALU_DEP_1) | instskip(NEXT) | instid1(VALU_DEP_1)
	v_add_f64_e32 v[35:36], v[45:46], v[35:36]
	v_add_f64_e32 v[45:46], v[59:60], v[35:36]
	s_delay_alu instid0(VALU_DEP_1) | instskip(SKIP_1) | instid1(VALU_DEP_2)
	v_mul_f64_e32 v[51:52], v[41:42], v[45:46]
	v_add_f64_e64 v[57:58], v[59:60], -v[45:46]
	v_mul_f64_e32 v[53:54], v[47:48], v[51:52]
	s_delay_alu instid0(VALU_DEP_2) | instskip(NEXT) | instid1(VALU_DEP_2)
	v_add_f64_e32 v[35:36], v[35:36], v[57:58]
	v_fma_f64 v[47:48], v[51:52], v[47:48], -v[53:54]
	s_delay_alu instid0(VALU_DEP_1) | instskip(NEXT) | instid1(VALU_DEP_1)
	v_fma_f64 v[43:44], v[51:52], v[43:44], v[47:48]
	v_add_f64_e32 v[47:48], v[53:54], v[43:44]
	s_delay_alu instid0(VALU_DEP_1) | instskip(SKIP_1) | instid1(VALU_DEP_2)
	v_add_f64_e64 v[55:56], v[45:46], -v[47:48]
	v_add_f64_e64 v[53:54], v[47:48], -v[53:54]
	;; [unrolled: 1-line block ×3, first 2 shown]
	s_delay_alu instid0(VALU_DEP_2) | instskip(NEXT) | instid1(VALU_DEP_2)
	v_add_f64_e64 v[43:44], v[53:54], -v[43:44]
	v_add_f64_e64 v[45:46], v[45:46], -v[47:48]
	s_delay_alu instid0(VALU_DEP_1) | instskip(SKIP_1) | instid1(VALU_DEP_2)
	v_add_f64_e32 v[35:36], v[35:36], v[45:46]
	v_add_f64_e32 v[45:46], v[49:50], v[51:52]
	;; [unrolled: 1-line block ×3, first 2 shown]
	s_delay_alu instid0(VALU_DEP_2) | instskip(NEXT) | instid1(VALU_DEP_2)
	v_add_f64_e64 v[43:44], v[45:46], -v[49:50]
	v_add_f64_e32 v[35:36], v[55:56], v[35:36]
	s_delay_alu instid0(VALU_DEP_2) | instskip(NEXT) | instid1(VALU_DEP_2)
	v_add_f64_e64 v[43:44], v[51:52], -v[43:44]
	v_mul_f64_e32 v[35:36], v[41:42], v[35:36]
	s_delay_alu instid0(VALU_DEP_1) | instskip(NEXT) | instid1(VALU_DEP_1)
	v_add_f64_e32 v[35:36], v[43:44], v[35:36]
	v_add_f64_e32 v[41:42], v[45:46], v[35:36]
	s_delay_alu instid0(VALU_DEP_1) | instskip(NEXT) | instid1(VALU_DEP_1)
	v_mul_f64_e32 v[43:44], v[41:42], v[41:42]
	v_fma_f64 v[47:48], v[43:44], s[12:13], s[10:11]
	s_mov_b32 s10, 0xd7f4df2e
	s_mov_b32 s11, 0x3fc7474d
	v_mul_f64_e32 v[49:50], v[41:42], v[43:44]
	s_wait_alu 0xfffe
	s_delay_alu instid0(VALU_DEP_2) | instskip(SKIP_3) | instid1(VALU_DEP_1)
	v_fma_f64 v[47:48], v[43:44], v[47:48], s[10:11]
	s_mov_b32 s10, 0x16291751
	s_mov_b32 s11, 0x3fcc71c0
	s_wait_alu 0xfffe
	v_fma_f64 v[47:48], v[43:44], v[47:48], s[10:11]
	s_mov_b32 s10, 0x9b27acf1
	s_mov_b32 s11, 0x3fd24924
	s_wait_alu 0xfffe
	s_delay_alu instid0(VALU_DEP_1) | instskip(SKIP_3) | instid1(VALU_DEP_1)
	v_fma_f64 v[47:48], v[43:44], v[47:48], s[10:11]
	s_mov_b32 s10, 0x998ef7b6
	s_mov_b32 s11, 0x3fd99999
	s_wait_alu 0xfffe
	v_fma_f64 v[47:48], v[43:44], v[47:48], s[10:11]
	s_delay_alu instid0(VALU_DEP_1) | instskip(SKIP_2) | instid1(VALU_DEP_3)
	v_fma_f64 v[43:44], v[43:44], v[47:48], s[6:7]
	v_ldexp_f64 v[47:48], v[41:42], 1
	v_add_f64_e64 v[41:42], v[41:42], -v[45:46]
	v_mul_f64_e32 v[43:44], v[49:50], v[43:44]
	v_cvt_f64_i32_e32 v[49:50], v61
	s_delay_alu instid0(VALU_DEP_3) | instskip(NEXT) | instid1(VALU_DEP_3)
	v_add_f64_e64 v[35:36], v[35:36], -v[41:42]
	v_add_f64_e32 v[45:46], v[47:48], v[43:44]
	s_delay_alu instid0(VALU_DEP_3) | instskip(NEXT) | instid1(VALU_DEP_3)
	v_mul_f64_e32 v[51:52], s[2:3], v[49:50]
	v_ldexp_f64 v[35:36], v[35:36], 1
	s_delay_alu instid0(VALU_DEP_3) | instskip(NEXT) | instid1(VALU_DEP_3)
	v_add_f64_e64 v[41:42], v[45:46], -v[47:48]
	v_fma_f64 v[47:48], v[49:50], s[2:3], -v[51:52]
	v_cmp_ngt_f64_e64 s2, -1.0, v[27:28]
	s_delay_alu instid0(VALU_DEP_3) | instskip(NEXT) | instid1(VALU_DEP_3)
	v_add_f64_e64 v[41:42], v[43:44], -v[41:42]
	v_fma_f64 v[43:44], v[49:50], s[4:5], v[47:48]
	s_delay_alu instid0(VALU_DEP_2) | instskip(NEXT) | instid1(VALU_DEP_2)
	v_add_f64_e32 v[35:36], v[35:36], v[41:42]
	v_add_f64_e32 v[41:42], v[51:52], v[43:44]
	s_delay_alu instid0(VALU_DEP_2) | instskip(NEXT) | instid1(VALU_DEP_2)
	v_add_f64_e32 v[47:48], v[45:46], v[35:36]
	v_add_f64_e64 v[51:52], v[41:42], -v[51:52]
	s_delay_alu instid0(VALU_DEP_2) | instskip(SKIP_1) | instid1(VALU_DEP_3)
	v_add_f64_e32 v[49:50], v[41:42], v[47:48]
	v_add_f64_e64 v[45:46], v[47:48], -v[45:46]
	v_add_f64_e64 v[43:44], v[43:44], -v[51:52]
	s_delay_alu instid0(VALU_DEP_3) | instskip(NEXT) | instid1(VALU_DEP_3)
	v_add_f64_e64 v[53:54], v[49:50], -v[41:42]
	v_add_f64_e64 v[35:36], v[35:36], -v[45:46]
	s_delay_alu instid0(VALU_DEP_2) | instskip(SKIP_1) | instid1(VALU_DEP_3)
	v_add_f64_e64 v[55:56], v[49:50], -v[53:54]
	v_add_f64_e64 v[45:46], v[47:48], -v[53:54]
	v_add_f64_e32 v[47:48], v[43:44], v[35:36]
	s_delay_alu instid0(VALU_DEP_3) | instskip(NEXT) | instid1(VALU_DEP_1)
	v_add_f64_e64 v[41:42], v[41:42], -v[55:56]
	v_add_f64_e32 v[41:42], v[45:46], v[41:42]
	s_delay_alu instid0(VALU_DEP_3) | instskip(NEXT) | instid1(VALU_DEP_2)
	v_add_f64_e64 v[45:46], v[47:48], -v[43:44]
	v_add_f64_e32 v[41:42], v[47:48], v[41:42]
	s_delay_alu instid0(VALU_DEP_2) | instskip(SKIP_1) | instid1(VALU_DEP_3)
	v_add_f64_e64 v[47:48], v[47:48], -v[45:46]
	v_add_f64_e64 v[35:36], v[35:36], -v[45:46]
	v_add_f64_e32 v[51:52], v[49:50], v[41:42]
	s_delay_alu instid0(VALU_DEP_3) | instskip(NEXT) | instid1(VALU_DEP_2)
	v_add_f64_e64 v[43:44], v[43:44], -v[47:48]
	v_add_f64_e64 v[45:46], v[51:52], -v[49:50]
	s_delay_alu instid0(VALU_DEP_2) | instskip(NEXT) | instid1(VALU_DEP_2)
	v_add_f64_e32 v[35:36], v[35:36], v[43:44]
	v_add_f64_e64 v[41:42], v[41:42], -v[45:46]
	s_delay_alu instid0(VALU_DEP_1) | instskip(NEXT) | instid1(VALU_DEP_1)
	v_add_f64_e32 v[35:36], v[35:36], v[41:42]
	v_add_f64_e32 v[35:36], v[51:52], v[35:36]
	s_delay_alu instid0(VALU_DEP_1) | instskip(SKIP_1) | instid1(VALU_DEP_3)
	v_cndmask_b32_e32 v35, 0, v35, vcc_lo
	v_cmp_neq_f64_e32 vcc_lo, -1.0, v[27:28]
	v_cndmask_b32_e64 v36, 0x7ff00000, v36, s1
	s_wait_alu 0xf1ff
	s_delay_alu instid0(VALU_DEP_1) | instskip(SKIP_1) | instid1(VALU_DEP_1)
	v_cndmask_b32_e64 v36, 0x7ff80000, v36, s2
	s_wait_alu 0xfffd
	v_cndmask_b32_e32 v36, 0xfff00000, v36, vcc_lo
	s_delay_alu instid0(VALU_DEP_1)
	v_add_f64_e32 v[27:28], v[33:34], v[35:36]
.LBB71_300:
	s_wait_alu 0xfffe
	s_or_b32 exec_lo, exec_lo, s8
	s_delay_alu instid0(VALU_DEP_1) | instskip(SKIP_1) | instid1(VALU_DEP_2)
	v_max_num_f64_e32 v[33:34], v[27:28], v[27:28]
	v_cmp_u_f64_e32 vcc_lo, v[27:28], v[27:28]
	v_min_num_f64_e32 v[35:36], v[33:34], v[29:30]
	v_max_num_f64_e32 v[29:30], v[33:34], v[29:30]
	s_wait_alu 0xfffd
	s_delay_alu instid0(VALU_DEP_2) | instskip(NEXT) | instid1(VALU_DEP_2)
	v_dual_cndmask_b32 v33, v35, v27 :: v_dual_cndmask_b32 v34, v36, v28
	v_dual_cndmask_b32 v30, v30, v28 :: v_dual_cndmask_b32 v29, v29, v27
	s_delay_alu instid0(VALU_DEP_2) | instskip(NEXT) | instid1(VALU_DEP_3)
	v_cndmask_b32_e64 v35, v33, v37, s14
	v_cndmask_b32_e64 v36, v34, v38, s14
	s_delay_alu instid0(VALU_DEP_3) | instskip(NEXT) | instid1(VALU_DEP_4)
	v_cndmask_b32_e64 v34, v30, v38, s14
	v_cndmask_b32_e64 v33, v29, v37, s14
	v_dual_mov_b32 v30, v28 :: v_dual_mov_b32 v29, v27
	s_delay_alu instid0(VALU_DEP_4) | instskip(NEXT) | instid1(VALU_DEP_3)
	v_cmp_class_f64_e64 s1, v[35:36], 0x1f8
	v_cmp_neq_f64_e32 vcc_lo, v[35:36], v[33:34]
	s_or_b32 s1, vcc_lo, s1
	s_wait_alu 0xfffe
	s_and_saveexec_b32 s8, s1
	s_cbranch_execz .LBB71_302
; %bb.301:
	v_add_f64_e64 v[29:30], v[35:36], -v[33:34]
	s_mov_b32 s2, 0x652b82fe
	s_mov_b32 s3, 0x3ff71547
	;; [unrolled: 1-line block ×10, first 2 shown]
	s_wait_alu 0xfffe
	s_delay_alu instid0(VALU_DEP_1) | instskip(SKIP_4) | instid1(VALU_DEP_3)
	v_mul_f64_e32 v[35:36], s[2:3], v[29:30]
	s_mov_b32 s3, 0xbfe62e42
	s_mov_b32 s2, 0xfefa39ef
	v_cmp_nlt_f64_e32 vcc_lo, 0x40900000, v[29:30]
	v_cmp_ngt_f64_e64 s1, 0xc090cc00, v[29:30]
	v_rndne_f64_e32 v[35:36], v[35:36]
	s_wait_alu 0xfffe
	s_delay_alu instid0(VALU_DEP_1) | instskip(SKIP_2) | instid1(VALU_DEP_2)
	v_fma_f64 v[37:38], v[35:36], s[2:3], v[29:30]
	v_cvt_i32_f64_e32 v43, v[35:36]
	s_mov_b32 s3, 0x3fe62e42
	v_fma_f64 v[37:38], v[35:36], s[4:5], v[37:38]
	s_mov_b32 s5, 0x3c7abc9e
	s_delay_alu instid0(VALU_DEP_1)
	v_fma_f64 v[41:42], v[37:38], s[10:11], s[6:7]
	s_mov_b32 s6, 0x623fde64
	s_mov_b32 s7, 0x3ec71dee
	;; [unrolled: 1-line block ×4, first 2 shown]
	s_wait_alu 0xfffe
	s_delay_alu instid0(VALU_DEP_1) | instskip(SKIP_3) | instid1(VALU_DEP_1)
	v_fma_f64 v[41:42], v[37:38], v[41:42], s[6:7]
	s_mov_b32 s6, 0x7c89e6b0
	s_mov_b32 s7, 0x3efa0199
	s_wait_alu 0xfffe
	v_fma_f64 v[41:42], v[37:38], v[41:42], s[6:7]
	s_mov_b32 s6, 0x14761f6e
	s_mov_b32 s7, 0x3f2a01a0
	s_wait_alu 0xfffe
	s_delay_alu instid0(VALU_DEP_1) | instskip(SKIP_3) | instid1(VALU_DEP_1)
	v_fma_f64 v[41:42], v[37:38], v[41:42], s[6:7]
	s_mov_b32 s6, 0x1852b7b0
	s_mov_b32 s7, 0x3f56c16c
	s_wait_alu 0xfffe
	v_fma_f64 v[41:42], v[37:38], v[41:42], s[6:7]
	s_mov_b32 s6, 0x11122322
	s_mov_b32 s7, 0x3f811111
	;; [unrolled: 9-line block ×4, first 2 shown]
	s_delay_alu instid0(VALU_DEP_1) | instskip(NEXT) | instid1(VALU_DEP_1)
	v_fma_f64 v[41:42], v[37:38], v[41:42], 1.0
	v_fma_f64 v[35:36], v[37:38], v[41:42], 1.0
	s_delay_alu instid0(VALU_DEP_1) | instskip(SKIP_1) | instid1(VALU_DEP_1)
	v_ldexp_f64 v[35:36], v[35:36], v43
	s_wait_alu 0xfffd
	v_cndmask_b32_e32 v36, 0x7ff00000, v36, vcc_lo
	s_and_b32 vcc_lo, s1, vcc_lo
	s_wait_alu 0xfffe
	s_delay_alu instid0(VALU_DEP_2) | instskip(NEXT) | instid1(VALU_DEP_2)
	v_cndmask_b32_e32 v29, 0, v35, vcc_lo
	v_cndmask_b32_e64 v30, 0, v36, s1
	s_delay_alu instid0(VALU_DEP_1) | instskip(SKIP_1) | instid1(VALU_DEP_2)
	v_add_f64_e32 v[35:36], 1.0, v[29:30]
	v_cmp_neq_f64_e64 s1, 0x7ff00000, v[29:30]
	v_frexp_mant_f64_e32 v[37:38], v[35:36]
	v_frexp_exp_i32_f64_e32 v43, v[35:36]
	v_add_f64_e32 v[41:42], -1.0, v[35:36]
	s_delay_alu instid0(VALU_DEP_3) | instskip(SKIP_1) | instid1(VALU_DEP_2)
	v_cmp_gt_f64_e32 vcc_lo, s[6:7], v[37:38]
	s_mov_b32 s6, 0x55555780
	v_add_f64_e64 v[37:38], v[41:42], -v[35:36]
	v_add_f64_e64 v[41:42], v[29:30], -v[41:42]
	s_wait_alu 0xfffd
	v_subrev_co_ci_u32_e64 v59, null, 0, v43, vcc_lo
	s_delay_alu instid0(VALU_DEP_3) | instskip(SKIP_1) | instid1(VALU_DEP_3)
	v_add_f64_e32 v[37:38], 1.0, v[37:38]
	v_cmp_nge_f64_e32 vcc_lo, -1.0, v[29:30]
	v_sub_nc_u32_e32 v45, 0, v59
	s_delay_alu instid0(VALU_DEP_1) | instskip(NEXT) | instid1(VALU_DEP_4)
	v_ldexp_f64 v[35:36], v[35:36], v45
	v_add_f64_e32 v[37:38], v[41:42], v[37:38]
	s_and_b32 vcc_lo, vcc_lo, s1
	s_delay_alu instid0(VALU_DEP_2) | instskip(SKIP_1) | instid1(VALU_DEP_3)
	v_add_f64_e32 v[43:44], 1.0, v[35:36]
	v_add_f64_e32 v[49:50], -1.0, v[35:36]
	v_ldexp_f64 v[37:38], v[37:38], v45
	s_delay_alu instid0(VALU_DEP_3) | instskip(NEXT) | instid1(VALU_DEP_3)
	v_add_f64_e32 v[41:42], -1.0, v[43:44]
	v_add_f64_e32 v[51:52], 1.0, v[49:50]
	s_delay_alu instid0(VALU_DEP_2) | instskip(NEXT) | instid1(VALU_DEP_2)
	v_add_f64_e64 v[41:42], v[35:36], -v[41:42]
	v_add_f64_e64 v[35:36], v[35:36], -v[51:52]
	s_delay_alu instid0(VALU_DEP_2) | instskip(NEXT) | instid1(VALU_DEP_2)
	v_add_f64_e32 v[41:42], v[37:38], v[41:42]
	v_add_f64_e32 v[35:36], v[37:38], v[35:36]
	s_delay_alu instid0(VALU_DEP_2) | instskip(NEXT) | instid1(VALU_DEP_2)
	v_add_f64_e32 v[45:46], v[43:44], v[41:42]
	v_add_f64_e32 v[51:52], v[49:50], v[35:36]
	s_delay_alu instid0(VALU_DEP_2) | instskip(SKIP_1) | instid1(VALU_DEP_2)
	v_rcp_f64_e32 v[47:48], v[45:46]
	v_add_f64_e64 v[43:44], v[45:46], -v[43:44]
	v_add_f64_e64 v[49:50], v[51:52], -v[49:50]
	s_delay_alu instid0(VALU_DEP_2) | instskip(NEXT) | instid1(TRANS32_DEP_1)
	v_add_f64_e64 v[41:42], v[41:42], -v[43:44]
	v_fma_f64 v[53:54], -v[45:46], v[47:48], 1.0
	s_delay_alu instid0(VALU_DEP_3) | instskip(NEXT) | instid1(VALU_DEP_2)
	v_add_f64_e64 v[35:36], v[35:36], -v[49:50]
	v_fma_f64 v[47:48], v[53:54], v[47:48], v[47:48]
	s_delay_alu instid0(VALU_DEP_1) | instskip(NEXT) | instid1(VALU_DEP_1)
	v_fma_f64 v[37:38], -v[45:46], v[47:48], 1.0
	v_fma_f64 v[37:38], v[37:38], v[47:48], v[47:48]
	s_delay_alu instid0(VALU_DEP_1) | instskip(NEXT) | instid1(VALU_DEP_1)
	v_mul_f64_e32 v[47:48], v[51:52], v[37:38]
	v_mul_f64_e32 v[53:54], v[45:46], v[47:48]
	s_delay_alu instid0(VALU_DEP_1) | instskip(NEXT) | instid1(VALU_DEP_1)
	v_fma_f64 v[43:44], v[47:48], v[45:46], -v[53:54]
	v_fma_f64 v[43:44], v[47:48], v[41:42], v[43:44]
	s_delay_alu instid0(VALU_DEP_1) | instskip(NEXT) | instid1(VALU_DEP_1)
	v_add_f64_e32 v[55:56], v[53:54], v[43:44]
	v_add_f64_e64 v[57:58], v[51:52], -v[55:56]
	v_add_f64_e64 v[49:50], v[55:56], -v[53:54]
	s_delay_alu instid0(VALU_DEP_2) | instskip(NEXT) | instid1(VALU_DEP_2)
	v_add_f64_e64 v[51:52], v[51:52], -v[57:58]
	v_add_f64_e64 v[43:44], v[49:50], -v[43:44]
	s_delay_alu instid0(VALU_DEP_2) | instskip(NEXT) | instid1(VALU_DEP_1)
	v_add_f64_e64 v[51:52], v[51:52], -v[55:56]
	v_add_f64_e32 v[35:36], v[35:36], v[51:52]
	s_delay_alu instid0(VALU_DEP_1) | instskip(NEXT) | instid1(VALU_DEP_1)
	v_add_f64_e32 v[35:36], v[43:44], v[35:36]
	v_add_f64_e32 v[43:44], v[57:58], v[35:36]
	s_delay_alu instid0(VALU_DEP_1) | instskip(SKIP_1) | instid1(VALU_DEP_2)
	v_mul_f64_e32 v[49:50], v[37:38], v[43:44]
	v_add_f64_e64 v[55:56], v[57:58], -v[43:44]
	v_mul_f64_e32 v[51:52], v[45:46], v[49:50]
	s_delay_alu instid0(VALU_DEP_2) | instskip(NEXT) | instid1(VALU_DEP_2)
	v_add_f64_e32 v[35:36], v[35:36], v[55:56]
	v_fma_f64 v[45:46], v[49:50], v[45:46], -v[51:52]
	s_delay_alu instid0(VALU_DEP_1) | instskip(NEXT) | instid1(VALU_DEP_1)
	v_fma_f64 v[41:42], v[49:50], v[41:42], v[45:46]
	v_add_f64_e32 v[45:46], v[51:52], v[41:42]
	s_delay_alu instid0(VALU_DEP_1) | instskip(SKIP_1) | instid1(VALU_DEP_2)
	v_add_f64_e64 v[53:54], v[43:44], -v[45:46]
	v_add_f64_e64 v[51:52], v[45:46], -v[51:52]
	;; [unrolled: 1-line block ×3, first 2 shown]
	s_delay_alu instid0(VALU_DEP_2) | instskip(NEXT) | instid1(VALU_DEP_2)
	v_add_f64_e64 v[41:42], v[51:52], -v[41:42]
	v_add_f64_e64 v[43:44], v[43:44], -v[45:46]
	s_delay_alu instid0(VALU_DEP_1) | instskip(SKIP_1) | instid1(VALU_DEP_2)
	v_add_f64_e32 v[35:36], v[35:36], v[43:44]
	v_add_f64_e32 v[43:44], v[47:48], v[49:50]
	;; [unrolled: 1-line block ×3, first 2 shown]
	s_delay_alu instid0(VALU_DEP_2) | instskip(NEXT) | instid1(VALU_DEP_2)
	v_add_f64_e64 v[41:42], v[43:44], -v[47:48]
	v_add_f64_e32 v[35:36], v[53:54], v[35:36]
	s_delay_alu instid0(VALU_DEP_2) | instskip(NEXT) | instid1(VALU_DEP_2)
	v_add_f64_e64 v[41:42], v[49:50], -v[41:42]
	v_mul_f64_e32 v[35:36], v[37:38], v[35:36]
	s_delay_alu instid0(VALU_DEP_1) | instskip(NEXT) | instid1(VALU_DEP_1)
	v_add_f64_e32 v[35:36], v[41:42], v[35:36]
	v_add_f64_e32 v[37:38], v[43:44], v[35:36]
	s_delay_alu instid0(VALU_DEP_1) | instskip(NEXT) | instid1(VALU_DEP_1)
	v_mul_f64_e32 v[41:42], v[37:38], v[37:38]
	v_fma_f64 v[45:46], v[41:42], s[12:13], s[10:11]
	s_mov_b32 s10, 0xd7f4df2e
	s_mov_b32 s11, 0x3fc7474d
	v_mul_f64_e32 v[47:48], v[37:38], v[41:42]
	s_wait_alu 0xfffe
	s_delay_alu instid0(VALU_DEP_2) | instskip(SKIP_3) | instid1(VALU_DEP_1)
	v_fma_f64 v[45:46], v[41:42], v[45:46], s[10:11]
	s_mov_b32 s10, 0x16291751
	s_mov_b32 s11, 0x3fcc71c0
	s_wait_alu 0xfffe
	v_fma_f64 v[45:46], v[41:42], v[45:46], s[10:11]
	s_mov_b32 s10, 0x9b27acf1
	s_mov_b32 s11, 0x3fd24924
	s_wait_alu 0xfffe
	s_delay_alu instid0(VALU_DEP_1) | instskip(SKIP_3) | instid1(VALU_DEP_1)
	v_fma_f64 v[45:46], v[41:42], v[45:46], s[10:11]
	s_mov_b32 s10, 0x998ef7b6
	s_mov_b32 s11, 0x3fd99999
	s_wait_alu 0xfffe
	v_fma_f64 v[45:46], v[41:42], v[45:46], s[10:11]
	s_delay_alu instid0(VALU_DEP_1) | instskip(SKIP_2) | instid1(VALU_DEP_3)
	v_fma_f64 v[41:42], v[41:42], v[45:46], s[6:7]
	v_ldexp_f64 v[45:46], v[37:38], 1
	v_add_f64_e64 v[37:38], v[37:38], -v[43:44]
	v_mul_f64_e32 v[41:42], v[47:48], v[41:42]
	v_cvt_f64_i32_e32 v[47:48], v59
	s_delay_alu instid0(VALU_DEP_3) | instskip(NEXT) | instid1(VALU_DEP_3)
	v_add_f64_e64 v[35:36], v[35:36], -v[37:38]
	v_add_f64_e32 v[43:44], v[45:46], v[41:42]
	s_delay_alu instid0(VALU_DEP_3) | instskip(NEXT) | instid1(VALU_DEP_3)
	v_mul_f64_e32 v[49:50], s[2:3], v[47:48]
	v_ldexp_f64 v[35:36], v[35:36], 1
	s_delay_alu instid0(VALU_DEP_3) | instskip(NEXT) | instid1(VALU_DEP_3)
	v_add_f64_e64 v[37:38], v[43:44], -v[45:46]
	v_fma_f64 v[45:46], v[47:48], s[2:3], -v[49:50]
	v_cmp_ngt_f64_e64 s2, -1.0, v[29:30]
	s_delay_alu instid0(VALU_DEP_3) | instskip(NEXT) | instid1(VALU_DEP_3)
	v_add_f64_e64 v[37:38], v[41:42], -v[37:38]
	v_fma_f64 v[41:42], v[47:48], s[4:5], v[45:46]
	s_delay_alu instid0(VALU_DEP_2) | instskip(NEXT) | instid1(VALU_DEP_2)
	v_add_f64_e32 v[35:36], v[35:36], v[37:38]
	v_add_f64_e32 v[37:38], v[49:50], v[41:42]
	s_delay_alu instid0(VALU_DEP_2) | instskip(NEXT) | instid1(VALU_DEP_2)
	v_add_f64_e32 v[45:46], v[43:44], v[35:36]
	v_add_f64_e64 v[49:50], v[37:38], -v[49:50]
	s_delay_alu instid0(VALU_DEP_2) | instskip(SKIP_1) | instid1(VALU_DEP_3)
	v_add_f64_e32 v[47:48], v[37:38], v[45:46]
	v_add_f64_e64 v[43:44], v[45:46], -v[43:44]
	v_add_f64_e64 v[41:42], v[41:42], -v[49:50]
	s_delay_alu instid0(VALU_DEP_3) | instskip(NEXT) | instid1(VALU_DEP_3)
	v_add_f64_e64 v[51:52], v[47:48], -v[37:38]
	v_add_f64_e64 v[35:36], v[35:36], -v[43:44]
	s_delay_alu instid0(VALU_DEP_2) | instskip(SKIP_1) | instid1(VALU_DEP_3)
	v_add_f64_e64 v[53:54], v[47:48], -v[51:52]
	v_add_f64_e64 v[43:44], v[45:46], -v[51:52]
	v_add_f64_e32 v[45:46], v[41:42], v[35:36]
	s_delay_alu instid0(VALU_DEP_3) | instskip(NEXT) | instid1(VALU_DEP_1)
	v_add_f64_e64 v[37:38], v[37:38], -v[53:54]
	v_add_f64_e32 v[37:38], v[43:44], v[37:38]
	s_delay_alu instid0(VALU_DEP_3) | instskip(NEXT) | instid1(VALU_DEP_2)
	v_add_f64_e64 v[43:44], v[45:46], -v[41:42]
	v_add_f64_e32 v[37:38], v[45:46], v[37:38]
	s_delay_alu instid0(VALU_DEP_2) | instskip(SKIP_1) | instid1(VALU_DEP_3)
	v_add_f64_e64 v[45:46], v[45:46], -v[43:44]
	v_add_f64_e64 v[35:36], v[35:36], -v[43:44]
	v_add_f64_e32 v[49:50], v[47:48], v[37:38]
	s_delay_alu instid0(VALU_DEP_3) | instskip(NEXT) | instid1(VALU_DEP_2)
	v_add_f64_e64 v[41:42], v[41:42], -v[45:46]
	v_add_f64_e64 v[43:44], v[49:50], -v[47:48]
	s_delay_alu instid0(VALU_DEP_2) | instskip(NEXT) | instid1(VALU_DEP_2)
	v_add_f64_e32 v[35:36], v[35:36], v[41:42]
	v_add_f64_e64 v[37:38], v[37:38], -v[43:44]
	s_delay_alu instid0(VALU_DEP_1) | instskip(NEXT) | instid1(VALU_DEP_1)
	v_add_f64_e32 v[35:36], v[35:36], v[37:38]
	v_add_f64_e32 v[35:36], v[49:50], v[35:36]
	s_delay_alu instid0(VALU_DEP_1) | instskip(SKIP_1) | instid1(VALU_DEP_3)
	v_cndmask_b32_e32 v35, 0, v35, vcc_lo
	v_cmp_neq_f64_e32 vcc_lo, -1.0, v[29:30]
	v_cndmask_b32_e64 v36, 0x7ff00000, v36, s1
	s_wait_alu 0xf1ff
	s_delay_alu instid0(VALU_DEP_1) | instskip(SKIP_1) | instid1(VALU_DEP_1)
	v_cndmask_b32_e64 v36, 0x7ff80000, v36, s2
	s_wait_alu 0xfffd
	v_cndmask_b32_e32 v36, 0xfff00000, v36, vcc_lo
	s_delay_alu instid0(VALU_DEP_1)
	v_add_f64_e32 v[29:30], v[33:34], v[35:36]
.LBB71_302:
	s_wait_alu 0xfffe
	s_or_b32 exec_lo, exec_lo, s8
	s_delay_alu instid0(VALU_DEP_1) | instskip(SKIP_1) | instid1(VALU_DEP_2)
	v_max_num_f64_e32 v[33:34], v[29:30], v[29:30]
	v_cmp_u_f64_e32 vcc_lo, v[29:30], v[29:30]
	v_min_num_f64_e32 v[35:36], v[33:34], v[31:32]
	v_max_num_f64_e32 v[31:32], v[33:34], v[31:32]
	s_wait_alu 0xfffd
	s_delay_alu instid0(VALU_DEP_2) | instskip(NEXT) | instid1(VALU_DEP_2)
	v_dual_cndmask_b32 v33, v35, v29 :: v_dual_cndmask_b32 v34, v36, v30
	v_dual_cndmask_b32 v32, v32, v30 :: v_dual_cndmask_b32 v31, v31, v29
	s_delay_alu instid0(VALU_DEP_2) | instskip(NEXT) | instid1(VALU_DEP_3)
	v_cndmask_b32_e64 v35, v33, v39, s15
	v_cndmask_b32_e64 v36, v34, v40, s15
	s_delay_alu instid0(VALU_DEP_3) | instskip(NEXT) | instid1(VALU_DEP_4)
	v_cndmask_b32_e64 v34, v32, v40, s15
	v_cndmask_b32_e64 v33, v31, v39, s15
	v_dual_mov_b32 v32, v30 :: v_dual_mov_b32 v31, v29
	s_delay_alu instid0(VALU_DEP_4) | instskip(NEXT) | instid1(VALU_DEP_3)
	v_cmp_class_f64_e64 s1, v[35:36], 0x1f8
	v_cmp_neq_f64_e32 vcc_lo, v[35:36], v[33:34]
	s_or_b32 s1, vcc_lo, s1
	s_wait_alu 0xfffe
	s_and_saveexec_b32 s8, s1
	s_cbranch_execz .LBB71_304
; %bb.303:
	v_add_f64_e64 v[31:32], v[35:36], -v[33:34]
	s_mov_b32 s2, 0x652b82fe
	s_mov_b32 s3, 0x3ff71547
	;; [unrolled: 1-line block ×10, first 2 shown]
	s_wait_alu 0xfffe
	s_delay_alu instid0(VALU_DEP_1) | instskip(SKIP_4) | instid1(VALU_DEP_3)
	v_mul_f64_e32 v[35:36], s[2:3], v[31:32]
	s_mov_b32 s3, 0xbfe62e42
	s_mov_b32 s2, 0xfefa39ef
	v_cmp_nlt_f64_e32 vcc_lo, 0x40900000, v[31:32]
	v_cmp_ngt_f64_e64 s1, 0xc090cc00, v[31:32]
	v_rndne_f64_e32 v[35:36], v[35:36]
	s_wait_alu 0xfffe
	s_delay_alu instid0(VALU_DEP_1) | instskip(SKIP_2) | instid1(VALU_DEP_2)
	v_fma_f64 v[37:38], v[35:36], s[2:3], v[31:32]
	v_cvt_i32_f64_e32 v41, v[35:36]
	s_mov_b32 s3, 0x3fe62e42
	v_fma_f64 v[37:38], v[35:36], s[4:5], v[37:38]
	s_mov_b32 s5, 0x3c7abc9e
	s_delay_alu instid0(VALU_DEP_1)
	v_fma_f64 v[39:40], v[37:38], s[10:11], s[6:7]
	s_mov_b32 s6, 0x623fde64
	s_mov_b32 s7, 0x3ec71dee
	s_mov_b32 s10, 0x6b47b09a
	s_mov_b32 s11, 0x3fc38538
	s_wait_alu 0xfffe
	s_delay_alu instid0(VALU_DEP_1) | instskip(SKIP_3) | instid1(VALU_DEP_1)
	v_fma_f64 v[39:40], v[37:38], v[39:40], s[6:7]
	s_mov_b32 s6, 0x7c89e6b0
	s_mov_b32 s7, 0x3efa0199
	s_wait_alu 0xfffe
	v_fma_f64 v[39:40], v[37:38], v[39:40], s[6:7]
	s_mov_b32 s6, 0x14761f6e
	s_mov_b32 s7, 0x3f2a01a0
	s_wait_alu 0xfffe
	s_delay_alu instid0(VALU_DEP_1) | instskip(SKIP_3) | instid1(VALU_DEP_1)
	v_fma_f64 v[39:40], v[37:38], v[39:40], s[6:7]
	s_mov_b32 s6, 0x1852b7b0
	s_mov_b32 s7, 0x3f56c16c
	s_wait_alu 0xfffe
	v_fma_f64 v[39:40], v[37:38], v[39:40], s[6:7]
	s_mov_b32 s6, 0x11122322
	s_mov_b32 s7, 0x3f811111
	s_wait_alu 0xfffe
	s_delay_alu instid0(VALU_DEP_1) | instskip(SKIP_3) | instid1(VALU_DEP_1)
	v_fma_f64 v[39:40], v[37:38], v[39:40], s[6:7]
	s_mov_b32 s6, 0x555502a1
	s_mov_b32 s7, 0x3fa55555
	s_wait_alu 0xfffe
	v_fma_f64 v[39:40], v[37:38], v[39:40], s[6:7]
	s_mov_b32 s6, 0x55555511
	s_mov_b32 s7, 0x3fc55555
	s_wait_alu 0xfffe
	s_delay_alu instid0(VALU_DEP_1) | instskip(SKIP_3) | instid1(VALU_DEP_1)
	v_fma_f64 v[39:40], v[37:38], v[39:40], s[6:7]
	s_mov_b32 s6, 11
	s_mov_b32 s7, 0x3fe00000
	s_wait_alu 0xfffe
	v_fma_f64 v[39:40], v[37:38], v[39:40], s[6:7]
	s_mov_b32 s7, 0x3fe55555
	s_mov_b32 s6, 0x55555555
	s_delay_alu instid0(VALU_DEP_1) | instskip(NEXT) | instid1(VALU_DEP_1)
	v_fma_f64 v[39:40], v[37:38], v[39:40], 1.0
	v_fma_f64 v[35:36], v[37:38], v[39:40], 1.0
	s_delay_alu instid0(VALU_DEP_1) | instskip(SKIP_1) | instid1(VALU_DEP_1)
	v_ldexp_f64 v[35:36], v[35:36], v41
	s_wait_alu 0xfffd
	v_cndmask_b32_e32 v36, 0x7ff00000, v36, vcc_lo
	s_and_b32 vcc_lo, s1, vcc_lo
	s_wait_alu 0xfffe
	s_delay_alu instid0(VALU_DEP_2) | instskip(NEXT) | instid1(VALU_DEP_2)
	v_cndmask_b32_e32 v31, 0, v35, vcc_lo
	v_cndmask_b32_e64 v32, 0, v36, s1
	s_delay_alu instid0(VALU_DEP_1) | instskip(SKIP_1) | instid1(VALU_DEP_2)
	v_add_f64_e32 v[35:36], 1.0, v[31:32]
	v_cmp_neq_f64_e64 s1, 0x7ff00000, v[31:32]
	v_frexp_mant_f64_e32 v[37:38], v[35:36]
	v_frexp_exp_i32_f64_e32 v41, v[35:36]
	v_add_f64_e32 v[39:40], -1.0, v[35:36]
	s_delay_alu instid0(VALU_DEP_3) | instskip(SKIP_1) | instid1(VALU_DEP_2)
	v_cmp_gt_f64_e32 vcc_lo, s[6:7], v[37:38]
	s_mov_b32 s6, 0x55555780
	v_add_f64_e64 v[37:38], v[39:40], -v[35:36]
	v_add_f64_e64 v[39:40], v[31:32], -v[39:40]
	s_wait_alu 0xfffd
	v_subrev_co_ci_u32_e64 v57, null, 0, v41, vcc_lo
	s_delay_alu instid0(VALU_DEP_3) | instskip(SKIP_1) | instid1(VALU_DEP_3)
	v_add_f64_e32 v[37:38], 1.0, v[37:38]
	v_cmp_nge_f64_e32 vcc_lo, -1.0, v[31:32]
	v_sub_nc_u32_e32 v43, 0, v57
	s_delay_alu instid0(VALU_DEP_1) | instskip(NEXT) | instid1(VALU_DEP_4)
	v_ldexp_f64 v[35:36], v[35:36], v43
	v_add_f64_e32 v[37:38], v[39:40], v[37:38]
	s_and_b32 vcc_lo, vcc_lo, s1
	s_delay_alu instid0(VALU_DEP_2) | instskip(SKIP_1) | instid1(VALU_DEP_3)
	v_add_f64_e32 v[41:42], 1.0, v[35:36]
	v_add_f64_e32 v[47:48], -1.0, v[35:36]
	v_ldexp_f64 v[37:38], v[37:38], v43
	s_delay_alu instid0(VALU_DEP_3) | instskip(NEXT) | instid1(VALU_DEP_3)
	v_add_f64_e32 v[39:40], -1.0, v[41:42]
	v_add_f64_e32 v[49:50], 1.0, v[47:48]
	s_delay_alu instid0(VALU_DEP_2) | instskip(NEXT) | instid1(VALU_DEP_2)
	v_add_f64_e64 v[39:40], v[35:36], -v[39:40]
	v_add_f64_e64 v[35:36], v[35:36], -v[49:50]
	s_delay_alu instid0(VALU_DEP_2) | instskip(NEXT) | instid1(VALU_DEP_2)
	v_add_f64_e32 v[39:40], v[37:38], v[39:40]
	v_add_f64_e32 v[35:36], v[37:38], v[35:36]
	s_delay_alu instid0(VALU_DEP_2) | instskip(NEXT) | instid1(VALU_DEP_2)
	v_add_f64_e32 v[43:44], v[41:42], v[39:40]
	v_add_f64_e32 v[49:50], v[47:48], v[35:36]
	s_delay_alu instid0(VALU_DEP_2) | instskip(SKIP_1) | instid1(VALU_DEP_2)
	v_rcp_f64_e32 v[45:46], v[43:44]
	v_add_f64_e64 v[41:42], v[43:44], -v[41:42]
	v_add_f64_e64 v[47:48], v[49:50], -v[47:48]
	s_delay_alu instid0(VALU_DEP_2) | instskip(NEXT) | instid1(TRANS32_DEP_1)
	v_add_f64_e64 v[39:40], v[39:40], -v[41:42]
	v_fma_f64 v[51:52], -v[43:44], v[45:46], 1.0
	s_delay_alu instid0(VALU_DEP_3) | instskip(NEXT) | instid1(VALU_DEP_2)
	v_add_f64_e64 v[35:36], v[35:36], -v[47:48]
	v_fma_f64 v[45:46], v[51:52], v[45:46], v[45:46]
	s_delay_alu instid0(VALU_DEP_1) | instskip(NEXT) | instid1(VALU_DEP_1)
	v_fma_f64 v[37:38], -v[43:44], v[45:46], 1.0
	v_fma_f64 v[37:38], v[37:38], v[45:46], v[45:46]
	s_delay_alu instid0(VALU_DEP_1) | instskip(NEXT) | instid1(VALU_DEP_1)
	v_mul_f64_e32 v[45:46], v[49:50], v[37:38]
	v_mul_f64_e32 v[51:52], v[43:44], v[45:46]
	s_delay_alu instid0(VALU_DEP_1) | instskip(NEXT) | instid1(VALU_DEP_1)
	v_fma_f64 v[41:42], v[45:46], v[43:44], -v[51:52]
	v_fma_f64 v[41:42], v[45:46], v[39:40], v[41:42]
	s_delay_alu instid0(VALU_DEP_1) | instskip(NEXT) | instid1(VALU_DEP_1)
	v_add_f64_e32 v[53:54], v[51:52], v[41:42]
	v_add_f64_e64 v[55:56], v[49:50], -v[53:54]
	v_add_f64_e64 v[47:48], v[53:54], -v[51:52]
	s_delay_alu instid0(VALU_DEP_2) | instskip(NEXT) | instid1(VALU_DEP_2)
	v_add_f64_e64 v[49:50], v[49:50], -v[55:56]
	v_add_f64_e64 v[41:42], v[47:48], -v[41:42]
	s_delay_alu instid0(VALU_DEP_2) | instskip(NEXT) | instid1(VALU_DEP_1)
	v_add_f64_e64 v[49:50], v[49:50], -v[53:54]
	v_add_f64_e32 v[35:36], v[35:36], v[49:50]
	s_delay_alu instid0(VALU_DEP_1) | instskip(NEXT) | instid1(VALU_DEP_1)
	v_add_f64_e32 v[35:36], v[41:42], v[35:36]
	v_add_f64_e32 v[41:42], v[55:56], v[35:36]
	s_delay_alu instid0(VALU_DEP_1) | instskip(SKIP_1) | instid1(VALU_DEP_2)
	v_mul_f64_e32 v[47:48], v[37:38], v[41:42]
	v_add_f64_e64 v[53:54], v[55:56], -v[41:42]
	v_mul_f64_e32 v[49:50], v[43:44], v[47:48]
	s_delay_alu instid0(VALU_DEP_2) | instskip(NEXT) | instid1(VALU_DEP_2)
	v_add_f64_e32 v[35:36], v[35:36], v[53:54]
	v_fma_f64 v[43:44], v[47:48], v[43:44], -v[49:50]
	s_delay_alu instid0(VALU_DEP_1) | instskip(NEXT) | instid1(VALU_DEP_1)
	v_fma_f64 v[39:40], v[47:48], v[39:40], v[43:44]
	v_add_f64_e32 v[43:44], v[49:50], v[39:40]
	s_delay_alu instid0(VALU_DEP_1) | instskip(SKIP_1) | instid1(VALU_DEP_2)
	v_add_f64_e64 v[51:52], v[41:42], -v[43:44]
	v_add_f64_e64 v[49:50], v[43:44], -v[49:50]
	;; [unrolled: 1-line block ×3, first 2 shown]
	s_delay_alu instid0(VALU_DEP_2) | instskip(NEXT) | instid1(VALU_DEP_2)
	v_add_f64_e64 v[39:40], v[49:50], -v[39:40]
	v_add_f64_e64 v[41:42], v[41:42], -v[43:44]
	s_delay_alu instid0(VALU_DEP_1) | instskip(SKIP_1) | instid1(VALU_DEP_2)
	v_add_f64_e32 v[35:36], v[35:36], v[41:42]
	v_add_f64_e32 v[41:42], v[45:46], v[47:48]
	;; [unrolled: 1-line block ×3, first 2 shown]
	s_delay_alu instid0(VALU_DEP_2) | instskip(NEXT) | instid1(VALU_DEP_2)
	v_add_f64_e64 v[39:40], v[41:42], -v[45:46]
	v_add_f64_e32 v[35:36], v[51:52], v[35:36]
	s_delay_alu instid0(VALU_DEP_2) | instskip(NEXT) | instid1(VALU_DEP_2)
	v_add_f64_e64 v[39:40], v[47:48], -v[39:40]
	v_mul_f64_e32 v[35:36], v[37:38], v[35:36]
	s_delay_alu instid0(VALU_DEP_1) | instskip(NEXT) | instid1(VALU_DEP_1)
	v_add_f64_e32 v[35:36], v[39:40], v[35:36]
	v_add_f64_e32 v[37:38], v[41:42], v[35:36]
	s_delay_alu instid0(VALU_DEP_1) | instskip(NEXT) | instid1(VALU_DEP_1)
	v_mul_f64_e32 v[39:40], v[37:38], v[37:38]
	v_fma_f64 v[43:44], v[39:40], s[12:13], s[10:11]
	s_mov_b32 s10, 0xd7f4df2e
	s_mov_b32 s11, 0x3fc7474d
	v_mul_f64_e32 v[45:46], v[37:38], v[39:40]
	s_wait_alu 0xfffe
	s_delay_alu instid0(VALU_DEP_2) | instskip(SKIP_3) | instid1(VALU_DEP_1)
	v_fma_f64 v[43:44], v[39:40], v[43:44], s[10:11]
	s_mov_b32 s10, 0x16291751
	s_mov_b32 s11, 0x3fcc71c0
	s_wait_alu 0xfffe
	v_fma_f64 v[43:44], v[39:40], v[43:44], s[10:11]
	s_mov_b32 s10, 0x9b27acf1
	s_mov_b32 s11, 0x3fd24924
	s_wait_alu 0xfffe
	s_delay_alu instid0(VALU_DEP_1) | instskip(SKIP_3) | instid1(VALU_DEP_1)
	v_fma_f64 v[43:44], v[39:40], v[43:44], s[10:11]
	s_mov_b32 s10, 0x998ef7b6
	s_mov_b32 s11, 0x3fd99999
	s_wait_alu 0xfffe
	v_fma_f64 v[43:44], v[39:40], v[43:44], s[10:11]
	s_delay_alu instid0(VALU_DEP_1) | instskip(SKIP_2) | instid1(VALU_DEP_3)
	v_fma_f64 v[39:40], v[39:40], v[43:44], s[6:7]
	v_ldexp_f64 v[43:44], v[37:38], 1
	v_add_f64_e64 v[37:38], v[37:38], -v[41:42]
	v_mul_f64_e32 v[39:40], v[45:46], v[39:40]
	v_cvt_f64_i32_e32 v[45:46], v57
	s_delay_alu instid0(VALU_DEP_3) | instskip(NEXT) | instid1(VALU_DEP_3)
	v_add_f64_e64 v[35:36], v[35:36], -v[37:38]
	v_add_f64_e32 v[41:42], v[43:44], v[39:40]
	s_delay_alu instid0(VALU_DEP_3) | instskip(NEXT) | instid1(VALU_DEP_3)
	v_mul_f64_e32 v[47:48], s[2:3], v[45:46]
	v_ldexp_f64 v[35:36], v[35:36], 1
	s_delay_alu instid0(VALU_DEP_3) | instskip(NEXT) | instid1(VALU_DEP_3)
	v_add_f64_e64 v[37:38], v[41:42], -v[43:44]
	v_fma_f64 v[43:44], v[45:46], s[2:3], -v[47:48]
	v_cmp_ngt_f64_e64 s2, -1.0, v[31:32]
	s_delay_alu instid0(VALU_DEP_3) | instskip(NEXT) | instid1(VALU_DEP_3)
	v_add_f64_e64 v[37:38], v[39:40], -v[37:38]
	v_fma_f64 v[39:40], v[45:46], s[4:5], v[43:44]
	s_delay_alu instid0(VALU_DEP_2) | instskip(NEXT) | instid1(VALU_DEP_2)
	v_add_f64_e32 v[35:36], v[35:36], v[37:38]
	v_add_f64_e32 v[37:38], v[47:48], v[39:40]
	s_delay_alu instid0(VALU_DEP_2) | instskip(NEXT) | instid1(VALU_DEP_2)
	v_add_f64_e32 v[43:44], v[41:42], v[35:36]
	v_add_f64_e64 v[47:48], v[37:38], -v[47:48]
	s_delay_alu instid0(VALU_DEP_2) | instskip(SKIP_1) | instid1(VALU_DEP_3)
	v_add_f64_e32 v[45:46], v[37:38], v[43:44]
	v_add_f64_e64 v[41:42], v[43:44], -v[41:42]
	v_add_f64_e64 v[39:40], v[39:40], -v[47:48]
	s_delay_alu instid0(VALU_DEP_3) | instskip(NEXT) | instid1(VALU_DEP_3)
	v_add_f64_e64 v[49:50], v[45:46], -v[37:38]
	v_add_f64_e64 v[35:36], v[35:36], -v[41:42]
	s_delay_alu instid0(VALU_DEP_2) | instskip(SKIP_1) | instid1(VALU_DEP_3)
	v_add_f64_e64 v[51:52], v[45:46], -v[49:50]
	v_add_f64_e64 v[41:42], v[43:44], -v[49:50]
	v_add_f64_e32 v[43:44], v[39:40], v[35:36]
	s_delay_alu instid0(VALU_DEP_3) | instskip(NEXT) | instid1(VALU_DEP_1)
	v_add_f64_e64 v[37:38], v[37:38], -v[51:52]
	v_add_f64_e32 v[37:38], v[41:42], v[37:38]
	s_delay_alu instid0(VALU_DEP_3) | instskip(NEXT) | instid1(VALU_DEP_2)
	v_add_f64_e64 v[41:42], v[43:44], -v[39:40]
	v_add_f64_e32 v[37:38], v[43:44], v[37:38]
	s_delay_alu instid0(VALU_DEP_2) | instskip(SKIP_1) | instid1(VALU_DEP_3)
	v_add_f64_e64 v[43:44], v[43:44], -v[41:42]
	v_add_f64_e64 v[35:36], v[35:36], -v[41:42]
	v_add_f64_e32 v[47:48], v[45:46], v[37:38]
	s_delay_alu instid0(VALU_DEP_3) | instskip(NEXT) | instid1(VALU_DEP_2)
	v_add_f64_e64 v[39:40], v[39:40], -v[43:44]
	v_add_f64_e64 v[41:42], v[47:48], -v[45:46]
	s_delay_alu instid0(VALU_DEP_2) | instskip(NEXT) | instid1(VALU_DEP_2)
	v_add_f64_e32 v[35:36], v[35:36], v[39:40]
	v_add_f64_e64 v[37:38], v[37:38], -v[41:42]
	s_delay_alu instid0(VALU_DEP_1) | instskip(NEXT) | instid1(VALU_DEP_1)
	v_add_f64_e32 v[35:36], v[35:36], v[37:38]
	v_add_f64_e32 v[35:36], v[47:48], v[35:36]
	s_delay_alu instid0(VALU_DEP_1) | instskip(SKIP_1) | instid1(VALU_DEP_3)
	v_cndmask_b32_e32 v35, 0, v35, vcc_lo
	v_cmp_neq_f64_e32 vcc_lo, -1.0, v[31:32]
	v_cndmask_b32_e64 v36, 0x7ff00000, v36, s1
	s_wait_alu 0xf1ff
	s_delay_alu instid0(VALU_DEP_1) | instskip(SKIP_1) | instid1(VALU_DEP_1)
	v_cndmask_b32_e64 v36, 0x7ff80000, v36, s2
	s_wait_alu 0xfffd
	v_cndmask_b32_e32 v36, 0xfff00000, v36, vcc_lo
	s_delay_alu instid0(VALU_DEP_1)
	v_add_f64_e32 v[31:32], v[33:34], v[35:36]
.LBB71_304:
	s_wait_alu 0xfffe
	s_or_b32 exec_lo, exec_lo, s8
	s_delay_alu instid0(SALU_CYCLE_1)
	s_mov_b32 s1, exec_lo
	v_cmpx_eq_u32_e32 0xff, v0
	s_cbranch_execz .LBB71_306
; %bb.305:
	s_add_nc_u64 s[2:3], s[34:35], 0x200
	v_dual_mov_b32 v35, 2 :: v_dual_mov_b32 v36, 0
	s_delay_alu instid0(VALU_DEP_3)
	v_dual_mov_b32 v33, v31 :: v_dual_mov_b32 v34, v32
	s_wait_alu 0xfffe
	v_dual_mov_b32 v38, s3 :: v_dual_mov_b32 v37, s2
	;;#ASMSTART
	global_store_b128 v[37:38], v[33:36] off scope:SCOPE_DEV	
s_wait_storecnt 0x0
	;;#ASMEND
.LBB71_306:
	s_wait_alu 0xfffe
	s_or_b32 exec_lo, exec_lo, s1
	s_delay_alu instid0(VALU_DEP_2) | instskip(NEXT) | instid1(VALU_DEP_3)
	v_mov_b32_e32 v36, v32
	v_dual_mov_b32 v35, v31 :: v_dual_mov_b32 v34, v30
	v_dual_mov_b32 v33, v29 :: v_dual_mov_b32 v32, v28
	v_mov_b32_e32 v31, v27
	v_mov_b32_e32 v30, v26
	;; [unrolled: 1-line block ×27, first 2 shown]
.LBB71_307:
	s_add_nc_u64 s[2:3], s[40:41], s[38:39]
	s_and_b32 vcc_lo, exec_lo, s0
	s_wait_alu 0xfffe
	s_add_nc_u64 s[2:3], s[2:3], s[36:37]
	s_mov_b32 s0, -1
	s_wait_loadcnt_dscnt 0x0
	s_barrier_signal -1
	s_barrier_wait -1
	global_inv scope:SCOPE_SE
	s_cbranch_vccz .LBB71_309
; %bb.308:
	v_lshrrev_b32_e32 v2, 2, v97
	v_lshrrev_b32_e32 v3, 2, v96
	;; [unrolled: 1-line block ×3, first 2 shown]
	v_and_b32_e32 v1, 56, v99
	v_lshrrev_b32_e32 v37, 2, v94
	v_and_b32_e32 v2, 0x78, v2
	v_and_b32_e32 v3, 0xb8, v3
	v_and_b32_e32 v4, 0xf8, v4
	v_add_nc_u32_e32 v1, v1, v98
	v_lshrrev_b32_e32 v38, 2, v93
	v_and_b32_e32 v42, 0x138, v37
	v_lshrrev_b32_e32 v44, 2, v92
	v_lshrrev_b32_e32 v45, 2, v91
	v_add_nc_u32_e32 v39, v2, v98
	v_add_nc_u32_e32 v40, v3, v98
	v_add_nc_u32_e32 v41, v4, v98
	v_lshrrev_b32_e32 v47, 2, v89
	ds_store_2addr_b64 v100, v[5:6], v[7:8] offset1:1
	ds_store_2addr_b64 v100, v[9:10], v[11:12] offset0:2 offset1:3
	ds_store_2addr_b64 v100, v[13:14], v[15:16] offset0:4 offset1:5
	;; [unrolled: 1-line block ×7, first 2 shown]
	s_wait_loadcnt_dscnt 0x0
	s_barrier_signal -1
	s_barrier_wait -1
	global_inv scope:SCOPE_SE
	v_and_b32_e32 v43, 0x178, v38
	ds_load_b64 v[1:2], v1
	ds_load_b64 v[3:4], v39 offset:2048
	ds_load_b64 v[37:38], v40 offset:4096
	;; [unrolled: 1-line block ×3, first 2 shown]
	v_add_nc_u32_e32 v41, v42, v98
	v_and_b32_e32 v42, 0x1b8, v44
	v_and_b32_e32 v44, 0x1f8, v45
	v_lshrrev_b32_e32 v45, 2, v90
	v_and_b32_e32 v52, 0x2b8, v47
	v_lshrrev_b32_e32 v46, 2, v88
	v_lshrrev_b32_e32 v53, 2, v87
	v_add_nc_u32_e32 v43, v43, v98
	v_and_b32_e32 v50, 0x238, v45
	v_add_nc_u32_e32 v48, v42, v98
	v_add_nc_u32_e32 v49, v44, v98
	;; [unrolled: 1-line block ×3, first 2 shown]
	v_lshrrev_b32_e32 v52, 2, v86
	v_and_b32_e32 v51, 0x278, v46
	ds_load_b64 v[41:42], v41 offset:8192
	ds_load_b64 v[43:44], v43 offset:10240
	;; [unrolled: 1-line block ×4, first 2 shown]
	v_add_nc_u32_e32 v49, v50, v98
	v_and_b32_e32 v50, 0x2f8, v53
	v_lshrrev_b32_e32 v53, 2, v85
	v_lshrrev_b32_e32 v55, 2, v84
	;; [unrolled: 1-line block ×3, first 2 shown]
	v_and_b32_e32 v58, 0x338, v52
	v_add_nc_u32_e32 v51, v51, v98
	v_and_b32_e32 v59, 0x378, v53
	v_and_b32_e32 v60, 0x3b8, v55
	v_add_nc_u32_e32 v57, v50, v98
	v_and_b32_e32 v61, 0x3f8, v56
	ds_load_b64 v[49:50], v49 offset:16384
	ds_load_b64 v[51:52], v51 offset:18432
	;; [unrolled: 1-line block ×4, first 2 shown]
	v_add_nc_u32_e32 v57, v58, v98
	v_add_nc_u32_e32 v59, v59, v98
	;; [unrolled: 1-line block ×4, first 2 shown]
	ds_load_b64 v[57:58], v57 offset:24576
	ds_load_b64 v[59:60], v59 offset:26624
	;; [unrolled: 1-line block ×4, first 2 shown]
	s_wait_dscnt 0xf
	global_store_b64 v98, v[1:2], s[2:3]
	s_wait_dscnt 0xe
	global_store_b64 v98, v[3:4], s[2:3] offset:2048
	s_wait_dscnt 0xd
	global_store_b64 v98, v[37:38], s[2:3] offset:4096
	;; [unrolled: 2-line block ×11, first 2 shown]
	s_mov_b32 s0, 0
	s_wait_dscnt 0x3
	global_store_b64 v98, v[57:58], s[2:3] offset:24576
	s_wait_dscnt 0x2
	global_store_b64 v98, v[59:60], s[2:3] offset:26624
	;; [unrolled: 2-line block ×4, first 2 shown]
.LBB71_309:
	s_wait_alu 0xfffe
	s_and_not1_b32 vcc_lo, exec_lo, s0
	s_wait_alu 0xfffe
	s_cbranch_vccnz .LBB71_327
; %bb.310:
	v_lshrrev_b32_e32 v2, 2, v97
	v_lshrrev_b32_e32 v3, 2, v96
	;; [unrolled: 1-line block ×3, first 2 shown]
	ds_store_2addr_b64 v100, v[5:6], v[7:8] offset1:1
	ds_store_2addr_b64 v100, v[9:10], v[11:12] offset0:2 offset1:3
	ds_store_2addr_b64 v100, v[13:14], v[15:16] offset0:4 offset1:5
	;; [unrolled: 1-line block ×7, first 2 shown]
	v_and_b32_e32 v1, 56, v99
	v_lshrrev_b32_e32 v5, 2, v94
	v_and_b32_e32 v2, 0x78, v2
	v_lshrrev_b32_e32 v6, 2, v93
	v_and_b32_e32 v3, 0xb8, v3
	v_and_b32_e32 v4, 0xf8, v4
	v_add_nc_u32_e32 v1, v1, v98
	v_and_b32_e32 v10, 0x138, v5
	v_lshrrev_b32_e32 v12, 2, v92
	v_add_nc_u32_e32 v2, v2, v98
	v_and_b32_e32 v11, 0x178, v6
	v_lshrrev_b32_e32 v13, 2, v91
	v_add_nc_u32_e32 v7, v3, v98
	v_add_nc_u32_e32 v8, v4, v98
	s_wait_storecnt 0x0
	s_wait_loadcnt_dscnt 0x0
	s_barrier_signal -1
	s_barrier_wait -1
	global_inv scope:SCOPE_SE
	ds_load_b64 v[4:5], v1
	ds_load_b64 v[2:3], v2 offset:2048
	ds_load_b64 v[6:7], v7 offset:4096
	;; [unrolled: 1-line block ×3, first 2 shown]
	v_add_nc_u32_e32 v1, v10, v98
	v_and_b32_e32 v10, 0x1b8, v12
	v_lshrrev_b32_e32 v12, 2, v90
	v_add_nc_u32_e32 v14, v11, v98
	v_and_b32_e32 v11, 0x1f8, v13
	v_lshrrev_b32_e32 v13, 2, v88
	v_lshrrev_b32_e32 v15, 2, v89
	v_and_b32_e32 v18, 0x238, v12
	v_add_nc_u32_e32 v16, v10, v98
	v_add_nc_u32_e32 v17, v11, v98
	v_and_b32_e32 v19, 0x278, v13
	v_and_b32_e32 v20, 0x2b8, v15
	ds_load_b64 v[10:11], v1 offset:8192
	ds_load_b64 v[12:13], v14 offset:10240
	;; [unrolled: 1-line block ×4, first 2 shown]
	v_add_nc_u32_e32 v1, v18, v98
	v_lshrrev_b32_e32 v18, 2, v87
	v_add_nc_u32_e32 v21, v19, v98
	v_add_nc_u32_e32 v22, v20, v98
	v_lshrrev_b32_e32 v19, 2, v86
	v_lshrrev_b32_e32 v20, 2, v85
	;; [unrolled: 1-line block ×4, first 2 shown]
	v_and_b32_e32 v18, 0x2f8, v18
	v_and_b32_e32 v19, 0x338, v19
	v_and_b32_e32 v20, 0x378, v20
	v_and_b32_e32 v23, 0x3b8, v23
	v_and_b32_e32 v24, 0x3f8, v24
	v_add_nc_u32_e32 v25, v18, v98
	v_add_nc_u32_e32 v26, v19, v98
	;; [unrolled: 1-line block ×5, first 2 shown]
	ds_load_b64 v[18:19], v1 offset:16384
	ds_load_b64 v[20:21], v21 offset:18432
	;; [unrolled: 1-line block ×8, first 2 shown]
	v_add_co_u32 v34, s0, s2, v98
	v_mov_b32_e32 v1, 0
	s_wait_alu 0xf1ff
	v_add_co_ci_u32_e64 v35, null, s3, 0, s0
	s_mov_b32 s0, exec_lo
	v_cmpx_gt_u32_e64 s22, v0
	s_cbranch_execnz .LBB71_343
; %bb.311:
	s_wait_alu 0xfffe
	s_or_b32 exec_lo, exec_lo, s0
	s_delay_alu instid0(SALU_CYCLE_1)
	s_mov_b32 s0, exec_lo
	v_cmpx_gt_u32_e64 s22, v97
	s_cbranch_execnz .LBB71_344
.LBB71_312:
	s_wait_alu 0xfffe
	s_or_b32 exec_lo, exec_lo, s0
	s_delay_alu instid0(SALU_CYCLE_1)
	s_mov_b32 s0, exec_lo
	v_cmpx_gt_u32_e64 s22, v96
	s_cbranch_execnz .LBB71_345
.LBB71_313:
	s_wait_alu 0xfffe
	s_or_b32 exec_lo, exec_lo, s0
	s_delay_alu instid0(SALU_CYCLE_1)
	s_mov_b32 s0, exec_lo
	v_cmpx_gt_u32_e64 s22, v95
	s_cbranch_execnz .LBB71_346
.LBB71_314:
	s_wait_alu 0xfffe
	s_or_b32 exec_lo, exec_lo, s0
	s_delay_alu instid0(SALU_CYCLE_1)
	s_mov_b32 s0, exec_lo
	v_cmpx_gt_u32_e64 s22, v94
	s_cbranch_execnz .LBB71_347
.LBB71_315:
	s_wait_alu 0xfffe
	s_or_b32 exec_lo, exec_lo, s0
	s_delay_alu instid0(SALU_CYCLE_1)
	s_mov_b32 s0, exec_lo
	v_cmpx_gt_u32_e64 s22, v93
	s_cbranch_execnz .LBB71_348
.LBB71_316:
	s_wait_alu 0xfffe
	s_or_b32 exec_lo, exec_lo, s0
	s_delay_alu instid0(SALU_CYCLE_1)
	s_mov_b32 s0, exec_lo
	v_cmpx_gt_u32_e64 s22, v92
	s_cbranch_execnz .LBB71_349
.LBB71_317:
	s_wait_alu 0xfffe
	s_or_b32 exec_lo, exec_lo, s0
	s_delay_alu instid0(SALU_CYCLE_1)
	s_mov_b32 s0, exec_lo
	v_cmpx_gt_u32_e64 s22, v91
	s_cbranch_execnz .LBB71_350
.LBB71_318:
	s_wait_alu 0xfffe
	s_or_b32 exec_lo, exec_lo, s0
	s_delay_alu instid0(SALU_CYCLE_1)
	s_mov_b32 s0, exec_lo
	v_cmpx_gt_u32_e64 s22, v90
	s_cbranch_execnz .LBB71_351
.LBB71_319:
	s_wait_alu 0xfffe
	s_or_b32 exec_lo, exec_lo, s0
	s_delay_alu instid0(SALU_CYCLE_1)
	s_mov_b32 s0, exec_lo
	v_cmpx_gt_u32_e64 s22, v88
	s_cbranch_execnz .LBB71_352
.LBB71_320:
	s_wait_alu 0xfffe
	s_or_b32 exec_lo, exec_lo, s0
	s_delay_alu instid0(SALU_CYCLE_1)
	s_mov_b32 s0, exec_lo
	v_cmpx_gt_u32_e64 s22, v89
	s_cbranch_execnz .LBB71_353
.LBB71_321:
	s_wait_alu 0xfffe
	s_or_b32 exec_lo, exec_lo, s0
	s_delay_alu instid0(SALU_CYCLE_1)
	s_mov_b32 s0, exec_lo
	v_cmpx_gt_u32_e64 s22, v87
	s_cbranch_execnz .LBB71_354
.LBB71_322:
	s_wait_alu 0xfffe
	s_or_b32 exec_lo, exec_lo, s0
	s_delay_alu instid0(SALU_CYCLE_1)
	s_mov_b32 s0, exec_lo
	v_cmpx_gt_u32_e64 s22, v86
	s_cbranch_execnz .LBB71_355
.LBB71_323:
	s_wait_alu 0xfffe
	s_or_b32 exec_lo, exec_lo, s0
	s_delay_alu instid0(SALU_CYCLE_1)
	s_mov_b32 s0, exec_lo
	v_cmpx_gt_u32_e64 s22, v85
	s_cbranch_execnz .LBB71_356
.LBB71_324:
	s_wait_alu 0xfffe
	s_or_b32 exec_lo, exec_lo, s0
	s_delay_alu instid0(SALU_CYCLE_1)
	s_mov_b32 s0, exec_lo
	v_cmpx_gt_u32_e64 s22, v84
	s_cbranch_execnz .LBB71_357
.LBB71_325:
	s_wait_alu 0xfffe
	s_or_b32 exec_lo, exec_lo, s0
	s_delay_alu instid0(SALU_CYCLE_1)
	s_mov_b32 s0, exec_lo
	v_cmpx_gt_u32_e64 s22, v83
	s_cbranch_execnz .LBB71_358
.LBB71_326:
	s_wait_alu 0xfffe
	s_or_b32 exec_lo, exec_lo, s0
	v_cmp_lt_u64_e64 s0, s[30:31], 2
	s_and_b32 vcc_lo, exec_lo, s0
	s_wait_alu 0xfffe
	s_cbranch_vccz .LBB71_359
.LBB71_327:
	s_nop 0
	s_sendmsg sendmsg(MSG_DEALLOC_VGPRS)
	s_endpgm
.LBB71_328:
	global_load_b64 v[31:32], v98, s[4:5]
	s_wait_alu 0xfffe
	s_or_b32 exec_lo, exec_lo, s6
	s_delay_alu instid0(SALU_CYCLE_1)
	s_mov_b32 s1, exec_lo
	v_cmpx_gt_u32_e64 s22, v97
	s_cbranch_execnz .LBB71_329
; %bb.445:
	s_getpc_b64 s[92:93]
.Lpost_getpc47:
	s_wait_alu 0xfffe
	s_add_co_u32 s92, s92, (.LBB71_9-.Lpost_getpc47)&4294967295
	s_add_co_ci_u32 s93, s93, (.LBB71_9-.Lpost_getpc47)>>32
	s_wait_alu 0xfffe
	s_setpc_b64 s[92:93]
.LBB71_329:
	global_load_b64 v[25:26], v98, s[4:5] offset:2048
	s_wait_alu 0xfffe
	s_or_b32 exec_lo, exec_lo, s1
	s_delay_alu instid0(SALU_CYCLE_1)
	s_mov_b32 s1, exec_lo
	v_cmpx_gt_u32_e64 s22, v96
	s_cbranch_execnz .LBB71_330
; %bb.447:
	s_getpc_b64 s[92:93]
.Lpost_getpc48:
	s_wait_alu 0xfffe
	s_add_co_u32 s92, s92, (.LBB71_10-.Lpost_getpc48)&4294967295
	s_add_co_ci_u32 s93, s93, (.LBB71_10-.Lpost_getpc48)>>32
	s_wait_alu 0xfffe
	s_setpc_b64 s[92:93]
.LBB71_330:
	global_load_b64 v[27:28], v98, s[4:5] offset:4096
	s_wait_alu 0xfffe
	s_or_b32 exec_lo, exec_lo, s1
	s_delay_alu instid0(SALU_CYCLE_1)
	s_mov_b32 s1, exec_lo
	v_cmpx_gt_u32_e64 s22, v95
	s_cbranch_execnz .LBB71_331
; %bb.449:
	s_getpc_b64 s[92:93]
.Lpost_getpc49:
	s_wait_alu 0xfffe
	s_add_co_u32 s92, s92, (.LBB71_11-.Lpost_getpc49)&4294967295
	s_add_co_ci_u32 s93, s93, (.LBB71_11-.Lpost_getpc49)>>32
	s_wait_alu 0xfffe
	s_setpc_b64 s[92:93]
.LBB71_331:
	global_load_b64 v[29:30], v98, s[4:5] offset:6144
	s_wait_alu 0xfffe
	s_or_b32 exec_lo, exec_lo, s1
	s_delay_alu instid0(SALU_CYCLE_1)
	s_mov_b32 s1, exec_lo
	v_cmpx_gt_u32_e64 s22, v94
	s_cbranch_execnz .LBB71_332
; %bb.451:
	s_getpc_b64 s[92:93]
.Lpost_getpc50:
	s_wait_alu 0xfffe
	s_add_co_u32 s92, s92, (.LBB71_12-.Lpost_getpc50)&4294967295
	s_add_co_ci_u32 s93, s93, (.LBB71_12-.Lpost_getpc50)>>32
	s_wait_alu 0xfffe
	s_setpc_b64 s[92:93]
.LBB71_332:
	global_load_b64 v[17:18], v98, s[4:5] offset:8192
	s_wait_alu 0xfffe
	s_or_b32 exec_lo, exec_lo, s1
	s_delay_alu instid0(SALU_CYCLE_1)
	s_mov_b32 s1, exec_lo
	v_cmpx_gt_u32_e64 s22, v93
	s_cbranch_execnz .LBB71_333
; %bb.453:
	s_getpc_b64 s[92:93]
.Lpost_getpc51:
	s_wait_alu 0xfffe
	s_add_co_u32 s92, s92, (.LBB71_13-.Lpost_getpc51)&4294967295
	s_add_co_ci_u32 s93, s93, (.LBB71_13-.Lpost_getpc51)>>32
	s_wait_alu 0xfffe
	s_setpc_b64 s[92:93]
.LBB71_333:
	global_load_b64 v[19:20], v98, s[4:5] offset:10240
	s_wait_alu 0xfffe
	s_or_b32 exec_lo, exec_lo, s1
	s_delay_alu instid0(SALU_CYCLE_1)
	s_mov_b32 s1, exec_lo
	v_cmpx_gt_u32_e64 s22, v92
	s_cbranch_execnz .LBB71_334
; %bb.455:
	s_getpc_b64 s[92:93]
.Lpost_getpc52:
	s_wait_alu 0xfffe
	s_add_co_u32 s92, s92, (.LBB71_14-.Lpost_getpc52)&4294967295
	s_add_co_ci_u32 s93, s93, (.LBB71_14-.Lpost_getpc52)>>32
	s_wait_alu 0xfffe
	s_setpc_b64 s[92:93]
.LBB71_334:
	global_load_b64 v[21:22], v98, s[4:5] offset:12288
	s_wait_alu 0xfffe
	s_or_b32 exec_lo, exec_lo, s1
	s_delay_alu instid0(SALU_CYCLE_1)
	s_mov_b32 s1, exec_lo
	v_cmpx_gt_u32_e64 s22, v91
	s_cbranch_execnz .LBB71_335
; %bb.457:
	s_getpc_b64 s[92:93]
.Lpost_getpc53:
	s_wait_alu 0xfffe
	s_add_co_u32 s92, s92, (.LBB71_15-.Lpost_getpc53)&4294967295
	s_add_co_ci_u32 s93, s93, (.LBB71_15-.Lpost_getpc53)>>32
	s_wait_alu 0xfffe
	s_setpc_b64 s[92:93]
.LBB71_335:
	global_load_b64 v[23:24], v98, s[4:5] offset:14336
	s_wait_alu 0xfffe
	s_or_b32 exec_lo, exec_lo, s1
	s_delay_alu instid0(SALU_CYCLE_1)
	s_mov_b32 s1, exec_lo
	v_cmpx_gt_u32_e64 s22, v90
	s_cbranch_execnz .LBB71_336
; %bb.459:
	s_getpc_b64 s[92:93]
.Lpost_getpc54:
	s_wait_alu 0xfffe
	s_add_co_u32 s92, s92, (.LBB71_16-.Lpost_getpc54)&4294967295
	s_add_co_ci_u32 s93, s93, (.LBB71_16-.Lpost_getpc54)>>32
	s_wait_alu 0xfffe
	s_setpc_b64 s[92:93]
.LBB71_336:
	global_load_b64 v[1:2], v98, s[4:5] offset:16384
	s_wait_alu 0xfffe
	s_or_b32 exec_lo, exec_lo, s1
	s_delay_alu instid0(SALU_CYCLE_1)
	s_mov_b32 s1, exec_lo
	v_cmpx_gt_u32_e64 s22, v88
	s_cbranch_execnz .LBB71_337
; %bb.461:
	s_getpc_b64 s[92:93]
.Lpost_getpc55:
	s_wait_alu 0xfffe
	s_add_co_u32 s92, s92, (.LBB71_17-.Lpost_getpc55)&4294967295
	s_add_co_ci_u32 s93, s93, (.LBB71_17-.Lpost_getpc55)>>32
	s_wait_alu 0xfffe
	s_setpc_b64 s[92:93]
.LBB71_337:
	global_load_b64 v[3:4], v98, s[4:5] offset:18432
	s_wait_alu 0xfffe
	s_or_b32 exec_lo, exec_lo, s1
	s_delay_alu instid0(SALU_CYCLE_1)
	s_mov_b32 s1, exec_lo
	v_cmpx_gt_u32_e64 s22, v89
	s_cbranch_execnz .LBB71_338
; %bb.463:
	s_getpc_b64 s[92:93]
.Lpost_getpc56:
	s_wait_alu 0xfffe
	s_add_co_u32 s92, s92, (.LBB71_18-.Lpost_getpc56)&4294967295
	s_add_co_ci_u32 s93, s93, (.LBB71_18-.Lpost_getpc56)>>32
	s_wait_alu 0xfffe
	s_setpc_b64 s[92:93]
.LBB71_338:
	global_load_b64 v[5:6], v98, s[4:5] offset:20480
	s_wait_alu 0xfffe
	s_or_b32 exec_lo, exec_lo, s1
	s_delay_alu instid0(SALU_CYCLE_1)
	s_mov_b32 s1, exec_lo
	v_cmpx_gt_u32_e64 s22, v87
	s_cbranch_execnz .LBB71_339
; %bb.465:
	s_getpc_b64 s[92:93]
.Lpost_getpc57:
	s_wait_alu 0xfffe
	s_add_co_u32 s92, s92, (.LBB71_19-.Lpost_getpc57)&4294967295
	s_add_co_ci_u32 s93, s93, (.LBB71_19-.Lpost_getpc57)>>32
	s_wait_alu 0xfffe
	s_setpc_b64 s[92:93]
.LBB71_339:
	global_load_b64 v[7:8], v98, s[4:5] offset:22528
	s_wait_alu 0xfffe
	s_or_b32 exec_lo, exec_lo, s1
	s_delay_alu instid0(SALU_CYCLE_1)
	s_mov_b32 s1, exec_lo
	v_cmpx_gt_u32_e64 s22, v86
	s_cbranch_execnz .LBB71_340
; %bb.467:
	s_getpc_b64 s[92:93]
.Lpost_getpc58:
	s_wait_alu 0xfffe
	s_add_co_u32 s92, s92, (.LBB71_20-.Lpost_getpc58)&4294967295
	s_add_co_ci_u32 s93, s93, (.LBB71_20-.Lpost_getpc58)>>32
	s_wait_alu 0xfffe
	s_setpc_b64 s[92:93]
.LBB71_340:
	global_load_b64 v[9:10], v98, s[4:5] offset:24576
	s_wait_alu 0xfffe
	s_or_b32 exec_lo, exec_lo, s1
	s_delay_alu instid0(SALU_CYCLE_1)
	s_mov_b32 s1, exec_lo
	v_cmpx_gt_u32_e64 s22, v85
	s_cbranch_execnz .LBB71_341
; %bb.469:
	s_getpc_b64 s[92:93]
.Lpost_getpc59:
	s_wait_alu 0xfffe
	s_add_co_u32 s92, s92, (.LBB71_21-.Lpost_getpc59)&4294967295
	s_add_co_ci_u32 s93, s93, (.LBB71_21-.Lpost_getpc59)>>32
	s_wait_alu 0xfffe
	s_setpc_b64 s[92:93]
.LBB71_341:
	global_load_b64 v[11:12], v98, s[4:5] offset:26624
	s_wait_alu 0xfffe
	s_or_b32 exec_lo, exec_lo, s1
	s_delay_alu instid0(SALU_CYCLE_1)
	s_mov_b32 s1, exec_lo
	v_cmpx_gt_u32_e64 s22, v84
	s_cbranch_execnz .LBB71_342
; %bb.471:
	s_getpc_b64 s[92:93]
.Lpost_getpc60:
	s_wait_alu 0xfffe
	s_add_co_u32 s92, s92, (.LBB71_22-.Lpost_getpc60)&4294967295
	s_add_co_ci_u32 s93, s93, (.LBB71_22-.Lpost_getpc60)>>32
	s_wait_alu 0xfffe
	s_setpc_b64 s[92:93]
.LBB71_342:
	global_load_b64 v[13:14], v98, s[4:5] offset:28672
	s_wait_alu 0xfffe
	s_or_b32 exec_lo, exec_lo, s1
	s_delay_alu instid0(SALU_CYCLE_1)
	s_mov_b32 s1, exec_lo
	v_cmpx_gt_u32_e64 s22, v83
	s_cbranch_execz .LBB71_413
; %bb.473:
	s_getpc_b64 s[92:93]
.Lpost_getpc61:
	s_wait_alu 0xfffe
	s_add_co_u32 s92, s92, (.LBB71_23-.Lpost_getpc61)&4294967295
	s_add_co_ci_u32 s93, s93, (.LBB71_23-.Lpost_getpc61)>>32
	s_wait_alu 0xfffe
	s_setpc_b64 s[92:93]
.LBB71_413:
	s_getpc_b64 s[92:93]
.Lpost_getpc31:
	s_wait_alu 0xfffe
	s_add_co_u32 s92, s92, (.LBB71_24-.Lpost_getpc31)&4294967295
	s_add_co_ci_u32 s93, s93, (.LBB71_24-.Lpost_getpc31)>>32
	s_wait_alu 0xfffe
	s_setpc_b64 s[92:93]
.LBB71_343:
	s_wait_dscnt 0xf
	global_store_b64 v[34:35], v[4:5], off
	s_wait_alu 0xfffe
	s_or_b32 exec_lo, exec_lo, s0
	s_delay_alu instid0(SALU_CYCLE_1)
	s_mov_b32 s0, exec_lo
	v_cmpx_gt_u32_e64 s22, v97
	s_cbranch_execz .LBB71_312
.LBB71_344:
	s_wait_dscnt 0xe
	global_store_b64 v[34:35], v[2:3], off offset:2048
	s_wait_alu 0xfffe
	s_or_b32 exec_lo, exec_lo, s0
	s_delay_alu instid0(SALU_CYCLE_1)
	s_mov_b32 s0, exec_lo
	v_cmpx_gt_u32_e64 s22, v96
	s_cbranch_execz .LBB71_313
.LBB71_345:
	s_wait_dscnt 0xd
	global_store_b64 v[34:35], v[6:7], off offset:4096
	s_wait_alu 0xfffe
	s_or_b32 exec_lo, exec_lo, s0
	s_delay_alu instid0(SALU_CYCLE_1)
	s_mov_b32 s0, exec_lo
	v_cmpx_gt_u32_e64 s22, v95
	s_cbranch_execz .LBB71_314
.LBB71_346:
	s_wait_dscnt 0xc
	global_store_b64 v[34:35], v[8:9], off offset:6144
	s_wait_alu 0xfffe
	s_or_b32 exec_lo, exec_lo, s0
	s_delay_alu instid0(SALU_CYCLE_1)
	s_mov_b32 s0, exec_lo
	v_cmpx_gt_u32_e64 s22, v94
	s_cbranch_execz .LBB71_315
.LBB71_347:
	s_wait_dscnt 0xb
	global_store_b64 v[34:35], v[10:11], off offset:8192
	s_wait_alu 0xfffe
	s_or_b32 exec_lo, exec_lo, s0
	s_delay_alu instid0(SALU_CYCLE_1)
	s_mov_b32 s0, exec_lo
	v_cmpx_gt_u32_e64 s22, v93
	s_cbranch_execz .LBB71_316
.LBB71_348:
	s_wait_dscnt 0xa
	global_store_b64 v[34:35], v[12:13], off offset:10240
	s_wait_alu 0xfffe
	s_or_b32 exec_lo, exec_lo, s0
	s_delay_alu instid0(SALU_CYCLE_1)
	s_mov_b32 s0, exec_lo
	v_cmpx_gt_u32_e64 s22, v92
	s_cbranch_execz .LBB71_317
.LBB71_349:
	s_wait_dscnt 0x9
	global_store_b64 v[34:35], v[14:15], off offset:12288
	s_wait_alu 0xfffe
	s_or_b32 exec_lo, exec_lo, s0
	s_delay_alu instid0(SALU_CYCLE_1)
	s_mov_b32 s0, exec_lo
	v_cmpx_gt_u32_e64 s22, v91
	s_cbranch_execz .LBB71_318
.LBB71_350:
	s_wait_dscnt 0x8
	global_store_b64 v[34:35], v[16:17], off offset:14336
	s_wait_alu 0xfffe
	s_or_b32 exec_lo, exec_lo, s0
	s_delay_alu instid0(SALU_CYCLE_1)
	s_mov_b32 s0, exec_lo
	v_cmpx_gt_u32_e64 s22, v90
	s_cbranch_execz .LBB71_319
.LBB71_351:
	s_wait_dscnt 0x7
	global_store_b64 v[34:35], v[18:19], off offset:16384
	s_wait_alu 0xfffe
	s_or_b32 exec_lo, exec_lo, s0
	s_delay_alu instid0(SALU_CYCLE_1)
	s_mov_b32 s0, exec_lo
	v_cmpx_gt_u32_e64 s22, v88
	s_cbranch_execz .LBB71_320
.LBB71_352:
	s_wait_dscnt 0x6
	global_store_b64 v[34:35], v[20:21], off offset:18432
	s_wait_alu 0xfffe
	s_or_b32 exec_lo, exec_lo, s0
	s_delay_alu instid0(SALU_CYCLE_1)
	s_mov_b32 s0, exec_lo
	v_cmpx_gt_u32_e64 s22, v89
	s_cbranch_execz .LBB71_321
.LBB71_353:
	s_wait_dscnt 0x5
	global_store_b64 v[34:35], v[22:23], off offset:20480
	s_wait_alu 0xfffe
	s_or_b32 exec_lo, exec_lo, s0
	s_delay_alu instid0(SALU_CYCLE_1)
	s_mov_b32 s0, exec_lo
	v_cmpx_gt_u32_e64 s22, v87
	s_cbranch_execz .LBB71_322
.LBB71_354:
	s_wait_dscnt 0x4
	global_store_b64 v[34:35], v[24:25], off offset:22528
	s_wait_alu 0xfffe
	s_or_b32 exec_lo, exec_lo, s0
	s_delay_alu instid0(SALU_CYCLE_1)
	s_mov_b32 s0, exec_lo
	v_cmpx_gt_u32_e64 s22, v86
	s_cbranch_execz .LBB71_323
.LBB71_355:
	s_wait_dscnt 0x3
	global_store_b64 v[34:35], v[26:27], off offset:24576
	s_wait_alu 0xfffe
	s_or_b32 exec_lo, exec_lo, s0
	s_delay_alu instid0(SALU_CYCLE_1)
	s_mov_b32 s0, exec_lo
	v_cmpx_gt_u32_e64 s22, v85
	s_cbranch_execz .LBB71_324
.LBB71_356:
	s_wait_dscnt 0x2
	global_store_b64 v[34:35], v[28:29], off offset:26624
	s_wait_alu 0xfffe
	s_or_b32 exec_lo, exec_lo, s0
	s_delay_alu instid0(SALU_CYCLE_1)
	s_mov_b32 s0, exec_lo
	v_cmpx_gt_u32_e64 s22, v84
	s_cbranch_execz .LBB71_325
.LBB71_357:
	s_wait_dscnt 0x1
	global_store_b64 v[34:35], v[30:31], off offset:28672
	s_wait_alu 0xfffe
	s_or_b32 exec_lo, exec_lo, s0
	s_delay_alu instid0(SALU_CYCLE_1)
	s_mov_b32 s0, exec_lo
	v_cmpx_gt_u32_e64 s22, v83
	s_cbranch_execz .LBB71_326
.LBB71_358:
	s_wait_dscnt 0x0
	global_store_b64 v[34:35], v[32:33], off offset:30720
	s_wait_alu 0xfffe
	s_or_b32 exec_lo, exec_lo, s0
	v_cmp_lt_u64_e64 s0, s[30:31], 2
	s_and_b32 vcc_lo, exec_lo, s0
	s_wait_alu 0xfffe
	s_cbranch_vccnz .LBB71_327
.LBB71_359:
	s_add_nc_u64 s[0:1], s[22:23], -1
	s_wait_alu 0xfffe
	s_lshr_b64 s[2:3], s[0:1], 4
	s_mov_b32 s1, exec_lo
	s_wait_alu 0xfffe
	v_cmpx_eq_u64_e64 s[2:3], v[0:1]
	s_cbranch_execz .LBB71_327
; %bb.360:
	s_and_b32 s0, s0, 15
	s_mov_b32 s1, 0
	s_wait_alu 0xfffe
	v_cmp_lt_i64_e64 s2, s[0:1], 8
	s_and_b32 vcc_lo, exec_lo, s2
	s_mov_b32 s2, -1
	s_wait_alu 0xfffe
	s_cbranch_vccnz .LBB71_387
; %bb.361:
	v_cmp_lt_i64_e64 s2, s[0:1], 12
	s_and_b32 vcc_lo, exec_lo, s2
	s_mov_b32 s2, -1
	s_wait_alu 0xfffe
	s_cbranch_vccnz .LBB71_374
; %bb.362:
	;; [unrolled: 6-line block ×3, first 2 shown]
	v_cmp_gt_i64_e64 s2, s[0:1], 14
	s_and_b32 vcc_lo, exec_lo, s2
	s_mov_b32 s2, -1
	s_wait_alu 0xfffe
	s_cbranch_vccz .LBB71_365
; %bb.364:
	v_mov_b32_e32 v0, 0
	s_mov_b32 s2, 0
	s_wait_dscnt 0x0
	global_store_b64 v0, v[32:33], s[26:27]
.LBB71_365:
	s_wait_alu 0xfffe
	s_and_not1_b32 vcc_lo, exec_lo, s2
	s_wait_alu 0xfffe
	s_cbranch_vccnz .LBB71_367
; %bb.366:
	v_mov_b32_e32 v0, 0
	s_wait_dscnt 0x1
	global_store_b64 v0, v[30:31], s[26:27]
.LBB71_367:
	s_mov_b32 s2, 0
.LBB71_368:
	s_wait_alu 0xfffe
	s_and_not1_b32 vcc_lo, exec_lo, s2
	s_wait_alu 0xfffe
	s_cbranch_vccnz .LBB71_373
; %bb.369:
	v_cmp_gt_i64_e64 s2, s[0:1], 12
	s_and_b32 vcc_lo, exec_lo, s2
	s_mov_b32 s2, -1
	s_wait_alu 0xfffe
	s_cbranch_vccz .LBB71_371
; %bb.370:
	v_mov_b32_e32 v0, 0
	s_mov_b32 s2, 0
	s_wait_dscnt 0x2
	global_store_b64 v0, v[28:29], s[26:27]
.LBB71_371:
	s_wait_alu 0xfffe
	s_and_not1_b32 vcc_lo, exec_lo, s2
	s_wait_alu 0xfffe
	s_cbranch_vccnz .LBB71_373
; %bb.372:
	v_mov_b32_e32 v0, 0
	s_wait_dscnt 0x3
	global_store_b64 v0, v[26:27], s[26:27]
.LBB71_373:
	s_mov_b32 s2, 0
.LBB71_374:
	s_wait_alu 0xfffe
	s_and_not1_b32 vcc_lo, exec_lo, s2
	s_wait_alu 0xfffe
	s_cbranch_vccnz .LBB71_386
; %bb.375:
	v_cmp_lt_i64_e64 s2, s[0:1], 10
	s_and_b32 vcc_lo, exec_lo, s2
	s_mov_b32 s2, -1
	s_wait_alu 0xfffe
	s_cbranch_vccnz .LBB71_381
; %bb.376:
	v_cmp_gt_i64_e64 s2, s[0:1], 10
	s_and_b32 vcc_lo, exec_lo, s2
	s_mov_b32 s2, -1
	s_wait_alu 0xfffe
	s_cbranch_vccz .LBB71_378
; %bb.377:
	v_mov_b32_e32 v0, 0
	s_mov_b32 s2, 0
	s_wait_dscnt 0x4
	global_store_b64 v0, v[24:25], s[26:27]
.LBB71_378:
	s_wait_alu 0xfffe
	s_and_not1_b32 vcc_lo, exec_lo, s2
	s_wait_alu 0xfffe
	s_cbranch_vccnz .LBB71_380
; %bb.379:
	v_mov_b32_e32 v0, 0
	s_wait_dscnt 0x5
	global_store_b64 v0, v[22:23], s[26:27]
.LBB71_380:
	s_mov_b32 s2, 0
.LBB71_381:
	s_wait_alu 0xfffe
	s_and_not1_b32 vcc_lo, exec_lo, s2
	s_wait_alu 0xfffe
	s_cbranch_vccnz .LBB71_386
; %bb.382:
	v_cmp_gt_i64_e64 s2, s[0:1], 8
	s_and_b32 vcc_lo, exec_lo, s2
	s_mov_b32 s2, -1
	s_wait_alu 0xfffe
	s_cbranch_vccz .LBB71_384
; %bb.383:
	v_mov_b32_e32 v0, 0
	s_mov_b32 s2, 0
	s_wait_dscnt 0x6
	global_store_b64 v0, v[20:21], s[26:27]
.LBB71_384:
	s_wait_alu 0xfffe
	s_and_not1_b32 vcc_lo, exec_lo, s2
	s_wait_alu 0xfffe
	s_cbranch_vccnz .LBB71_386
; %bb.385:
	v_mov_b32_e32 v0, 0
	s_wait_dscnt 0x7
	global_store_b64 v0, v[18:19], s[26:27]
.LBB71_386:
	s_mov_b32 s2, 0
.LBB71_387:
	s_wait_alu 0xfffe
	s_and_not1_b32 vcc_lo, exec_lo, s2
	s_wait_alu 0xfffe
	s_cbranch_vccnz .LBB71_327
; %bb.388:
	v_cmp_lt_i64_e64 s2, s[0:1], 4
	s_and_b32 vcc_lo, exec_lo, s2
	s_mov_b32 s2, -1
	s_wait_alu 0xfffe
	s_cbranch_vccnz .LBB71_401
; %bb.389:
	v_cmp_lt_i64_e64 s2, s[0:1], 6
	s_and_b32 vcc_lo, exec_lo, s2
	s_mov_b32 s2, -1
	s_wait_alu 0xfffe
	s_cbranch_vccnz .LBB71_395
; %bb.390:
	v_cmp_gt_i64_e64 s2, s[0:1], 6
	s_and_b32 vcc_lo, exec_lo, s2
	s_mov_b32 s2, -1
	s_wait_alu 0xfffe
	s_cbranch_vccz .LBB71_392
; %bb.391:
	v_mov_b32_e32 v0, 0
	s_mov_b32 s2, 0
	s_wait_dscnt 0x8
	global_store_b64 v0, v[16:17], s[26:27]
.LBB71_392:
	s_wait_alu 0xfffe
	s_and_not1_b32 vcc_lo, exec_lo, s2
	s_wait_alu 0xfffe
	s_cbranch_vccnz .LBB71_394
; %bb.393:
	v_mov_b32_e32 v0, 0
	s_wait_dscnt 0x9
	global_store_b64 v0, v[14:15], s[26:27]
.LBB71_394:
	s_mov_b32 s2, 0
.LBB71_395:
	s_wait_alu 0xfffe
	s_and_not1_b32 vcc_lo, exec_lo, s2
	s_wait_alu 0xfffe
	s_cbranch_vccnz .LBB71_400
; %bb.396:
	v_cmp_gt_i64_e64 s2, s[0:1], 4
	s_and_b32 vcc_lo, exec_lo, s2
	s_mov_b32 s2, -1
	s_wait_alu 0xfffe
	s_cbranch_vccz .LBB71_398
; %bb.397:
	v_mov_b32_e32 v0, 0
	s_mov_b32 s2, 0
	s_wait_dscnt 0xa
	global_store_b64 v0, v[12:13], s[26:27]
.LBB71_398:
	s_wait_alu 0xfffe
	s_and_not1_b32 vcc_lo, exec_lo, s2
	s_wait_alu 0xfffe
	s_cbranch_vccnz .LBB71_400
; %bb.399:
	v_mov_b32_e32 v0, 0
	s_wait_dscnt 0xb
	global_store_b64 v0, v[10:11], s[26:27]
.LBB71_400:
	s_mov_b32 s2, 0
.LBB71_401:
	s_wait_alu 0xfffe
	s_and_not1_b32 vcc_lo, exec_lo, s2
	s_wait_alu 0xfffe
	s_cbranch_vccnz .LBB71_327
; %bb.402:
	v_cmp_lt_i64_e64 s2, s[0:1], 2
	s_and_b32 vcc_lo, exec_lo, s2
	s_mov_b32 s2, -1
	s_wait_alu 0xfffe
	s_cbranch_vccnz .LBB71_408
; %bb.403:
	v_cmp_gt_i64_e64 s2, s[0:1], 2
	s_and_b32 vcc_lo, exec_lo, s2
	s_mov_b32 s2, -1
	s_wait_alu 0xfffe
	s_cbranch_vccz .LBB71_405
; %bb.404:
	v_mov_b32_e32 v0, 0
	s_mov_b32 s2, 0
	s_wait_dscnt 0xc
	global_store_b64 v0, v[8:9], s[26:27]
.LBB71_405:
	s_wait_alu 0xfffe
	s_and_not1_b32 vcc_lo, exec_lo, s2
	s_wait_alu 0xfffe
	s_cbranch_vccnz .LBB71_407
; %bb.406:
	v_mov_b32_e32 v0, 0
	s_wait_dscnt 0xd
	global_store_b64 v0, v[6:7], s[26:27]
.LBB71_407:
	s_mov_b32 s2, 0
.LBB71_408:
	s_wait_alu 0xfffe
	s_and_not1_b32 vcc_lo, exec_lo, s2
	s_wait_alu 0xfffe
	s_cbranch_vccnz .LBB71_327
; %bb.409:
	s_cmp_eq_u64 s[0:1], 1
	s_mov_b32 s0, -1
	s_cbranch_scc1 .LBB71_411
; %bb.410:
	v_mov_b32_e32 v0, 0
	s_mov_b32 s0, 0
	s_wait_dscnt 0xf
	global_store_b64 v0, v[4:5], s[26:27]
.LBB71_411:
	s_wait_alu 0xfffe
	s_and_not1_b32 vcc_lo, exec_lo, s0
	s_wait_alu 0xfffe
	s_cbranch_vccnz .LBB71_327
; %bb.412:
	v_mov_b32_e32 v0, 0
	s_wait_dscnt 0xe
	global_store_b64 v0, v[2:3], s[26:27]
	s_nop 0
	s_sendmsg sendmsg(MSG_DEALLOC_VGPRS)
	s_endpgm
	.section	.rodata,"a",@progbits
	.p2align	6, 0x0
	.amdhsa_kernel _ZN7rocprim17ROCPRIM_400000_NS6detail17trampoline_kernelINS0_14default_configENS1_20scan_config_selectorIdEEZZNS1_9scan_implILNS1_25lookback_scan_determinismE0ELb0ELb0ES3_PKdPddZZZN2at6native31launch_logcumsumexp_cuda_kernelERKNSB_10TensorBaseESF_lENKUlvE_clEvENKUlvE_clEvEUlddE_dEEDaPvRmT3_T4_T5_mT6_P12ihipStream_tbENKUlT_T0_E_clISt17integral_constantIbLb0EESV_IbLb1EEEEDaSR_SS_EUlSR_E_NS1_11comp_targetILNS1_3genE10ELNS1_11target_archE1201ELNS1_3gpuE5ELNS1_3repE0EEENS1_30default_config_static_selectorELNS0_4arch9wavefront6targetE0EEEvT1_
		.amdhsa_group_segment_fixed_size 33792
		.amdhsa_private_segment_fixed_size 0
		.amdhsa_kernarg_size 104
		.amdhsa_user_sgpr_count 2
		.amdhsa_user_sgpr_dispatch_ptr 0
		.amdhsa_user_sgpr_queue_ptr 0
		.amdhsa_user_sgpr_kernarg_segment_ptr 1
		.amdhsa_user_sgpr_dispatch_id 0
		.amdhsa_user_sgpr_private_segment_size 0
		.amdhsa_wavefront_size32 1
		.amdhsa_uses_dynamic_stack 0
		.amdhsa_enable_private_segment 0
		.amdhsa_system_sgpr_workgroup_id_x 1
		.amdhsa_system_sgpr_workgroup_id_y 0
		.amdhsa_system_sgpr_workgroup_id_z 0
		.amdhsa_system_sgpr_workgroup_info 0
		.amdhsa_system_vgpr_workitem_id 0
		.amdhsa_next_free_vgpr 217
		.amdhsa_next_free_sgpr 94
		.amdhsa_reserve_vcc 1
		.amdhsa_float_round_mode_32 0
		.amdhsa_float_round_mode_16_64 0
		.amdhsa_float_denorm_mode_32 3
		.amdhsa_float_denorm_mode_16_64 3
		.amdhsa_fp16_overflow 0
		.amdhsa_workgroup_processor_mode 1
		.amdhsa_memory_ordered 1
		.amdhsa_forward_progress 1
		.amdhsa_inst_pref_size 255
		.amdhsa_round_robin_scheduling 0
		.amdhsa_exception_fp_ieee_invalid_op 0
		.amdhsa_exception_fp_denorm_src 0
		.amdhsa_exception_fp_ieee_div_zero 0
		.amdhsa_exception_fp_ieee_overflow 0
		.amdhsa_exception_fp_ieee_underflow 0
		.amdhsa_exception_fp_ieee_inexact 0
		.amdhsa_exception_int_div_zero 0
	.end_amdhsa_kernel
	.section	.text._ZN7rocprim17ROCPRIM_400000_NS6detail17trampoline_kernelINS0_14default_configENS1_20scan_config_selectorIdEEZZNS1_9scan_implILNS1_25lookback_scan_determinismE0ELb0ELb0ES3_PKdPddZZZN2at6native31launch_logcumsumexp_cuda_kernelERKNSB_10TensorBaseESF_lENKUlvE_clEvENKUlvE_clEvEUlddE_dEEDaPvRmT3_T4_T5_mT6_P12ihipStream_tbENKUlT_T0_E_clISt17integral_constantIbLb0EESV_IbLb1EEEEDaSR_SS_EUlSR_E_NS1_11comp_targetILNS1_3genE10ELNS1_11target_archE1201ELNS1_3gpuE5ELNS1_3repE0EEENS1_30default_config_static_selectorELNS0_4arch9wavefront6targetE0EEEvT1_,"axG",@progbits,_ZN7rocprim17ROCPRIM_400000_NS6detail17trampoline_kernelINS0_14default_configENS1_20scan_config_selectorIdEEZZNS1_9scan_implILNS1_25lookback_scan_determinismE0ELb0ELb0ES3_PKdPddZZZN2at6native31launch_logcumsumexp_cuda_kernelERKNSB_10TensorBaseESF_lENKUlvE_clEvENKUlvE_clEvEUlddE_dEEDaPvRmT3_T4_T5_mT6_P12ihipStream_tbENKUlT_T0_E_clISt17integral_constantIbLb0EESV_IbLb1EEEEDaSR_SS_EUlSR_E_NS1_11comp_targetILNS1_3genE10ELNS1_11target_archE1201ELNS1_3gpuE5ELNS1_3repE0EEENS1_30default_config_static_selectorELNS0_4arch9wavefront6targetE0EEEvT1_,comdat
.Lfunc_end71:
	.size	_ZN7rocprim17ROCPRIM_400000_NS6detail17trampoline_kernelINS0_14default_configENS1_20scan_config_selectorIdEEZZNS1_9scan_implILNS1_25lookback_scan_determinismE0ELb0ELb0ES3_PKdPddZZZN2at6native31launch_logcumsumexp_cuda_kernelERKNSB_10TensorBaseESF_lENKUlvE_clEvENKUlvE_clEvEUlddE_dEEDaPvRmT3_T4_T5_mT6_P12ihipStream_tbENKUlT_T0_E_clISt17integral_constantIbLb0EESV_IbLb1EEEEDaSR_SS_EUlSR_E_NS1_11comp_targetILNS1_3genE10ELNS1_11target_archE1201ELNS1_3gpuE5ELNS1_3repE0EEENS1_30default_config_static_selectorELNS0_4arch9wavefront6targetE0EEEvT1_, .Lfunc_end71-_ZN7rocprim17ROCPRIM_400000_NS6detail17trampoline_kernelINS0_14default_configENS1_20scan_config_selectorIdEEZZNS1_9scan_implILNS1_25lookback_scan_determinismE0ELb0ELb0ES3_PKdPddZZZN2at6native31launch_logcumsumexp_cuda_kernelERKNSB_10TensorBaseESF_lENKUlvE_clEvENKUlvE_clEvEUlddE_dEEDaPvRmT3_T4_T5_mT6_P12ihipStream_tbENKUlT_T0_E_clISt17integral_constantIbLb0EESV_IbLb1EEEEDaSR_SS_EUlSR_E_NS1_11comp_targetILNS1_3genE10ELNS1_11target_archE1201ELNS1_3gpuE5ELNS1_3repE0EEENS1_30default_config_static_selectorELNS0_4arch9wavefront6targetE0EEEvT1_
                                        ; -- End function
	.set _ZN7rocprim17ROCPRIM_400000_NS6detail17trampoline_kernelINS0_14default_configENS1_20scan_config_selectorIdEEZZNS1_9scan_implILNS1_25lookback_scan_determinismE0ELb0ELb0ES3_PKdPddZZZN2at6native31launch_logcumsumexp_cuda_kernelERKNSB_10TensorBaseESF_lENKUlvE_clEvENKUlvE_clEvEUlddE_dEEDaPvRmT3_T4_T5_mT6_P12ihipStream_tbENKUlT_T0_E_clISt17integral_constantIbLb0EESV_IbLb1EEEEDaSR_SS_EUlSR_E_NS1_11comp_targetILNS1_3genE10ELNS1_11target_archE1201ELNS1_3gpuE5ELNS1_3repE0EEENS1_30default_config_static_selectorELNS0_4arch9wavefront6targetE0EEEvT1_.num_vgpr, 133
	.set _ZN7rocprim17ROCPRIM_400000_NS6detail17trampoline_kernelINS0_14default_configENS1_20scan_config_selectorIdEEZZNS1_9scan_implILNS1_25lookback_scan_determinismE0ELb0ELb0ES3_PKdPddZZZN2at6native31launch_logcumsumexp_cuda_kernelERKNSB_10TensorBaseESF_lENKUlvE_clEvENKUlvE_clEvEUlddE_dEEDaPvRmT3_T4_T5_mT6_P12ihipStream_tbENKUlT_T0_E_clISt17integral_constantIbLb0EESV_IbLb1EEEEDaSR_SS_EUlSR_E_NS1_11comp_targetILNS1_3genE10ELNS1_11target_archE1201ELNS1_3gpuE5ELNS1_3repE0EEENS1_30default_config_static_selectorELNS0_4arch9wavefront6targetE0EEEvT1_.num_agpr, 0
	.set _ZN7rocprim17ROCPRIM_400000_NS6detail17trampoline_kernelINS0_14default_configENS1_20scan_config_selectorIdEEZZNS1_9scan_implILNS1_25lookback_scan_determinismE0ELb0ELb0ES3_PKdPddZZZN2at6native31launch_logcumsumexp_cuda_kernelERKNSB_10TensorBaseESF_lENKUlvE_clEvENKUlvE_clEvEUlddE_dEEDaPvRmT3_T4_T5_mT6_P12ihipStream_tbENKUlT_T0_E_clISt17integral_constantIbLb0EESV_IbLb1EEEEDaSR_SS_EUlSR_E_NS1_11comp_targetILNS1_3genE10ELNS1_11target_archE1201ELNS1_3gpuE5ELNS1_3repE0EEENS1_30default_config_static_selectorELNS0_4arch9wavefront6targetE0EEEvT1_.numbered_sgpr, 94
	.set _ZN7rocprim17ROCPRIM_400000_NS6detail17trampoline_kernelINS0_14default_configENS1_20scan_config_selectorIdEEZZNS1_9scan_implILNS1_25lookback_scan_determinismE0ELb0ELb0ES3_PKdPddZZZN2at6native31launch_logcumsumexp_cuda_kernelERKNSB_10TensorBaseESF_lENKUlvE_clEvENKUlvE_clEvEUlddE_dEEDaPvRmT3_T4_T5_mT6_P12ihipStream_tbENKUlT_T0_E_clISt17integral_constantIbLb0EESV_IbLb1EEEEDaSR_SS_EUlSR_E_NS1_11comp_targetILNS1_3genE10ELNS1_11target_archE1201ELNS1_3gpuE5ELNS1_3repE0EEENS1_30default_config_static_selectorELNS0_4arch9wavefront6targetE0EEEvT1_.num_named_barrier, 0
	.set _ZN7rocprim17ROCPRIM_400000_NS6detail17trampoline_kernelINS0_14default_configENS1_20scan_config_selectorIdEEZZNS1_9scan_implILNS1_25lookback_scan_determinismE0ELb0ELb0ES3_PKdPddZZZN2at6native31launch_logcumsumexp_cuda_kernelERKNSB_10TensorBaseESF_lENKUlvE_clEvENKUlvE_clEvEUlddE_dEEDaPvRmT3_T4_T5_mT6_P12ihipStream_tbENKUlT_T0_E_clISt17integral_constantIbLb0EESV_IbLb1EEEEDaSR_SS_EUlSR_E_NS1_11comp_targetILNS1_3genE10ELNS1_11target_archE1201ELNS1_3gpuE5ELNS1_3repE0EEENS1_30default_config_static_selectorELNS0_4arch9wavefront6targetE0EEEvT1_.private_seg_size, 0
	.set _ZN7rocprim17ROCPRIM_400000_NS6detail17trampoline_kernelINS0_14default_configENS1_20scan_config_selectorIdEEZZNS1_9scan_implILNS1_25lookback_scan_determinismE0ELb0ELb0ES3_PKdPddZZZN2at6native31launch_logcumsumexp_cuda_kernelERKNSB_10TensorBaseESF_lENKUlvE_clEvENKUlvE_clEvEUlddE_dEEDaPvRmT3_T4_T5_mT6_P12ihipStream_tbENKUlT_T0_E_clISt17integral_constantIbLb0EESV_IbLb1EEEEDaSR_SS_EUlSR_E_NS1_11comp_targetILNS1_3genE10ELNS1_11target_archE1201ELNS1_3gpuE5ELNS1_3repE0EEENS1_30default_config_static_selectorELNS0_4arch9wavefront6targetE0EEEvT1_.uses_vcc, 1
	.set _ZN7rocprim17ROCPRIM_400000_NS6detail17trampoline_kernelINS0_14default_configENS1_20scan_config_selectorIdEEZZNS1_9scan_implILNS1_25lookback_scan_determinismE0ELb0ELb0ES3_PKdPddZZZN2at6native31launch_logcumsumexp_cuda_kernelERKNSB_10TensorBaseESF_lENKUlvE_clEvENKUlvE_clEvEUlddE_dEEDaPvRmT3_T4_T5_mT6_P12ihipStream_tbENKUlT_T0_E_clISt17integral_constantIbLb0EESV_IbLb1EEEEDaSR_SS_EUlSR_E_NS1_11comp_targetILNS1_3genE10ELNS1_11target_archE1201ELNS1_3gpuE5ELNS1_3repE0EEENS1_30default_config_static_selectorELNS0_4arch9wavefront6targetE0EEEvT1_.uses_flat_scratch, 0
	.set _ZN7rocprim17ROCPRIM_400000_NS6detail17trampoline_kernelINS0_14default_configENS1_20scan_config_selectorIdEEZZNS1_9scan_implILNS1_25lookback_scan_determinismE0ELb0ELb0ES3_PKdPddZZZN2at6native31launch_logcumsumexp_cuda_kernelERKNSB_10TensorBaseESF_lENKUlvE_clEvENKUlvE_clEvEUlddE_dEEDaPvRmT3_T4_T5_mT6_P12ihipStream_tbENKUlT_T0_E_clISt17integral_constantIbLb0EESV_IbLb1EEEEDaSR_SS_EUlSR_E_NS1_11comp_targetILNS1_3genE10ELNS1_11target_archE1201ELNS1_3gpuE5ELNS1_3repE0EEENS1_30default_config_static_selectorELNS0_4arch9wavefront6targetE0EEEvT1_.has_dyn_sized_stack, 0
	.set _ZN7rocprim17ROCPRIM_400000_NS6detail17trampoline_kernelINS0_14default_configENS1_20scan_config_selectorIdEEZZNS1_9scan_implILNS1_25lookback_scan_determinismE0ELb0ELb0ES3_PKdPddZZZN2at6native31launch_logcumsumexp_cuda_kernelERKNSB_10TensorBaseESF_lENKUlvE_clEvENKUlvE_clEvEUlddE_dEEDaPvRmT3_T4_T5_mT6_P12ihipStream_tbENKUlT_T0_E_clISt17integral_constantIbLb0EESV_IbLb1EEEEDaSR_SS_EUlSR_E_NS1_11comp_targetILNS1_3genE10ELNS1_11target_archE1201ELNS1_3gpuE5ELNS1_3repE0EEENS1_30default_config_static_selectorELNS0_4arch9wavefront6targetE0EEEvT1_.has_recursion, 0
	.set _ZN7rocprim17ROCPRIM_400000_NS6detail17trampoline_kernelINS0_14default_configENS1_20scan_config_selectorIdEEZZNS1_9scan_implILNS1_25lookback_scan_determinismE0ELb0ELb0ES3_PKdPddZZZN2at6native31launch_logcumsumexp_cuda_kernelERKNSB_10TensorBaseESF_lENKUlvE_clEvENKUlvE_clEvEUlddE_dEEDaPvRmT3_T4_T5_mT6_P12ihipStream_tbENKUlT_T0_E_clISt17integral_constantIbLb0EESV_IbLb1EEEEDaSR_SS_EUlSR_E_NS1_11comp_targetILNS1_3genE10ELNS1_11target_archE1201ELNS1_3gpuE5ELNS1_3repE0EEENS1_30default_config_static_selectorELNS0_4arch9wavefront6targetE0EEEvT1_.has_indirect_call, 0
	.section	.AMDGPU.csdata,"",@progbits
; Kernel info:
; codeLenInByte = 172384
; TotalNumSgprs: 96
; NumVgprs: 133
; ScratchSize: 0
; MemoryBound: 0
; FloatMode: 240
; IeeeMode: 1
; LDSByteSize: 33792 bytes/workgroup (compile time only)
; SGPRBlocks: 0
; VGPRBlocks: 27
; NumSGPRsForWavesPerEU: 96
; NumVGPRsForWavesPerEU: 217
; Occupancy: 6
; WaveLimiterHint : 1
; COMPUTE_PGM_RSRC2:SCRATCH_EN: 0
; COMPUTE_PGM_RSRC2:USER_SGPR: 2
; COMPUTE_PGM_RSRC2:TRAP_HANDLER: 0
; COMPUTE_PGM_RSRC2:TGID_X_EN: 1
; COMPUTE_PGM_RSRC2:TGID_Y_EN: 0
; COMPUTE_PGM_RSRC2:TGID_Z_EN: 0
; COMPUTE_PGM_RSRC2:TIDIG_COMP_CNT: 0
	.section	.text._ZN7rocprim17ROCPRIM_400000_NS6detail17trampoline_kernelINS0_14default_configENS1_20scan_config_selectorIdEEZZNS1_9scan_implILNS1_25lookback_scan_determinismE0ELb0ELb0ES3_PKdPddZZZN2at6native31launch_logcumsumexp_cuda_kernelERKNSB_10TensorBaseESF_lENKUlvE_clEvENKUlvE_clEvEUlddE_dEEDaPvRmT3_T4_T5_mT6_P12ihipStream_tbENKUlT_T0_E_clISt17integral_constantIbLb0EESV_IbLb1EEEEDaSR_SS_EUlSR_E_NS1_11comp_targetILNS1_3genE10ELNS1_11target_archE1200ELNS1_3gpuE4ELNS1_3repE0EEENS1_30default_config_static_selectorELNS0_4arch9wavefront6targetE0EEEvT1_,"axG",@progbits,_ZN7rocprim17ROCPRIM_400000_NS6detail17trampoline_kernelINS0_14default_configENS1_20scan_config_selectorIdEEZZNS1_9scan_implILNS1_25lookback_scan_determinismE0ELb0ELb0ES3_PKdPddZZZN2at6native31launch_logcumsumexp_cuda_kernelERKNSB_10TensorBaseESF_lENKUlvE_clEvENKUlvE_clEvEUlddE_dEEDaPvRmT3_T4_T5_mT6_P12ihipStream_tbENKUlT_T0_E_clISt17integral_constantIbLb0EESV_IbLb1EEEEDaSR_SS_EUlSR_E_NS1_11comp_targetILNS1_3genE10ELNS1_11target_archE1200ELNS1_3gpuE4ELNS1_3repE0EEENS1_30default_config_static_selectorELNS0_4arch9wavefront6targetE0EEEvT1_,comdat
	.globl	_ZN7rocprim17ROCPRIM_400000_NS6detail17trampoline_kernelINS0_14default_configENS1_20scan_config_selectorIdEEZZNS1_9scan_implILNS1_25lookback_scan_determinismE0ELb0ELb0ES3_PKdPddZZZN2at6native31launch_logcumsumexp_cuda_kernelERKNSB_10TensorBaseESF_lENKUlvE_clEvENKUlvE_clEvEUlddE_dEEDaPvRmT3_T4_T5_mT6_P12ihipStream_tbENKUlT_T0_E_clISt17integral_constantIbLb0EESV_IbLb1EEEEDaSR_SS_EUlSR_E_NS1_11comp_targetILNS1_3genE10ELNS1_11target_archE1200ELNS1_3gpuE4ELNS1_3repE0EEENS1_30default_config_static_selectorELNS0_4arch9wavefront6targetE0EEEvT1_ ; -- Begin function _ZN7rocprim17ROCPRIM_400000_NS6detail17trampoline_kernelINS0_14default_configENS1_20scan_config_selectorIdEEZZNS1_9scan_implILNS1_25lookback_scan_determinismE0ELb0ELb0ES3_PKdPddZZZN2at6native31launch_logcumsumexp_cuda_kernelERKNSB_10TensorBaseESF_lENKUlvE_clEvENKUlvE_clEvEUlddE_dEEDaPvRmT3_T4_T5_mT6_P12ihipStream_tbENKUlT_T0_E_clISt17integral_constantIbLb0EESV_IbLb1EEEEDaSR_SS_EUlSR_E_NS1_11comp_targetILNS1_3genE10ELNS1_11target_archE1200ELNS1_3gpuE4ELNS1_3repE0EEENS1_30default_config_static_selectorELNS0_4arch9wavefront6targetE0EEEvT1_
	.p2align	8
	.type	_ZN7rocprim17ROCPRIM_400000_NS6detail17trampoline_kernelINS0_14default_configENS1_20scan_config_selectorIdEEZZNS1_9scan_implILNS1_25lookback_scan_determinismE0ELb0ELb0ES3_PKdPddZZZN2at6native31launch_logcumsumexp_cuda_kernelERKNSB_10TensorBaseESF_lENKUlvE_clEvENKUlvE_clEvEUlddE_dEEDaPvRmT3_T4_T5_mT6_P12ihipStream_tbENKUlT_T0_E_clISt17integral_constantIbLb0EESV_IbLb1EEEEDaSR_SS_EUlSR_E_NS1_11comp_targetILNS1_3genE10ELNS1_11target_archE1200ELNS1_3gpuE4ELNS1_3repE0EEENS1_30default_config_static_selectorELNS0_4arch9wavefront6targetE0EEEvT1_,@function
_ZN7rocprim17ROCPRIM_400000_NS6detail17trampoline_kernelINS0_14default_configENS1_20scan_config_selectorIdEEZZNS1_9scan_implILNS1_25lookback_scan_determinismE0ELb0ELb0ES3_PKdPddZZZN2at6native31launch_logcumsumexp_cuda_kernelERKNSB_10TensorBaseESF_lENKUlvE_clEvENKUlvE_clEvEUlddE_dEEDaPvRmT3_T4_T5_mT6_P12ihipStream_tbENKUlT_T0_E_clISt17integral_constantIbLb0EESV_IbLb1EEEEDaSR_SS_EUlSR_E_NS1_11comp_targetILNS1_3genE10ELNS1_11target_archE1200ELNS1_3gpuE4ELNS1_3repE0EEENS1_30default_config_static_selectorELNS0_4arch9wavefront6targetE0EEEvT1_: ; @_ZN7rocprim17ROCPRIM_400000_NS6detail17trampoline_kernelINS0_14default_configENS1_20scan_config_selectorIdEEZZNS1_9scan_implILNS1_25lookback_scan_determinismE0ELb0ELb0ES3_PKdPddZZZN2at6native31launch_logcumsumexp_cuda_kernelERKNSB_10TensorBaseESF_lENKUlvE_clEvENKUlvE_clEvEUlddE_dEEDaPvRmT3_T4_T5_mT6_P12ihipStream_tbENKUlT_T0_E_clISt17integral_constantIbLb0EESV_IbLb1EEEEDaSR_SS_EUlSR_E_NS1_11comp_targetILNS1_3genE10ELNS1_11target_archE1200ELNS1_3gpuE4ELNS1_3repE0EEENS1_30default_config_static_selectorELNS0_4arch9wavefront6targetE0EEEvT1_
; %bb.0:
	.section	.rodata,"a",@progbits
	.p2align	6, 0x0
	.amdhsa_kernel _ZN7rocprim17ROCPRIM_400000_NS6detail17trampoline_kernelINS0_14default_configENS1_20scan_config_selectorIdEEZZNS1_9scan_implILNS1_25lookback_scan_determinismE0ELb0ELb0ES3_PKdPddZZZN2at6native31launch_logcumsumexp_cuda_kernelERKNSB_10TensorBaseESF_lENKUlvE_clEvENKUlvE_clEvEUlddE_dEEDaPvRmT3_T4_T5_mT6_P12ihipStream_tbENKUlT_T0_E_clISt17integral_constantIbLb0EESV_IbLb1EEEEDaSR_SS_EUlSR_E_NS1_11comp_targetILNS1_3genE10ELNS1_11target_archE1200ELNS1_3gpuE4ELNS1_3repE0EEENS1_30default_config_static_selectorELNS0_4arch9wavefront6targetE0EEEvT1_
		.amdhsa_group_segment_fixed_size 0
		.amdhsa_private_segment_fixed_size 0
		.amdhsa_kernarg_size 104
		.amdhsa_user_sgpr_count 2
		.amdhsa_user_sgpr_dispatch_ptr 0
		.amdhsa_user_sgpr_queue_ptr 0
		.amdhsa_user_sgpr_kernarg_segment_ptr 1
		.amdhsa_user_sgpr_dispatch_id 0
		.amdhsa_user_sgpr_private_segment_size 0
		.amdhsa_wavefront_size32 1
		.amdhsa_uses_dynamic_stack 0
		.amdhsa_enable_private_segment 0
		.amdhsa_system_sgpr_workgroup_id_x 1
		.amdhsa_system_sgpr_workgroup_id_y 0
		.amdhsa_system_sgpr_workgroup_id_z 0
		.amdhsa_system_sgpr_workgroup_info 0
		.amdhsa_system_vgpr_workitem_id 0
		.amdhsa_next_free_vgpr 1
		.amdhsa_next_free_sgpr 1
		.amdhsa_reserve_vcc 0
		.amdhsa_float_round_mode_32 0
		.amdhsa_float_round_mode_16_64 0
		.amdhsa_float_denorm_mode_32 3
		.amdhsa_float_denorm_mode_16_64 3
		.amdhsa_fp16_overflow 0
		.amdhsa_workgroup_processor_mode 1
		.amdhsa_memory_ordered 1
		.amdhsa_forward_progress 1
		.amdhsa_inst_pref_size 0
		.amdhsa_round_robin_scheduling 0
		.amdhsa_exception_fp_ieee_invalid_op 0
		.amdhsa_exception_fp_denorm_src 0
		.amdhsa_exception_fp_ieee_div_zero 0
		.amdhsa_exception_fp_ieee_overflow 0
		.amdhsa_exception_fp_ieee_underflow 0
		.amdhsa_exception_fp_ieee_inexact 0
		.amdhsa_exception_int_div_zero 0
	.end_amdhsa_kernel
	.section	.text._ZN7rocprim17ROCPRIM_400000_NS6detail17trampoline_kernelINS0_14default_configENS1_20scan_config_selectorIdEEZZNS1_9scan_implILNS1_25lookback_scan_determinismE0ELb0ELb0ES3_PKdPddZZZN2at6native31launch_logcumsumexp_cuda_kernelERKNSB_10TensorBaseESF_lENKUlvE_clEvENKUlvE_clEvEUlddE_dEEDaPvRmT3_T4_T5_mT6_P12ihipStream_tbENKUlT_T0_E_clISt17integral_constantIbLb0EESV_IbLb1EEEEDaSR_SS_EUlSR_E_NS1_11comp_targetILNS1_3genE10ELNS1_11target_archE1200ELNS1_3gpuE4ELNS1_3repE0EEENS1_30default_config_static_selectorELNS0_4arch9wavefront6targetE0EEEvT1_,"axG",@progbits,_ZN7rocprim17ROCPRIM_400000_NS6detail17trampoline_kernelINS0_14default_configENS1_20scan_config_selectorIdEEZZNS1_9scan_implILNS1_25lookback_scan_determinismE0ELb0ELb0ES3_PKdPddZZZN2at6native31launch_logcumsumexp_cuda_kernelERKNSB_10TensorBaseESF_lENKUlvE_clEvENKUlvE_clEvEUlddE_dEEDaPvRmT3_T4_T5_mT6_P12ihipStream_tbENKUlT_T0_E_clISt17integral_constantIbLb0EESV_IbLb1EEEEDaSR_SS_EUlSR_E_NS1_11comp_targetILNS1_3genE10ELNS1_11target_archE1200ELNS1_3gpuE4ELNS1_3repE0EEENS1_30default_config_static_selectorELNS0_4arch9wavefront6targetE0EEEvT1_,comdat
.Lfunc_end72:
	.size	_ZN7rocprim17ROCPRIM_400000_NS6detail17trampoline_kernelINS0_14default_configENS1_20scan_config_selectorIdEEZZNS1_9scan_implILNS1_25lookback_scan_determinismE0ELb0ELb0ES3_PKdPddZZZN2at6native31launch_logcumsumexp_cuda_kernelERKNSB_10TensorBaseESF_lENKUlvE_clEvENKUlvE_clEvEUlddE_dEEDaPvRmT3_T4_T5_mT6_P12ihipStream_tbENKUlT_T0_E_clISt17integral_constantIbLb0EESV_IbLb1EEEEDaSR_SS_EUlSR_E_NS1_11comp_targetILNS1_3genE10ELNS1_11target_archE1200ELNS1_3gpuE4ELNS1_3repE0EEENS1_30default_config_static_selectorELNS0_4arch9wavefront6targetE0EEEvT1_, .Lfunc_end72-_ZN7rocprim17ROCPRIM_400000_NS6detail17trampoline_kernelINS0_14default_configENS1_20scan_config_selectorIdEEZZNS1_9scan_implILNS1_25lookback_scan_determinismE0ELb0ELb0ES3_PKdPddZZZN2at6native31launch_logcumsumexp_cuda_kernelERKNSB_10TensorBaseESF_lENKUlvE_clEvENKUlvE_clEvEUlddE_dEEDaPvRmT3_T4_T5_mT6_P12ihipStream_tbENKUlT_T0_E_clISt17integral_constantIbLb0EESV_IbLb1EEEEDaSR_SS_EUlSR_E_NS1_11comp_targetILNS1_3genE10ELNS1_11target_archE1200ELNS1_3gpuE4ELNS1_3repE0EEENS1_30default_config_static_selectorELNS0_4arch9wavefront6targetE0EEEvT1_
                                        ; -- End function
	.set _ZN7rocprim17ROCPRIM_400000_NS6detail17trampoline_kernelINS0_14default_configENS1_20scan_config_selectorIdEEZZNS1_9scan_implILNS1_25lookback_scan_determinismE0ELb0ELb0ES3_PKdPddZZZN2at6native31launch_logcumsumexp_cuda_kernelERKNSB_10TensorBaseESF_lENKUlvE_clEvENKUlvE_clEvEUlddE_dEEDaPvRmT3_T4_T5_mT6_P12ihipStream_tbENKUlT_T0_E_clISt17integral_constantIbLb0EESV_IbLb1EEEEDaSR_SS_EUlSR_E_NS1_11comp_targetILNS1_3genE10ELNS1_11target_archE1200ELNS1_3gpuE4ELNS1_3repE0EEENS1_30default_config_static_selectorELNS0_4arch9wavefront6targetE0EEEvT1_.num_vgpr, 0
	.set _ZN7rocprim17ROCPRIM_400000_NS6detail17trampoline_kernelINS0_14default_configENS1_20scan_config_selectorIdEEZZNS1_9scan_implILNS1_25lookback_scan_determinismE0ELb0ELb0ES3_PKdPddZZZN2at6native31launch_logcumsumexp_cuda_kernelERKNSB_10TensorBaseESF_lENKUlvE_clEvENKUlvE_clEvEUlddE_dEEDaPvRmT3_T4_T5_mT6_P12ihipStream_tbENKUlT_T0_E_clISt17integral_constantIbLb0EESV_IbLb1EEEEDaSR_SS_EUlSR_E_NS1_11comp_targetILNS1_3genE10ELNS1_11target_archE1200ELNS1_3gpuE4ELNS1_3repE0EEENS1_30default_config_static_selectorELNS0_4arch9wavefront6targetE0EEEvT1_.num_agpr, 0
	.set _ZN7rocprim17ROCPRIM_400000_NS6detail17trampoline_kernelINS0_14default_configENS1_20scan_config_selectorIdEEZZNS1_9scan_implILNS1_25lookback_scan_determinismE0ELb0ELb0ES3_PKdPddZZZN2at6native31launch_logcumsumexp_cuda_kernelERKNSB_10TensorBaseESF_lENKUlvE_clEvENKUlvE_clEvEUlddE_dEEDaPvRmT3_T4_T5_mT6_P12ihipStream_tbENKUlT_T0_E_clISt17integral_constantIbLb0EESV_IbLb1EEEEDaSR_SS_EUlSR_E_NS1_11comp_targetILNS1_3genE10ELNS1_11target_archE1200ELNS1_3gpuE4ELNS1_3repE0EEENS1_30default_config_static_selectorELNS0_4arch9wavefront6targetE0EEEvT1_.numbered_sgpr, 0
	.set _ZN7rocprim17ROCPRIM_400000_NS6detail17trampoline_kernelINS0_14default_configENS1_20scan_config_selectorIdEEZZNS1_9scan_implILNS1_25lookback_scan_determinismE0ELb0ELb0ES3_PKdPddZZZN2at6native31launch_logcumsumexp_cuda_kernelERKNSB_10TensorBaseESF_lENKUlvE_clEvENKUlvE_clEvEUlddE_dEEDaPvRmT3_T4_T5_mT6_P12ihipStream_tbENKUlT_T0_E_clISt17integral_constantIbLb0EESV_IbLb1EEEEDaSR_SS_EUlSR_E_NS1_11comp_targetILNS1_3genE10ELNS1_11target_archE1200ELNS1_3gpuE4ELNS1_3repE0EEENS1_30default_config_static_selectorELNS0_4arch9wavefront6targetE0EEEvT1_.num_named_barrier, 0
	.set _ZN7rocprim17ROCPRIM_400000_NS6detail17trampoline_kernelINS0_14default_configENS1_20scan_config_selectorIdEEZZNS1_9scan_implILNS1_25lookback_scan_determinismE0ELb0ELb0ES3_PKdPddZZZN2at6native31launch_logcumsumexp_cuda_kernelERKNSB_10TensorBaseESF_lENKUlvE_clEvENKUlvE_clEvEUlddE_dEEDaPvRmT3_T4_T5_mT6_P12ihipStream_tbENKUlT_T0_E_clISt17integral_constantIbLb0EESV_IbLb1EEEEDaSR_SS_EUlSR_E_NS1_11comp_targetILNS1_3genE10ELNS1_11target_archE1200ELNS1_3gpuE4ELNS1_3repE0EEENS1_30default_config_static_selectorELNS0_4arch9wavefront6targetE0EEEvT1_.private_seg_size, 0
	.set _ZN7rocprim17ROCPRIM_400000_NS6detail17trampoline_kernelINS0_14default_configENS1_20scan_config_selectorIdEEZZNS1_9scan_implILNS1_25lookback_scan_determinismE0ELb0ELb0ES3_PKdPddZZZN2at6native31launch_logcumsumexp_cuda_kernelERKNSB_10TensorBaseESF_lENKUlvE_clEvENKUlvE_clEvEUlddE_dEEDaPvRmT3_T4_T5_mT6_P12ihipStream_tbENKUlT_T0_E_clISt17integral_constantIbLb0EESV_IbLb1EEEEDaSR_SS_EUlSR_E_NS1_11comp_targetILNS1_3genE10ELNS1_11target_archE1200ELNS1_3gpuE4ELNS1_3repE0EEENS1_30default_config_static_selectorELNS0_4arch9wavefront6targetE0EEEvT1_.uses_vcc, 0
	.set _ZN7rocprim17ROCPRIM_400000_NS6detail17trampoline_kernelINS0_14default_configENS1_20scan_config_selectorIdEEZZNS1_9scan_implILNS1_25lookback_scan_determinismE0ELb0ELb0ES3_PKdPddZZZN2at6native31launch_logcumsumexp_cuda_kernelERKNSB_10TensorBaseESF_lENKUlvE_clEvENKUlvE_clEvEUlddE_dEEDaPvRmT3_T4_T5_mT6_P12ihipStream_tbENKUlT_T0_E_clISt17integral_constantIbLb0EESV_IbLb1EEEEDaSR_SS_EUlSR_E_NS1_11comp_targetILNS1_3genE10ELNS1_11target_archE1200ELNS1_3gpuE4ELNS1_3repE0EEENS1_30default_config_static_selectorELNS0_4arch9wavefront6targetE0EEEvT1_.uses_flat_scratch, 0
	.set _ZN7rocprim17ROCPRIM_400000_NS6detail17trampoline_kernelINS0_14default_configENS1_20scan_config_selectorIdEEZZNS1_9scan_implILNS1_25lookback_scan_determinismE0ELb0ELb0ES3_PKdPddZZZN2at6native31launch_logcumsumexp_cuda_kernelERKNSB_10TensorBaseESF_lENKUlvE_clEvENKUlvE_clEvEUlddE_dEEDaPvRmT3_T4_T5_mT6_P12ihipStream_tbENKUlT_T0_E_clISt17integral_constantIbLb0EESV_IbLb1EEEEDaSR_SS_EUlSR_E_NS1_11comp_targetILNS1_3genE10ELNS1_11target_archE1200ELNS1_3gpuE4ELNS1_3repE0EEENS1_30default_config_static_selectorELNS0_4arch9wavefront6targetE0EEEvT1_.has_dyn_sized_stack, 0
	.set _ZN7rocprim17ROCPRIM_400000_NS6detail17trampoline_kernelINS0_14default_configENS1_20scan_config_selectorIdEEZZNS1_9scan_implILNS1_25lookback_scan_determinismE0ELb0ELb0ES3_PKdPddZZZN2at6native31launch_logcumsumexp_cuda_kernelERKNSB_10TensorBaseESF_lENKUlvE_clEvENKUlvE_clEvEUlddE_dEEDaPvRmT3_T4_T5_mT6_P12ihipStream_tbENKUlT_T0_E_clISt17integral_constantIbLb0EESV_IbLb1EEEEDaSR_SS_EUlSR_E_NS1_11comp_targetILNS1_3genE10ELNS1_11target_archE1200ELNS1_3gpuE4ELNS1_3repE0EEENS1_30default_config_static_selectorELNS0_4arch9wavefront6targetE0EEEvT1_.has_recursion, 0
	.set _ZN7rocprim17ROCPRIM_400000_NS6detail17trampoline_kernelINS0_14default_configENS1_20scan_config_selectorIdEEZZNS1_9scan_implILNS1_25lookback_scan_determinismE0ELb0ELb0ES3_PKdPddZZZN2at6native31launch_logcumsumexp_cuda_kernelERKNSB_10TensorBaseESF_lENKUlvE_clEvENKUlvE_clEvEUlddE_dEEDaPvRmT3_T4_T5_mT6_P12ihipStream_tbENKUlT_T0_E_clISt17integral_constantIbLb0EESV_IbLb1EEEEDaSR_SS_EUlSR_E_NS1_11comp_targetILNS1_3genE10ELNS1_11target_archE1200ELNS1_3gpuE4ELNS1_3repE0EEENS1_30default_config_static_selectorELNS0_4arch9wavefront6targetE0EEEvT1_.has_indirect_call, 0
	.section	.AMDGPU.csdata,"",@progbits
; Kernel info:
; codeLenInByte = 0
; TotalNumSgprs: 0
; NumVgprs: 0
; ScratchSize: 0
; MemoryBound: 0
; FloatMode: 240
; IeeeMode: 1
; LDSByteSize: 0 bytes/workgroup (compile time only)
; SGPRBlocks: 0
; VGPRBlocks: 0
; NumSGPRsForWavesPerEU: 1
; NumVGPRsForWavesPerEU: 1
; Occupancy: 16
; WaveLimiterHint : 0
; COMPUTE_PGM_RSRC2:SCRATCH_EN: 0
; COMPUTE_PGM_RSRC2:USER_SGPR: 2
; COMPUTE_PGM_RSRC2:TRAP_HANDLER: 0
; COMPUTE_PGM_RSRC2:TGID_X_EN: 1
; COMPUTE_PGM_RSRC2:TGID_Y_EN: 0
; COMPUTE_PGM_RSRC2:TGID_Z_EN: 0
; COMPUTE_PGM_RSRC2:TIDIG_COMP_CNT: 0
	.section	.text._ZN7rocprim17ROCPRIM_400000_NS6detail17trampoline_kernelINS0_14default_configENS1_20scan_config_selectorIdEEZZNS1_9scan_implILNS1_25lookback_scan_determinismE0ELb0ELb0ES3_PKdPddZZZN2at6native31launch_logcumsumexp_cuda_kernelERKNSB_10TensorBaseESF_lENKUlvE_clEvENKUlvE_clEvEUlddE_dEEDaPvRmT3_T4_T5_mT6_P12ihipStream_tbENKUlT_T0_E_clISt17integral_constantIbLb0EESV_IbLb1EEEEDaSR_SS_EUlSR_E_NS1_11comp_targetILNS1_3genE9ELNS1_11target_archE1100ELNS1_3gpuE3ELNS1_3repE0EEENS1_30default_config_static_selectorELNS0_4arch9wavefront6targetE0EEEvT1_,"axG",@progbits,_ZN7rocprim17ROCPRIM_400000_NS6detail17trampoline_kernelINS0_14default_configENS1_20scan_config_selectorIdEEZZNS1_9scan_implILNS1_25lookback_scan_determinismE0ELb0ELb0ES3_PKdPddZZZN2at6native31launch_logcumsumexp_cuda_kernelERKNSB_10TensorBaseESF_lENKUlvE_clEvENKUlvE_clEvEUlddE_dEEDaPvRmT3_T4_T5_mT6_P12ihipStream_tbENKUlT_T0_E_clISt17integral_constantIbLb0EESV_IbLb1EEEEDaSR_SS_EUlSR_E_NS1_11comp_targetILNS1_3genE9ELNS1_11target_archE1100ELNS1_3gpuE3ELNS1_3repE0EEENS1_30default_config_static_selectorELNS0_4arch9wavefront6targetE0EEEvT1_,comdat
	.globl	_ZN7rocprim17ROCPRIM_400000_NS6detail17trampoline_kernelINS0_14default_configENS1_20scan_config_selectorIdEEZZNS1_9scan_implILNS1_25lookback_scan_determinismE0ELb0ELb0ES3_PKdPddZZZN2at6native31launch_logcumsumexp_cuda_kernelERKNSB_10TensorBaseESF_lENKUlvE_clEvENKUlvE_clEvEUlddE_dEEDaPvRmT3_T4_T5_mT6_P12ihipStream_tbENKUlT_T0_E_clISt17integral_constantIbLb0EESV_IbLb1EEEEDaSR_SS_EUlSR_E_NS1_11comp_targetILNS1_3genE9ELNS1_11target_archE1100ELNS1_3gpuE3ELNS1_3repE0EEENS1_30default_config_static_selectorELNS0_4arch9wavefront6targetE0EEEvT1_ ; -- Begin function _ZN7rocprim17ROCPRIM_400000_NS6detail17trampoline_kernelINS0_14default_configENS1_20scan_config_selectorIdEEZZNS1_9scan_implILNS1_25lookback_scan_determinismE0ELb0ELb0ES3_PKdPddZZZN2at6native31launch_logcumsumexp_cuda_kernelERKNSB_10TensorBaseESF_lENKUlvE_clEvENKUlvE_clEvEUlddE_dEEDaPvRmT3_T4_T5_mT6_P12ihipStream_tbENKUlT_T0_E_clISt17integral_constantIbLb0EESV_IbLb1EEEEDaSR_SS_EUlSR_E_NS1_11comp_targetILNS1_3genE9ELNS1_11target_archE1100ELNS1_3gpuE3ELNS1_3repE0EEENS1_30default_config_static_selectorELNS0_4arch9wavefront6targetE0EEEvT1_
	.p2align	8
	.type	_ZN7rocprim17ROCPRIM_400000_NS6detail17trampoline_kernelINS0_14default_configENS1_20scan_config_selectorIdEEZZNS1_9scan_implILNS1_25lookback_scan_determinismE0ELb0ELb0ES3_PKdPddZZZN2at6native31launch_logcumsumexp_cuda_kernelERKNSB_10TensorBaseESF_lENKUlvE_clEvENKUlvE_clEvEUlddE_dEEDaPvRmT3_T4_T5_mT6_P12ihipStream_tbENKUlT_T0_E_clISt17integral_constantIbLb0EESV_IbLb1EEEEDaSR_SS_EUlSR_E_NS1_11comp_targetILNS1_3genE9ELNS1_11target_archE1100ELNS1_3gpuE3ELNS1_3repE0EEENS1_30default_config_static_selectorELNS0_4arch9wavefront6targetE0EEEvT1_,@function
_ZN7rocprim17ROCPRIM_400000_NS6detail17trampoline_kernelINS0_14default_configENS1_20scan_config_selectorIdEEZZNS1_9scan_implILNS1_25lookback_scan_determinismE0ELb0ELb0ES3_PKdPddZZZN2at6native31launch_logcumsumexp_cuda_kernelERKNSB_10TensorBaseESF_lENKUlvE_clEvENKUlvE_clEvEUlddE_dEEDaPvRmT3_T4_T5_mT6_P12ihipStream_tbENKUlT_T0_E_clISt17integral_constantIbLb0EESV_IbLb1EEEEDaSR_SS_EUlSR_E_NS1_11comp_targetILNS1_3genE9ELNS1_11target_archE1100ELNS1_3gpuE3ELNS1_3repE0EEENS1_30default_config_static_selectorELNS0_4arch9wavefront6targetE0EEEvT1_: ; @_ZN7rocprim17ROCPRIM_400000_NS6detail17trampoline_kernelINS0_14default_configENS1_20scan_config_selectorIdEEZZNS1_9scan_implILNS1_25lookback_scan_determinismE0ELb0ELb0ES3_PKdPddZZZN2at6native31launch_logcumsumexp_cuda_kernelERKNSB_10TensorBaseESF_lENKUlvE_clEvENKUlvE_clEvEUlddE_dEEDaPvRmT3_T4_T5_mT6_P12ihipStream_tbENKUlT_T0_E_clISt17integral_constantIbLb0EESV_IbLb1EEEEDaSR_SS_EUlSR_E_NS1_11comp_targetILNS1_3genE9ELNS1_11target_archE1100ELNS1_3gpuE3ELNS1_3repE0EEENS1_30default_config_static_selectorELNS0_4arch9wavefront6targetE0EEEvT1_
; %bb.0:
	.section	.rodata,"a",@progbits
	.p2align	6, 0x0
	.amdhsa_kernel _ZN7rocprim17ROCPRIM_400000_NS6detail17trampoline_kernelINS0_14default_configENS1_20scan_config_selectorIdEEZZNS1_9scan_implILNS1_25lookback_scan_determinismE0ELb0ELb0ES3_PKdPddZZZN2at6native31launch_logcumsumexp_cuda_kernelERKNSB_10TensorBaseESF_lENKUlvE_clEvENKUlvE_clEvEUlddE_dEEDaPvRmT3_T4_T5_mT6_P12ihipStream_tbENKUlT_T0_E_clISt17integral_constantIbLb0EESV_IbLb1EEEEDaSR_SS_EUlSR_E_NS1_11comp_targetILNS1_3genE9ELNS1_11target_archE1100ELNS1_3gpuE3ELNS1_3repE0EEENS1_30default_config_static_selectorELNS0_4arch9wavefront6targetE0EEEvT1_
		.amdhsa_group_segment_fixed_size 0
		.amdhsa_private_segment_fixed_size 0
		.amdhsa_kernarg_size 104
		.amdhsa_user_sgpr_count 2
		.amdhsa_user_sgpr_dispatch_ptr 0
		.amdhsa_user_sgpr_queue_ptr 0
		.amdhsa_user_sgpr_kernarg_segment_ptr 1
		.amdhsa_user_sgpr_dispatch_id 0
		.amdhsa_user_sgpr_private_segment_size 0
		.amdhsa_wavefront_size32 1
		.amdhsa_uses_dynamic_stack 0
		.amdhsa_enable_private_segment 0
		.amdhsa_system_sgpr_workgroup_id_x 1
		.amdhsa_system_sgpr_workgroup_id_y 0
		.amdhsa_system_sgpr_workgroup_id_z 0
		.amdhsa_system_sgpr_workgroup_info 0
		.amdhsa_system_vgpr_workitem_id 0
		.amdhsa_next_free_vgpr 1
		.amdhsa_next_free_sgpr 1
		.amdhsa_reserve_vcc 0
		.amdhsa_float_round_mode_32 0
		.amdhsa_float_round_mode_16_64 0
		.amdhsa_float_denorm_mode_32 3
		.amdhsa_float_denorm_mode_16_64 3
		.amdhsa_fp16_overflow 0
		.amdhsa_workgroup_processor_mode 1
		.amdhsa_memory_ordered 1
		.amdhsa_forward_progress 1
		.amdhsa_inst_pref_size 0
		.amdhsa_round_robin_scheduling 0
		.amdhsa_exception_fp_ieee_invalid_op 0
		.amdhsa_exception_fp_denorm_src 0
		.amdhsa_exception_fp_ieee_div_zero 0
		.amdhsa_exception_fp_ieee_overflow 0
		.amdhsa_exception_fp_ieee_underflow 0
		.amdhsa_exception_fp_ieee_inexact 0
		.amdhsa_exception_int_div_zero 0
	.end_amdhsa_kernel
	.section	.text._ZN7rocprim17ROCPRIM_400000_NS6detail17trampoline_kernelINS0_14default_configENS1_20scan_config_selectorIdEEZZNS1_9scan_implILNS1_25lookback_scan_determinismE0ELb0ELb0ES3_PKdPddZZZN2at6native31launch_logcumsumexp_cuda_kernelERKNSB_10TensorBaseESF_lENKUlvE_clEvENKUlvE_clEvEUlddE_dEEDaPvRmT3_T4_T5_mT6_P12ihipStream_tbENKUlT_T0_E_clISt17integral_constantIbLb0EESV_IbLb1EEEEDaSR_SS_EUlSR_E_NS1_11comp_targetILNS1_3genE9ELNS1_11target_archE1100ELNS1_3gpuE3ELNS1_3repE0EEENS1_30default_config_static_selectorELNS0_4arch9wavefront6targetE0EEEvT1_,"axG",@progbits,_ZN7rocprim17ROCPRIM_400000_NS6detail17trampoline_kernelINS0_14default_configENS1_20scan_config_selectorIdEEZZNS1_9scan_implILNS1_25lookback_scan_determinismE0ELb0ELb0ES3_PKdPddZZZN2at6native31launch_logcumsumexp_cuda_kernelERKNSB_10TensorBaseESF_lENKUlvE_clEvENKUlvE_clEvEUlddE_dEEDaPvRmT3_T4_T5_mT6_P12ihipStream_tbENKUlT_T0_E_clISt17integral_constantIbLb0EESV_IbLb1EEEEDaSR_SS_EUlSR_E_NS1_11comp_targetILNS1_3genE9ELNS1_11target_archE1100ELNS1_3gpuE3ELNS1_3repE0EEENS1_30default_config_static_selectorELNS0_4arch9wavefront6targetE0EEEvT1_,comdat
.Lfunc_end73:
	.size	_ZN7rocprim17ROCPRIM_400000_NS6detail17trampoline_kernelINS0_14default_configENS1_20scan_config_selectorIdEEZZNS1_9scan_implILNS1_25lookback_scan_determinismE0ELb0ELb0ES3_PKdPddZZZN2at6native31launch_logcumsumexp_cuda_kernelERKNSB_10TensorBaseESF_lENKUlvE_clEvENKUlvE_clEvEUlddE_dEEDaPvRmT3_T4_T5_mT6_P12ihipStream_tbENKUlT_T0_E_clISt17integral_constantIbLb0EESV_IbLb1EEEEDaSR_SS_EUlSR_E_NS1_11comp_targetILNS1_3genE9ELNS1_11target_archE1100ELNS1_3gpuE3ELNS1_3repE0EEENS1_30default_config_static_selectorELNS0_4arch9wavefront6targetE0EEEvT1_, .Lfunc_end73-_ZN7rocprim17ROCPRIM_400000_NS6detail17trampoline_kernelINS0_14default_configENS1_20scan_config_selectorIdEEZZNS1_9scan_implILNS1_25lookback_scan_determinismE0ELb0ELb0ES3_PKdPddZZZN2at6native31launch_logcumsumexp_cuda_kernelERKNSB_10TensorBaseESF_lENKUlvE_clEvENKUlvE_clEvEUlddE_dEEDaPvRmT3_T4_T5_mT6_P12ihipStream_tbENKUlT_T0_E_clISt17integral_constantIbLb0EESV_IbLb1EEEEDaSR_SS_EUlSR_E_NS1_11comp_targetILNS1_3genE9ELNS1_11target_archE1100ELNS1_3gpuE3ELNS1_3repE0EEENS1_30default_config_static_selectorELNS0_4arch9wavefront6targetE0EEEvT1_
                                        ; -- End function
	.set _ZN7rocprim17ROCPRIM_400000_NS6detail17trampoline_kernelINS0_14default_configENS1_20scan_config_selectorIdEEZZNS1_9scan_implILNS1_25lookback_scan_determinismE0ELb0ELb0ES3_PKdPddZZZN2at6native31launch_logcumsumexp_cuda_kernelERKNSB_10TensorBaseESF_lENKUlvE_clEvENKUlvE_clEvEUlddE_dEEDaPvRmT3_T4_T5_mT6_P12ihipStream_tbENKUlT_T0_E_clISt17integral_constantIbLb0EESV_IbLb1EEEEDaSR_SS_EUlSR_E_NS1_11comp_targetILNS1_3genE9ELNS1_11target_archE1100ELNS1_3gpuE3ELNS1_3repE0EEENS1_30default_config_static_selectorELNS0_4arch9wavefront6targetE0EEEvT1_.num_vgpr, 0
	.set _ZN7rocprim17ROCPRIM_400000_NS6detail17trampoline_kernelINS0_14default_configENS1_20scan_config_selectorIdEEZZNS1_9scan_implILNS1_25lookback_scan_determinismE0ELb0ELb0ES3_PKdPddZZZN2at6native31launch_logcumsumexp_cuda_kernelERKNSB_10TensorBaseESF_lENKUlvE_clEvENKUlvE_clEvEUlddE_dEEDaPvRmT3_T4_T5_mT6_P12ihipStream_tbENKUlT_T0_E_clISt17integral_constantIbLb0EESV_IbLb1EEEEDaSR_SS_EUlSR_E_NS1_11comp_targetILNS1_3genE9ELNS1_11target_archE1100ELNS1_3gpuE3ELNS1_3repE0EEENS1_30default_config_static_selectorELNS0_4arch9wavefront6targetE0EEEvT1_.num_agpr, 0
	.set _ZN7rocprim17ROCPRIM_400000_NS6detail17trampoline_kernelINS0_14default_configENS1_20scan_config_selectorIdEEZZNS1_9scan_implILNS1_25lookback_scan_determinismE0ELb0ELb0ES3_PKdPddZZZN2at6native31launch_logcumsumexp_cuda_kernelERKNSB_10TensorBaseESF_lENKUlvE_clEvENKUlvE_clEvEUlddE_dEEDaPvRmT3_T4_T5_mT6_P12ihipStream_tbENKUlT_T0_E_clISt17integral_constantIbLb0EESV_IbLb1EEEEDaSR_SS_EUlSR_E_NS1_11comp_targetILNS1_3genE9ELNS1_11target_archE1100ELNS1_3gpuE3ELNS1_3repE0EEENS1_30default_config_static_selectorELNS0_4arch9wavefront6targetE0EEEvT1_.numbered_sgpr, 0
	.set _ZN7rocprim17ROCPRIM_400000_NS6detail17trampoline_kernelINS0_14default_configENS1_20scan_config_selectorIdEEZZNS1_9scan_implILNS1_25lookback_scan_determinismE0ELb0ELb0ES3_PKdPddZZZN2at6native31launch_logcumsumexp_cuda_kernelERKNSB_10TensorBaseESF_lENKUlvE_clEvENKUlvE_clEvEUlddE_dEEDaPvRmT3_T4_T5_mT6_P12ihipStream_tbENKUlT_T0_E_clISt17integral_constantIbLb0EESV_IbLb1EEEEDaSR_SS_EUlSR_E_NS1_11comp_targetILNS1_3genE9ELNS1_11target_archE1100ELNS1_3gpuE3ELNS1_3repE0EEENS1_30default_config_static_selectorELNS0_4arch9wavefront6targetE0EEEvT1_.num_named_barrier, 0
	.set _ZN7rocprim17ROCPRIM_400000_NS6detail17trampoline_kernelINS0_14default_configENS1_20scan_config_selectorIdEEZZNS1_9scan_implILNS1_25lookback_scan_determinismE0ELb0ELb0ES3_PKdPddZZZN2at6native31launch_logcumsumexp_cuda_kernelERKNSB_10TensorBaseESF_lENKUlvE_clEvENKUlvE_clEvEUlddE_dEEDaPvRmT3_T4_T5_mT6_P12ihipStream_tbENKUlT_T0_E_clISt17integral_constantIbLb0EESV_IbLb1EEEEDaSR_SS_EUlSR_E_NS1_11comp_targetILNS1_3genE9ELNS1_11target_archE1100ELNS1_3gpuE3ELNS1_3repE0EEENS1_30default_config_static_selectorELNS0_4arch9wavefront6targetE0EEEvT1_.private_seg_size, 0
	.set _ZN7rocprim17ROCPRIM_400000_NS6detail17trampoline_kernelINS0_14default_configENS1_20scan_config_selectorIdEEZZNS1_9scan_implILNS1_25lookback_scan_determinismE0ELb0ELb0ES3_PKdPddZZZN2at6native31launch_logcumsumexp_cuda_kernelERKNSB_10TensorBaseESF_lENKUlvE_clEvENKUlvE_clEvEUlddE_dEEDaPvRmT3_T4_T5_mT6_P12ihipStream_tbENKUlT_T0_E_clISt17integral_constantIbLb0EESV_IbLb1EEEEDaSR_SS_EUlSR_E_NS1_11comp_targetILNS1_3genE9ELNS1_11target_archE1100ELNS1_3gpuE3ELNS1_3repE0EEENS1_30default_config_static_selectorELNS0_4arch9wavefront6targetE0EEEvT1_.uses_vcc, 0
	.set _ZN7rocprim17ROCPRIM_400000_NS6detail17trampoline_kernelINS0_14default_configENS1_20scan_config_selectorIdEEZZNS1_9scan_implILNS1_25lookback_scan_determinismE0ELb0ELb0ES3_PKdPddZZZN2at6native31launch_logcumsumexp_cuda_kernelERKNSB_10TensorBaseESF_lENKUlvE_clEvENKUlvE_clEvEUlddE_dEEDaPvRmT3_T4_T5_mT6_P12ihipStream_tbENKUlT_T0_E_clISt17integral_constantIbLb0EESV_IbLb1EEEEDaSR_SS_EUlSR_E_NS1_11comp_targetILNS1_3genE9ELNS1_11target_archE1100ELNS1_3gpuE3ELNS1_3repE0EEENS1_30default_config_static_selectorELNS0_4arch9wavefront6targetE0EEEvT1_.uses_flat_scratch, 0
	.set _ZN7rocprim17ROCPRIM_400000_NS6detail17trampoline_kernelINS0_14default_configENS1_20scan_config_selectorIdEEZZNS1_9scan_implILNS1_25lookback_scan_determinismE0ELb0ELb0ES3_PKdPddZZZN2at6native31launch_logcumsumexp_cuda_kernelERKNSB_10TensorBaseESF_lENKUlvE_clEvENKUlvE_clEvEUlddE_dEEDaPvRmT3_T4_T5_mT6_P12ihipStream_tbENKUlT_T0_E_clISt17integral_constantIbLb0EESV_IbLb1EEEEDaSR_SS_EUlSR_E_NS1_11comp_targetILNS1_3genE9ELNS1_11target_archE1100ELNS1_3gpuE3ELNS1_3repE0EEENS1_30default_config_static_selectorELNS0_4arch9wavefront6targetE0EEEvT1_.has_dyn_sized_stack, 0
	.set _ZN7rocprim17ROCPRIM_400000_NS6detail17trampoline_kernelINS0_14default_configENS1_20scan_config_selectorIdEEZZNS1_9scan_implILNS1_25lookback_scan_determinismE0ELb0ELb0ES3_PKdPddZZZN2at6native31launch_logcumsumexp_cuda_kernelERKNSB_10TensorBaseESF_lENKUlvE_clEvENKUlvE_clEvEUlddE_dEEDaPvRmT3_T4_T5_mT6_P12ihipStream_tbENKUlT_T0_E_clISt17integral_constantIbLb0EESV_IbLb1EEEEDaSR_SS_EUlSR_E_NS1_11comp_targetILNS1_3genE9ELNS1_11target_archE1100ELNS1_3gpuE3ELNS1_3repE0EEENS1_30default_config_static_selectorELNS0_4arch9wavefront6targetE0EEEvT1_.has_recursion, 0
	.set _ZN7rocprim17ROCPRIM_400000_NS6detail17trampoline_kernelINS0_14default_configENS1_20scan_config_selectorIdEEZZNS1_9scan_implILNS1_25lookback_scan_determinismE0ELb0ELb0ES3_PKdPddZZZN2at6native31launch_logcumsumexp_cuda_kernelERKNSB_10TensorBaseESF_lENKUlvE_clEvENKUlvE_clEvEUlddE_dEEDaPvRmT3_T4_T5_mT6_P12ihipStream_tbENKUlT_T0_E_clISt17integral_constantIbLb0EESV_IbLb1EEEEDaSR_SS_EUlSR_E_NS1_11comp_targetILNS1_3genE9ELNS1_11target_archE1100ELNS1_3gpuE3ELNS1_3repE0EEENS1_30default_config_static_selectorELNS0_4arch9wavefront6targetE0EEEvT1_.has_indirect_call, 0
	.section	.AMDGPU.csdata,"",@progbits
; Kernel info:
; codeLenInByte = 0
; TotalNumSgprs: 0
; NumVgprs: 0
; ScratchSize: 0
; MemoryBound: 0
; FloatMode: 240
; IeeeMode: 1
; LDSByteSize: 0 bytes/workgroup (compile time only)
; SGPRBlocks: 0
; VGPRBlocks: 0
; NumSGPRsForWavesPerEU: 1
; NumVGPRsForWavesPerEU: 1
; Occupancy: 16
; WaveLimiterHint : 0
; COMPUTE_PGM_RSRC2:SCRATCH_EN: 0
; COMPUTE_PGM_RSRC2:USER_SGPR: 2
; COMPUTE_PGM_RSRC2:TRAP_HANDLER: 0
; COMPUTE_PGM_RSRC2:TGID_X_EN: 1
; COMPUTE_PGM_RSRC2:TGID_Y_EN: 0
; COMPUTE_PGM_RSRC2:TGID_Z_EN: 0
; COMPUTE_PGM_RSRC2:TIDIG_COMP_CNT: 0
	.section	.text._ZN7rocprim17ROCPRIM_400000_NS6detail17trampoline_kernelINS0_14default_configENS1_20scan_config_selectorIdEEZZNS1_9scan_implILNS1_25lookback_scan_determinismE0ELb0ELb0ES3_PKdPddZZZN2at6native31launch_logcumsumexp_cuda_kernelERKNSB_10TensorBaseESF_lENKUlvE_clEvENKUlvE_clEvEUlddE_dEEDaPvRmT3_T4_T5_mT6_P12ihipStream_tbENKUlT_T0_E_clISt17integral_constantIbLb0EESV_IbLb1EEEEDaSR_SS_EUlSR_E_NS1_11comp_targetILNS1_3genE8ELNS1_11target_archE1030ELNS1_3gpuE2ELNS1_3repE0EEENS1_30default_config_static_selectorELNS0_4arch9wavefront6targetE0EEEvT1_,"axG",@progbits,_ZN7rocprim17ROCPRIM_400000_NS6detail17trampoline_kernelINS0_14default_configENS1_20scan_config_selectorIdEEZZNS1_9scan_implILNS1_25lookback_scan_determinismE0ELb0ELb0ES3_PKdPddZZZN2at6native31launch_logcumsumexp_cuda_kernelERKNSB_10TensorBaseESF_lENKUlvE_clEvENKUlvE_clEvEUlddE_dEEDaPvRmT3_T4_T5_mT6_P12ihipStream_tbENKUlT_T0_E_clISt17integral_constantIbLb0EESV_IbLb1EEEEDaSR_SS_EUlSR_E_NS1_11comp_targetILNS1_3genE8ELNS1_11target_archE1030ELNS1_3gpuE2ELNS1_3repE0EEENS1_30default_config_static_selectorELNS0_4arch9wavefront6targetE0EEEvT1_,comdat
	.globl	_ZN7rocprim17ROCPRIM_400000_NS6detail17trampoline_kernelINS0_14default_configENS1_20scan_config_selectorIdEEZZNS1_9scan_implILNS1_25lookback_scan_determinismE0ELb0ELb0ES3_PKdPddZZZN2at6native31launch_logcumsumexp_cuda_kernelERKNSB_10TensorBaseESF_lENKUlvE_clEvENKUlvE_clEvEUlddE_dEEDaPvRmT3_T4_T5_mT6_P12ihipStream_tbENKUlT_T0_E_clISt17integral_constantIbLb0EESV_IbLb1EEEEDaSR_SS_EUlSR_E_NS1_11comp_targetILNS1_3genE8ELNS1_11target_archE1030ELNS1_3gpuE2ELNS1_3repE0EEENS1_30default_config_static_selectorELNS0_4arch9wavefront6targetE0EEEvT1_ ; -- Begin function _ZN7rocprim17ROCPRIM_400000_NS6detail17trampoline_kernelINS0_14default_configENS1_20scan_config_selectorIdEEZZNS1_9scan_implILNS1_25lookback_scan_determinismE0ELb0ELb0ES3_PKdPddZZZN2at6native31launch_logcumsumexp_cuda_kernelERKNSB_10TensorBaseESF_lENKUlvE_clEvENKUlvE_clEvEUlddE_dEEDaPvRmT3_T4_T5_mT6_P12ihipStream_tbENKUlT_T0_E_clISt17integral_constantIbLb0EESV_IbLb1EEEEDaSR_SS_EUlSR_E_NS1_11comp_targetILNS1_3genE8ELNS1_11target_archE1030ELNS1_3gpuE2ELNS1_3repE0EEENS1_30default_config_static_selectorELNS0_4arch9wavefront6targetE0EEEvT1_
	.p2align	8
	.type	_ZN7rocprim17ROCPRIM_400000_NS6detail17trampoline_kernelINS0_14default_configENS1_20scan_config_selectorIdEEZZNS1_9scan_implILNS1_25lookback_scan_determinismE0ELb0ELb0ES3_PKdPddZZZN2at6native31launch_logcumsumexp_cuda_kernelERKNSB_10TensorBaseESF_lENKUlvE_clEvENKUlvE_clEvEUlddE_dEEDaPvRmT3_T4_T5_mT6_P12ihipStream_tbENKUlT_T0_E_clISt17integral_constantIbLb0EESV_IbLb1EEEEDaSR_SS_EUlSR_E_NS1_11comp_targetILNS1_3genE8ELNS1_11target_archE1030ELNS1_3gpuE2ELNS1_3repE0EEENS1_30default_config_static_selectorELNS0_4arch9wavefront6targetE0EEEvT1_,@function
_ZN7rocprim17ROCPRIM_400000_NS6detail17trampoline_kernelINS0_14default_configENS1_20scan_config_selectorIdEEZZNS1_9scan_implILNS1_25lookback_scan_determinismE0ELb0ELb0ES3_PKdPddZZZN2at6native31launch_logcumsumexp_cuda_kernelERKNSB_10TensorBaseESF_lENKUlvE_clEvENKUlvE_clEvEUlddE_dEEDaPvRmT3_T4_T5_mT6_P12ihipStream_tbENKUlT_T0_E_clISt17integral_constantIbLb0EESV_IbLb1EEEEDaSR_SS_EUlSR_E_NS1_11comp_targetILNS1_3genE8ELNS1_11target_archE1030ELNS1_3gpuE2ELNS1_3repE0EEENS1_30default_config_static_selectorELNS0_4arch9wavefront6targetE0EEEvT1_: ; @_ZN7rocprim17ROCPRIM_400000_NS6detail17trampoline_kernelINS0_14default_configENS1_20scan_config_selectorIdEEZZNS1_9scan_implILNS1_25lookback_scan_determinismE0ELb0ELb0ES3_PKdPddZZZN2at6native31launch_logcumsumexp_cuda_kernelERKNSB_10TensorBaseESF_lENKUlvE_clEvENKUlvE_clEvEUlddE_dEEDaPvRmT3_T4_T5_mT6_P12ihipStream_tbENKUlT_T0_E_clISt17integral_constantIbLb0EESV_IbLb1EEEEDaSR_SS_EUlSR_E_NS1_11comp_targetILNS1_3genE8ELNS1_11target_archE1030ELNS1_3gpuE2ELNS1_3repE0EEENS1_30default_config_static_selectorELNS0_4arch9wavefront6targetE0EEEvT1_
; %bb.0:
	.section	.rodata,"a",@progbits
	.p2align	6, 0x0
	.amdhsa_kernel _ZN7rocprim17ROCPRIM_400000_NS6detail17trampoline_kernelINS0_14default_configENS1_20scan_config_selectorIdEEZZNS1_9scan_implILNS1_25lookback_scan_determinismE0ELb0ELb0ES3_PKdPddZZZN2at6native31launch_logcumsumexp_cuda_kernelERKNSB_10TensorBaseESF_lENKUlvE_clEvENKUlvE_clEvEUlddE_dEEDaPvRmT3_T4_T5_mT6_P12ihipStream_tbENKUlT_T0_E_clISt17integral_constantIbLb0EESV_IbLb1EEEEDaSR_SS_EUlSR_E_NS1_11comp_targetILNS1_3genE8ELNS1_11target_archE1030ELNS1_3gpuE2ELNS1_3repE0EEENS1_30default_config_static_selectorELNS0_4arch9wavefront6targetE0EEEvT1_
		.amdhsa_group_segment_fixed_size 0
		.amdhsa_private_segment_fixed_size 0
		.amdhsa_kernarg_size 104
		.amdhsa_user_sgpr_count 2
		.amdhsa_user_sgpr_dispatch_ptr 0
		.amdhsa_user_sgpr_queue_ptr 0
		.amdhsa_user_sgpr_kernarg_segment_ptr 1
		.amdhsa_user_sgpr_dispatch_id 0
		.amdhsa_user_sgpr_private_segment_size 0
		.amdhsa_wavefront_size32 1
		.amdhsa_uses_dynamic_stack 0
		.amdhsa_enable_private_segment 0
		.amdhsa_system_sgpr_workgroup_id_x 1
		.amdhsa_system_sgpr_workgroup_id_y 0
		.amdhsa_system_sgpr_workgroup_id_z 0
		.amdhsa_system_sgpr_workgroup_info 0
		.amdhsa_system_vgpr_workitem_id 0
		.amdhsa_next_free_vgpr 1
		.amdhsa_next_free_sgpr 1
		.amdhsa_reserve_vcc 0
		.amdhsa_float_round_mode_32 0
		.amdhsa_float_round_mode_16_64 0
		.amdhsa_float_denorm_mode_32 3
		.amdhsa_float_denorm_mode_16_64 3
		.amdhsa_fp16_overflow 0
		.amdhsa_workgroup_processor_mode 1
		.amdhsa_memory_ordered 1
		.amdhsa_forward_progress 1
		.amdhsa_inst_pref_size 0
		.amdhsa_round_robin_scheduling 0
		.amdhsa_exception_fp_ieee_invalid_op 0
		.amdhsa_exception_fp_denorm_src 0
		.amdhsa_exception_fp_ieee_div_zero 0
		.amdhsa_exception_fp_ieee_overflow 0
		.amdhsa_exception_fp_ieee_underflow 0
		.amdhsa_exception_fp_ieee_inexact 0
		.amdhsa_exception_int_div_zero 0
	.end_amdhsa_kernel
	.section	.text._ZN7rocprim17ROCPRIM_400000_NS6detail17trampoline_kernelINS0_14default_configENS1_20scan_config_selectorIdEEZZNS1_9scan_implILNS1_25lookback_scan_determinismE0ELb0ELb0ES3_PKdPddZZZN2at6native31launch_logcumsumexp_cuda_kernelERKNSB_10TensorBaseESF_lENKUlvE_clEvENKUlvE_clEvEUlddE_dEEDaPvRmT3_T4_T5_mT6_P12ihipStream_tbENKUlT_T0_E_clISt17integral_constantIbLb0EESV_IbLb1EEEEDaSR_SS_EUlSR_E_NS1_11comp_targetILNS1_3genE8ELNS1_11target_archE1030ELNS1_3gpuE2ELNS1_3repE0EEENS1_30default_config_static_selectorELNS0_4arch9wavefront6targetE0EEEvT1_,"axG",@progbits,_ZN7rocprim17ROCPRIM_400000_NS6detail17trampoline_kernelINS0_14default_configENS1_20scan_config_selectorIdEEZZNS1_9scan_implILNS1_25lookback_scan_determinismE0ELb0ELb0ES3_PKdPddZZZN2at6native31launch_logcumsumexp_cuda_kernelERKNSB_10TensorBaseESF_lENKUlvE_clEvENKUlvE_clEvEUlddE_dEEDaPvRmT3_T4_T5_mT6_P12ihipStream_tbENKUlT_T0_E_clISt17integral_constantIbLb0EESV_IbLb1EEEEDaSR_SS_EUlSR_E_NS1_11comp_targetILNS1_3genE8ELNS1_11target_archE1030ELNS1_3gpuE2ELNS1_3repE0EEENS1_30default_config_static_selectorELNS0_4arch9wavefront6targetE0EEEvT1_,comdat
.Lfunc_end74:
	.size	_ZN7rocprim17ROCPRIM_400000_NS6detail17trampoline_kernelINS0_14default_configENS1_20scan_config_selectorIdEEZZNS1_9scan_implILNS1_25lookback_scan_determinismE0ELb0ELb0ES3_PKdPddZZZN2at6native31launch_logcumsumexp_cuda_kernelERKNSB_10TensorBaseESF_lENKUlvE_clEvENKUlvE_clEvEUlddE_dEEDaPvRmT3_T4_T5_mT6_P12ihipStream_tbENKUlT_T0_E_clISt17integral_constantIbLb0EESV_IbLb1EEEEDaSR_SS_EUlSR_E_NS1_11comp_targetILNS1_3genE8ELNS1_11target_archE1030ELNS1_3gpuE2ELNS1_3repE0EEENS1_30default_config_static_selectorELNS0_4arch9wavefront6targetE0EEEvT1_, .Lfunc_end74-_ZN7rocprim17ROCPRIM_400000_NS6detail17trampoline_kernelINS0_14default_configENS1_20scan_config_selectorIdEEZZNS1_9scan_implILNS1_25lookback_scan_determinismE0ELb0ELb0ES3_PKdPddZZZN2at6native31launch_logcumsumexp_cuda_kernelERKNSB_10TensorBaseESF_lENKUlvE_clEvENKUlvE_clEvEUlddE_dEEDaPvRmT3_T4_T5_mT6_P12ihipStream_tbENKUlT_T0_E_clISt17integral_constantIbLb0EESV_IbLb1EEEEDaSR_SS_EUlSR_E_NS1_11comp_targetILNS1_3genE8ELNS1_11target_archE1030ELNS1_3gpuE2ELNS1_3repE0EEENS1_30default_config_static_selectorELNS0_4arch9wavefront6targetE0EEEvT1_
                                        ; -- End function
	.set _ZN7rocprim17ROCPRIM_400000_NS6detail17trampoline_kernelINS0_14default_configENS1_20scan_config_selectorIdEEZZNS1_9scan_implILNS1_25lookback_scan_determinismE0ELb0ELb0ES3_PKdPddZZZN2at6native31launch_logcumsumexp_cuda_kernelERKNSB_10TensorBaseESF_lENKUlvE_clEvENKUlvE_clEvEUlddE_dEEDaPvRmT3_T4_T5_mT6_P12ihipStream_tbENKUlT_T0_E_clISt17integral_constantIbLb0EESV_IbLb1EEEEDaSR_SS_EUlSR_E_NS1_11comp_targetILNS1_3genE8ELNS1_11target_archE1030ELNS1_3gpuE2ELNS1_3repE0EEENS1_30default_config_static_selectorELNS0_4arch9wavefront6targetE0EEEvT1_.num_vgpr, 0
	.set _ZN7rocprim17ROCPRIM_400000_NS6detail17trampoline_kernelINS0_14default_configENS1_20scan_config_selectorIdEEZZNS1_9scan_implILNS1_25lookback_scan_determinismE0ELb0ELb0ES3_PKdPddZZZN2at6native31launch_logcumsumexp_cuda_kernelERKNSB_10TensorBaseESF_lENKUlvE_clEvENKUlvE_clEvEUlddE_dEEDaPvRmT3_T4_T5_mT6_P12ihipStream_tbENKUlT_T0_E_clISt17integral_constantIbLb0EESV_IbLb1EEEEDaSR_SS_EUlSR_E_NS1_11comp_targetILNS1_3genE8ELNS1_11target_archE1030ELNS1_3gpuE2ELNS1_3repE0EEENS1_30default_config_static_selectorELNS0_4arch9wavefront6targetE0EEEvT1_.num_agpr, 0
	.set _ZN7rocprim17ROCPRIM_400000_NS6detail17trampoline_kernelINS0_14default_configENS1_20scan_config_selectorIdEEZZNS1_9scan_implILNS1_25lookback_scan_determinismE0ELb0ELb0ES3_PKdPddZZZN2at6native31launch_logcumsumexp_cuda_kernelERKNSB_10TensorBaseESF_lENKUlvE_clEvENKUlvE_clEvEUlddE_dEEDaPvRmT3_T4_T5_mT6_P12ihipStream_tbENKUlT_T0_E_clISt17integral_constantIbLb0EESV_IbLb1EEEEDaSR_SS_EUlSR_E_NS1_11comp_targetILNS1_3genE8ELNS1_11target_archE1030ELNS1_3gpuE2ELNS1_3repE0EEENS1_30default_config_static_selectorELNS0_4arch9wavefront6targetE0EEEvT1_.numbered_sgpr, 0
	.set _ZN7rocprim17ROCPRIM_400000_NS6detail17trampoline_kernelINS0_14default_configENS1_20scan_config_selectorIdEEZZNS1_9scan_implILNS1_25lookback_scan_determinismE0ELb0ELb0ES3_PKdPddZZZN2at6native31launch_logcumsumexp_cuda_kernelERKNSB_10TensorBaseESF_lENKUlvE_clEvENKUlvE_clEvEUlddE_dEEDaPvRmT3_T4_T5_mT6_P12ihipStream_tbENKUlT_T0_E_clISt17integral_constantIbLb0EESV_IbLb1EEEEDaSR_SS_EUlSR_E_NS1_11comp_targetILNS1_3genE8ELNS1_11target_archE1030ELNS1_3gpuE2ELNS1_3repE0EEENS1_30default_config_static_selectorELNS0_4arch9wavefront6targetE0EEEvT1_.num_named_barrier, 0
	.set _ZN7rocprim17ROCPRIM_400000_NS6detail17trampoline_kernelINS0_14default_configENS1_20scan_config_selectorIdEEZZNS1_9scan_implILNS1_25lookback_scan_determinismE0ELb0ELb0ES3_PKdPddZZZN2at6native31launch_logcumsumexp_cuda_kernelERKNSB_10TensorBaseESF_lENKUlvE_clEvENKUlvE_clEvEUlddE_dEEDaPvRmT3_T4_T5_mT6_P12ihipStream_tbENKUlT_T0_E_clISt17integral_constantIbLb0EESV_IbLb1EEEEDaSR_SS_EUlSR_E_NS1_11comp_targetILNS1_3genE8ELNS1_11target_archE1030ELNS1_3gpuE2ELNS1_3repE0EEENS1_30default_config_static_selectorELNS0_4arch9wavefront6targetE0EEEvT1_.private_seg_size, 0
	.set _ZN7rocprim17ROCPRIM_400000_NS6detail17trampoline_kernelINS0_14default_configENS1_20scan_config_selectorIdEEZZNS1_9scan_implILNS1_25lookback_scan_determinismE0ELb0ELb0ES3_PKdPddZZZN2at6native31launch_logcumsumexp_cuda_kernelERKNSB_10TensorBaseESF_lENKUlvE_clEvENKUlvE_clEvEUlddE_dEEDaPvRmT3_T4_T5_mT6_P12ihipStream_tbENKUlT_T0_E_clISt17integral_constantIbLb0EESV_IbLb1EEEEDaSR_SS_EUlSR_E_NS1_11comp_targetILNS1_3genE8ELNS1_11target_archE1030ELNS1_3gpuE2ELNS1_3repE0EEENS1_30default_config_static_selectorELNS0_4arch9wavefront6targetE0EEEvT1_.uses_vcc, 0
	.set _ZN7rocprim17ROCPRIM_400000_NS6detail17trampoline_kernelINS0_14default_configENS1_20scan_config_selectorIdEEZZNS1_9scan_implILNS1_25lookback_scan_determinismE0ELb0ELb0ES3_PKdPddZZZN2at6native31launch_logcumsumexp_cuda_kernelERKNSB_10TensorBaseESF_lENKUlvE_clEvENKUlvE_clEvEUlddE_dEEDaPvRmT3_T4_T5_mT6_P12ihipStream_tbENKUlT_T0_E_clISt17integral_constantIbLb0EESV_IbLb1EEEEDaSR_SS_EUlSR_E_NS1_11comp_targetILNS1_3genE8ELNS1_11target_archE1030ELNS1_3gpuE2ELNS1_3repE0EEENS1_30default_config_static_selectorELNS0_4arch9wavefront6targetE0EEEvT1_.uses_flat_scratch, 0
	.set _ZN7rocprim17ROCPRIM_400000_NS6detail17trampoline_kernelINS0_14default_configENS1_20scan_config_selectorIdEEZZNS1_9scan_implILNS1_25lookback_scan_determinismE0ELb0ELb0ES3_PKdPddZZZN2at6native31launch_logcumsumexp_cuda_kernelERKNSB_10TensorBaseESF_lENKUlvE_clEvENKUlvE_clEvEUlddE_dEEDaPvRmT3_T4_T5_mT6_P12ihipStream_tbENKUlT_T0_E_clISt17integral_constantIbLb0EESV_IbLb1EEEEDaSR_SS_EUlSR_E_NS1_11comp_targetILNS1_3genE8ELNS1_11target_archE1030ELNS1_3gpuE2ELNS1_3repE0EEENS1_30default_config_static_selectorELNS0_4arch9wavefront6targetE0EEEvT1_.has_dyn_sized_stack, 0
	.set _ZN7rocprim17ROCPRIM_400000_NS6detail17trampoline_kernelINS0_14default_configENS1_20scan_config_selectorIdEEZZNS1_9scan_implILNS1_25lookback_scan_determinismE0ELb0ELb0ES3_PKdPddZZZN2at6native31launch_logcumsumexp_cuda_kernelERKNSB_10TensorBaseESF_lENKUlvE_clEvENKUlvE_clEvEUlddE_dEEDaPvRmT3_T4_T5_mT6_P12ihipStream_tbENKUlT_T0_E_clISt17integral_constantIbLb0EESV_IbLb1EEEEDaSR_SS_EUlSR_E_NS1_11comp_targetILNS1_3genE8ELNS1_11target_archE1030ELNS1_3gpuE2ELNS1_3repE0EEENS1_30default_config_static_selectorELNS0_4arch9wavefront6targetE0EEEvT1_.has_recursion, 0
	.set _ZN7rocprim17ROCPRIM_400000_NS6detail17trampoline_kernelINS0_14default_configENS1_20scan_config_selectorIdEEZZNS1_9scan_implILNS1_25lookback_scan_determinismE0ELb0ELb0ES3_PKdPddZZZN2at6native31launch_logcumsumexp_cuda_kernelERKNSB_10TensorBaseESF_lENKUlvE_clEvENKUlvE_clEvEUlddE_dEEDaPvRmT3_T4_T5_mT6_P12ihipStream_tbENKUlT_T0_E_clISt17integral_constantIbLb0EESV_IbLb1EEEEDaSR_SS_EUlSR_E_NS1_11comp_targetILNS1_3genE8ELNS1_11target_archE1030ELNS1_3gpuE2ELNS1_3repE0EEENS1_30default_config_static_selectorELNS0_4arch9wavefront6targetE0EEEvT1_.has_indirect_call, 0
	.section	.AMDGPU.csdata,"",@progbits
; Kernel info:
; codeLenInByte = 0
; TotalNumSgprs: 0
; NumVgprs: 0
; ScratchSize: 0
; MemoryBound: 0
; FloatMode: 240
; IeeeMode: 1
; LDSByteSize: 0 bytes/workgroup (compile time only)
; SGPRBlocks: 0
; VGPRBlocks: 0
; NumSGPRsForWavesPerEU: 1
; NumVGPRsForWavesPerEU: 1
; Occupancy: 16
; WaveLimiterHint : 0
; COMPUTE_PGM_RSRC2:SCRATCH_EN: 0
; COMPUTE_PGM_RSRC2:USER_SGPR: 2
; COMPUTE_PGM_RSRC2:TRAP_HANDLER: 0
; COMPUTE_PGM_RSRC2:TGID_X_EN: 1
; COMPUTE_PGM_RSRC2:TGID_Y_EN: 0
; COMPUTE_PGM_RSRC2:TGID_Z_EN: 0
; COMPUTE_PGM_RSRC2:TIDIG_COMP_CNT: 0
	.section	.text._ZN7rocprim17ROCPRIM_400000_NS6detail17trampoline_kernelINS0_14default_configENS1_20scan_config_selectorIdEEZZNS1_9scan_implILNS1_25lookback_scan_determinismE0ELb0ELb0ES3_PKdPddZZZN2at6native31launch_logcumsumexp_cuda_kernelERKNSB_10TensorBaseESF_lENKUlvE_clEvENKUlvE_clEvEUlddE_dEEDaPvRmT3_T4_T5_mT6_P12ihipStream_tbENKUlT_T0_E_clISt17integral_constantIbLb0EESV_IbLb1EEEEDaSR_SS_EUlSR_E0_NS1_11comp_targetILNS1_3genE0ELNS1_11target_archE4294967295ELNS1_3gpuE0ELNS1_3repE0EEENS1_30default_config_static_selectorELNS0_4arch9wavefront6targetE0EEEvT1_,"axG",@progbits,_ZN7rocprim17ROCPRIM_400000_NS6detail17trampoline_kernelINS0_14default_configENS1_20scan_config_selectorIdEEZZNS1_9scan_implILNS1_25lookback_scan_determinismE0ELb0ELb0ES3_PKdPddZZZN2at6native31launch_logcumsumexp_cuda_kernelERKNSB_10TensorBaseESF_lENKUlvE_clEvENKUlvE_clEvEUlddE_dEEDaPvRmT3_T4_T5_mT6_P12ihipStream_tbENKUlT_T0_E_clISt17integral_constantIbLb0EESV_IbLb1EEEEDaSR_SS_EUlSR_E0_NS1_11comp_targetILNS1_3genE0ELNS1_11target_archE4294967295ELNS1_3gpuE0ELNS1_3repE0EEENS1_30default_config_static_selectorELNS0_4arch9wavefront6targetE0EEEvT1_,comdat
	.globl	_ZN7rocprim17ROCPRIM_400000_NS6detail17trampoline_kernelINS0_14default_configENS1_20scan_config_selectorIdEEZZNS1_9scan_implILNS1_25lookback_scan_determinismE0ELb0ELb0ES3_PKdPddZZZN2at6native31launch_logcumsumexp_cuda_kernelERKNSB_10TensorBaseESF_lENKUlvE_clEvENKUlvE_clEvEUlddE_dEEDaPvRmT3_T4_T5_mT6_P12ihipStream_tbENKUlT_T0_E_clISt17integral_constantIbLb0EESV_IbLb1EEEEDaSR_SS_EUlSR_E0_NS1_11comp_targetILNS1_3genE0ELNS1_11target_archE4294967295ELNS1_3gpuE0ELNS1_3repE0EEENS1_30default_config_static_selectorELNS0_4arch9wavefront6targetE0EEEvT1_ ; -- Begin function _ZN7rocprim17ROCPRIM_400000_NS6detail17trampoline_kernelINS0_14default_configENS1_20scan_config_selectorIdEEZZNS1_9scan_implILNS1_25lookback_scan_determinismE0ELb0ELb0ES3_PKdPddZZZN2at6native31launch_logcumsumexp_cuda_kernelERKNSB_10TensorBaseESF_lENKUlvE_clEvENKUlvE_clEvEUlddE_dEEDaPvRmT3_T4_T5_mT6_P12ihipStream_tbENKUlT_T0_E_clISt17integral_constantIbLb0EESV_IbLb1EEEEDaSR_SS_EUlSR_E0_NS1_11comp_targetILNS1_3genE0ELNS1_11target_archE4294967295ELNS1_3gpuE0ELNS1_3repE0EEENS1_30default_config_static_selectorELNS0_4arch9wavefront6targetE0EEEvT1_
	.p2align	8
	.type	_ZN7rocprim17ROCPRIM_400000_NS6detail17trampoline_kernelINS0_14default_configENS1_20scan_config_selectorIdEEZZNS1_9scan_implILNS1_25lookback_scan_determinismE0ELb0ELb0ES3_PKdPddZZZN2at6native31launch_logcumsumexp_cuda_kernelERKNSB_10TensorBaseESF_lENKUlvE_clEvENKUlvE_clEvEUlddE_dEEDaPvRmT3_T4_T5_mT6_P12ihipStream_tbENKUlT_T0_E_clISt17integral_constantIbLb0EESV_IbLb1EEEEDaSR_SS_EUlSR_E0_NS1_11comp_targetILNS1_3genE0ELNS1_11target_archE4294967295ELNS1_3gpuE0ELNS1_3repE0EEENS1_30default_config_static_selectorELNS0_4arch9wavefront6targetE0EEEvT1_,@function
_ZN7rocprim17ROCPRIM_400000_NS6detail17trampoline_kernelINS0_14default_configENS1_20scan_config_selectorIdEEZZNS1_9scan_implILNS1_25lookback_scan_determinismE0ELb0ELb0ES3_PKdPddZZZN2at6native31launch_logcumsumexp_cuda_kernelERKNSB_10TensorBaseESF_lENKUlvE_clEvENKUlvE_clEvEUlddE_dEEDaPvRmT3_T4_T5_mT6_P12ihipStream_tbENKUlT_T0_E_clISt17integral_constantIbLb0EESV_IbLb1EEEEDaSR_SS_EUlSR_E0_NS1_11comp_targetILNS1_3genE0ELNS1_11target_archE4294967295ELNS1_3gpuE0ELNS1_3repE0EEENS1_30default_config_static_selectorELNS0_4arch9wavefront6targetE0EEEvT1_: ; @_ZN7rocprim17ROCPRIM_400000_NS6detail17trampoline_kernelINS0_14default_configENS1_20scan_config_selectorIdEEZZNS1_9scan_implILNS1_25lookback_scan_determinismE0ELb0ELb0ES3_PKdPddZZZN2at6native31launch_logcumsumexp_cuda_kernelERKNSB_10TensorBaseESF_lENKUlvE_clEvENKUlvE_clEvEUlddE_dEEDaPvRmT3_T4_T5_mT6_P12ihipStream_tbENKUlT_T0_E_clISt17integral_constantIbLb0EESV_IbLb1EEEEDaSR_SS_EUlSR_E0_NS1_11comp_targetILNS1_3genE0ELNS1_11target_archE4294967295ELNS1_3gpuE0ELNS1_3repE0EEENS1_30default_config_static_selectorELNS0_4arch9wavefront6targetE0EEEvT1_
; %bb.0:
	.section	.rodata,"a",@progbits
	.p2align	6, 0x0
	.amdhsa_kernel _ZN7rocprim17ROCPRIM_400000_NS6detail17trampoline_kernelINS0_14default_configENS1_20scan_config_selectorIdEEZZNS1_9scan_implILNS1_25lookback_scan_determinismE0ELb0ELb0ES3_PKdPddZZZN2at6native31launch_logcumsumexp_cuda_kernelERKNSB_10TensorBaseESF_lENKUlvE_clEvENKUlvE_clEvEUlddE_dEEDaPvRmT3_T4_T5_mT6_P12ihipStream_tbENKUlT_T0_E_clISt17integral_constantIbLb0EESV_IbLb1EEEEDaSR_SS_EUlSR_E0_NS1_11comp_targetILNS1_3genE0ELNS1_11target_archE4294967295ELNS1_3gpuE0ELNS1_3repE0EEENS1_30default_config_static_selectorELNS0_4arch9wavefront6targetE0EEEvT1_
		.amdhsa_group_segment_fixed_size 0
		.amdhsa_private_segment_fixed_size 0
		.amdhsa_kernarg_size 40
		.amdhsa_user_sgpr_count 2
		.amdhsa_user_sgpr_dispatch_ptr 0
		.amdhsa_user_sgpr_queue_ptr 0
		.amdhsa_user_sgpr_kernarg_segment_ptr 1
		.amdhsa_user_sgpr_dispatch_id 0
		.amdhsa_user_sgpr_private_segment_size 0
		.amdhsa_wavefront_size32 1
		.amdhsa_uses_dynamic_stack 0
		.amdhsa_enable_private_segment 0
		.amdhsa_system_sgpr_workgroup_id_x 1
		.amdhsa_system_sgpr_workgroup_id_y 0
		.amdhsa_system_sgpr_workgroup_id_z 0
		.amdhsa_system_sgpr_workgroup_info 0
		.amdhsa_system_vgpr_workitem_id 0
		.amdhsa_next_free_vgpr 1
		.amdhsa_next_free_sgpr 1
		.amdhsa_reserve_vcc 0
		.amdhsa_float_round_mode_32 0
		.amdhsa_float_round_mode_16_64 0
		.amdhsa_float_denorm_mode_32 3
		.amdhsa_float_denorm_mode_16_64 3
		.amdhsa_fp16_overflow 0
		.amdhsa_workgroup_processor_mode 1
		.amdhsa_memory_ordered 1
		.amdhsa_forward_progress 1
		.amdhsa_inst_pref_size 0
		.amdhsa_round_robin_scheduling 0
		.amdhsa_exception_fp_ieee_invalid_op 0
		.amdhsa_exception_fp_denorm_src 0
		.amdhsa_exception_fp_ieee_div_zero 0
		.amdhsa_exception_fp_ieee_overflow 0
		.amdhsa_exception_fp_ieee_underflow 0
		.amdhsa_exception_fp_ieee_inexact 0
		.amdhsa_exception_int_div_zero 0
	.end_amdhsa_kernel
	.section	.text._ZN7rocprim17ROCPRIM_400000_NS6detail17trampoline_kernelINS0_14default_configENS1_20scan_config_selectorIdEEZZNS1_9scan_implILNS1_25lookback_scan_determinismE0ELb0ELb0ES3_PKdPddZZZN2at6native31launch_logcumsumexp_cuda_kernelERKNSB_10TensorBaseESF_lENKUlvE_clEvENKUlvE_clEvEUlddE_dEEDaPvRmT3_T4_T5_mT6_P12ihipStream_tbENKUlT_T0_E_clISt17integral_constantIbLb0EESV_IbLb1EEEEDaSR_SS_EUlSR_E0_NS1_11comp_targetILNS1_3genE0ELNS1_11target_archE4294967295ELNS1_3gpuE0ELNS1_3repE0EEENS1_30default_config_static_selectorELNS0_4arch9wavefront6targetE0EEEvT1_,"axG",@progbits,_ZN7rocprim17ROCPRIM_400000_NS6detail17trampoline_kernelINS0_14default_configENS1_20scan_config_selectorIdEEZZNS1_9scan_implILNS1_25lookback_scan_determinismE0ELb0ELb0ES3_PKdPddZZZN2at6native31launch_logcumsumexp_cuda_kernelERKNSB_10TensorBaseESF_lENKUlvE_clEvENKUlvE_clEvEUlddE_dEEDaPvRmT3_T4_T5_mT6_P12ihipStream_tbENKUlT_T0_E_clISt17integral_constantIbLb0EESV_IbLb1EEEEDaSR_SS_EUlSR_E0_NS1_11comp_targetILNS1_3genE0ELNS1_11target_archE4294967295ELNS1_3gpuE0ELNS1_3repE0EEENS1_30default_config_static_selectorELNS0_4arch9wavefront6targetE0EEEvT1_,comdat
.Lfunc_end75:
	.size	_ZN7rocprim17ROCPRIM_400000_NS6detail17trampoline_kernelINS0_14default_configENS1_20scan_config_selectorIdEEZZNS1_9scan_implILNS1_25lookback_scan_determinismE0ELb0ELb0ES3_PKdPddZZZN2at6native31launch_logcumsumexp_cuda_kernelERKNSB_10TensorBaseESF_lENKUlvE_clEvENKUlvE_clEvEUlddE_dEEDaPvRmT3_T4_T5_mT6_P12ihipStream_tbENKUlT_T0_E_clISt17integral_constantIbLb0EESV_IbLb1EEEEDaSR_SS_EUlSR_E0_NS1_11comp_targetILNS1_3genE0ELNS1_11target_archE4294967295ELNS1_3gpuE0ELNS1_3repE0EEENS1_30default_config_static_selectorELNS0_4arch9wavefront6targetE0EEEvT1_, .Lfunc_end75-_ZN7rocprim17ROCPRIM_400000_NS6detail17trampoline_kernelINS0_14default_configENS1_20scan_config_selectorIdEEZZNS1_9scan_implILNS1_25lookback_scan_determinismE0ELb0ELb0ES3_PKdPddZZZN2at6native31launch_logcumsumexp_cuda_kernelERKNSB_10TensorBaseESF_lENKUlvE_clEvENKUlvE_clEvEUlddE_dEEDaPvRmT3_T4_T5_mT6_P12ihipStream_tbENKUlT_T0_E_clISt17integral_constantIbLb0EESV_IbLb1EEEEDaSR_SS_EUlSR_E0_NS1_11comp_targetILNS1_3genE0ELNS1_11target_archE4294967295ELNS1_3gpuE0ELNS1_3repE0EEENS1_30default_config_static_selectorELNS0_4arch9wavefront6targetE0EEEvT1_
                                        ; -- End function
	.set _ZN7rocprim17ROCPRIM_400000_NS6detail17trampoline_kernelINS0_14default_configENS1_20scan_config_selectorIdEEZZNS1_9scan_implILNS1_25lookback_scan_determinismE0ELb0ELb0ES3_PKdPddZZZN2at6native31launch_logcumsumexp_cuda_kernelERKNSB_10TensorBaseESF_lENKUlvE_clEvENKUlvE_clEvEUlddE_dEEDaPvRmT3_T4_T5_mT6_P12ihipStream_tbENKUlT_T0_E_clISt17integral_constantIbLb0EESV_IbLb1EEEEDaSR_SS_EUlSR_E0_NS1_11comp_targetILNS1_3genE0ELNS1_11target_archE4294967295ELNS1_3gpuE0ELNS1_3repE0EEENS1_30default_config_static_selectorELNS0_4arch9wavefront6targetE0EEEvT1_.num_vgpr, 0
	.set _ZN7rocprim17ROCPRIM_400000_NS6detail17trampoline_kernelINS0_14default_configENS1_20scan_config_selectorIdEEZZNS1_9scan_implILNS1_25lookback_scan_determinismE0ELb0ELb0ES3_PKdPddZZZN2at6native31launch_logcumsumexp_cuda_kernelERKNSB_10TensorBaseESF_lENKUlvE_clEvENKUlvE_clEvEUlddE_dEEDaPvRmT3_T4_T5_mT6_P12ihipStream_tbENKUlT_T0_E_clISt17integral_constantIbLb0EESV_IbLb1EEEEDaSR_SS_EUlSR_E0_NS1_11comp_targetILNS1_3genE0ELNS1_11target_archE4294967295ELNS1_3gpuE0ELNS1_3repE0EEENS1_30default_config_static_selectorELNS0_4arch9wavefront6targetE0EEEvT1_.num_agpr, 0
	.set _ZN7rocprim17ROCPRIM_400000_NS6detail17trampoline_kernelINS0_14default_configENS1_20scan_config_selectorIdEEZZNS1_9scan_implILNS1_25lookback_scan_determinismE0ELb0ELb0ES3_PKdPddZZZN2at6native31launch_logcumsumexp_cuda_kernelERKNSB_10TensorBaseESF_lENKUlvE_clEvENKUlvE_clEvEUlddE_dEEDaPvRmT3_T4_T5_mT6_P12ihipStream_tbENKUlT_T0_E_clISt17integral_constantIbLb0EESV_IbLb1EEEEDaSR_SS_EUlSR_E0_NS1_11comp_targetILNS1_3genE0ELNS1_11target_archE4294967295ELNS1_3gpuE0ELNS1_3repE0EEENS1_30default_config_static_selectorELNS0_4arch9wavefront6targetE0EEEvT1_.numbered_sgpr, 0
	.set _ZN7rocprim17ROCPRIM_400000_NS6detail17trampoline_kernelINS0_14default_configENS1_20scan_config_selectorIdEEZZNS1_9scan_implILNS1_25lookback_scan_determinismE0ELb0ELb0ES3_PKdPddZZZN2at6native31launch_logcumsumexp_cuda_kernelERKNSB_10TensorBaseESF_lENKUlvE_clEvENKUlvE_clEvEUlddE_dEEDaPvRmT3_T4_T5_mT6_P12ihipStream_tbENKUlT_T0_E_clISt17integral_constantIbLb0EESV_IbLb1EEEEDaSR_SS_EUlSR_E0_NS1_11comp_targetILNS1_3genE0ELNS1_11target_archE4294967295ELNS1_3gpuE0ELNS1_3repE0EEENS1_30default_config_static_selectorELNS0_4arch9wavefront6targetE0EEEvT1_.num_named_barrier, 0
	.set _ZN7rocprim17ROCPRIM_400000_NS6detail17trampoline_kernelINS0_14default_configENS1_20scan_config_selectorIdEEZZNS1_9scan_implILNS1_25lookback_scan_determinismE0ELb0ELb0ES3_PKdPddZZZN2at6native31launch_logcumsumexp_cuda_kernelERKNSB_10TensorBaseESF_lENKUlvE_clEvENKUlvE_clEvEUlddE_dEEDaPvRmT3_T4_T5_mT6_P12ihipStream_tbENKUlT_T0_E_clISt17integral_constantIbLb0EESV_IbLb1EEEEDaSR_SS_EUlSR_E0_NS1_11comp_targetILNS1_3genE0ELNS1_11target_archE4294967295ELNS1_3gpuE0ELNS1_3repE0EEENS1_30default_config_static_selectorELNS0_4arch9wavefront6targetE0EEEvT1_.private_seg_size, 0
	.set _ZN7rocprim17ROCPRIM_400000_NS6detail17trampoline_kernelINS0_14default_configENS1_20scan_config_selectorIdEEZZNS1_9scan_implILNS1_25lookback_scan_determinismE0ELb0ELb0ES3_PKdPddZZZN2at6native31launch_logcumsumexp_cuda_kernelERKNSB_10TensorBaseESF_lENKUlvE_clEvENKUlvE_clEvEUlddE_dEEDaPvRmT3_T4_T5_mT6_P12ihipStream_tbENKUlT_T0_E_clISt17integral_constantIbLb0EESV_IbLb1EEEEDaSR_SS_EUlSR_E0_NS1_11comp_targetILNS1_3genE0ELNS1_11target_archE4294967295ELNS1_3gpuE0ELNS1_3repE0EEENS1_30default_config_static_selectorELNS0_4arch9wavefront6targetE0EEEvT1_.uses_vcc, 0
	.set _ZN7rocprim17ROCPRIM_400000_NS6detail17trampoline_kernelINS0_14default_configENS1_20scan_config_selectorIdEEZZNS1_9scan_implILNS1_25lookback_scan_determinismE0ELb0ELb0ES3_PKdPddZZZN2at6native31launch_logcumsumexp_cuda_kernelERKNSB_10TensorBaseESF_lENKUlvE_clEvENKUlvE_clEvEUlddE_dEEDaPvRmT3_T4_T5_mT6_P12ihipStream_tbENKUlT_T0_E_clISt17integral_constantIbLb0EESV_IbLb1EEEEDaSR_SS_EUlSR_E0_NS1_11comp_targetILNS1_3genE0ELNS1_11target_archE4294967295ELNS1_3gpuE0ELNS1_3repE0EEENS1_30default_config_static_selectorELNS0_4arch9wavefront6targetE0EEEvT1_.uses_flat_scratch, 0
	.set _ZN7rocprim17ROCPRIM_400000_NS6detail17trampoline_kernelINS0_14default_configENS1_20scan_config_selectorIdEEZZNS1_9scan_implILNS1_25lookback_scan_determinismE0ELb0ELb0ES3_PKdPddZZZN2at6native31launch_logcumsumexp_cuda_kernelERKNSB_10TensorBaseESF_lENKUlvE_clEvENKUlvE_clEvEUlddE_dEEDaPvRmT3_T4_T5_mT6_P12ihipStream_tbENKUlT_T0_E_clISt17integral_constantIbLb0EESV_IbLb1EEEEDaSR_SS_EUlSR_E0_NS1_11comp_targetILNS1_3genE0ELNS1_11target_archE4294967295ELNS1_3gpuE0ELNS1_3repE0EEENS1_30default_config_static_selectorELNS0_4arch9wavefront6targetE0EEEvT1_.has_dyn_sized_stack, 0
	.set _ZN7rocprim17ROCPRIM_400000_NS6detail17trampoline_kernelINS0_14default_configENS1_20scan_config_selectorIdEEZZNS1_9scan_implILNS1_25lookback_scan_determinismE0ELb0ELb0ES3_PKdPddZZZN2at6native31launch_logcumsumexp_cuda_kernelERKNSB_10TensorBaseESF_lENKUlvE_clEvENKUlvE_clEvEUlddE_dEEDaPvRmT3_T4_T5_mT6_P12ihipStream_tbENKUlT_T0_E_clISt17integral_constantIbLb0EESV_IbLb1EEEEDaSR_SS_EUlSR_E0_NS1_11comp_targetILNS1_3genE0ELNS1_11target_archE4294967295ELNS1_3gpuE0ELNS1_3repE0EEENS1_30default_config_static_selectorELNS0_4arch9wavefront6targetE0EEEvT1_.has_recursion, 0
	.set _ZN7rocprim17ROCPRIM_400000_NS6detail17trampoline_kernelINS0_14default_configENS1_20scan_config_selectorIdEEZZNS1_9scan_implILNS1_25lookback_scan_determinismE0ELb0ELb0ES3_PKdPddZZZN2at6native31launch_logcumsumexp_cuda_kernelERKNSB_10TensorBaseESF_lENKUlvE_clEvENKUlvE_clEvEUlddE_dEEDaPvRmT3_T4_T5_mT6_P12ihipStream_tbENKUlT_T0_E_clISt17integral_constantIbLb0EESV_IbLb1EEEEDaSR_SS_EUlSR_E0_NS1_11comp_targetILNS1_3genE0ELNS1_11target_archE4294967295ELNS1_3gpuE0ELNS1_3repE0EEENS1_30default_config_static_selectorELNS0_4arch9wavefront6targetE0EEEvT1_.has_indirect_call, 0
	.section	.AMDGPU.csdata,"",@progbits
; Kernel info:
; codeLenInByte = 0
; TotalNumSgprs: 0
; NumVgprs: 0
; ScratchSize: 0
; MemoryBound: 0
; FloatMode: 240
; IeeeMode: 1
; LDSByteSize: 0 bytes/workgroup (compile time only)
; SGPRBlocks: 0
; VGPRBlocks: 0
; NumSGPRsForWavesPerEU: 1
; NumVGPRsForWavesPerEU: 1
; Occupancy: 16
; WaveLimiterHint : 0
; COMPUTE_PGM_RSRC2:SCRATCH_EN: 0
; COMPUTE_PGM_RSRC2:USER_SGPR: 2
; COMPUTE_PGM_RSRC2:TRAP_HANDLER: 0
; COMPUTE_PGM_RSRC2:TGID_X_EN: 1
; COMPUTE_PGM_RSRC2:TGID_Y_EN: 0
; COMPUTE_PGM_RSRC2:TGID_Z_EN: 0
; COMPUTE_PGM_RSRC2:TIDIG_COMP_CNT: 0
	.section	.text._ZN7rocprim17ROCPRIM_400000_NS6detail17trampoline_kernelINS0_14default_configENS1_20scan_config_selectorIdEEZZNS1_9scan_implILNS1_25lookback_scan_determinismE0ELb0ELb0ES3_PKdPddZZZN2at6native31launch_logcumsumexp_cuda_kernelERKNSB_10TensorBaseESF_lENKUlvE_clEvENKUlvE_clEvEUlddE_dEEDaPvRmT3_T4_T5_mT6_P12ihipStream_tbENKUlT_T0_E_clISt17integral_constantIbLb0EESV_IbLb1EEEEDaSR_SS_EUlSR_E0_NS1_11comp_targetILNS1_3genE5ELNS1_11target_archE942ELNS1_3gpuE9ELNS1_3repE0EEENS1_30default_config_static_selectorELNS0_4arch9wavefront6targetE0EEEvT1_,"axG",@progbits,_ZN7rocprim17ROCPRIM_400000_NS6detail17trampoline_kernelINS0_14default_configENS1_20scan_config_selectorIdEEZZNS1_9scan_implILNS1_25lookback_scan_determinismE0ELb0ELb0ES3_PKdPddZZZN2at6native31launch_logcumsumexp_cuda_kernelERKNSB_10TensorBaseESF_lENKUlvE_clEvENKUlvE_clEvEUlddE_dEEDaPvRmT3_T4_T5_mT6_P12ihipStream_tbENKUlT_T0_E_clISt17integral_constantIbLb0EESV_IbLb1EEEEDaSR_SS_EUlSR_E0_NS1_11comp_targetILNS1_3genE5ELNS1_11target_archE942ELNS1_3gpuE9ELNS1_3repE0EEENS1_30default_config_static_selectorELNS0_4arch9wavefront6targetE0EEEvT1_,comdat
	.globl	_ZN7rocprim17ROCPRIM_400000_NS6detail17trampoline_kernelINS0_14default_configENS1_20scan_config_selectorIdEEZZNS1_9scan_implILNS1_25lookback_scan_determinismE0ELb0ELb0ES3_PKdPddZZZN2at6native31launch_logcumsumexp_cuda_kernelERKNSB_10TensorBaseESF_lENKUlvE_clEvENKUlvE_clEvEUlddE_dEEDaPvRmT3_T4_T5_mT6_P12ihipStream_tbENKUlT_T0_E_clISt17integral_constantIbLb0EESV_IbLb1EEEEDaSR_SS_EUlSR_E0_NS1_11comp_targetILNS1_3genE5ELNS1_11target_archE942ELNS1_3gpuE9ELNS1_3repE0EEENS1_30default_config_static_selectorELNS0_4arch9wavefront6targetE0EEEvT1_ ; -- Begin function _ZN7rocprim17ROCPRIM_400000_NS6detail17trampoline_kernelINS0_14default_configENS1_20scan_config_selectorIdEEZZNS1_9scan_implILNS1_25lookback_scan_determinismE0ELb0ELb0ES3_PKdPddZZZN2at6native31launch_logcumsumexp_cuda_kernelERKNSB_10TensorBaseESF_lENKUlvE_clEvENKUlvE_clEvEUlddE_dEEDaPvRmT3_T4_T5_mT6_P12ihipStream_tbENKUlT_T0_E_clISt17integral_constantIbLb0EESV_IbLb1EEEEDaSR_SS_EUlSR_E0_NS1_11comp_targetILNS1_3genE5ELNS1_11target_archE942ELNS1_3gpuE9ELNS1_3repE0EEENS1_30default_config_static_selectorELNS0_4arch9wavefront6targetE0EEEvT1_
	.p2align	8
	.type	_ZN7rocprim17ROCPRIM_400000_NS6detail17trampoline_kernelINS0_14default_configENS1_20scan_config_selectorIdEEZZNS1_9scan_implILNS1_25lookback_scan_determinismE0ELb0ELb0ES3_PKdPddZZZN2at6native31launch_logcumsumexp_cuda_kernelERKNSB_10TensorBaseESF_lENKUlvE_clEvENKUlvE_clEvEUlddE_dEEDaPvRmT3_T4_T5_mT6_P12ihipStream_tbENKUlT_T0_E_clISt17integral_constantIbLb0EESV_IbLb1EEEEDaSR_SS_EUlSR_E0_NS1_11comp_targetILNS1_3genE5ELNS1_11target_archE942ELNS1_3gpuE9ELNS1_3repE0EEENS1_30default_config_static_selectorELNS0_4arch9wavefront6targetE0EEEvT1_,@function
_ZN7rocprim17ROCPRIM_400000_NS6detail17trampoline_kernelINS0_14default_configENS1_20scan_config_selectorIdEEZZNS1_9scan_implILNS1_25lookback_scan_determinismE0ELb0ELb0ES3_PKdPddZZZN2at6native31launch_logcumsumexp_cuda_kernelERKNSB_10TensorBaseESF_lENKUlvE_clEvENKUlvE_clEvEUlddE_dEEDaPvRmT3_T4_T5_mT6_P12ihipStream_tbENKUlT_T0_E_clISt17integral_constantIbLb0EESV_IbLb1EEEEDaSR_SS_EUlSR_E0_NS1_11comp_targetILNS1_3genE5ELNS1_11target_archE942ELNS1_3gpuE9ELNS1_3repE0EEENS1_30default_config_static_selectorELNS0_4arch9wavefront6targetE0EEEvT1_: ; @_ZN7rocprim17ROCPRIM_400000_NS6detail17trampoline_kernelINS0_14default_configENS1_20scan_config_selectorIdEEZZNS1_9scan_implILNS1_25lookback_scan_determinismE0ELb0ELb0ES3_PKdPddZZZN2at6native31launch_logcumsumexp_cuda_kernelERKNSB_10TensorBaseESF_lENKUlvE_clEvENKUlvE_clEvEUlddE_dEEDaPvRmT3_T4_T5_mT6_P12ihipStream_tbENKUlT_T0_E_clISt17integral_constantIbLb0EESV_IbLb1EEEEDaSR_SS_EUlSR_E0_NS1_11comp_targetILNS1_3genE5ELNS1_11target_archE942ELNS1_3gpuE9ELNS1_3repE0EEENS1_30default_config_static_selectorELNS0_4arch9wavefront6targetE0EEEvT1_
; %bb.0:
	.section	.rodata,"a",@progbits
	.p2align	6, 0x0
	.amdhsa_kernel _ZN7rocprim17ROCPRIM_400000_NS6detail17trampoline_kernelINS0_14default_configENS1_20scan_config_selectorIdEEZZNS1_9scan_implILNS1_25lookback_scan_determinismE0ELb0ELb0ES3_PKdPddZZZN2at6native31launch_logcumsumexp_cuda_kernelERKNSB_10TensorBaseESF_lENKUlvE_clEvENKUlvE_clEvEUlddE_dEEDaPvRmT3_T4_T5_mT6_P12ihipStream_tbENKUlT_T0_E_clISt17integral_constantIbLb0EESV_IbLb1EEEEDaSR_SS_EUlSR_E0_NS1_11comp_targetILNS1_3genE5ELNS1_11target_archE942ELNS1_3gpuE9ELNS1_3repE0EEENS1_30default_config_static_selectorELNS0_4arch9wavefront6targetE0EEEvT1_
		.amdhsa_group_segment_fixed_size 0
		.amdhsa_private_segment_fixed_size 0
		.amdhsa_kernarg_size 40
		.amdhsa_user_sgpr_count 2
		.amdhsa_user_sgpr_dispatch_ptr 0
		.amdhsa_user_sgpr_queue_ptr 0
		.amdhsa_user_sgpr_kernarg_segment_ptr 1
		.amdhsa_user_sgpr_dispatch_id 0
		.amdhsa_user_sgpr_private_segment_size 0
		.amdhsa_wavefront_size32 1
		.amdhsa_uses_dynamic_stack 0
		.amdhsa_enable_private_segment 0
		.amdhsa_system_sgpr_workgroup_id_x 1
		.amdhsa_system_sgpr_workgroup_id_y 0
		.amdhsa_system_sgpr_workgroup_id_z 0
		.amdhsa_system_sgpr_workgroup_info 0
		.amdhsa_system_vgpr_workitem_id 0
		.amdhsa_next_free_vgpr 1
		.amdhsa_next_free_sgpr 1
		.amdhsa_reserve_vcc 0
		.amdhsa_float_round_mode_32 0
		.amdhsa_float_round_mode_16_64 0
		.amdhsa_float_denorm_mode_32 3
		.amdhsa_float_denorm_mode_16_64 3
		.amdhsa_fp16_overflow 0
		.amdhsa_workgroup_processor_mode 1
		.amdhsa_memory_ordered 1
		.amdhsa_forward_progress 1
		.amdhsa_inst_pref_size 0
		.amdhsa_round_robin_scheduling 0
		.amdhsa_exception_fp_ieee_invalid_op 0
		.amdhsa_exception_fp_denorm_src 0
		.amdhsa_exception_fp_ieee_div_zero 0
		.amdhsa_exception_fp_ieee_overflow 0
		.amdhsa_exception_fp_ieee_underflow 0
		.amdhsa_exception_fp_ieee_inexact 0
		.amdhsa_exception_int_div_zero 0
	.end_amdhsa_kernel
	.section	.text._ZN7rocprim17ROCPRIM_400000_NS6detail17trampoline_kernelINS0_14default_configENS1_20scan_config_selectorIdEEZZNS1_9scan_implILNS1_25lookback_scan_determinismE0ELb0ELb0ES3_PKdPddZZZN2at6native31launch_logcumsumexp_cuda_kernelERKNSB_10TensorBaseESF_lENKUlvE_clEvENKUlvE_clEvEUlddE_dEEDaPvRmT3_T4_T5_mT6_P12ihipStream_tbENKUlT_T0_E_clISt17integral_constantIbLb0EESV_IbLb1EEEEDaSR_SS_EUlSR_E0_NS1_11comp_targetILNS1_3genE5ELNS1_11target_archE942ELNS1_3gpuE9ELNS1_3repE0EEENS1_30default_config_static_selectorELNS0_4arch9wavefront6targetE0EEEvT1_,"axG",@progbits,_ZN7rocprim17ROCPRIM_400000_NS6detail17trampoline_kernelINS0_14default_configENS1_20scan_config_selectorIdEEZZNS1_9scan_implILNS1_25lookback_scan_determinismE0ELb0ELb0ES3_PKdPddZZZN2at6native31launch_logcumsumexp_cuda_kernelERKNSB_10TensorBaseESF_lENKUlvE_clEvENKUlvE_clEvEUlddE_dEEDaPvRmT3_T4_T5_mT6_P12ihipStream_tbENKUlT_T0_E_clISt17integral_constantIbLb0EESV_IbLb1EEEEDaSR_SS_EUlSR_E0_NS1_11comp_targetILNS1_3genE5ELNS1_11target_archE942ELNS1_3gpuE9ELNS1_3repE0EEENS1_30default_config_static_selectorELNS0_4arch9wavefront6targetE0EEEvT1_,comdat
.Lfunc_end76:
	.size	_ZN7rocprim17ROCPRIM_400000_NS6detail17trampoline_kernelINS0_14default_configENS1_20scan_config_selectorIdEEZZNS1_9scan_implILNS1_25lookback_scan_determinismE0ELb0ELb0ES3_PKdPddZZZN2at6native31launch_logcumsumexp_cuda_kernelERKNSB_10TensorBaseESF_lENKUlvE_clEvENKUlvE_clEvEUlddE_dEEDaPvRmT3_T4_T5_mT6_P12ihipStream_tbENKUlT_T0_E_clISt17integral_constantIbLb0EESV_IbLb1EEEEDaSR_SS_EUlSR_E0_NS1_11comp_targetILNS1_3genE5ELNS1_11target_archE942ELNS1_3gpuE9ELNS1_3repE0EEENS1_30default_config_static_selectorELNS0_4arch9wavefront6targetE0EEEvT1_, .Lfunc_end76-_ZN7rocprim17ROCPRIM_400000_NS6detail17trampoline_kernelINS0_14default_configENS1_20scan_config_selectorIdEEZZNS1_9scan_implILNS1_25lookback_scan_determinismE0ELb0ELb0ES3_PKdPddZZZN2at6native31launch_logcumsumexp_cuda_kernelERKNSB_10TensorBaseESF_lENKUlvE_clEvENKUlvE_clEvEUlddE_dEEDaPvRmT3_T4_T5_mT6_P12ihipStream_tbENKUlT_T0_E_clISt17integral_constantIbLb0EESV_IbLb1EEEEDaSR_SS_EUlSR_E0_NS1_11comp_targetILNS1_3genE5ELNS1_11target_archE942ELNS1_3gpuE9ELNS1_3repE0EEENS1_30default_config_static_selectorELNS0_4arch9wavefront6targetE0EEEvT1_
                                        ; -- End function
	.set _ZN7rocprim17ROCPRIM_400000_NS6detail17trampoline_kernelINS0_14default_configENS1_20scan_config_selectorIdEEZZNS1_9scan_implILNS1_25lookback_scan_determinismE0ELb0ELb0ES3_PKdPddZZZN2at6native31launch_logcumsumexp_cuda_kernelERKNSB_10TensorBaseESF_lENKUlvE_clEvENKUlvE_clEvEUlddE_dEEDaPvRmT3_T4_T5_mT6_P12ihipStream_tbENKUlT_T0_E_clISt17integral_constantIbLb0EESV_IbLb1EEEEDaSR_SS_EUlSR_E0_NS1_11comp_targetILNS1_3genE5ELNS1_11target_archE942ELNS1_3gpuE9ELNS1_3repE0EEENS1_30default_config_static_selectorELNS0_4arch9wavefront6targetE0EEEvT1_.num_vgpr, 0
	.set _ZN7rocprim17ROCPRIM_400000_NS6detail17trampoline_kernelINS0_14default_configENS1_20scan_config_selectorIdEEZZNS1_9scan_implILNS1_25lookback_scan_determinismE0ELb0ELb0ES3_PKdPddZZZN2at6native31launch_logcumsumexp_cuda_kernelERKNSB_10TensorBaseESF_lENKUlvE_clEvENKUlvE_clEvEUlddE_dEEDaPvRmT3_T4_T5_mT6_P12ihipStream_tbENKUlT_T0_E_clISt17integral_constantIbLb0EESV_IbLb1EEEEDaSR_SS_EUlSR_E0_NS1_11comp_targetILNS1_3genE5ELNS1_11target_archE942ELNS1_3gpuE9ELNS1_3repE0EEENS1_30default_config_static_selectorELNS0_4arch9wavefront6targetE0EEEvT1_.num_agpr, 0
	.set _ZN7rocprim17ROCPRIM_400000_NS6detail17trampoline_kernelINS0_14default_configENS1_20scan_config_selectorIdEEZZNS1_9scan_implILNS1_25lookback_scan_determinismE0ELb0ELb0ES3_PKdPddZZZN2at6native31launch_logcumsumexp_cuda_kernelERKNSB_10TensorBaseESF_lENKUlvE_clEvENKUlvE_clEvEUlddE_dEEDaPvRmT3_T4_T5_mT6_P12ihipStream_tbENKUlT_T0_E_clISt17integral_constantIbLb0EESV_IbLb1EEEEDaSR_SS_EUlSR_E0_NS1_11comp_targetILNS1_3genE5ELNS1_11target_archE942ELNS1_3gpuE9ELNS1_3repE0EEENS1_30default_config_static_selectorELNS0_4arch9wavefront6targetE0EEEvT1_.numbered_sgpr, 0
	.set _ZN7rocprim17ROCPRIM_400000_NS6detail17trampoline_kernelINS0_14default_configENS1_20scan_config_selectorIdEEZZNS1_9scan_implILNS1_25lookback_scan_determinismE0ELb0ELb0ES3_PKdPddZZZN2at6native31launch_logcumsumexp_cuda_kernelERKNSB_10TensorBaseESF_lENKUlvE_clEvENKUlvE_clEvEUlddE_dEEDaPvRmT3_T4_T5_mT6_P12ihipStream_tbENKUlT_T0_E_clISt17integral_constantIbLb0EESV_IbLb1EEEEDaSR_SS_EUlSR_E0_NS1_11comp_targetILNS1_3genE5ELNS1_11target_archE942ELNS1_3gpuE9ELNS1_3repE0EEENS1_30default_config_static_selectorELNS0_4arch9wavefront6targetE0EEEvT1_.num_named_barrier, 0
	.set _ZN7rocprim17ROCPRIM_400000_NS6detail17trampoline_kernelINS0_14default_configENS1_20scan_config_selectorIdEEZZNS1_9scan_implILNS1_25lookback_scan_determinismE0ELb0ELb0ES3_PKdPddZZZN2at6native31launch_logcumsumexp_cuda_kernelERKNSB_10TensorBaseESF_lENKUlvE_clEvENKUlvE_clEvEUlddE_dEEDaPvRmT3_T4_T5_mT6_P12ihipStream_tbENKUlT_T0_E_clISt17integral_constantIbLb0EESV_IbLb1EEEEDaSR_SS_EUlSR_E0_NS1_11comp_targetILNS1_3genE5ELNS1_11target_archE942ELNS1_3gpuE9ELNS1_3repE0EEENS1_30default_config_static_selectorELNS0_4arch9wavefront6targetE0EEEvT1_.private_seg_size, 0
	.set _ZN7rocprim17ROCPRIM_400000_NS6detail17trampoline_kernelINS0_14default_configENS1_20scan_config_selectorIdEEZZNS1_9scan_implILNS1_25lookback_scan_determinismE0ELb0ELb0ES3_PKdPddZZZN2at6native31launch_logcumsumexp_cuda_kernelERKNSB_10TensorBaseESF_lENKUlvE_clEvENKUlvE_clEvEUlddE_dEEDaPvRmT3_T4_T5_mT6_P12ihipStream_tbENKUlT_T0_E_clISt17integral_constantIbLb0EESV_IbLb1EEEEDaSR_SS_EUlSR_E0_NS1_11comp_targetILNS1_3genE5ELNS1_11target_archE942ELNS1_3gpuE9ELNS1_3repE0EEENS1_30default_config_static_selectorELNS0_4arch9wavefront6targetE0EEEvT1_.uses_vcc, 0
	.set _ZN7rocprim17ROCPRIM_400000_NS6detail17trampoline_kernelINS0_14default_configENS1_20scan_config_selectorIdEEZZNS1_9scan_implILNS1_25lookback_scan_determinismE0ELb0ELb0ES3_PKdPddZZZN2at6native31launch_logcumsumexp_cuda_kernelERKNSB_10TensorBaseESF_lENKUlvE_clEvENKUlvE_clEvEUlddE_dEEDaPvRmT3_T4_T5_mT6_P12ihipStream_tbENKUlT_T0_E_clISt17integral_constantIbLb0EESV_IbLb1EEEEDaSR_SS_EUlSR_E0_NS1_11comp_targetILNS1_3genE5ELNS1_11target_archE942ELNS1_3gpuE9ELNS1_3repE0EEENS1_30default_config_static_selectorELNS0_4arch9wavefront6targetE0EEEvT1_.uses_flat_scratch, 0
	.set _ZN7rocprim17ROCPRIM_400000_NS6detail17trampoline_kernelINS0_14default_configENS1_20scan_config_selectorIdEEZZNS1_9scan_implILNS1_25lookback_scan_determinismE0ELb0ELb0ES3_PKdPddZZZN2at6native31launch_logcumsumexp_cuda_kernelERKNSB_10TensorBaseESF_lENKUlvE_clEvENKUlvE_clEvEUlddE_dEEDaPvRmT3_T4_T5_mT6_P12ihipStream_tbENKUlT_T0_E_clISt17integral_constantIbLb0EESV_IbLb1EEEEDaSR_SS_EUlSR_E0_NS1_11comp_targetILNS1_3genE5ELNS1_11target_archE942ELNS1_3gpuE9ELNS1_3repE0EEENS1_30default_config_static_selectorELNS0_4arch9wavefront6targetE0EEEvT1_.has_dyn_sized_stack, 0
	.set _ZN7rocprim17ROCPRIM_400000_NS6detail17trampoline_kernelINS0_14default_configENS1_20scan_config_selectorIdEEZZNS1_9scan_implILNS1_25lookback_scan_determinismE0ELb0ELb0ES3_PKdPddZZZN2at6native31launch_logcumsumexp_cuda_kernelERKNSB_10TensorBaseESF_lENKUlvE_clEvENKUlvE_clEvEUlddE_dEEDaPvRmT3_T4_T5_mT6_P12ihipStream_tbENKUlT_T0_E_clISt17integral_constantIbLb0EESV_IbLb1EEEEDaSR_SS_EUlSR_E0_NS1_11comp_targetILNS1_3genE5ELNS1_11target_archE942ELNS1_3gpuE9ELNS1_3repE0EEENS1_30default_config_static_selectorELNS0_4arch9wavefront6targetE0EEEvT1_.has_recursion, 0
	.set _ZN7rocprim17ROCPRIM_400000_NS6detail17trampoline_kernelINS0_14default_configENS1_20scan_config_selectorIdEEZZNS1_9scan_implILNS1_25lookback_scan_determinismE0ELb0ELb0ES3_PKdPddZZZN2at6native31launch_logcumsumexp_cuda_kernelERKNSB_10TensorBaseESF_lENKUlvE_clEvENKUlvE_clEvEUlddE_dEEDaPvRmT3_T4_T5_mT6_P12ihipStream_tbENKUlT_T0_E_clISt17integral_constantIbLb0EESV_IbLb1EEEEDaSR_SS_EUlSR_E0_NS1_11comp_targetILNS1_3genE5ELNS1_11target_archE942ELNS1_3gpuE9ELNS1_3repE0EEENS1_30default_config_static_selectorELNS0_4arch9wavefront6targetE0EEEvT1_.has_indirect_call, 0
	.section	.AMDGPU.csdata,"",@progbits
; Kernel info:
; codeLenInByte = 0
; TotalNumSgprs: 0
; NumVgprs: 0
; ScratchSize: 0
; MemoryBound: 0
; FloatMode: 240
; IeeeMode: 1
; LDSByteSize: 0 bytes/workgroup (compile time only)
; SGPRBlocks: 0
; VGPRBlocks: 0
; NumSGPRsForWavesPerEU: 1
; NumVGPRsForWavesPerEU: 1
; Occupancy: 16
; WaveLimiterHint : 0
; COMPUTE_PGM_RSRC2:SCRATCH_EN: 0
; COMPUTE_PGM_RSRC2:USER_SGPR: 2
; COMPUTE_PGM_RSRC2:TRAP_HANDLER: 0
; COMPUTE_PGM_RSRC2:TGID_X_EN: 1
; COMPUTE_PGM_RSRC2:TGID_Y_EN: 0
; COMPUTE_PGM_RSRC2:TGID_Z_EN: 0
; COMPUTE_PGM_RSRC2:TIDIG_COMP_CNT: 0
	.section	.text._ZN7rocprim17ROCPRIM_400000_NS6detail17trampoline_kernelINS0_14default_configENS1_20scan_config_selectorIdEEZZNS1_9scan_implILNS1_25lookback_scan_determinismE0ELb0ELb0ES3_PKdPddZZZN2at6native31launch_logcumsumexp_cuda_kernelERKNSB_10TensorBaseESF_lENKUlvE_clEvENKUlvE_clEvEUlddE_dEEDaPvRmT3_T4_T5_mT6_P12ihipStream_tbENKUlT_T0_E_clISt17integral_constantIbLb0EESV_IbLb1EEEEDaSR_SS_EUlSR_E0_NS1_11comp_targetILNS1_3genE4ELNS1_11target_archE910ELNS1_3gpuE8ELNS1_3repE0EEENS1_30default_config_static_selectorELNS0_4arch9wavefront6targetE0EEEvT1_,"axG",@progbits,_ZN7rocprim17ROCPRIM_400000_NS6detail17trampoline_kernelINS0_14default_configENS1_20scan_config_selectorIdEEZZNS1_9scan_implILNS1_25lookback_scan_determinismE0ELb0ELb0ES3_PKdPddZZZN2at6native31launch_logcumsumexp_cuda_kernelERKNSB_10TensorBaseESF_lENKUlvE_clEvENKUlvE_clEvEUlddE_dEEDaPvRmT3_T4_T5_mT6_P12ihipStream_tbENKUlT_T0_E_clISt17integral_constantIbLb0EESV_IbLb1EEEEDaSR_SS_EUlSR_E0_NS1_11comp_targetILNS1_3genE4ELNS1_11target_archE910ELNS1_3gpuE8ELNS1_3repE0EEENS1_30default_config_static_selectorELNS0_4arch9wavefront6targetE0EEEvT1_,comdat
	.globl	_ZN7rocprim17ROCPRIM_400000_NS6detail17trampoline_kernelINS0_14default_configENS1_20scan_config_selectorIdEEZZNS1_9scan_implILNS1_25lookback_scan_determinismE0ELb0ELb0ES3_PKdPddZZZN2at6native31launch_logcumsumexp_cuda_kernelERKNSB_10TensorBaseESF_lENKUlvE_clEvENKUlvE_clEvEUlddE_dEEDaPvRmT3_T4_T5_mT6_P12ihipStream_tbENKUlT_T0_E_clISt17integral_constantIbLb0EESV_IbLb1EEEEDaSR_SS_EUlSR_E0_NS1_11comp_targetILNS1_3genE4ELNS1_11target_archE910ELNS1_3gpuE8ELNS1_3repE0EEENS1_30default_config_static_selectorELNS0_4arch9wavefront6targetE0EEEvT1_ ; -- Begin function _ZN7rocprim17ROCPRIM_400000_NS6detail17trampoline_kernelINS0_14default_configENS1_20scan_config_selectorIdEEZZNS1_9scan_implILNS1_25lookback_scan_determinismE0ELb0ELb0ES3_PKdPddZZZN2at6native31launch_logcumsumexp_cuda_kernelERKNSB_10TensorBaseESF_lENKUlvE_clEvENKUlvE_clEvEUlddE_dEEDaPvRmT3_T4_T5_mT6_P12ihipStream_tbENKUlT_T0_E_clISt17integral_constantIbLb0EESV_IbLb1EEEEDaSR_SS_EUlSR_E0_NS1_11comp_targetILNS1_3genE4ELNS1_11target_archE910ELNS1_3gpuE8ELNS1_3repE0EEENS1_30default_config_static_selectorELNS0_4arch9wavefront6targetE0EEEvT1_
	.p2align	8
	.type	_ZN7rocprim17ROCPRIM_400000_NS6detail17trampoline_kernelINS0_14default_configENS1_20scan_config_selectorIdEEZZNS1_9scan_implILNS1_25lookback_scan_determinismE0ELb0ELb0ES3_PKdPddZZZN2at6native31launch_logcumsumexp_cuda_kernelERKNSB_10TensorBaseESF_lENKUlvE_clEvENKUlvE_clEvEUlddE_dEEDaPvRmT3_T4_T5_mT6_P12ihipStream_tbENKUlT_T0_E_clISt17integral_constantIbLb0EESV_IbLb1EEEEDaSR_SS_EUlSR_E0_NS1_11comp_targetILNS1_3genE4ELNS1_11target_archE910ELNS1_3gpuE8ELNS1_3repE0EEENS1_30default_config_static_selectorELNS0_4arch9wavefront6targetE0EEEvT1_,@function
_ZN7rocprim17ROCPRIM_400000_NS6detail17trampoline_kernelINS0_14default_configENS1_20scan_config_selectorIdEEZZNS1_9scan_implILNS1_25lookback_scan_determinismE0ELb0ELb0ES3_PKdPddZZZN2at6native31launch_logcumsumexp_cuda_kernelERKNSB_10TensorBaseESF_lENKUlvE_clEvENKUlvE_clEvEUlddE_dEEDaPvRmT3_T4_T5_mT6_P12ihipStream_tbENKUlT_T0_E_clISt17integral_constantIbLb0EESV_IbLb1EEEEDaSR_SS_EUlSR_E0_NS1_11comp_targetILNS1_3genE4ELNS1_11target_archE910ELNS1_3gpuE8ELNS1_3repE0EEENS1_30default_config_static_selectorELNS0_4arch9wavefront6targetE0EEEvT1_: ; @_ZN7rocprim17ROCPRIM_400000_NS6detail17trampoline_kernelINS0_14default_configENS1_20scan_config_selectorIdEEZZNS1_9scan_implILNS1_25lookback_scan_determinismE0ELb0ELb0ES3_PKdPddZZZN2at6native31launch_logcumsumexp_cuda_kernelERKNSB_10TensorBaseESF_lENKUlvE_clEvENKUlvE_clEvEUlddE_dEEDaPvRmT3_T4_T5_mT6_P12ihipStream_tbENKUlT_T0_E_clISt17integral_constantIbLb0EESV_IbLb1EEEEDaSR_SS_EUlSR_E0_NS1_11comp_targetILNS1_3genE4ELNS1_11target_archE910ELNS1_3gpuE8ELNS1_3repE0EEENS1_30default_config_static_selectorELNS0_4arch9wavefront6targetE0EEEvT1_
; %bb.0:
	.section	.rodata,"a",@progbits
	.p2align	6, 0x0
	.amdhsa_kernel _ZN7rocprim17ROCPRIM_400000_NS6detail17trampoline_kernelINS0_14default_configENS1_20scan_config_selectorIdEEZZNS1_9scan_implILNS1_25lookback_scan_determinismE0ELb0ELb0ES3_PKdPddZZZN2at6native31launch_logcumsumexp_cuda_kernelERKNSB_10TensorBaseESF_lENKUlvE_clEvENKUlvE_clEvEUlddE_dEEDaPvRmT3_T4_T5_mT6_P12ihipStream_tbENKUlT_T0_E_clISt17integral_constantIbLb0EESV_IbLb1EEEEDaSR_SS_EUlSR_E0_NS1_11comp_targetILNS1_3genE4ELNS1_11target_archE910ELNS1_3gpuE8ELNS1_3repE0EEENS1_30default_config_static_selectorELNS0_4arch9wavefront6targetE0EEEvT1_
		.amdhsa_group_segment_fixed_size 0
		.amdhsa_private_segment_fixed_size 0
		.amdhsa_kernarg_size 40
		.amdhsa_user_sgpr_count 2
		.amdhsa_user_sgpr_dispatch_ptr 0
		.amdhsa_user_sgpr_queue_ptr 0
		.amdhsa_user_sgpr_kernarg_segment_ptr 1
		.amdhsa_user_sgpr_dispatch_id 0
		.amdhsa_user_sgpr_private_segment_size 0
		.amdhsa_wavefront_size32 1
		.amdhsa_uses_dynamic_stack 0
		.amdhsa_enable_private_segment 0
		.amdhsa_system_sgpr_workgroup_id_x 1
		.amdhsa_system_sgpr_workgroup_id_y 0
		.amdhsa_system_sgpr_workgroup_id_z 0
		.amdhsa_system_sgpr_workgroup_info 0
		.amdhsa_system_vgpr_workitem_id 0
		.amdhsa_next_free_vgpr 1
		.amdhsa_next_free_sgpr 1
		.amdhsa_reserve_vcc 0
		.amdhsa_float_round_mode_32 0
		.amdhsa_float_round_mode_16_64 0
		.amdhsa_float_denorm_mode_32 3
		.amdhsa_float_denorm_mode_16_64 3
		.amdhsa_fp16_overflow 0
		.amdhsa_workgroup_processor_mode 1
		.amdhsa_memory_ordered 1
		.amdhsa_forward_progress 1
		.amdhsa_inst_pref_size 0
		.amdhsa_round_robin_scheduling 0
		.amdhsa_exception_fp_ieee_invalid_op 0
		.amdhsa_exception_fp_denorm_src 0
		.amdhsa_exception_fp_ieee_div_zero 0
		.amdhsa_exception_fp_ieee_overflow 0
		.amdhsa_exception_fp_ieee_underflow 0
		.amdhsa_exception_fp_ieee_inexact 0
		.amdhsa_exception_int_div_zero 0
	.end_amdhsa_kernel
	.section	.text._ZN7rocprim17ROCPRIM_400000_NS6detail17trampoline_kernelINS0_14default_configENS1_20scan_config_selectorIdEEZZNS1_9scan_implILNS1_25lookback_scan_determinismE0ELb0ELb0ES3_PKdPddZZZN2at6native31launch_logcumsumexp_cuda_kernelERKNSB_10TensorBaseESF_lENKUlvE_clEvENKUlvE_clEvEUlddE_dEEDaPvRmT3_T4_T5_mT6_P12ihipStream_tbENKUlT_T0_E_clISt17integral_constantIbLb0EESV_IbLb1EEEEDaSR_SS_EUlSR_E0_NS1_11comp_targetILNS1_3genE4ELNS1_11target_archE910ELNS1_3gpuE8ELNS1_3repE0EEENS1_30default_config_static_selectorELNS0_4arch9wavefront6targetE0EEEvT1_,"axG",@progbits,_ZN7rocprim17ROCPRIM_400000_NS6detail17trampoline_kernelINS0_14default_configENS1_20scan_config_selectorIdEEZZNS1_9scan_implILNS1_25lookback_scan_determinismE0ELb0ELb0ES3_PKdPddZZZN2at6native31launch_logcumsumexp_cuda_kernelERKNSB_10TensorBaseESF_lENKUlvE_clEvENKUlvE_clEvEUlddE_dEEDaPvRmT3_T4_T5_mT6_P12ihipStream_tbENKUlT_T0_E_clISt17integral_constantIbLb0EESV_IbLb1EEEEDaSR_SS_EUlSR_E0_NS1_11comp_targetILNS1_3genE4ELNS1_11target_archE910ELNS1_3gpuE8ELNS1_3repE0EEENS1_30default_config_static_selectorELNS0_4arch9wavefront6targetE0EEEvT1_,comdat
.Lfunc_end77:
	.size	_ZN7rocprim17ROCPRIM_400000_NS6detail17trampoline_kernelINS0_14default_configENS1_20scan_config_selectorIdEEZZNS1_9scan_implILNS1_25lookback_scan_determinismE0ELb0ELb0ES3_PKdPddZZZN2at6native31launch_logcumsumexp_cuda_kernelERKNSB_10TensorBaseESF_lENKUlvE_clEvENKUlvE_clEvEUlddE_dEEDaPvRmT3_T4_T5_mT6_P12ihipStream_tbENKUlT_T0_E_clISt17integral_constantIbLb0EESV_IbLb1EEEEDaSR_SS_EUlSR_E0_NS1_11comp_targetILNS1_3genE4ELNS1_11target_archE910ELNS1_3gpuE8ELNS1_3repE0EEENS1_30default_config_static_selectorELNS0_4arch9wavefront6targetE0EEEvT1_, .Lfunc_end77-_ZN7rocprim17ROCPRIM_400000_NS6detail17trampoline_kernelINS0_14default_configENS1_20scan_config_selectorIdEEZZNS1_9scan_implILNS1_25lookback_scan_determinismE0ELb0ELb0ES3_PKdPddZZZN2at6native31launch_logcumsumexp_cuda_kernelERKNSB_10TensorBaseESF_lENKUlvE_clEvENKUlvE_clEvEUlddE_dEEDaPvRmT3_T4_T5_mT6_P12ihipStream_tbENKUlT_T0_E_clISt17integral_constantIbLb0EESV_IbLb1EEEEDaSR_SS_EUlSR_E0_NS1_11comp_targetILNS1_3genE4ELNS1_11target_archE910ELNS1_3gpuE8ELNS1_3repE0EEENS1_30default_config_static_selectorELNS0_4arch9wavefront6targetE0EEEvT1_
                                        ; -- End function
	.set _ZN7rocprim17ROCPRIM_400000_NS6detail17trampoline_kernelINS0_14default_configENS1_20scan_config_selectorIdEEZZNS1_9scan_implILNS1_25lookback_scan_determinismE0ELb0ELb0ES3_PKdPddZZZN2at6native31launch_logcumsumexp_cuda_kernelERKNSB_10TensorBaseESF_lENKUlvE_clEvENKUlvE_clEvEUlddE_dEEDaPvRmT3_T4_T5_mT6_P12ihipStream_tbENKUlT_T0_E_clISt17integral_constantIbLb0EESV_IbLb1EEEEDaSR_SS_EUlSR_E0_NS1_11comp_targetILNS1_3genE4ELNS1_11target_archE910ELNS1_3gpuE8ELNS1_3repE0EEENS1_30default_config_static_selectorELNS0_4arch9wavefront6targetE0EEEvT1_.num_vgpr, 0
	.set _ZN7rocprim17ROCPRIM_400000_NS6detail17trampoline_kernelINS0_14default_configENS1_20scan_config_selectorIdEEZZNS1_9scan_implILNS1_25lookback_scan_determinismE0ELb0ELb0ES3_PKdPddZZZN2at6native31launch_logcumsumexp_cuda_kernelERKNSB_10TensorBaseESF_lENKUlvE_clEvENKUlvE_clEvEUlddE_dEEDaPvRmT3_T4_T5_mT6_P12ihipStream_tbENKUlT_T0_E_clISt17integral_constantIbLb0EESV_IbLb1EEEEDaSR_SS_EUlSR_E0_NS1_11comp_targetILNS1_3genE4ELNS1_11target_archE910ELNS1_3gpuE8ELNS1_3repE0EEENS1_30default_config_static_selectorELNS0_4arch9wavefront6targetE0EEEvT1_.num_agpr, 0
	.set _ZN7rocprim17ROCPRIM_400000_NS6detail17trampoline_kernelINS0_14default_configENS1_20scan_config_selectorIdEEZZNS1_9scan_implILNS1_25lookback_scan_determinismE0ELb0ELb0ES3_PKdPddZZZN2at6native31launch_logcumsumexp_cuda_kernelERKNSB_10TensorBaseESF_lENKUlvE_clEvENKUlvE_clEvEUlddE_dEEDaPvRmT3_T4_T5_mT6_P12ihipStream_tbENKUlT_T0_E_clISt17integral_constantIbLb0EESV_IbLb1EEEEDaSR_SS_EUlSR_E0_NS1_11comp_targetILNS1_3genE4ELNS1_11target_archE910ELNS1_3gpuE8ELNS1_3repE0EEENS1_30default_config_static_selectorELNS0_4arch9wavefront6targetE0EEEvT1_.numbered_sgpr, 0
	.set _ZN7rocprim17ROCPRIM_400000_NS6detail17trampoline_kernelINS0_14default_configENS1_20scan_config_selectorIdEEZZNS1_9scan_implILNS1_25lookback_scan_determinismE0ELb0ELb0ES3_PKdPddZZZN2at6native31launch_logcumsumexp_cuda_kernelERKNSB_10TensorBaseESF_lENKUlvE_clEvENKUlvE_clEvEUlddE_dEEDaPvRmT3_T4_T5_mT6_P12ihipStream_tbENKUlT_T0_E_clISt17integral_constantIbLb0EESV_IbLb1EEEEDaSR_SS_EUlSR_E0_NS1_11comp_targetILNS1_3genE4ELNS1_11target_archE910ELNS1_3gpuE8ELNS1_3repE0EEENS1_30default_config_static_selectorELNS0_4arch9wavefront6targetE0EEEvT1_.num_named_barrier, 0
	.set _ZN7rocprim17ROCPRIM_400000_NS6detail17trampoline_kernelINS0_14default_configENS1_20scan_config_selectorIdEEZZNS1_9scan_implILNS1_25lookback_scan_determinismE0ELb0ELb0ES3_PKdPddZZZN2at6native31launch_logcumsumexp_cuda_kernelERKNSB_10TensorBaseESF_lENKUlvE_clEvENKUlvE_clEvEUlddE_dEEDaPvRmT3_T4_T5_mT6_P12ihipStream_tbENKUlT_T0_E_clISt17integral_constantIbLb0EESV_IbLb1EEEEDaSR_SS_EUlSR_E0_NS1_11comp_targetILNS1_3genE4ELNS1_11target_archE910ELNS1_3gpuE8ELNS1_3repE0EEENS1_30default_config_static_selectorELNS0_4arch9wavefront6targetE0EEEvT1_.private_seg_size, 0
	.set _ZN7rocprim17ROCPRIM_400000_NS6detail17trampoline_kernelINS0_14default_configENS1_20scan_config_selectorIdEEZZNS1_9scan_implILNS1_25lookback_scan_determinismE0ELb0ELb0ES3_PKdPddZZZN2at6native31launch_logcumsumexp_cuda_kernelERKNSB_10TensorBaseESF_lENKUlvE_clEvENKUlvE_clEvEUlddE_dEEDaPvRmT3_T4_T5_mT6_P12ihipStream_tbENKUlT_T0_E_clISt17integral_constantIbLb0EESV_IbLb1EEEEDaSR_SS_EUlSR_E0_NS1_11comp_targetILNS1_3genE4ELNS1_11target_archE910ELNS1_3gpuE8ELNS1_3repE0EEENS1_30default_config_static_selectorELNS0_4arch9wavefront6targetE0EEEvT1_.uses_vcc, 0
	.set _ZN7rocprim17ROCPRIM_400000_NS6detail17trampoline_kernelINS0_14default_configENS1_20scan_config_selectorIdEEZZNS1_9scan_implILNS1_25lookback_scan_determinismE0ELb0ELb0ES3_PKdPddZZZN2at6native31launch_logcumsumexp_cuda_kernelERKNSB_10TensorBaseESF_lENKUlvE_clEvENKUlvE_clEvEUlddE_dEEDaPvRmT3_T4_T5_mT6_P12ihipStream_tbENKUlT_T0_E_clISt17integral_constantIbLb0EESV_IbLb1EEEEDaSR_SS_EUlSR_E0_NS1_11comp_targetILNS1_3genE4ELNS1_11target_archE910ELNS1_3gpuE8ELNS1_3repE0EEENS1_30default_config_static_selectorELNS0_4arch9wavefront6targetE0EEEvT1_.uses_flat_scratch, 0
	.set _ZN7rocprim17ROCPRIM_400000_NS6detail17trampoline_kernelINS0_14default_configENS1_20scan_config_selectorIdEEZZNS1_9scan_implILNS1_25lookback_scan_determinismE0ELb0ELb0ES3_PKdPddZZZN2at6native31launch_logcumsumexp_cuda_kernelERKNSB_10TensorBaseESF_lENKUlvE_clEvENKUlvE_clEvEUlddE_dEEDaPvRmT3_T4_T5_mT6_P12ihipStream_tbENKUlT_T0_E_clISt17integral_constantIbLb0EESV_IbLb1EEEEDaSR_SS_EUlSR_E0_NS1_11comp_targetILNS1_3genE4ELNS1_11target_archE910ELNS1_3gpuE8ELNS1_3repE0EEENS1_30default_config_static_selectorELNS0_4arch9wavefront6targetE0EEEvT1_.has_dyn_sized_stack, 0
	.set _ZN7rocprim17ROCPRIM_400000_NS6detail17trampoline_kernelINS0_14default_configENS1_20scan_config_selectorIdEEZZNS1_9scan_implILNS1_25lookback_scan_determinismE0ELb0ELb0ES3_PKdPddZZZN2at6native31launch_logcumsumexp_cuda_kernelERKNSB_10TensorBaseESF_lENKUlvE_clEvENKUlvE_clEvEUlddE_dEEDaPvRmT3_T4_T5_mT6_P12ihipStream_tbENKUlT_T0_E_clISt17integral_constantIbLb0EESV_IbLb1EEEEDaSR_SS_EUlSR_E0_NS1_11comp_targetILNS1_3genE4ELNS1_11target_archE910ELNS1_3gpuE8ELNS1_3repE0EEENS1_30default_config_static_selectorELNS0_4arch9wavefront6targetE0EEEvT1_.has_recursion, 0
	.set _ZN7rocprim17ROCPRIM_400000_NS6detail17trampoline_kernelINS0_14default_configENS1_20scan_config_selectorIdEEZZNS1_9scan_implILNS1_25lookback_scan_determinismE0ELb0ELb0ES3_PKdPddZZZN2at6native31launch_logcumsumexp_cuda_kernelERKNSB_10TensorBaseESF_lENKUlvE_clEvENKUlvE_clEvEUlddE_dEEDaPvRmT3_T4_T5_mT6_P12ihipStream_tbENKUlT_T0_E_clISt17integral_constantIbLb0EESV_IbLb1EEEEDaSR_SS_EUlSR_E0_NS1_11comp_targetILNS1_3genE4ELNS1_11target_archE910ELNS1_3gpuE8ELNS1_3repE0EEENS1_30default_config_static_selectorELNS0_4arch9wavefront6targetE0EEEvT1_.has_indirect_call, 0
	.section	.AMDGPU.csdata,"",@progbits
; Kernel info:
; codeLenInByte = 0
; TotalNumSgprs: 0
; NumVgprs: 0
; ScratchSize: 0
; MemoryBound: 0
; FloatMode: 240
; IeeeMode: 1
; LDSByteSize: 0 bytes/workgroup (compile time only)
; SGPRBlocks: 0
; VGPRBlocks: 0
; NumSGPRsForWavesPerEU: 1
; NumVGPRsForWavesPerEU: 1
; Occupancy: 16
; WaveLimiterHint : 0
; COMPUTE_PGM_RSRC2:SCRATCH_EN: 0
; COMPUTE_PGM_RSRC2:USER_SGPR: 2
; COMPUTE_PGM_RSRC2:TRAP_HANDLER: 0
; COMPUTE_PGM_RSRC2:TGID_X_EN: 1
; COMPUTE_PGM_RSRC2:TGID_Y_EN: 0
; COMPUTE_PGM_RSRC2:TGID_Z_EN: 0
; COMPUTE_PGM_RSRC2:TIDIG_COMP_CNT: 0
	.section	.text._ZN7rocprim17ROCPRIM_400000_NS6detail17trampoline_kernelINS0_14default_configENS1_20scan_config_selectorIdEEZZNS1_9scan_implILNS1_25lookback_scan_determinismE0ELb0ELb0ES3_PKdPddZZZN2at6native31launch_logcumsumexp_cuda_kernelERKNSB_10TensorBaseESF_lENKUlvE_clEvENKUlvE_clEvEUlddE_dEEDaPvRmT3_T4_T5_mT6_P12ihipStream_tbENKUlT_T0_E_clISt17integral_constantIbLb0EESV_IbLb1EEEEDaSR_SS_EUlSR_E0_NS1_11comp_targetILNS1_3genE3ELNS1_11target_archE908ELNS1_3gpuE7ELNS1_3repE0EEENS1_30default_config_static_selectorELNS0_4arch9wavefront6targetE0EEEvT1_,"axG",@progbits,_ZN7rocprim17ROCPRIM_400000_NS6detail17trampoline_kernelINS0_14default_configENS1_20scan_config_selectorIdEEZZNS1_9scan_implILNS1_25lookback_scan_determinismE0ELb0ELb0ES3_PKdPddZZZN2at6native31launch_logcumsumexp_cuda_kernelERKNSB_10TensorBaseESF_lENKUlvE_clEvENKUlvE_clEvEUlddE_dEEDaPvRmT3_T4_T5_mT6_P12ihipStream_tbENKUlT_T0_E_clISt17integral_constantIbLb0EESV_IbLb1EEEEDaSR_SS_EUlSR_E0_NS1_11comp_targetILNS1_3genE3ELNS1_11target_archE908ELNS1_3gpuE7ELNS1_3repE0EEENS1_30default_config_static_selectorELNS0_4arch9wavefront6targetE0EEEvT1_,comdat
	.globl	_ZN7rocprim17ROCPRIM_400000_NS6detail17trampoline_kernelINS0_14default_configENS1_20scan_config_selectorIdEEZZNS1_9scan_implILNS1_25lookback_scan_determinismE0ELb0ELb0ES3_PKdPddZZZN2at6native31launch_logcumsumexp_cuda_kernelERKNSB_10TensorBaseESF_lENKUlvE_clEvENKUlvE_clEvEUlddE_dEEDaPvRmT3_T4_T5_mT6_P12ihipStream_tbENKUlT_T0_E_clISt17integral_constantIbLb0EESV_IbLb1EEEEDaSR_SS_EUlSR_E0_NS1_11comp_targetILNS1_3genE3ELNS1_11target_archE908ELNS1_3gpuE7ELNS1_3repE0EEENS1_30default_config_static_selectorELNS0_4arch9wavefront6targetE0EEEvT1_ ; -- Begin function _ZN7rocprim17ROCPRIM_400000_NS6detail17trampoline_kernelINS0_14default_configENS1_20scan_config_selectorIdEEZZNS1_9scan_implILNS1_25lookback_scan_determinismE0ELb0ELb0ES3_PKdPddZZZN2at6native31launch_logcumsumexp_cuda_kernelERKNSB_10TensorBaseESF_lENKUlvE_clEvENKUlvE_clEvEUlddE_dEEDaPvRmT3_T4_T5_mT6_P12ihipStream_tbENKUlT_T0_E_clISt17integral_constantIbLb0EESV_IbLb1EEEEDaSR_SS_EUlSR_E0_NS1_11comp_targetILNS1_3genE3ELNS1_11target_archE908ELNS1_3gpuE7ELNS1_3repE0EEENS1_30default_config_static_selectorELNS0_4arch9wavefront6targetE0EEEvT1_
	.p2align	8
	.type	_ZN7rocprim17ROCPRIM_400000_NS6detail17trampoline_kernelINS0_14default_configENS1_20scan_config_selectorIdEEZZNS1_9scan_implILNS1_25lookback_scan_determinismE0ELb0ELb0ES3_PKdPddZZZN2at6native31launch_logcumsumexp_cuda_kernelERKNSB_10TensorBaseESF_lENKUlvE_clEvENKUlvE_clEvEUlddE_dEEDaPvRmT3_T4_T5_mT6_P12ihipStream_tbENKUlT_T0_E_clISt17integral_constantIbLb0EESV_IbLb1EEEEDaSR_SS_EUlSR_E0_NS1_11comp_targetILNS1_3genE3ELNS1_11target_archE908ELNS1_3gpuE7ELNS1_3repE0EEENS1_30default_config_static_selectorELNS0_4arch9wavefront6targetE0EEEvT1_,@function
_ZN7rocprim17ROCPRIM_400000_NS6detail17trampoline_kernelINS0_14default_configENS1_20scan_config_selectorIdEEZZNS1_9scan_implILNS1_25lookback_scan_determinismE0ELb0ELb0ES3_PKdPddZZZN2at6native31launch_logcumsumexp_cuda_kernelERKNSB_10TensorBaseESF_lENKUlvE_clEvENKUlvE_clEvEUlddE_dEEDaPvRmT3_T4_T5_mT6_P12ihipStream_tbENKUlT_T0_E_clISt17integral_constantIbLb0EESV_IbLb1EEEEDaSR_SS_EUlSR_E0_NS1_11comp_targetILNS1_3genE3ELNS1_11target_archE908ELNS1_3gpuE7ELNS1_3repE0EEENS1_30default_config_static_selectorELNS0_4arch9wavefront6targetE0EEEvT1_: ; @_ZN7rocprim17ROCPRIM_400000_NS6detail17trampoline_kernelINS0_14default_configENS1_20scan_config_selectorIdEEZZNS1_9scan_implILNS1_25lookback_scan_determinismE0ELb0ELb0ES3_PKdPddZZZN2at6native31launch_logcumsumexp_cuda_kernelERKNSB_10TensorBaseESF_lENKUlvE_clEvENKUlvE_clEvEUlddE_dEEDaPvRmT3_T4_T5_mT6_P12ihipStream_tbENKUlT_T0_E_clISt17integral_constantIbLb0EESV_IbLb1EEEEDaSR_SS_EUlSR_E0_NS1_11comp_targetILNS1_3genE3ELNS1_11target_archE908ELNS1_3gpuE7ELNS1_3repE0EEENS1_30default_config_static_selectorELNS0_4arch9wavefront6targetE0EEEvT1_
; %bb.0:
	.section	.rodata,"a",@progbits
	.p2align	6, 0x0
	.amdhsa_kernel _ZN7rocprim17ROCPRIM_400000_NS6detail17trampoline_kernelINS0_14default_configENS1_20scan_config_selectorIdEEZZNS1_9scan_implILNS1_25lookback_scan_determinismE0ELb0ELb0ES3_PKdPddZZZN2at6native31launch_logcumsumexp_cuda_kernelERKNSB_10TensorBaseESF_lENKUlvE_clEvENKUlvE_clEvEUlddE_dEEDaPvRmT3_T4_T5_mT6_P12ihipStream_tbENKUlT_T0_E_clISt17integral_constantIbLb0EESV_IbLb1EEEEDaSR_SS_EUlSR_E0_NS1_11comp_targetILNS1_3genE3ELNS1_11target_archE908ELNS1_3gpuE7ELNS1_3repE0EEENS1_30default_config_static_selectorELNS0_4arch9wavefront6targetE0EEEvT1_
		.amdhsa_group_segment_fixed_size 0
		.amdhsa_private_segment_fixed_size 0
		.amdhsa_kernarg_size 40
		.amdhsa_user_sgpr_count 2
		.amdhsa_user_sgpr_dispatch_ptr 0
		.amdhsa_user_sgpr_queue_ptr 0
		.amdhsa_user_sgpr_kernarg_segment_ptr 1
		.amdhsa_user_sgpr_dispatch_id 0
		.amdhsa_user_sgpr_private_segment_size 0
		.amdhsa_wavefront_size32 1
		.amdhsa_uses_dynamic_stack 0
		.amdhsa_enable_private_segment 0
		.amdhsa_system_sgpr_workgroup_id_x 1
		.amdhsa_system_sgpr_workgroup_id_y 0
		.amdhsa_system_sgpr_workgroup_id_z 0
		.amdhsa_system_sgpr_workgroup_info 0
		.amdhsa_system_vgpr_workitem_id 0
		.amdhsa_next_free_vgpr 1
		.amdhsa_next_free_sgpr 1
		.amdhsa_reserve_vcc 0
		.amdhsa_float_round_mode_32 0
		.amdhsa_float_round_mode_16_64 0
		.amdhsa_float_denorm_mode_32 3
		.amdhsa_float_denorm_mode_16_64 3
		.amdhsa_fp16_overflow 0
		.amdhsa_workgroup_processor_mode 1
		.amdhsa_memory_ordered 1
		.amdhsa_forward_progress 1
		.amdhsa_inst_pref_size 0
		.amdhsa_round_robin_scheduling 0
		.amdhsa_exception_fp_ieee_invalid_op 0
		.amdhsa_exception_fp_denorm_src 0
		.amdhsa_exception_fp_ieee_div_zero 0
		.amdhsa_exception_fp_ieee_overflow 0
		.amdhsa_exception_fp_ieee_underflow 0
		.amdhsa_exception_fp_ieee_inexact 0
		.amdhsa_exception_int_div_zero 0
	.end_amdhsa_kernel
	.section	.text._ZN7rocprim17ROCPRIM_400000_NS6detail17trampoline_kernelINS0_14default_configENS1_20scan_config_selectorIdEEZZNS1_9scan_implILNS1_25lookback_scan_determinismE0ELb0ELb0ES3_PKdPddZZZN2at6native31launch_logcumsumexp_cuda_kernelERKNSB_10TensorBaseESF_lENKUlvE_clEvENKUlvE_clEvEUlddE_dEEDaPvRmT3_T4_T5_mT6_P12ihipStream_tbENKUlT_T0_E_clISt17integral_constantIbLb0EESV_IbLb1EEEEDaSR_SS_EUlSR_E0_NS1_11comp_targetILNS1_3genE3ELNS1_11target_archE908ELNS1_3gpuE7ELNS1_3repE0EEENS1_30default_config_static_selectorELNS0_4arch9wavefront6targetE0EEEvT1_,"axG",@progbits,_ZN7rocprim17ROCPRIM_400000_NS6detail17trampoline_kernelINS0_14default_configENS1_20scan_config_selectorIdEEZZNS1_9scan_implILNS1_25lookback_scan_determinismE0ELb0ELb0ES3_PKdPddZZZN2at6native31launch_logcumsumexp_cuda_kernelERKNSB_10TensorBaseESF_lENKUlvE_clEvENKUlvE_clEvEUlddE_dEEDaPvRmT3_T4_T5_mT6_P12ihipStream_tbENKUlT_T0_E_clISt17integral_constantIbLb0EESV_IbLb1EEEEDaSR_SS_EUlSR_E0_NS1_11comp_targetILNS1_3genE3ELNS1_11target_archE908ELNS1_3gpuE7ELNS1_3repE0EEENS1_30default_config_static_selectorELNS0_4arch9wavefront6targetE0EEEvT1_,comdat
.Lfunc_end78:
	.size	_ZN7rocprim17ROCPRIM_400000_NS6detail17trampoline_kernelINS0_14default_configENS1_20scan_config_selectorIdEEZZNS1_9scan_implILNS1_25lookback_scan_determinismE0ELb0ELb0ES3_PKdPddZZZN2at6native31launch_logcumsumexp_cuda_kernelERKNSB_10TensorBaseESF_lENKUlvE_clEvENKUlvE_clEvEUlddE_dEEDaPvRmT3_T4_T5_mT6_P12ihipStream_tbENKUlT_T0_E_clISt17integral_constantIbLb0EESV_IbLb1EEEEDaSR_SS_EUlSR_E0_NS1_11comp_targetILNS1_3genE3ELNS1_11target_archE908ELNS1_3gpuE7ELNS1_3repE0EEENS1_30default_config_static_selectorELNS0_4arch9wavefront6targetE0EEEvT1_, .Lfunc_end78-_ZN7rocprim17ROCPRIM_400000_NS6detail17trampoline_kernelINS0_14default_configENS1_20scan_config_selectorIdEEZZNS1_9scan_implILNS1_25lookback_scan_determinismE0ELb0ELb0ES3_PKdPddZZZN2at6native31launch_logcumsumexp_cuda_kernelERKNSB_10TensorBaseESF_lENKUlvE_clEvENKUlvE_clEvEUlddE_dEEDaPvRmT3_T4_T5_mT6_P12ihipStream_tbENKUlT_T0_E_clISt17integral_constantIbLb0EESV_IbLb1EEEEDaSR_SS_EUlSR_E0_NS1_11comp_targetILNS1_3genE3ELNS1_11target_archE908ELNS1_3gpuE7ELNS1_3repE0EEENS1_30default_config_static_selectorELNS0_4arch9wavefront6targetE0EEEvT1_
                                        ; -- End function
	.set _ZN7rocprim17ROCPRIM_400000_NS6detail17trampoline_kernelINS0_14default_configENS1_20scan_config_selectorIdEEZZNS1_9scan_implILNS1_25lookback_scan_determinismE0ELb0ELb0ES3_PKdPddZZZN2at6native31launch_logcumsumexp_cuda_kernelERKNSB_10TensorBaseESF_lENKUlvE_clEvENKUlvE_clEvEUlddE_dEEDaPvRmT3_T4_T5_mT6_P12ihipStream_tbENKUlT_T0_E_clISt17integral_constantIbLb0EESV_IbLb1EEEEDaSR_SS_EUlSR_E0_NS1_11comp_targetILNS1_3genE3ELNS1_11target_archE908ELNS1_3gpuE7ELNS1_3repE0EEENS1_30default_config_static_selectorELNS0_4arch9wavefront6targetE0EEEvT1_.num_vgpr, 0
	.set _ZN7rocprim17ROCPRIM_400000_NS6detail17trampoline_kernelINS0_14default_configENS1_20scan_config_selectorIdEEZZNS1_9scan_implILNS1_25lookback_scan_determinismE0ELb0ELb0ES3_PKdPddZZZN2at6native31launch_logcumsumexp_cuda_kernelERKNSB_10TensorBaseESF_lENKUlvE_clEvENKUlvE_clEvEUlddE_dEEDaPvRmT3_T4_T5_mT6_P12ihipStream_tbENKUlT_T0_E_clISt17integral_constantIbLb0EESV_IbLb1EEEEDaSR_SS_EUlSR_E0_NS1_11comp_targetILNS1_3genE3ELNS1_11target_archE908ELNS1_3gpuE7ELNS1_3repE0EEENS1_30default_config_static_selectorELNS0_4arch9wavefront6targetE0EEEvT1_.num_agpr, 0
	.set _ZN7rocprim17ROCPRIM_400000_NS6detail17trampoline_kernelINS0_14default_configENS1_20scan_config_selectorIdEEZZNS1_9scan_implILNS1_25lookback_scan_determinismE0ELb0ELb0ES3_PKdPddZZZN2at6native31launch_logcumsumexp_cuda_kernelERKNSB_10TensorBaseESF_lENKUlvE_clEvENKUlvE_clEvEUlddE_dEEDaPvRmT3_T4_T5_mT6_P12ihipStream_tbENKUlT_T0_E_clISt17integral_constantIbLb0EESV_IbLb1EEEEDaSR_SS_EUlSR_E0_NS1_11comp_targetILNS1_3genE3ELNS1_11target_archE908ELNS1_3gpuE7ELNS1_3repE0EEENS1_30default_config_static_selectorELNS0_4arch9wavefront6targetE0EEEvT1_.numbered_sgpr, 0
	.set _ZN7rocprim17ROCPRIM_400000_NS6detail17trampoline_kernelINS0_14default_configENS1_20scan_config_selectorIdEEZZNS1_9scan_implILNS1_25lookback_scan_determinismE0ELb0ELb0ES3_PKdPddZZZN2at6native31launch_logcumsumexp_cuda_kernelERKNSB_10TensorBaseESF_lENKUlvE_clEvENKUlvE_clEvEUlddE_dEEDaPvRmT3_T4_T5_mT6_P12ihipStream_tbENKUlT_T0_E_clISt17integral_constantIbLb0EESV_IbLb1EEEEDaSR_SS_EUlSR_E0_NS1_11comp_targetILNS1_3genE3ELNS1_11target_archE908ELNS1_3gpuE7ELNS1_3repE0EEENS1_30default_config_static_selectorELNS0_4arch9wavefront6targetE0EEEvT1_.num_named_barrier, 0
	.set _ZN7rocprim17ROCPRIM_400000_NS6detail17trampoline_kernelINS0_14default_configENS1_20scan_config_selectorIdEEZZNS1_9scan_implILNS1_25lookback_scan_determinismE0ELb0ELb0ES3_PKdPddZZZN2at6native31launch_logcumsumexp_cuda_kernelERKNSB_10TensorBaseESF_lENKUlvE_clEvENKUlvE_clEvEUlddE_dEEDaPvRmT3_T4_T5_mT6_P12ihipStream_tbENKUlT_T0_E_clISt17integral_constantIbLb0EESV_IbLb1EEEEDaSR_SS_EUlSR_E0_NS1_11comp_targetILNS1_3genE3ELNS1_11target_archE908ELNS1_3gpuE7ELNS1_3repE0EEENS1_30default_config_static_selectorELNS0_4arch9wavefront6targetE0EEEvT1_.private_seg_size, 0
	.set _ZN7rocprim17ROCPRIM_400000_NS6detail17trampoline_kernelINS0_14default_configENS1_20scan_config_selectorIdEEZZNS1_9scan_implILNS1_25lookback_scan_determinismE0ELb0ELb0ES3_PKdPddZZZN2at6native31launch_logcumsumexp_cuda_kernelERKNSB_10TensorBaseESF_lENKUlvE_clEvENKUlvE_clEvEUlddE_dEEDaPvRmT3_T4_T5_mT6_P12ihipStream_tbENKUlT_T0_E_clISt17integral_constantIbLb0EESV_IbLb1EEEEDaSR_SS_EUlSR_E0_NS1_11comp_targetILNS1_3genE3ELNS1_11target_archE908ELNS1_3gpuE7ELNS1_3repE0EEENS1_30default_config_static_selectorELNS0_4arch9wavefront6targetE0EEEvT1_.uses_vcc, 0
	.set _ZN7rocprim17ROCPRIM_400000_NS6detail17trampoline_kernelINS0_14default_configENS1_20scan_config_selectorIdEEZZNS1_9scan_implILNS1_25lookback_scan_determinismE0ELb0ELb0ES3_PKdPddZZZN2at6native31launch_logcumsumexp_cuda_kernelERKNSB_10TensorBaseESF_lENKUlvE_clEvENKUlvE_clEvEUlddE_dEEDaPvRmT3_T4_T5_mT6_P12ihipStream_tbENKUlT_T0_E_clISt17integral_constantIbLb0EESV_IbLb1EEEEDaSR_SS_EUlSR_E0_NS1_11comp_targetILNS1_3genE3ELNS1_11target_archE908ELNS1_3gpuE7ELNS1_3repE0EEENS1_30default_config_static_selectorELNS0_4arch9wavefront6targetE0EEEvT1_.uses_flat_scratch, 0
	.set _ZN7rocprim17ROCPRIM_400000_NS6detail17trampoline_kernelINS0_14default_configENS1_20scan_config_selectorIdEEZZNS1_9scan_implILNS1_25lookback_scan_determinismE0ELb0ELb0ES3_PKdPddZZZN2at6native31launch_logcumsumexp_cuda_kernelERKNSB_10TensorBaseESF_lENKUlvE_clEvENKUlvE_clEvEUlddE_dEEDaPvRmT3_T4_T5_mT6_P12ihipStream_tbENKUlT_T0_E_clISt17integral_constantIbLb0EESV_IbLb1EEEEDaSR_SS_EUlSR_E0_NS1_11comp_targetILNS1_3genE3ELNS1_11target_archE908ELNS1_3gpuE7ELNS1_3repE0EEENS1_30default_config_static_selectorELNS0_4arch9wavefront6targetE0EEEvT1_.has_dyn_sized_stack, 0
	.set _ZN7rocprim17ROCPRIM_400000_NS6detail17trampoline_kernelINS0_14default_configENS1_20scan_config_selectorIdEEZZNS1_9scan_implILNS1_25lookback_scan_determinismE0ELb0ELb0ES3_PKdPddZZZN2at6native31launch_logcumsumexp_cuda_kernelERKNSB_10TensorBaseESF_lENKUlvE_clEvENKUlvE_clEvEUlddE_dEEDaPvRmT3_T4_T5_mT6_P12ihipStream_tbENKUlT_T0_E_clISt17integral_constantIbLb0EESV_IbLb1EEEEDaSR_SS_EUlSR_E0_NS1_11comp_targetILNS1_3genE3ELNS1_11target_archE908ELNS1_3gpuE7ELNS1_3repE0EEENS1_30default_config_static_selectorELNS0_4arch9wavefront6targetE0EEEvT1_.has_recursion, 0
	.set _ZN7rocprim17ROCPRIM_400000_NS6detail17trampoline_kernelINS0_14default_configENS1_20scan_config_selectorIdEEZZNS1_9scan_implILNS1_25lookback_scan_determinismE0ELb0ELb0ES3_PKdPddZZZN2at6native31launch_logcumsumexp_cuda_kernelERKNSB_10TensorBaseESF_lENKUlvE_clEvENKUlvE_clEvEUlddE_dEEDaPvRmT3_T4_T5_mT6_P12ihipStream_tbENKUlT_T0_E_clISt17integral_constantIbLb0EESV_IbLb1EEEEDaSR_SS_EUlSR_E0_NS1_11comp_targetILNS1_3genE3ELNS1_11target_archE908ELNS1_3gpuE7ELNS1_3repE0EEENS1_30default_config_static_selectorELNS0_4arch9wavefront6targetE0EEEvT1_.has_indirect_call, 0
	.section	.AMDGPU.csdata,"",@progbits
; Kernel info:
; codeLenInByte = 0
; TotalNumSgprs: 0
; NumVgprs: 0
; ScratchSize: 0
; MemoryBound: 0
; FloatMode: 240
; IeeeMode: 1
; LDSByteSize: 0 bytes/workgroup (compile time only)
; SGPRBlocks: 0
; VGPRBlocks: 0
; NumSGPRsForWavesPerEU: 1
; NumVGPRsForWavesPerEU: 1
; Occupancy: 16
; WaveLimiterHint : 0
; COMPUTE_PGM_RSRC2:SCRATCH_EN: 0
; COMPUTE_PGM_RSRC2:USER_SGPR: 2
; COMPUTE_PGM_RSRC2:TRAP_HANDLER: 0
; COMPUTE_PGM_RSRC2:TGID_X_EN: 1
; COMPUTE_PGM_RSRC2:TGID_Y_EN: 0
; COMPUTE_PGM_RSRC2:TGID_Z_EN: 0
; COMPUTE_PGM_RSRC2:TIDIG_COMP_CNT: 0
	.section	.text._ZN7rocprim17ROCPRIM_400000_NS6detail17trampoline_kernelINS0_14default_configENS1_20scan_config_selectorIdEEZZNS1_9scan_implILNS1_25lookback_scan_determinismE0ELb0ELb0ES3_PKdPddZZZN2at6native31launch_logcumsumexp_cuda_kernelERKNSB_10TensorBaseESF_lENKUlvE_clEvENKUlvE_clEvEUlddE_dEEDaPvRmT3_T4_T5_mT6_P12ihipStream_tbENKUlT_T0_E_clISt17integral_constantIbLb0EESV_IbLb1EEEEDaSR_SS_EUlSR_E0_NS1_11comp_targetILNS1_3genE2ELNS1_11target_archE906ELNS1_3gpuE6ELNS1_3repE0EEENS1_30default_config_static_selectorELNS0_4arch9wavefront6targetE0EEEvT1_,"axG",@progbits,_ZN7rocprim17ROCPRIM_400000_NS6detail17trampoline_kernelINS0_14default_configENS1_20scan_config_selectorIdEEZZNS1_9scan_implILNS1_25lookback_scan_determinismE0ELb0ELb0ES3_PKdPddZZZN2at6native31launch_logcumsumexp_cuda_kernelERKNSB_10TensorBaseESF_lENKUlvE_clEvENKUlvE_clEvEUlddE_dEEDaPvRmT3_T4_T5_mT6_P12ihipStream_tbENKUlT_T0_E_clISt17integral_constantIbLb0EESV_IbLb1EEEEDaSR_SS_EUlSR_E0_NS1_11comp_targetILNS1_3genE2ELNS1_11target_archE906ELNS1_3gpuE6ELNS1_3repE0EEENS1_30default_config_static_selectorELNS0_4arch9wavefront6targetE0EEEvT1_,comdat
	.globl	_ZN7rocprim17ROCPRIM_400000_NS6detail17trampoline_kernelINS0_14default_configENS1_20scan_config_selectorIdEEZZNS1_9scan_implILNS1_25lookback_scan_determinismE0ELb0ELb0ES3_PKdPddZZZN2at6native31launch_logcumsumexp_cuda_kernelERKNSB_10TensorBaseESF_lENKUlvE_clEvENKUlvE_clEvEUlddE_dEEDaPvRmT3_T4_T5_mT6_P12ihipStream_tbENKUlT_T0_E_clISt17integral_constantIbLb0EESV_IbLb1EEEEDaSR_SS_EUlSR_E0_NS1_11comp_targetILNS1_3genE2ELNS1_11target_archE906ELNS1_3gpuE6ELNS1_3repE0EEENS1_30default_config_static_selectorELNS0_4arch9wavefront6targetE0EEEvT1_ ; -- Begin function _ZN7rocprim17ROCPRIM_400000_NS6detail17trampoline_kernelINS0_14default_configENS1_20scan_config_selectorIdEEZZNS1_9scan_implILNS1_25lookback_scan_determinismE0ELb0ELb0ES3_PKdPddZZZN2at6native31launch_logcumsumexp_cuda_kernelERKNSB_10TensorBaseESF_lENKUlvE_clEvENKUlvE_clEvEUlddE_dEEDaPvRmT3_T4_T5_mT6_P12ihipStream_tbENKUlT_T0_E_clISt17integral_constantIbLb0EESV_IbLb1EEEEDaSR_SS_EUlSR_E0_NS1_11comp_targetILNS1_3genE2ELNS1_11target_archE906ELNS1_3gpuE6ELNS1_3repE0EEENS1_30default_config_static_selectorELNS0_4arch9wavefront6targetE0EEEvT1_
	.p2align	8
	.type	_ZN7rocprim17ROCPRIM_400000_NS6detail17trampoline_kernelINS0_14default_configENS1_20scan_config_selectorIdEEZZNS1_9scan_implILNS1_25lookback_scan_determinismE0ELb0ELb0ES3_PKdPddZZZN2at6native31launch_logcumsumexp_cuda_kernelERKNSB_10TensorBaseESF_lENKUlvE_clEvENKUlvE_clEvEUlddE_dEEDaPvRmT3_T4_T5_mT6_P12ihipStream_tbENKUlT_T0_E_clISt17integral_constantIbLb0EESV_IbLb1EEEEDaSR_SS_EUlSR_E0_NS1_11comp_targetILNS1_3genE2ELNS1_11target_archE906ELNS1_3gpuE6ELNS1_3repE0EEENS1_30default_config_static_selectorELNS0_4arch9wavefront6targetE0EEEvT1_,@function
_ZN7rocprim17ROCPRIM_400000_NS6detail17trampoline_kernelINS0_14default_configENS1_20scan_config_selectorIdEEZZNS1_9scan_implILNS1_25lookback_scan_determinismE0ELb0ELb0ES3_PKdPddZZZN2at6native31launch_logcumsumexp_cuda_kernelERKNSB_10TensorBaseESF_lENKUlvE_clEvENKUlvE_clEvEUlddE_dEEDaPvRmT3_T4_T5_mT6_P12ihipStream_tbENKUlT_T0_E_clISt17integral_constantIbLb0EESV_IbLb1EEEEDaSR_SS_EUlSR_E0_NS1_11comp_targetILNS1_3genE2ELNS1_11target_archE906ELNS1_3gpuE6ELNS1_3repE0EEENS1_30default_config_static_selectorELNS0_4arch9wavefront6targetE0EEEvT1_: ; @_ZN7rocprim17ROCPRIM_400000_NS6detail17trampoline_kernelINS0_14default_configENS1_20scan_config_selectorIdEEZZNS1_9scan_implILNS1_25lookback_scan_determinismE0ELb0ELb0ES3_PKdPddZZZN2at6native31launch_logcumsumexp_cuda_kernelERKNSB_10TensorBaseESF_lENKUlvE_clEvENKUlvE_clEvEUlddE_dEEDaPvRmT3_T4_T5_mT6_P12ihipStream_tbENKUlT_T0_E_clISt17integral_constantIbLb0EESV_IbLb1EEEEDaSR_SS_EUlSR_E0_NS1_11comp_targetILNS1_3genE2ELNS1_11target_archE906ELNS1_3gpuE6ELNS1_3repE0EEENS1_30default_config_static_selectorELNS0_4arch9wavefront6targetE0EEEvT1_
; %bb.0:
	.section	.rodata,"a",@progbits
	.p2align	6, 0x0
	.amdhsa_kernel _ZN7rocprim17ROCPRIM_400000_NS6detail17trampoline_kernelINS0_14default_configENS1_20scan_config_selectorIdEEZZNS1_9scan_implILNS1_25lookback_scan_determinismE0ELb0ELb0ES3_PKdPddZZZN2at6native31launch_logcumsumexp_cuda_kernelERKNSB_10TensorBaseESF_lENKUlvE_clEvENKUlvE_clEvEUlddE_dEEDaPvRmT3_T4_T5_mT6_P12ihipStream_tbENKUlT_T0_E_clISt17integral_constantIbLb0EESV_IbLb1EEEEDaSR_SS_EUlSR_E0_NS1_11comp_targetILNS1_3genE2ELNS1_11target_archE906ELNS1_3gpuE6ELNS1_3repE0EEENS1_30default_config_static_selectorELNS0_4arch9wavefront6targetE0EEEvT1_
		.amdhsa_group_segment_fixed_size 0
		.amdhsa_private_segment_fixed_size 0
		.amdhsa_kernarg_size 40
		.amdhsa_user_sgpr_count 2
		.amdhsa_user_sgpr_dispatch_ptr 0
		.amdhsa_user_sgpr_queue_ptr 0
		.amdhsa_user_sgpr_kernarg_segment_ptr 1
		.amdhsa_user_sgpr_dispatch_id 0
		.amdhsa_user_sgpr_private_segment_size 0
		.amdhsa_wavefront_size32 1
		.amdhsa_uses_dynamic_stack 0
		.amdhsa_enable_private_segment 0
		.amdhsa_system_sgpr_workgroup_id_x 1
		.amdhsa_system_sgpr_workgroup_id_y 0
		.amdhsa_system_sgpr_workgroup_id_z 0
		.amdhsa_system_sgpr_workgroup_info 0
		.amdhsa_system_vgpr_workitem_id 0
		.amdhsa_next_free_vgpr 1
		.amdhsa_next_free_sgpr 1
		.amdhsa_reserve_vcc 0
		.amdhsa_float_round_mode_32 0
		.amdhsa_float_round_mode_16_64 0
		.amdhsa_float_denorm_mode_32 3
		.amdhsa_float_denorm_mode_16_64 3
		.amdhsa_fp16_overflow 0
		.amdhsa_workgroup_processor_mode 1
		.amdhsa_memory_ordered 1
		.amdhsa_forward_progress 1
		.amdhsa_inst_pref_size 0
		.amdhsa_round_robin_scheduling 0
		.amdhsa_exception_fp_ieee_invalid_op 0
		.amdhsa_exception_fp_denorm_src 0
		.amdhsa_exception_fp_ieee_div_zero 0
		.amdhsa_exception_fp_ieee_overflow 0
		.amdhsa_exception_fp_ieee_underflow 0
		.amdhsa_exception_fp_ieee_inexact 0
		.amdhsa_exception_int_div_zero 0
	.end_amdhsa_kernel
	.section	.text._ZN7rocprim17ROCPRIM_400000_NS6detail17trampoline_kernelINS0_14default_configENS1_20scan_config_selectorIdEEZZNS1_9scan_implILNS1_25lookback_scan_determinismE0ELb0ELb0ES3_PKdPddZZZN2at6native31launch_logcumsumexp_cuda_kernelERKNSB_10TensorBaseESF_lENKUlvE_clEvENKUlvE_clEvEUlddE_dEEDaPvRmT3_T4_T5_mT6_P12ihipStream_tbENKUlT_T0_E_clISt17integral_constantIbLb0EESV_IbLb1EEEEDaSR_SS_EUlSR_E0_NS1_11comp_targetILNS1_3genE2ELNS1_11target_archE906ELNS1_3gpuE6ELNS1_3repE0EEENS1_30default_config_static_selectorELNS0_4arch9wavefront6targetE0EEEvT1_,"axG",@progbits,_ZN7rocprim17ROCPRIM_400000_NS6detail17trampoline_kernelINS0_14default_configENS1_20scan_config_selectorIdEEZZNS1_9scan_implILNS1_25lookback_scan_determinismE0ELb0ELb0ES3_PKdPddZZZN2at6native31launch_logcumsumexp_cuda_kernelERKNSB_10TensorBaseESF_lENKUlvE_clEvENKUlvE_clEvEUlddE_dEEDaPvRmT3_T4_T5_mT6_P12ihipStream_tbENKUlT_T0_E_clISt17integral_constantIbLb0EESV_IbLb1EEEEDaSR_SS_EUlSR_E0_NS1_11comp_targetILNS1_3genE2ELNS1_11target_archE906ELNS1_3gpuE6ELNS1_3repE0EEENS1_30default_config_static_selectorELNS0_4arch9wavefront6targetE0EEEvT1_,comdat
.Lfunc_end79:
	.size	_ZN7rocprim17ROCPRIM_400000_NS6detail17trampoline_kernelINS0_14default_configENS1_20scan_config_selectorIdEEZZNS1_9scan_implILNS1_25lookback_scan_determinismE0ELb0ELb0ES3_PKdPddZZZN2at6native31launch_logcumsumexp_cuda_kernelERKNSB_10TensorBaseESF_lENKUlvE_clEvENKUlvE_clEvEUlddE_dEEDaPvRmT3_T4_T5_mT6_P12ihipStream_tbENKUlT_T0_E_clISt17integral_constantIbLb0EESV_IbLb1EEEEDaSR_SS_EUlSR_E0_NS1_11comp_targetILNS1_3genE2ELNS1_11target_archE906ELNS1_3gpuE6ELNS1_3repE0EEENS1_30default_config_static_selectorELNS0_4arch9wavefront6targetE0EEEvT1_, .Lfunc_end79-_ZN7rocprim17ROCPRIM_400000_NS6detail17trampoline_kernelINS0_14default_configENS1_20scan_config_selectorIdEEZZNS1_9scan_implILNS1_25lookback_scan_determinismE0ELb0ELb0ES3_PKdPddZZZN2at6native31launch_logcumsumexp_cuda_kernelERKNSB_10TensorBaseESF_lENKUlvE_clEvENKUlvE_clEvEUlddE_dEEDaPvRmT3_T4_T5_mT6_P12ihipStream_tbENKUlT_T0_E_clISt17integral_constantIbLb0EESV_IbLb1EEEEDaSR_SS_EUlSR_E0_NS1_11comp_targetILNS1_3genE2ELNS1_11target_archE906ELNS1_3gpuE6ELNS1_3repE0EEENS1_30default_config_static_selectorELNS0_4arch9wavefront6targetE0EEEvT1_
                                        ; -- End function
	.set _ZN7rocprim17ROCPRIM_400000_NS6detail17trampoline_kernelINS0_14default_configENS1_20scan_config_selectorIdEEZZNS1_9scan_implILNS1_25lookback_scan_determinismE0ELb0ELb0ES3_PKdPddZZZN2at6native31launch_logcumsumexp_cuda_kernelERKNSB_10TensorBaseESF_lENKUlvE_clEvENKUlvE_clEvEUlddE_dEEDaPvRmT3_T4_T5_mT6_P12ihipStream_tbENKUlT_T0_E_clISt17integral_constantIbLb0EESV_IbLb1EEEEDaSR_SS_EUlSR_E0_NS1_11comp_targetILNS1_3genE2ELNS1_11target_archE906ELNS1_3gpuE6ELNS1_3repE0EEENS1_30default_config_static_selectorELNS0_4arch9wavefront6targetE0EEEvT1_.num_vgpr, 0
	.set _ZN7rocprim17ROCPRIM_400000_NS6detail17trampoline_kernelINS0_14default_configENS1_20scan_config_selectorIdEEZZNS1_9scan_implILNS1_25lookback_scan_determinismE0ELb0ELb0ES3_PKdPddZZZN2at6native31launch_logcumsumexp_cuda_kernelERKNSB_10TensorBaseESF_lENKUlvE_clEvENKUlvE_clEvEUlddE_dEEDaPvRmT3_T4_T5_mT6_P12ihipStream_tbENKUlT_T0_E_clISt17integral_constantIbLb0EESV_IbLb1EEEEDaSR_SS_EUlSR_E0_NS1_11comp_targetILNS1_3genE2ELNS1_11target_archE906ELNS1_3gpuE6ELNS1_3repE0EEENS1_30default_config_static_selectorELNS0_4arch9wavefront6targetE0EEEvT1_.num_agpr, 0
	.set _ZN7rocprim17ROCPRIM_400000_NS6detail17trampoline_kernelINS0_14default_configENS1_20scan_config_selectorIdEEZZNS1_9scan_implILNS1_25lookback_scan_determinismE0ELb0ELb0ES3_PKdPddZZZN2at6native31launch_logcumsumexp_cuda_kernelERKNSB_10TensorBaseESF_lENKUlvE_clEvENKUlvE_clEvEUlddE_dEEDaPvRmT3_T4_T5_mT6_P12ihipStream_tbENKUlT_T0_E_clISt17integral_constantIbLb0EESV_IbLb1EEEEDaSR_SS_EUlSR_E0_NS1_11comp_targetILNS1_3genE2ELNS1_11target_archE906ELNS1_3gpuE6ELNS1_3repE0EEENS1_30default_config_static_selectorELNS0_4arch9wavefront6targetE0EEEvT1_.numbered_sgpr, 0
	.set _ZN7rocprim17ROCPRIM_400000_NS6detail17trampoline_kernelINS0_14default_configENS1_20scan_config_selectorIdEEZZNS1_9scan_implILNS1_25lookback_scan_determinismE0ELb0ELb0ES3_PKdPddZZZN2at6native31launch_logcumsumexp_cuda_kernelERKNSB_10TensorBaseESF_lENKUlvE_clEvENKUlvE_clEvEUlddE_dEEDaPvRmT3_T4_T5_mT6_P12ihipStream_tbENKUlT_T0_E_clISt17integral_constantIbLb0EESV_IbLb1EEEEDaSR_SS_EUlSR_E0_NS1_11comp_targetILNS1_3genE2ELNS1_11target_archE906ELNS1_3gpuE6ELNS1_3repE0EEENS1_30default_config_static_selectorELNS0_4arch9wavefront6targetE0EEEvT1_.num_named_barrier, 0
	.set _ZN7rocprim17ROCPRIM_400000_NS6detail17trampoline_kernelINS0_14default_configENS1_20scan_config_selectorIdEEZZNS1_9scan_implILNS1_25lookback_scan_determinismE0ELb0ELb0ES3_PKdPddZZZN2at6native31launch_logcumsumexp_cuda_kernelERKNSB_10TensorBaseESF_lENKUlvE_clEvENKUlvE_clEvEUlddE_dEEDaPvRmT3_T4_T5_mT6_P12ihipStream_tbENKUlT_T0_E_clISt17integral_constantIbLb0EESV_IbLb1EEEEDaSR_SS_EUlSR_E0_NS1_11comp_targetILNS1_3genE2ELNS1_11target_archE906ELNS1_3gpuE6ELNS1_3repE0EEENS1_30default_config_static_selectorELNS0_4arch9wavefront6targetE0EEEvT1_.private_seg_size, 0
	.set _ZN7rocprim17ROCPRIM_400000_NS6detail17trampoline_kernelINS0_14default_configENS1_20scan_config_selectorIdEEZZNS1_9scan_implILNS1_25lookback_scan_determinismE0ELb0ELb0ES3_PKdPddZZZN2at6native31launch_logcumsumexp_cuda_kernelERKNSB_10TensorBaseESF_lENKUlvE_clEvENKUlvE_clEvEUlddE_dEEDaPvRmT3_T4_T5_mT6_P12ihipStream_tbENKUlT_T0_E_clISt17integral_constantIbLb0EESV_IbLb1EEEEDaSR_SS_EUlSR_E0_NS1_11comp_targetILNS1_3genE2ELNS1_11target_archE906ELNS1_3gpuE6ELNS1_3repE0EEENS1_30default_config_static_selectorELNS0_4arch9wavefront6targetE0EEEvT1_.uses_vcc, 0
	.set _ZN7rocprim17ROCPRIM_400000_NS6detail17trampoline_kernelINS0_14default_configENS1_20scan_config_selectorIdEEZZNS1_9scan_implILNS1_25lookback_scan_determinismE0ELb0ELb0ES3_PKdPddZZZN2at6native31launch_logcumsumexp_cuda_kernelERKNSB_10TensorBaseESF_lENKUlvE_clEvENKUlvE_clEvEUlddE_dEEDaPvRmT3_T4_T5_mT6_P12ihipStream_tbENKUlT_T0_E_clISt17integral_constantIbLb0EESV_IbLb1EEEEDaSR_SS_EUlSR_E0_NS1_11comp_targetILNS1_3genE2ELNS1_11target_archE906ELNS1_3gpuE6ELNS1_3repE0EEENS1_30default_config_static_selectorELNS0_4arch9wavefront6targetE0EEEvT1_.uses_flat_scratch, 0
	.set _ZN7rocprim17ROCPRIM_400000_NS6detail17trampoline_kernelINS0_14default_configENS1_20scan_config_selectorIdEEZZNS1_9scan_implILNS1_25lookback_scan_determinismE0ELb0ELb0ES3_PKdPddZZZN2at6native31launch_logcumsumexp_cuda_kernelERKNSB_10TensorBaseESF_lENKUlvE_clEvENKUlvE_clEvEUlddE_dEEDaPvRmT3_T4_T5_mT6_P12ihipStream_tbENKUlT_T0_E_clISt17integral_constantIbLb0EESV_IbLb1EEEEDaSR_SS_EUlSR_E0_NS1_11comp_targetILNS1_3genE2ELNS1_11target_archE906ELNS1_3gpuE6ELNS1_3repE0EEENS1_30default_config_static_selectorELNS0_4arch9wavefront6targetE0EEEvT1_.has_dyn_sized_stack, 0
	.set _ZN7rocprim17ROCPRIM_400000_NS6detail17trampoline_kernelINS0_14default_configENS1_20scan_config_selectorIdEEZZNS1_9scan_implILNS1_25lookback_scan_determinismE0ELb0ELb0ES3_PKdPddZZZN2at6native31launch_logcumsumexp_cuda_kernelERKNSB_10TensorBaseESF_lENKUlvE_clEvENKUlvE_clEvEUlddE_dEEDaPvRmT3_T4_T5_mT6_P12ihipStream_tbENKUlT_T0_E_clISt17integral_constantIbLb0EESV_IbLb1EEEEDaSR_SS_EUlSR_E0_NS1_11comp_targetILNS1_3genE2ELNS1_11target_archE906ELNS1_3gpuE6ELNS1_3repE0EEENS1_30default_config_static_selectorELNS0_4arch9wavefront6targetE0EEEvT1_.has_recursion, 0
	.set _ZN7rocprim17ROCPRIM_400000_NS6detail17trampoline_kernelINS0_14default_configENS1_20scan_config_selectorIdEEZZNS1_9scan_implILNS1_25lookback_scan_determinismE0ELb0ELb0ES3_PKdPddZZZN2at6native31launch_logcumsumexp_cuda_kernelERKNSB_10TensorBaseESF_lENKUlvE_clEvENKUlvE_clEvEUlddE_dEEDaPvRmT3_T4_T5_mT6_P12ihipStream_tbENKUlT_T0_E_clISt17integral_constantIbLb0EESV_IbLb1EEEEDaSR_SS_EUlSR_E0_NS1_11comp_targetILNS1_3genE2ELNS1_11target_archE906ELNS1_3gpuE6ELNS1_3repE0EEENS1_30default_config_static_selectorELNS0_4arch9wavefront6targetE0EEEvT1_.has_indirect_call, 0
	.section	.AMDGPU.csdata,"",@progbits
; Kernel info:
; codeLenInByte = 0
; TotalNumSgprs: 0
; NumVgprs: 0
; ScratchSize: 0
; MemoryBound: 0
; FloatMode: 240
; IeeeMode: 1
; LDSByteSize: 0 bytes/workgroup (compile time only)
; SGPRBlocks: 0
; VGPRBlocks: 0
; NumSGPRsForWavesPerEU: 1
; NumVGPRsForWavesPerEU: 1
; Occupancy: 16
; WaveLimiterHint : 0
; COMPUTE_PGM_RSRC2:SCRATCH_EN: 0
; COMPUTE_PGM_RSRC2:USER_SGPR: 2
; COMPUTE_PGM_RSRC2:TRAP_HANDLER: 0
; COMPUTE_PGM_RSRC2:TGID_X_EN: 1
; COMPUTE_PGM_RSRC2:TGID_Y_EN: 0
; COMPUTE_PGM_RSRC2:TGID_Z_EN: 0
; COMPUTE_PGM_RSRC2:TIDIG_COMP_CNT: 0
	.section	.text._ZN7rocprim17ROCPRIM_400000_NS6detail17trampoline_kernelINS0_14default_configENS1_20scan_config_selectorIdEEZZNS1_9scan_implILNS1_25lookback_scan_determinismE0ELb0ELb0ES3_PKdPddZZZN2at6native31launch_logcumsumexp_cuda_kernelERKNSB_10TensorBaseESF_lENKUlvE_clEvENKUlvE_clEvEUlddE_dEEDaPvRmT3_T4_T5_mT6_P12ihipStream_tbENKUlT_T0_E_clISt17integral_constantIbLb0EESV_IbLb1EEEEDaSR_SS_EUlSR_E0_NS1_11comp_targetILNS1_3genE10ELNS1_11target_archE1201ELNS1_3gpuE5ELNS1_3repE0EEENS1_30default_config_static_selectorELNS0_4arch9wavefront6targetE0EEEvT1_,"axG",@progbits,_ZN7rocprim17ROCPRIM_400000_NS6detail17trampoline_kernelINS0_14default_configENS1_20scan_config_selectorIdEEZZNS1_9scan_implILNS1_25lookback_scan_determinismE0ELb0ELb0ES3_PKdPddZZZN2at6native31launch_logcumsumexp_cuda_kernelERKNSB_10TensorBaseESF_lENKUlvE_clEvENKUlvE_clEvEUlddE_dEEDaPvRmT3_T4_T5_mT6_P12ihipStream_tbENKUlT_T0_E_clISt17integral_constantIbLb0EESV_IbLb1EEEEDaSR_SS_EUlSR_E0_NS1_11comp_targetILNS1_3genE10ELNS1_11target_archE1201ELNS1_3gpuE5ELNS1_3repE0EEENS1_30default_config_static_selectorELNS0_4arch9wavefront6targetE0EEEvT1_,comdat
	.globl	_ZN7rocprim17ROCPRIM_400000_NS6detail17trampoline_kernelINS0_14default_configENS1_20scan_config_selectorIdEEZZNS1_9scan_implILNS1_25lookback_scan_determinismE0ELb0ELb0ES3_PKdPddZZZN2at6native31launch_logcumsumexp_cuda_kernelERKNSB_10TensorBaseESF_lENKUlvE_clEvENKUlvE_clEvEUlddE_dEEDaPvRmT3_T4_T5_mT6_P12ihipStream_tbENKUlT_T0_E_clISt17integral_constantIbLb0EESV_IbLb1EEEEDaSR_SS_EUlSR_E0_NS1_11comp_targetILNS1_3genE10ELNS1_11target_archE1201ELNS1_3gpuE5ELNS1_3repE0EEENS1_30default_config_static_selectorELNS0_4arch9wavefront6targetE0EEEvT1_ ; -- Begin function _ZN7rocprim17ROCPRIM_400000_NS6detail17trampoline_kernelINS0_14default_configENS1_20scan_config_selectorIdEEZZNS1_9scan_implILNS1_25lookback_scan_determinismE0ELb0ELb0ES3_PKdPddZZZN2at6native31launch_logcumsumexp_cuda_kernelERKNSB_10TensorBaseESF_lENKUlvE_clEvENKUlvE_clEvEUlddE_dEEDaPvRmT3_T4_T5_mT6_P12ihipStream_tbENKUlT_T0_E_clISt17integral_constantIbLb0EESV_IbLb1EEEEDaSR_SS_EUlSR_E0_NS1_11comp_targetILNS1_3genE10ELNS1_11target_archE1201ELNS1_3gpuE5ELNS1_3repE0EEENS1_30default_config_static_selectorELNS0_4arch9wavefront6targetE0EEEvT1_
	.p2align	8
	.type	_ZN7rocprim17ROCPRIM_400000_NS6detail17trampoline_kernelINS0_14default_configENS1_20scan_config_selectorIdEEZZNS1_9scan_implILNS1_25lookback_scan_determinismE0ELb0ELb0ES3_PKdPddZZZN2at6native31launch_logcumsumexp_cuda_kernelERKNSB_10TensorBaseESF_lENKUlvE_clEvENKUlvE_clEvEUlddE_dEEDaPvRmT3_T4_T5_mT6_P12ihipStream_tbENKUlT_T0_E_clISt17integral_constantIbLb0EESV_IbLb1EEEEDaSR_SS_EUlSR_E0_NS1_11comp_targetILNS1_3genE10ELNS1_11target_archE1201ELNS1_3gpuE5ELNS1_3repE0EEENS1_30default_config_static_selectorELNS0_4arch9wavefront6targetE0EEEvT1_,@function
_ZN7rocprim17ROCPRIM_400000_NS6detail17trampoline_kernelINS0_14default_configENS1_20scan_config_selectorIdEEZZNS1_9scan_implILNS1_25lookback_scan_determinismE0ELb0ELb0ES3_PKdPddZZZN2at6native31launch_logcumsumexp_cuda_kernelERKNSB_10TensorBaseESF_lENKUlvE_clEvENKUlvE_clEvEUlddE_dEEDaPvRmT3_T4_T5_mT6_P12ihipStream_tbENKUlT_T0_E_clISt17integral_constantIbLb0EESV_IbLb1EEEEDaSR_SS_EUlSR_E0_NS1_11comp_targetILNS1_3genE10ELNS1_11target_archE1201ELNS1_3gpuE5ELNS1_3repE0EEENS1_30default_config_static_selectorELNS0_4arch9wavefront6targetE0EEEvT1_: ; @_ZN7rocprim17ROCPRIM_400000_NS6detail17trampoline_kernelINS0_14default_configENS1_20scan_config_selectorIdEEZZNS1_9scan_implILNS1_25lookback_scan_determinismE0ELb0ELb0ES3_PKdPddZZZN2at6native31launch_logcumsumexp_cuda_kernelERKNSB_10TensorBaseESF_lENKUlvE_clEvENKUlvE_clEvEUlddE_dEEDaPvRmT3_T4_T5_mT6_P12ihipStream_tbENKUlT_T0_E_clISt17integral_constantIbLb0EESV_IbLb1EEEEDaSR_SS_EUlSR_E0_NS1_11comp_targetILNS1_3genE10ELNS1_11target_archE1201ELNS1_3gpuE5ELNS1_3repE0EEENS1_30default_config_static_selectorELNS0_4arch9wavefront6targetE0EEEvT1_
; %bb.0:
	s_load_b128 s[20:23], s[0:1], 0x0
	v_lshlrev_b32_e32 v77, 3, v0
	s_wait_kmcnt 0x0
	s_load_b64 s[18:19], s[20:21], 0x0
	v_cmp_gt_u32_e32 vcc_lo, s22, v0
	s_wait_kmcnt 0x0
	v_dual_mov_b32 v1, s18 :: v_dual_mov_b32 v2, s19
	s_and_saveexec_b32 s2, vcc_lo
	s_cbranch_execz .LBB80_2
; %bb.1:
	global_load_b64 v[1:2], v77, s[20:21]
.LBB80_2:
	s_or_b32 exec_lo, exec_lo, s2
	v_or_b32_e32 v33, 0x100, v0
	v_dual_mov_b32 v3, s18 :: v_dual_mov_b32 v4, s19
	s_delay_alu instid0(VALU_DEP_2)
	v_cmp_gt_u32_e64 s2, s22, v33
	s_and_saveexec_b32 s3, s2
	s_cbranch_execz .LBB80_4
; %bb.3:
	global_load_b64 v[3:4], v77, s[20:21] offset:2048
.LBB80_4:
	s_or_b32 exec_lo, exec_lo, s3
	v_or_b32_e32 v34, 0x200, v0
	v_dual_mov_b32 v5, s18 :: v_dual_mov_b32 v6, s19
	s_delay_alu instid0(VALU_DEP_2)
	v_cmp_gt_u32_e64 s3, s22, v34
	s_and_saveexec_b32 s4, s3
	s_cbranch_execz .LBB80_6
; %bb.5:
	global_load_b64 v[5:6], v77, s[20:21] offset:4096
.LBB80_6:
	s_or_b32 exec_lo, exec_lo, s4
	v_or_b32_e32 v35, 0x300, v0
	v_dual_mov_b32 v9, s18 :: v_dual_mov_b32 v10, s19
	s_delay_alu instid0(VALU_DEP_2)
	v_cmp_gt_u32_e64 s4, s22, v35
	s_and_saveexec_b32 s5, s4
	s_cbranch_execz .LBB80_8
; %bb.7:
	global_load_b64 v[9:10], v77, s[20:21] offset:6144
.LBB80_8:
	s_or_b32 exec_lo, exec_lo, s5
	v_or_b32_e32 v36, 0x400, v0
	v_dual_mov_b32 v7, s18 :: v_dual_mov_b32 v8, s19
	s_delay_alu instid0(VALU_DEP_2)
	v_cmp_gt_u32_e64 s5, s22, v36
	s_and_saveexec_b32 s6, s5
	s_cbranch_execz .LBB80_10
; %bb.9:
	global_load_b64 v[7:8], v77, s[20:21] offset:8192
.LBB80_10:
	s_or_b32 exec_lo, exec_lo, s6
	v_or_b32_e32 v37, 0x500, v0
	v_dual_mov_b32 v11, s18 :: v_dual_mov_b32 v12, s19
	s_delay_alu instid0(VALU_DEP_2)
	v_cmp_gt_u32_e64 s6, s22, v37
	s_and_saveexec_b32 s7, s6
	s_cbranch_execz .LBB80_12
; %bb.11:
	global_load_b64 v[11:12], v77, s[20:21] offset:10240
.LBB80_12:
	s_or_b32 exec_lo, exec_lo, s7
	v_or_b32_e32 v38, 0x600, v0
	v_dual_mov_b32 v13, s18 :: v_dual_mov_b32 v14, s19
	s_delay_alu instid0(VALU_DEP_2)
	v_cmp_gt_u32_e64 s7, s22, v38
	s_and_saveexec_b32 s8, s7
	s_cbranch_execz .LBB80_14
; %bb.13:
	global_load_b64 v[13:14], v77, s[20:21] offset:12288
.LBB80_14:
	s_or_b32 exec_lo, exec_lo, s8
	v_or_b32_e32 v39, 0x700, v0
	v_dual_mov_b32 v17, s18 :: v_dual_mov_b32 v18, s19
	s_delay_alu instid0(VALU_DEP_2)
	v_cmp_gt_u32_e64 s8, s22, v39
	s_and_saveexec_b32 s9, s8
	s_cbranch_execz .LBB80_16
; %bb.15:
	global_load_b64 v[17:18], v77, s[20:21] offset:14336
.LBB80_16:
	s_or_b32 exec_lo, exec_lo, s9
	v_or_b32_e32 v40, 0x800, v0
	v_dual_mov_b32 v15, s18 :: v_dual_mov_b32 v16, s19
	s_delay_alu instid0(VALU_DEP_2)
	v_cmp_gt_u32_e64 s9, s22, v40
	s_and_saveexec_b32 s10, s9
	s_cbranch_execz .LBB80_18
; %bb.17:
	global_load_b64 v[15:16], v77, s[20:21] offset:16384
.LBB80_18:
	s_or_b32 exec_lo, exec_lo, s10
	v_or_b32_e32 v41, 0x900, v0
	v_dual_mov_b32 v20, s19 :: v_dual_mov_b32 v19, s18
	s_delay_alu instid0(VALU_DEP_2)
	v_cmp_gt_u32_e64 s10, s22, v41
	s_and_saveexec_b32 s11, s10
	s_cbranch_execz .LBB80_20
; %bb.19:
	global_load_b64 v[19:20], v77, s[20:21] offset:18432
.LBB80_20:
	s_or_b32 exec_lo, exec_lo, s11
	v_or_b32_e32 v42, 0xa00, v0
	v_dual_mov_b32 v22, s19 :: v_dual_mov_b32 v21, s18
	s_delay_alu instid0(VALU_DEP_2)
	v_cmp_gt_u32_e64 s11, s22, v42
	s_and_saveexec_b32 s12, s11
	s_cbranch_execz .LBB80_22
; %bb.21:
	global_load_b64 v[21:22], v77, s[20:21] offset:20480
.LBB80_22:
	s_or_b32 exec_lo, exec_lo, s12
	v_or_b32_e32 v43, 0xb00, v0
	v_dual_mov_b32 v26, s19 :: v_dual_mov_b32 v25, s18
	s_delay_alu instid0(VALU_DEP_2)
	v_cmp_gt_u32_e64 s12, s22, v43
	s_and_saveexec_b32 s13, s12
	s_cbranch_execz .LBB80_24
; %bb.23:
	global_load_b64 v[25:26], v77, s[20:21] offset:22528
.LBB80_24:
	s_or_b32 exec_lo, exec_lo, s13
	v_or_b32_e32 v44, 0xc00, v0
	v_dual_mov_b32 v24, s19 :: v_dual_mov_b32 v23, s18
	s_delay_alu instid0(VALU_DEP_2)
	v_cmp_gt_u32_e64 s13, s22, v44
	s_and_saveexec_b32 s14, s13
	s_cbranch_execz .LBB80_26
; %bb.25:
	global_load_b64 v[23:24], v77, s[20:21] offset:24576
.LBB80_26:
	s_or_b32 exec_lo, exec_lo, s14
	v_or_b32_e32 v45, 0xd00, v0
	v_dual_mov_b32 v28, s19 :: v_dual_mov_b32 v27, s18
	s_delay_alu instid0(VALU_DEP_2)
	v_cmp_gt_u32_e64 s14, s22, v45
	s_and_saveexec_b32 s15, s14
	s_cbranch_execz .LBB80_28
; %bb.27:
	global_load_b64 v[27:28], v77, s[20:21] offset:26624
.LBB80_28:
	s_or_b32 exec_lo, exec_lo, s15
	v_or_b32_e32 v46, 0xe00, v0
	v_dual_mov_b32 v30, s19 :: v_dual_mov_b32 v29, s18
	s_delay_alu instid0(VALU_DEP_2)
	v_cmp_gt_u32_e64 s15, s22, v46
	s_and_saveexec_b32 s16, s15
	s_cbranch_execz .LBB80_30
; %bb.29:
	global_load_b64 v[29:30], v77, s[20:21] offset:28672
.LBB80_30:
	s_or_b32 exec_lo, exec_lo, s16
	v_or_b32_e32 v47, 0xf00, v0
	v_dual_mov_b32 v32, s19 :: v_dual_mov_b32 v31, s18
	s_delay_alu instid0(VALU_DEP_2)
	v_cmp_gt_u32_e64 s16, s22, v47
	s_and_saveexec_b32 s17, s16
	s_cbranch_execz .LBB80_32
; %bb.31:
	global_load_b64 v[31:32], v77, s[20:21] offset:30720
.LBB80_32:
	s_or_b32 exec_lo, exec_lo, s17
	v_lshrrev_b32_e32 v48, 2, v0
	v_lshrrev_b32_e32 v34, 2, v34
	;; [unrolled: 1-line block ×5, first 2 shown]
	v_and_b32_e32 v95, 56, v48
	v_and_b32_e32 v34, 0xf8, v34
	;; [unrolled: 1-line block ×4, first 2 shown]
	s_delay_alu instid0(VALU_DEP_4) | instskip(NEXT) | instid1(VALU_DEP_4)
	v_add_nc_u32_e32 v78, v95, v77
	v_add_nc_u32_e32 v80, v34, v77
	v_and_b32_e32 v34, 0x1f8, v36
	v_lshrrev_b32_e32 v36, 2, v39
	v_add_nc_u32_e32 v79, v33, v77
	v_add_nc_u32_e32 v81, v35, v77
	s_wait_loadcnt 0x0
	ds_store_b64 v78, v[1:2]
	ds_store_b64 v79, v[3:4] offset:2048
	ds_store_b64 v80, v[5:6] offset:4096
	;; [unrolled: 1-line block ×3, first 2 shown]
	v_and_b32_e32 v1, 0x1f8, v36
	v_lshrrev_b32_e32 v2, 2, v40
	v_lshrrev_b32_e32 v3, 2, v41
	;; [unrolled: 1-line block ×4, first 2 shown]
	v_add_nc_u32_e32 v85, v1, v77
	v_and_b32_e32 v1, 0x3f8, v2
	v_and_b32_e32 v2, 0x3f8, v3
	;; [unrolled: 1-line block ×4, first 2 shown]
	v_lshlrev_b32_e32 v5, 2, v0
	v_add_nc_u32_e32 v86, v1, v77
	v_add_nc_u32_e32 v87, v2, v77
	v_lshrrev_b32_e32 v1, 2, v44
	v_lshrrev_b32_e32 v2, 2, v45
	;; [unrolled: 1-line block ×4, first 2 shown]
	v_add_nc_u32_e32 v88, v3, v77
	v_and_b32_e32 v1, 0x3f8, v1
	v_and_b32_e32 v2, 0x3f8, v2
	v_lshrrev_b32_e32 v3, 2, v46
	v_add_nc_u32_e32 v89, v4, v77
	v_lshrrev_b32_e32 v4, 2, v47
	v_add_nc_u32_e32 v90, v1, v77
	v_add_nc_u32_e32 v91, v2, v77
	v_and_b32_e32 v1, 0x3f8, v5
	v_lshlrev_b32_e32 v2, 7, v0
	v_and_b32_e32 v33, 0x1f8, v33
	v_and_b32_e32 v35, 0x1f8, v37
	;; [unrolled: 1-line block ×4, first 2 shown]
	v_add_nc_u32_e32 v82, v34, v77
	v_add_nc_u32_e32 v94, v1, v2
	;; [unrolled: 1-line block ×6, first 2 shown]
	ds_store_b64 v82, v[7:8] offset:8192
	ds_store_b64 v83, v[11:12] offset:10240
	;; [unrolled: 1-line block ×12, first 2 shown]
	s_wait_dscnt 0x0
	s_barrier_signal -1
	s_barrier_wait -1
	global_inv scope:SCOPE_SE
	ds_load_2addr_b64 v[1:4], v94 offset1:1
	ds_load_2addr_b64 v[29:32], v94 offset0:2 offset1:3
	s_wait_dscnt 0x1
	v_max_num_f64_e32 v[35:36], v[3:4], v[3:4]
	v_max_num_f64_e32 v[63:64], v[1:2], v[1:2]
	v_cmp_u_f64_e64 s33, v[1:2], v[1:2]
	v_cmp_u_f64_e64 s17, v[3:4], v[3:4]
	v_dual_mov_b32 v70, v2 :: v_dual_mov_b32 v69, v1
	s_delay_alu instid0(VALU_DEP_4) | instskip(SKIP_1) | instid1(VALU_DEP_2)
	v_min_num_f64_e32 v[65:66], v[63:64], v[35:36]
	v_max_num_f64_e32 v[67:68], v[63:64], v[35:36]
	v_cndmask_b32_e64 v5, v65, v1, s33
	s_delay_alu instid0(VALU_DEP_3) | instskip(NEXT) | instid1(VALU_DEP_3)
	v_cndmask_b32_e64 v6, v66, v2, s33
	v_cndmask_b32_e64 v7, v68, v2, s33
	s_delay_alu instid0(VALU_DEP_4) | instskip(NEXT) | instid1(VALU_DEP_4)
	v_cndmask_b32_e64 v8, v67, v1, s33
	v_cndmask_b32_e64 v37, v5, v3, s17
	s_delay_alu instid0(VALU_DEP_4) | instskip(NEXT) | instid1(VALU_DEP_4)
	v_cndmask_b32_e64 v38, v6, v4, s17
	v_cndmask_b32_e64 v34, v7, v4, s17
	s_delay_alu instid0(VALU_DEP_4)
	v_cndmask_b32_e64 v33, v8, v3, s17
	ds_load_2addr_b64 v[25:28], v94 offset0:4 offset1:5
	ds_load_2addr_b64 v[21:24], v94 offset0:6 offset1:7
	;; [unrolled: 1-line block ×6, first 2 shown]
	s_wait_loadcnt_dscnt 0x0
	v_cmp_class_f64_e64 s19, v[37:38], 0x1f8
	s_barrier_signal -1
	v_cmp_neq_f64_e64 s18, v[37:38], v[33:34]
	s_barrier_wait -1
	global_inv scope:SCOPE_SE
	s_or_b32 s18, s18, s19
	s_wait_alu 0xfffe
	s_and_saveexec_b32 s24, s18
	s_cbranch_execz .LBB80_34
; %bb.33:
	v_add_f64_e64 v[37:38], v[37:38], -v[33:34]
	s_mov_b32 s18, 0x652b82fe
	s_mov_b32 s19, 0x3ff71547
	;; [unrolled: 1-line block ×10, first 2 shown]
	s_wait_alu 0xfffe
	s_delay_alu instid0(VALU_DEP_1) | instskip(SKIP_2) | instid1(VALU_DEP_1)
	v_mul_f64_e32 v[39:40], s[18:19], v[37:38]
	s_mov_b32 s18, 0xfca7ab0c
	s_mov_b32 s19, 0x3e928af3
	v_rndne_f64_e32 v[39:40], v[39:40]
	s_delay_alu instid0(VALU_DEP_1) | instskip(SKIP_2) | instid1(VALU_DEP_2)
	v_fma_f64 v[41:42], v[39:40], s[20:21], v[37:38]
	v_cvt_i32_f64_e32 v45, v[39:40]
	s_mov_b32 s21, 0x3fe62e42
	v_fma_f64 v[41:42], v[39:40], s[22:23], v[41:42]
	s_mov_b32 s23, 0x3c7abc9e
	s_wait_alu 0xfffe
	s_delay_alu instid0(VALU_DEP_1)
	v_fma_f64 v[43:44], v[41:42], s[26:27], s[18:19]
	s_mov_b32 s18, 0x623fde64
	s_mov_b32 s19, 0x3ec71dee
	;; [unrolled: 1-line block ×4, first 2 shown]
	s_wait_alu 0xfffe
	s_delay_alu instid0(VALU_DEP_1) | instskip(SKIP_3) | instid1(VALU_DEP_1)
	v_fma_f64 v[43:44], v[41:42], v[43:44], s[18:19]
	s_mov_b32 s18, 0x7c89e6b0
	s_mov_b32 s19, 0x3efa0199
	s_wait_alu 0xfffe
	v_fma_f64 v[43:44], v[41:42], v[43:44], s[18:19]
	s_mov_b32 s18, 0x14761f6e
	s_mov_b32 s19, 0x3f2a01a0
	s_wait_alu 0xfffe
	s_delay_alu instid0(VALU_DEP_1) | instskip(SKIP_3) | instid1(VALU_DEP_1)
	v_fma_f64 v[43:44], v[41:42], v[43:44], s[18:19]
	s_mov_b32 s18, 0x1852b7b0
	s_mov_b32 s19, 0x3f56c16c
	s_wait_alu 0xfffe
	v_fma_f64 v[43:44], v[41:42], v[43:44], s[18:19]
	s_mov_b32 s18, 0x11122322
	s_mov_b32 s19, 0x3f811111
	;; [unrolled: 9-line block ×3, first 2 shown]
	s_wait_alu 0xfffe
	s_delay_alu instid0(VALU_DEP_1) | instskip(SKIP_3) | instid1(VALU_DEP_1)
	v_fma_f64 v[43:44], v[41:42], v[43:44], s[18:19]
	s_mov_b32 s18, 11
	s_mov_b32 s19, 0x3fe00000
	s_wait_alu 0xfffe
	v_fma_f64 v[43:44], v[41:42], v[43:44], s[18:19]
	v_cmp_nlt_f64_e64 s18, 0x40900000, v[37:38]
	v_cmp_ngt_f64_e64 s19, 0xc090cc00, v[37:38]
	s_delay_alu instid0(VALU_DEP_3) | instskip(NEXT) | instid1(VALU_DEP_1)
	v_fma_f64 v[43:44], v[41:42], v[43:44], 1.0
	v_fma_f64 v[39:40], v[41:42], v[43:44], 1.0
	s_delay_alu instid0(VALU_DEP_1) | instskip(SKIP_1) | instid1(VALU_DEP_1)
	v_ldexp_f64 v[39:40], v[39:40], v45
	s_wait_alu 0xf1ff
	v_cndmask_b32_e64 v40, 0x7ff00000, v40, s18
	s_and_b32 s18, s19, s18
	s_wait_alu 0xfffe
	s_delay_alu instid0(VALU_DEP_2) | instskip(SKIP_3) | instid1(VALU_DEP_1)
	v_cndmask_b32_e64 v37, 0, v39, s18
	s_mov_b32 s18, 0x55555555
	v_cndmask_b32_e64 v38, 0, v40, s19
	s_mov_b32 s19, 0x3fe55555
	v_add_f64_e32 v[39:40], 1.0, v[37:38]
	s_delay_alu instid0(VALU_DEP_1) | instskip(SKIP_3) | instid1(VALU_DEP_3)
	v_frexp_mant_f64_e32 v[41:42], v[39:40]
	v_frexp_exp_i32_f64_e32 v45, v[39:40]
	v_add_f64_e32 v[43:44], -1.0, v[39:40]
	s_wait_alu 0xfffe
	v_cmp_gt_f64_e64 s18, s[18:19], v[41:42]
	s_delay_alu instid0(VALU_DEP_2) | instskip(SKIP_2) | instid1(VALU_DEP_3)
	v_add_f64_e64 v[41:42], v[43:44], -v[39:40]
	v_add_f64_e64 v[43:44], v[37:38], -v[43:44]
	s_wait_alu 0xf1ff
	v_subrev_co_ci_u32_e64 v61, null, 0, v45, s18
	s_delay_alu instid0(VALU_DEP_3) | instskip(SKIP_1) | instid1(VALU_DEP_2)
	v_add_f64_e32 v[41:42], 1.0, v[41:42]
	s_mov_b32 s18, 0x55555780
	v_sub_nc_u32_e32 v47, 0, v61
	s_delay_alu instid0(VALU_DEP_1) | instskip(NEXT) | instid1(VALU_DEP_3)
	v_ldexp_f64 v[39:40], v[39:40], v47
	v_add_f64_e32 v[41:42], v[43:44], v[41:42]
	s_delay_alu instid0(VALU_DEP_2) | instskip(SKIP_1) | instid1(VALU_DEP_3)
	v_add_f64_e32 v[45:46], 1.0, v[39:40]
	v_add_f64_e32 v[51:52], -1.0, v[39:40]
	v_ldexp_f64 v[41:42], v[41:42], v47
	s_delay_alu instid0(VALU_DEP_3) | instskip(NEXT) | instid1(VALU_DEP_3)
	v_add_f64_e32 v[43:44], -1.0, v[45:46]
	v_add_f64_e32 v[53:54], 1.0, v[51:52]
	s_delay_alu instid0(VALU_DEP_2) | instskip(NEXT) | instid1(VALU_DEP_2)
	v_add_f64_e64 v[43:44], v[39:40], -v[43:44]
	v_add_f64_e64 v[39:40], v[39:40], -v[53:54]
	s_delay_alu instid0(VALU_DEP_2) | instskip(NEXT) | instid1(VALU_DEP_2)
	v_add_f64_e32 v[43:44], v[41:42], v[43:44]
	v_add_f64_e32 v[39:40], v[41:42], v[39:40]
	s_delay_alu instid0(VALU_DEP_2) | instskip(NEXT) | instid1(VALU_DEP_2)
	v_add_f64_e32 v[47:48], v[45:46], v[43:44]
	v_add_f64_e32 v[53:54], v[51:52], v[39:40]
	s_delay_alu instid0(VALU_DEP_2) | instskip(SKIP_1) | instid1(VALU_DEP_2)
	v_rcp_f64_e32 v[49:50], v[47:48]
	v_add_f64_e64 v[45:46], v[47:48], -v[45:46]
	v_add_f64_e64 v[51:52], v[53:54], -v[51:52]
	s_delay_alu instid0(VALU_DEP_2) | instskip(NEXT) | instid1(TRANS32_DEP_1)
	v_add_f64_e64 v[43:44], v[43:44], -v[45:46]
	v_fma_f64 v[55:56], -v[47:48], v[49:50], 1.0
	s_delay_alu instid0(VALU_DEP_3) | instskip(NEXT) | instid1(VALU_DEP_2)
	v_add_f64_e64 v[39:40], v[39:40], -v[51:52]
	v_fma_f64 v[49:50], v[55:56], v[49:50], v[49:50]
	s_delay_alu instid0(VALU_DEP_1) | instskip(NEXT) | instid1(VALU_DEP_1)
	v_fma_f64 v[41:42], -v[47:48], v[49:50], 1.0
	v_fma_f64 v[41:42], v[41:42], v[49:50], v[49:50]
	s_delay_alu instid0(VALU_DEP_1) | instskip(NEXT) | instid1(VALU_DEP_1)
	v_mul_f64_e32 v[49:50], v[53:54], v[41:42]
	v_mul_f64_e32 v[55:56], v[47:48], v[49:50]
	s_delay_alu instid0(VALU_DEP_1) | instskip(NEXT) | instid1(VALU_DEP_1)
	v_fma_f64 v[45:46], v[49:50], v[47:48], -v[55:56]
	v_fma_f64 v[45:46], v[49:50], v[43:44], v[45:46]
	s_delay_alu instid0(VALU_DEP_1) | instskip(NEXT) | instid1(VALU_DEP_1)
	v_add_f64_e32 v[57:58], v[55:56], v[45:46]
	v_add_f64_e64 v[59:60], v[53:54], -v[57:58]
	v_add_f64_e64 v[51:52], v[57:58], -v[55:56]
	s_delay_alu instid0(VALU_DEP_2) | instskip(NEXT) | instid1(VALU_DEP_2)
	v_add_f64_e64 v[53:54], v[53:54], -v[59:60]
	v_add_f64_e64 v[45:46], v[51:52], -v[45:46]
	s_delay_alu instid0(VALU_DEP_2) | instskip(NEXT) | instid1(VALU_DEP_1)
	v_add_f64_e64 v[53:54], v[53:54], -v[57:58]
	v_add_f64_e32 v[39:40], v[39:40], v[53:54]
	s_delay_alu instid0(VALU_DEP_1) | instskip(NEXT) | instid1(VALU_DEP_1)
	v_add_f64_e32 v[39:40], v[45:46], v[39:40]
	v_add_f64_e32 v[45:46], v[59:60], v[39:40]
	s_delay_alu instid0(VALU_DEP_1) | instskip(SKIP_1) | instid1(VALU_DEP_2)
	v_mul_f64_e32 v[51:52], v[41:42], v[45:46]
	v_add_f64_e64 v[57:58], v[59:60], -v[45:46]
	v_mul_f64_e32 v[53:54], v[47:48], v[51:52]
	s_delay_alu instid0(VALU_DEP_2) | instskip(NEXT) | instid1(VALU_DEP_2)
	v_add_f64_e32 v[39:40], v[39:40], v[57:58]
	v_fma_f64 v[47:48], v[51:52], v[47:48], -v[53:54]
	s_delay_alu instid0(VALU_DEP_1) | instskip(NEXT) | instid1(VALU_DEP_1)
	v_fma_f64 v[43:44], v[51:52], v[43:44], v[47:48]
	v_add_f64_e32 v[47:48], v[53:54], v[43:44]
	s_delay_alu instid0(VALU_DEP_1) | instskip(SKIP_1) | instid1(VALU_DEP_2)
	v_add_f64_e64 v[55:56], v[45:46], -v[47:48]
	v_add_f64_e64 v[53:54], v[47:48], -v[53:54]
	;; [unrolled: 1-line block ×3, first 2 shown]
	s_delay_alu instid0(VALU_DEP_2) | instskip(NEXT) | instid1(VALU_DEP_2)
	v_add_f64_e64 v[43:44], v[53:54], -v[43:44]
	v_add_f64_e64 v[45:46], v[45:46], -v[47:48]
	s_delay_alu instid0(VALU_DEP_1) | instskip(SKIP_1) | instid1(VALU_DEP_2)
	v_add_f64_e32 v[39:40], v[39:40], v[45:46]
	v_add_f64_e32 v[45:46], v[49:50], v[51:52]
	;; [unrolled: 1-line block ×3, first 2 shown]
	s_delay_alu instid0(VALU_DEP_2) | instskip(NEXT) | instid1(VALU_DEP_2)
	v_add_f64_e64 v[43:44], v[45:46], -v[49:50]
	v_add_f64_e32 v[39:40], v[55:56], v[39:40]
	s_delay_alu instid0(VALU_DEP_2) | instskip(NEXT) | instid1(VALU_DEP_2)
	v_add_f64_e64 v[43:44], v[51:52], -v[43:44]
	v_mul_f64_e32 v[39:40], v[41:42], v[39:40]
	s_delay_alu instid0(VALU_DEP_1) | instskip(NEXT) | instid1(VALU_DEP_1)
	v_add_f64_e32 v[39:40], v[43:44], v[39:40]
	v_add_f64_e32 v[41:42], v[45:46], v[39:40]
	s_delay_alu instid0(VALU_DEP_1) | instskip(NEXT) | instid1(VALU_DEP_1)
	v_mul_f64_e32 v[43:44], v[41:42], v[41:42]
	v_fma_f64 v[47:48], v[43:44], s[28:29], s[26:27]
	s_mov_b32 s26, 0xd7f4df2e
	s_mov_b32 s27, 0x3fc7474d
	v_mul_f64_e32 v[49:50], v[41:42], v[43:44]
	s_wait_alu 0xfffe
	s_delay_alu instid0(VALU_DEP_2) | instskip(SKIP_3) | instid1(VALU_DEP_1)
	v_fma_f64 v[47:48], v[43:44], v[47:48], s[26:27]
	s_mov_b32 s26, 0x16291751
	s_mov_b32 s27, 0x3fcc71c0
	s_wait_alu 0xfffe
	v_fma_f64 v[47:48], v[43:44], v[47:48], s[26:27]
	s_mov_b32 s26, 0x9b27acf1
	s_mov_b32 s27, 0x3fd24924
	s_wait_alu 0xfffe
	s_delay_alu instid0(VALU_DEP_1) | instskip(SKIP_3) | instid1(VALU_DEP_1)
	v_fma_f64 v[47:48], v[43:44], v[47:48], s[26:27]
	s_mov_b32 s26, 0x998ef7b6
	s_mov_b32 s27, 0x3fd99999
	s_wait_alu 0xfffe
	v_fma_f64 v[47:48], v[43:44], v[47:48], s[26:27]
	s_delay_alu instid0(VALU_DEP_1)
	v_fma_f64 v[43:44], v[43:44], v[47:48], s[18:19]
	v_ldexp_f64 v[47:48], v[41:42], 1
	v_add_f64_e64 v[41:42], v[41:42], -v[45:46]
	v_cmp_nge_f64_e64 s18, -1.0, v[37:38]
	v_cmp_neq_f64_e64 s19, 0x7ff00000, v[37:38]
	v_mul_f64_e32 v[43:44], v[49:50], v[43:44]
	v_cvt_f64_i32_e32 v[49:50], v61
	v_add_f64_e64 v[39:40], v[39:40], -v[41:42]
	s_and_b32 s18, s18, s19
	s_delay_alu instid0(VALU_DEP_3) | instskip(NEXT) | instid1(VALU_DEP_3)
	v_add_f64_e32 v[45:46], v[47:48], v[43:44]
	v_mul_f64_e32 v[51:52], s[20:21], v[49:50]
	s_delay_alu instid0(VALU_DEP_3) | instskip(NEXT) | instid1(VALU_DEP_3)
	v_ldexp_f64 v[39:40], v[39:40], 1
	v_add_f64_e64 v[41:42], v[45:46], -v[47:48]
	s_delay_alu instid0(VALU_DEP_3) | instskip(SKIP_1) | instid1(VALU_DEP_3)
	v_fma_f64 v[47:48], v[49:50], s[20:21], -v[51:52]
	v_cmp_ngt_f64_e64 s20, -1.0, v[37:38]
	v_add_f64_e64 v[41:42], v[43:44], -v[41:42]
	s_delay_alu instid0(VALU_DEP_3) | instskip(NEXT) | instid1(VALU_DEP_2)
	v_fma_f64 v[43:44], v[49:50], s[22:23], v[47:48]
	v_add_f64_e32 v[39:40], v[39:40], v[41:42]
	s_delay_alu instid0(VALU_DEP_2) | instskip(NEXT) | instid1(VALU_DEP_2)
	v_add_f64_e32 v[41:42], v[51:52], v[43:44]
	v_add_f64_e32 v[47:48], v[45:46], v[39:40]
	s_delay_alu instid0(VALU_DEP_2) | instskip(NEXT) | instid1(VALU_DEP_2)
	v_add_f64_e64 v[51:52], v[41:42], -v[51:52]
	v_add_f64_e32 v[49:50], v[41:42], v[47:48]
	v_add_f64_e64 v[45:46], v[47:48], -v[45:46]
	s_delay_alu instid0(VALU_DEP_3) | instskip(NEXT) | instid1(VALU_DEP_3)
	v_add_f64_e64 v[43:44], v[43:44], -v[51:52]
	v_add_f64_e64 v[53:54], v[49:50], -v[41:42]
	s_delay_alu instid0(VALU_DEP_3) | instskip(NEXT) | instid1(VALU_DEP_2)
	v_add_f64_e64 v[39:40], v[39:40], -v[45:46]
	v_add_f64_e64 v[55:56], v[49:50], -v[53:54]
	;; [unrolled: 1-line block ×3, first 2 shown]
	s_delay_alu instid0(VALU_DEP_3) | instskip(NEXT) | instid1(VALU_DEP_3)
	v_add_f64_e32 v[47:48], v[43:44], v[39:40]
	v_add_f64_e64 v[41:42], v[41:42], -v[55:56]
	s_delay_alu instid0(VALU_DEP_1) | instskip(NEXT) | instid1(VALU_DEP_3)
	v_add_f64_e32 v[41:42], v[45:46], v[41:42]
	v_add_f64_e64 v[45:46], v[47:48], -v[43:44]
	s_delay_alu instid0(VALU_DEP_2) | instskip(NEXT) | instid1(VALU_DEP_2)
	v_add_f64_e32 v[41:42], v[47:48], v[41:42]
	v_add_f64_e64 v[47:48], v[47:48], -v[45:46]
	v_add_f64_e64 v[39:40], v[39:40], -v[45:46]
	s_delay_alu instid0(VALU_DEP_3) | instskip(NEXT) | instid1(VALU_DEP_3)
	v_add_f64_e32 v[51:52], v[49:50], v[41:42]
	v_add_f64_e64 v[43:44], v[43:44], -v[47:48]
	s_delay_alu instid0(VALU_DEP_2) | instskip(NEXT) | instid1(VALU_DEP_2)
	v_add_f64_e64 v[45:46], v[51:52], -v[49:50]
	v_add_f64_e32 v[39:40], v[39:40], v[43:44]
	s_delay_alu instid0(VALU_DEP_2) | instskip(NEXT) | instid1(VALU_DEP_1)
	v_add_f64_e64 v[41:42], v[41:42], -v[45:46]
	v_add_f64_e32 v[39:40], v[39:40], v[41:42]
	s_delay_alu instid0(VALU_DEP_1) | instskip(SKIP_1) | instid1(VALU_DEP_1)
	v_add_f64_e32 v[39:40], v[51:52], v[39:40]
	s_wait_alu 0xfffe
	v_cndmask_b32_e64 v39, 0, v39, s18
	v_cmp_neq_f64_e64 s18, -1.0, v[37:38]
	s_delay_alu instid0(VALU_DEP_3) | instskip(SKIP_1) | instid1(VALU_DEP_1)
	v_cndmask_b32_e64 v40, 0x7ff00000, v40, s19
	s_wait_alu 0xf1ff
	v_cndmask_b32_e64 v40, 0x7ff80000, v40, s20
	s_delay_alu instid0(VALU_DEP_1) | instskip(NEXT) | instid1(VALU_DEP_1)
	v_cndmask_b32_e64 v40, 0xfff00000, v40, s18
	v_add_f64_e32 v[69:70], v[33:34], v[39:40]
.LBB80_34:
	s_or_b32 exec_lo, exec_lo, s24
	v_max_num_f64_e32 v[33:34], v[29:30], v[29:30]
	s_delay_alu instid0(VALU_DEP_2) | instskip(SKIP_2) | instid1(VALU_DEP_3)
	v_max_num_f64_e32 v[37:38], v[69:70], v[69:70]
	v_cmp_u_f64_e64 s19, v[69:70], v[69:70]
	v_cmp_u_f64_e64 s18, v[29:30], v[29:30]
	v_min_num_f64_e32 v[39:40], v[37:38], v[33:34]
	v_max_num_f64_e32 v[37:38], v[37:38], v[33:34]
	s_wait_alu 0xf1ff
	s_delay_alu instid0(VALU_DEP_2) | instskip(NEXT) | instid1(VALU_DEP_3)
	v_cndmask_b32_e64 v39, v39, v69, s19
	v_cndmask_b32_e64 v40, v40, v70, s19
	s_delay_alu instid0(VALU_DEP_3) | instskip(NEXT) | instid1(VALU_DEP_4)
	v_cndmask_b32_e64 v38, v38, v70, s19
	v_cndmask_b32_e64 v37, v37, v69, s19
	s_delay_alu instid0(VALU_DEP_4) | instskip(NEXT) | instid1(VALU_DEP_4)
	v_cndmask_b32_e64 v39, v39, v29, s18
	v_cndmask_b32_e64 v40, v40, v30, s18
	s_delay_alu instid0(VALU_DEP_4) | instskip(NEXT) | instid1(VALU_DEP_4)
	v_cndmask_b32_e64 v38, v38, v30, s18
	v_cndmask_b32_e64 v37, v37, v29, s18
	s_delay_alu instid0(VALU_DEP_3) | instskip(NEXT) | instid1(VALU_DEP_2)
	v_cmp_class_f64_e64 s20, v[39:40], 0x1f8
	v_cmp_neq_f64_e64 s19, v[39:40], v[37:38]
	s_or_b32 s19, s19, s20
	s_wait_alu 0xfffe
	s_and_saveexec_b32 s26, s19
	s_cbranch_execz .LBB80_36
; %bb.35:
	v_add_f64_e64 v[39:40], v[39:40], -v[37:38]
	s_mov_b32 s20, 0x652b82fe
	s_mov_b32 s21, 0x3ff71547
	;; [unrolled: 1-line block ×10, first 2 shown]
	s_wait_alu 0xfffe
	s_delay_alu instid0(VALU_DEP_1) | instskip(SKIP_3) | instid1(VALU_DEP_2)
	v_mul_f64_e32 v[41:42], s[20:21], v[39:40]
	s_mov_b32 s20, 0xfca7ab0c
	s_mov_b32 s21, 0x3e928af3
	v_cmp_nlt_f64_e64 s19, 0x40900000, v[39:40]
	v_rndne_f64_e32 v[41:42], v[41:42]
	s_delay_alu instid0(VALU_DEP_1) | instskip(SKIP_2) | instid1(VALU_DEP_2)
	v_fma_f64 v[43:44], v[41:42], s[22:23], v[39:40]
	v_cvt_i32_f64_e32 v47, v[41:42]
	s_mov_b32 s23, 0x3fe62e42
	v_fma_f64 v[43:44], v[41:42], s[24:25], v[43:44]
	s_mov_b32 s25, 0x3c7abc9e
	s_wait_alu 0xfffe
	s_delay_alu instid0(VALU_DEP_1)
	v_fma_f64 v[45:46], v[43:44], s[28:29], s[20:21]
	s_mov_b32 s20, 0x623fde64
	s_mov_b32 s21, 0x3ec71dee
	;; [unrolled: 1-line block ×4, first 2 shown]
	s_wait_alu 0xfffe
	s_delay_alu instid0(VALU_DEP_1) | instskip(SKIP_3) | instid1(VALU_DEP_1)
	v_fma_f64 v[45:46], v[43:44], v[45:46], s[20:21]
	s_mov_b32 s20, 0x7c89e6b0
	s_mov_b32 s21, 0x3efa0199
	s_wait_alu 0xfffe
	v_fma_f64 v[45:46], v[43:44], v[45:46], s[20:21]
	s_mov_b32 s20, 0x14761f6e
	s_mov_b32 s21, 0x3f2a01a0
	s_wait_alu 0xfffe
	s_delay_alu instid0(VALU_DEP_1) | instskip(SKIP_3) | instid1(VALU_DEP_1)
	v_fma_f64 v[45:46], v[43:44], v[45:46], s[20:21]
	s_mov_b32 s20, 0x1852b7b0
	s_mov_b32 s21, 0x3f56c16c
	s_wait_alu 0xfffe
	v_fma_f64 v[45:46], v[43:44], v[45:46], s[20:21]
	s_mov_b32 s20, 0x11122322
	s_mov_b32 s21, 0x3f811111
	s_wait_alu 0xfffe
	s_delay_alu instid0(VALU_DEP_1) | instskip(SKIP_3) | instid1(VALU_DEP_1)
	v_fma_f64 v[45:46], v[43:44], v[45:46], s[20:21]
	s_mov_b32 s20, 0x555502a1
	s_mov_b32 s21, 0x3fa55555
	s_wait_alu 0xfffe
	v_fma_f64 v[45:46], v[43:44], v[45:46], s[20:21]
	s_mov_b32 s20, 0x55555511
	s_mov_b32 s21, 0x3fc55555
	s_wait_alu 0xfffe
	s_delay_alu instid0(VALU_DEP_1) | instskip(SKIP_3) | instid1(VALU_DEP_1)
	v_fma_f64 v[45:46], v[43:44], v[45:46], s[20:21]
	s_mov_b32 s20, 11
	s_mov_b32 s21, 0x3fe00000
	s_wait_alu 0xfffe
	v_fma_f64 v[45:46], v[43:44], v[45:46], s[20:21]
	v_cmp_ngt_f64_e64 s20, 0xc090cc00, v[39:40]
	s_mov_b32 s21, 0x3fe55555
	v_fma_f64 v[45:46], v[43:44], v[45:46], 1.0
	s_delay_alu instid0(VALU_DEP_1) | instskip(NEXT) | instid1(VALU_DEP_1)
	v_fma_f64 v[41:42], v[43:44], v[45:46], 1.0
	v_ldexp_f64 v[41:42], v[41:42], v47
	s_wait_alu 0xf1ff
	s_delay_alu instid0(VALU_DEP_1) | instskip(SKIP_2) | instid1(VALU_DEP_2)
	v_cndmask_b32_e64 v42, 0x7ff00000, v42, s19
	s_and_b32 s19, s20, s19
	s_wait_alu 0xfffe
	v_cndmask_b32_e64 v39, 0, v41, s19
	s_delay_alu instid0(VALU_DEP_2) | instskip(SKIP_1) | instid1(VALU_DEP_1)
	v_cndmask_b32_e64 v40, 0, v42, s20
	s_mov_b32 s20, 0x55555555
	v_add_f64_e32 v[41:42], 1.0, v[39:40]
	s_delay_alu instid0(VALU_DEP_1) | instskip(SKIP_3) | instid1(VALU_DEP_3)
	v_frexp_mant_f64_e32 v[43:44], v[41:42]
	v_frexp_exp_i32_f64_e32 v47, v[41:42]
	v_add_f64_e32 v[45:46], -1.0, v[41:42]
	s_wait_alu 0xfffe
	v_cmp_gt_f64_e64 s19, s[20:21], v[43:44]
	s_mov_b32 s20, 0x55555780
	v_add_f64_e64 v[43:44], v[45:46], -v[41:42]
	v_add_f64_e64 v[45:46], v[39:40], -v[45:46]
	s_wait_alu 0xf1ff
	v_subrev_co_ci_u32_e64 v69, null, 0, v47, s19
	s_delay_alu instid0(VALU_DEP_3) | instskip(SKIP_1) | instid1(VALU_DEP_3)
	v_add_f64_e32 v[43:44], 1.0, v[43:44]
	v_cmp_nge_f64_e64 s19, -1.0, v[39:40]
	v_sub_nc_u32_e32 v49, 0, v69
	s_delay_alu instid0(VALU_DEP_1) | instskip(NEXT) | instid1(VALU_DEP_4)
	v_ldexp_f64 v[41:42], v[41:42], v49
	v_add_f64_e32 v[43:44], v[45:46], v[43:44]
	s_delay_alu instid0(VALU_DEP_2) | instskip(SKIP_1) | instid1(VALU_DEP_3)
	v_add_f64_e32 v[47:48], 1.0, v[41:42]
	v_add_f64_e32 v[53:54], -1.0, v[41:42]
	v_ldexp_f64 v[43:44], v[43:44], v49
	s_delay_alu instid0(VALU_DEP_3) | instskip(NEXT) | instid1(VALU_DEP_3)
	v_add_f64_e32 v[45:46], -1.0, v[47:48]
	v_add_f64_e32 v[55:56], 1.0, v[53:54]
	s_delay_alu instid0(VALU_DEP_2) | instskip(NEXT) | instid1(VALU_DEP_2)
	v_add_f64_e64 v[45:46], v[41:42], -v[45:46]
	v_add_f64_e64 v[41:42], v[41:42], -v[55:56]
	s_delay_alu instid0(VALU_DEP_2) | instskip(NEXT) | instid1(VALU_DEP_2)
	v_add_f64_e32 v[45:46], v[43:44], v[45:46]
	v_add_f64_e32 v[41:42], v[43:44], v[41:42]
	s_delay_alu instid0(VALU_DEP_2) | instskip(NEXT) | instid1(VALU_DEP_2)
	v_add_f64_e32 v[49:50], v[47:48], v[45:46]
	v_add_f64_e32 v[55:56], v[53:54], v[41:42]
	s_delay_alu instid0(VALU_DEP_2) | instskip(SKIP_1) | instid1(VALU_DEP_2)
	v_rcp_f64_e32 v[51:52], v[49:50]
	v_add_f64_e64 v[47:48], v[49:50], -v[47:48]
	v_add_f64_e64 v[53:54], v[55:56], -v[53:54]
	s_delay_alu instid0(VALU_DEP_2) | instskip(NEXT) | instid1(TRANS32_DEP_1)
	v_add_f64_e64 v[45:46], v[45:46], -v[47:48]
	v_fma_f64 v[57:58], -v[49:50], v[51:52], 1.0
	s_delay_alu instid0(VALU_DEP_3) | instskip(NEXT) | instid1(VALU_DEP_2)
	v_add_f64_e64 v[41:42], v[41:42], -v[53:54]
	v_fma_f64 v[51:52], v[57:58], v[51:52], v[51:52]
	s_delay_alu instid0(VALU_DEP_1) | instskip(NEXT) | instid1(VALU_DEP_1)
	v_fma_f64 v[43:44], -v[49:50], v[51:52], 1.0
	v_fma_f64 v[43:44], v[43:44], v[51:52], v[51:52]
	s_delay_alu instid0(VALU_DEP_1) | instskip(NEXT) | instid1(VALU_DEP_1)
	v_mul_f64_e32 v[51:52], v[55:56], v[43:44]
	v_mul_f64_e32 v[57:58], v[49:50], v[51:52]
	s_delay_alu instid0(VALU_DEP_1) | instskip(NEXT) | instid1(VALU_DEP_1)
	v_fma_f64 v[47:48], v[51:52], v[49:50], -v[57:58]
	v_fma_f64 v[47:48], v[51:52], v[45:46], v[47:48]
	s_delay_alu instid0(VALU_DEP_1) | instskip(NEXT) | instid1(VALU_DEP_1)
	v_add_f64_e32 v[59:60], v[57:58], v[47:48]
	v_add_f64_e64 v[61:62], v[55:56], -v[59:60]
	v_add_f64_e64 v[53:54], v[59:60], -v[57:58]
	s_delay_alu instid0(VALU_DEP_2) | instskip(NEXT) | instid1(VALU_DEP_2)
	v_add_f64_e64 v[55:56], v[55:56], -v[61:62]
	v_add_f64_e64 v[47:48], v[53:54], -v[47:48]
	s_delay_alu instid0(VALU_DEP_2) | instskip(NEXT) | instid1(VALU_DEP_1)
	v_add_f64_e64 v[55:56], v[55:56], -v[59:60]
	v_add_f64_e32 v[41:42], v[41:42], v[55:56]
	s_delay_alu instid0(VALU_DEP_1) | instskip(NEXT) | instid1(VALU_DEP_1)
	v_add_f64_e32 v[41:42], v[47:48], v[41:42]
	v_add_f64_e32 v[47:48], v[61:62], v[41:42]
	s_delay_alu instid0(VALU_DEP_1) | instskip(SKIP_1) | instid1(VALU_DEP_2)
	v_mul_f64_e32 v[53:54], v[43:44], v[47:48]
	v_add_f64_e64 v[59:60], v[61:62], -v[47:48]
	v_mul_f64_e32 v[55:56], v[49:50], v[53:54]
	s_delay_alu instid0(VALU_DEP_2) | instskip(NEXT) | instid1(VALU_DEP_2)
	v_add_f64_e32 v[41:42], v[41:42], v[59:60]
	v_fma_f64 v[49:50], v[53:54], v[49:50], -v[55:56]
	s_delay_alu instid0(VALU_DEP_1) | instskip(NEXT) | instid1(VALU_DEP_1)
	v_fma_f64 v[45:46], v[53:54], v[45:46], v[49:50]
	v_add_f64_e32 v[49:50], v[55:56], v[45:46]
	s_delay_alu instid0(VALU_DEP_1) | instskip(SKIP_1) | instid1(VALU_DEP_2)
	v_add_f64_e64 v[57:58], v[47:48], -v[49:50]
	v_add_f64_e64 v[55:56], v[49:50], -v[55:56]
	;; [unrolled: 1-line block ×3, first 2 shown]
	s_delay_alu instid0(VALU_DEP_2) | instskip(NEXT) | instid1(VALU_DEP_2)
	v_add_f64_e64 v[45:46], v[55:56], -v[45:46]
	v_add_f64_e64 v[47:48], v[47:48], -v[49:50]
	s_delay_alu instid0(VALU_DEP_1) | instskip(SKIP_1) | instid1(VALU_DEP_2)
	v_add_f64_e32 v[41:42], v[41:42], v[47:48]
	v_add_f64_e32 v[47:48], v[51:52], v[53:54]
	;; [unrolled: 1-line block ×3, first 2 shown]
	s_delay_alu instid0(VALU_DEP_2) | instskip(NEXT) | instid1(VALU_DEP_2)
	v_add_f64_e64 v[45:46], v[47:48], -v[51:52]
	v_add_f64_e32 v[41:42], v[57:58], v[41:42]
	s_delay_alu instid0(VALU_DEP_2) | instskip(NEXT) | instid1(VALU_DEP_2)
	v_add_f64_e64 v[45:46], v[53:54], -v[45:46]
	v_mul_f64_e32 v[41:42], v[43:44], v[41:42]
	s_delay_alu instid0(VALU_DEP_1) | instskip(NEXT) | instid1(VALU_DEP_1)
	v_add_f64_e32 v[41:42], v[45:46], v[41:42]
	v_add_f64_e32 v[43:44], v[47:48], v[41:42]
	s_delay_alu instid0(VALU_DEP_1) | instskip(NEXT) | instid1(VALU_DEP_1)
	v_mul_f64_e32 v[45:46], v[43:44], v[43:44]
	v_fma_f64 v[49:50], v[45:46], s[30:31], s[28:29]
	s_mov_b32 s28, 0xd7f4df2e
	s_mov_b32 s29, 0x3fc7474d
	v_mul_f64_e32 v[51:52], v[43:44], v[45:46]
	s_wait_alu 0xfffe
	s_delay_alu instid0(VALU_DEP_2) | instskip(SKIP_3) | instid1(VALU_DEP_1)
	v_fma_f64 v[49:50], v[45:46], v[49:50], s[28:29]
	s_mov_b32 s28, 0x16291751
	s_mov_b32 s29, 0x3fcc71c0
	s_wait_alu 0xfffe
	v_fma_f64 v[49:50], v[45:46], v[49:50], s[28:29]
	s_mov_b32 s28, 0x9b27acf1
	s_mov_b32 s29, 0x3fd24924
	s_wait_alu 0xfffe
	s_delay_alu instid0(VALU_DEP_1) | instskip(SKIP_3) | instid1(VALU_DEP_1)
	v_fma_f64 v[49:50], v[45:46], v[49:50], s[28:29]
	s_mov_b32 s28, 0x998ef7b6
	s_mov_b32 s29, 0x3fd99999
	s_wait_alu 0xfffe
	v_fma_f64 v[49:50], v[45:46], v[49:50], s[28:29]
	s_delay_alu instid0(VALU_DEP_1)
	v_fma_f64 v[45:46], v[45:46], v[49:50], s[20:21]
	v_ldexp_f64 v[49:50], v[43:44], 1
	v_add_f64_e64 v[43:44], v[43:44], -v[47:48]
	v_cmp_neq_f64_e64 s20, 0x7ff00000, v[39:40]
	v_cmp_ngt_f64_e64 s21, -1.0, v[39:40]
	v_mul_f64_e32 v[45:46], v[51:52], v[45:46]
	v_cvt_f64_i32_e32 v[51:52], v69
	v_add_f64_e64 v[41:42], v[41:42], -v[43:44]
	s_and_b32 s19, s19, s20
	s_delay_alu instid0(VALU_DEP_3) | instskip(NEXT) | instid1(VALU_DEP_3)
	v_add_f64_e32 v[47:48], v[49:50], v[45:46]
	v_mul_f64_e32 v[53:54], s[22:23], v[51:52]
	s_delay_alu instid0(VALU_DEP_3) | instskip(NEXT) | instid1(VALU_DEP_3)
	v_ldexp_f64 v[41:42], v[41:42], 1
	v_add_f64_e64 v[43:44], v[47:48], -v[49:50]
	s_delay_alu instid0(VALU_DEP_3) | instskip(NEXT) | instid1(VALU_DEP_2)
	v_fma_f64 v[49:50], v[51:52], s[22:23], -v[53:54]
	v_add_f64_e64 v[43:44], v[45:46], -v[43:44]
	s_delay_alu instid0(VALU_DEP_2) | instskip(NEXT) | instid1(VALU_DEP_2)
	v_fma_f64 v[45:46], v[51:52], s[24:25], v[49:50]
	v_add_f64_e32 v[41:42], v[41:42], v[43:44]
	s_delay_alu instid0(VALU_DEP_2) | instskip(NEXT) | instid1(VALU_DEP_2)
	v_add_f64_e32 v[43:44], v[53:54], v[45:46]
	v_add_f64_e32 v[49:50], v[47:48], v[41:42]
	s_delay_alu instid0(VALU_DEP_2) | instskip(NEXT) | instid1(VALU_DEP_2)
	v_add_f64_e64 v[53:54], v[43:44], -v[53:54]
	v_add_f64_e32 v[51:52], v[43:44], v[49:50]
	v_add_f64_e64 v[47:48], v[49:50], -v[47:48]
	s_delay_alu instid0(VALU_DEP_3) | instskip(NEXT) | instid1(VALU_DEP_3)
	v_add_f64_e64 v[45:46], v[45:46], -v[53:54]
	v_add_f64_e64 v[55:56], v[51:52], -v[43:44]
	s_delay_alu instid0(VALU_DEP_3) | instskip(NEXT) | instid1(VALU_DEP_2)
	v_add_f64_e64 v[41:42], v[41:42], -v[47:48]
	v_add_f64_e64 v[57:58], v[51:52], -v[55:56]
	;; [unrolled: 1-line block ×3, first 2 shown]
	s_delay_alu instid0(VALU_DEP_3) | instskip(NEXT) | instid1(VALU_DEP_3)
	v_add_f64_e32 v[49:50], v[45:46], v[41:42]
	v_add_f64_e64 v[43:44], v[43:44], -v[57:58]
	s_delay_alu instid0(VALU_DEP_1) | instskip(NEXT) | instid1(VALU_DEP_3)
	v_add_f64_e32 v[43:44], v[47:48], v[43:44]
	v_add_f64_e64 v[47:48], v[49:50], -v[45:46]
	s_delay_alu instid0(VALU_DEP_2) | instskip(NEXT) | instid1(VALU_DEP_2)
	v_add_f64_e32 v[43:44], v[49:50], v[43:44]
	v_add_f64_e64 v[49:50], v[49:50], -v[47:48]
	v_add_f64_e64 v[41:42], v[41:42], -v[47:48]
	s_delay_alu instid0(VALU_DEP_3) | instskip(NEXT) | instid1(VALU_DEP_3)
	v_add_f64_e32 v[53:54], v[51:52], v[43:44]
	v_add_f64_e64 v[45:46], v[45:46], -v[49:50]
	s_delay_alu instid0(VALU_DEP_2) | instskip(NEXT) | instid1(VALU_DEP_2)
	v_add_f64_e64 v[47:48], v[53:54], -v[51:52]
	v_add_f64_e32 v[41:42], v[41:42], v[45:46]
	s_delay_alu instid0(VALU_DEP_2) | instskip(NEXT) | instid1(VALU_DEP_1)
	v_add_f64_e64 v[43:44], v[43:44], -v[47:48]
	v_add_f64_e32 v[41:42], v[41:42], v[43:44]
	s_delay_alu instid0(VALU_DEP_1) | instskip(SKIP_1) | instid1(VALU_DEP_1)
	v_add_f64_e32 v[41:42], v[53:54], v[41:42]
	s_wait_alu 0xfffe
	v_cndmask_b32_e64 v41, 0, v41, s19
	v_cmp_neq_f64_e64 s19, -1.0, v[39:40]
	s_delay_alu instid0(VALU_DEP_3) | instskip(NEXT) | instid1(VALU_DEP_1)
	v_cndmask_b32_e64 v42, 0x7ff00000, v42, s20
	v_cndmask_b32_e64 v42, 0x7ff80000, v42, s21
	s_wait_alu 0xf1ff
	s_delay_alu instid0(VALU_DEP_1) | instskip(NEXT) | instid1(VALU_DEP_1)
	v_cndmask_b32_e64 v42, 0xfff00000, v42, s19
	v_add_f64_e32 v[69:70], v[37:38], v[41:42]
.LBB80_36:
	s_wait_alu 0xfffe
	s_or_b32 exec_lo, exec_lo, s26
	v_max_num_f64_e32 v[37:38], v[31:32], v[31:32]
	s_delay_alu instid0(VALU_DEP_2) | instskip(SKIP_2) | instid1(VALU_DEP_3)
	v_max_num_f64_e32 v[39:40], v[69:70], v[69:70]
	v_cmp_u_f64_e64 s20, v[69:70], v[69:70]
	v_cmp_u_f64_e64 s19, v[31:32], v[31:32]
	v_min_num_f64_e32 v[41:42], v[39:40], v[37:38]
	v_max_num_f64_e32 v[39:40], v[39:40], v[37:38]
	s_wait_alu 0xf1ff
	s_delay_alu instid0(VALU_DEP_2) | instskip(NEXT) | instid1(VALU_DEP_3)
	v_cndmask_b32_e64 v41, v41, v69, s20
	v_cndmask_b32_e64 v42, v42, v70, s20
	s_delay_alu instid0(VALU_DEP_3) | instskip(NEXT) | instid1(VALU_DEP_4)
	v_cndmask_b32_e64 v40, v40, v70, s20
	v_cndmask_b32_e64 v39, v39, v69, s20
	s_delay_alu instid0(VALU_DEP_4) | instskip(NEXT) | instid1(VALU_DEP_4)
	v_cndmask_b32_e64 v41, v41, v31, s19
	v_cndmask_b32_e64 v42, v42, v32, s19
	s_delay_alu instid0(VALU_DEP_4) | instskip(NEXT) | instid1(VALU_DEP_4)
	v_cndmask_b32_e64 v40, v40, v32, s19
	v_cndmask_b32_e64 v39, v39, v31, s19
	s_delay_alu instid0(VALU_DEP_3) | instskip(NEXT) | instid1(VALU_DEP_2)
	v_cmp_class_f64_e64 s21, v[41:42], 0x1f8
	v_cmp_neq_f64_e64 s20, v[41:42], v[39:40]
	s_or_b32 s20, s20, s21
	s_wait_alu 0xfffe
	s_and_saveexec_b32 s26, s20
	s_cbranch_execz .LBB80_38
; %bb.37:
	v_add_f64_e64 v[41:42], v[41:42], -v[39:40]
	s_mov_b32 s20, 0x652b82fe
	s_mov_b32 s21, 0x3ff71547
	;; [unrolled: 1-line block ×10, first 2 shown]
	s_wait_alu 0xfffe
	s_delay_alu instid0(VALU_DEP_1) | instskip(SKIP_2) | instid1(VALU_DEP_1)
	v_mul_f64_e32 v[43:44], s[20:21], v[41:42]
	s_mov_b32 s20, 0xfca7ab0c
	s_mov_b32 s21, 0x3e928af3
	v_rndne_f64_e32 v[43:44], v[43:44]
	s_delay_alu instid0(VALU_DEP_1) | instskip(SKIP_2) | instid1(VALU_DEP_2)
	v_fma_f64 v[45:46], v[43:44], s[22:23], v[41:42]
	v_cvt_i32_f64_e32 v49, v[43:44]
	s_mov_b32 s23, 0x3fe62e42
	v_fma_f64 v[45:46], v[43:44], s[24:25], v[45:46]
	s_mov_b32 s25, 0x3c7abc9e
	s_wait_alu 0xfffe
	s_delay_alu instid0(VALU_DEP_1)
	v_fma_f64 v[47:48], v[45:46], s[28:29], s[20:21]
	s_mov_b32 s20, 0x623fde64
	s_mov_b32 s21, 0x3ec71dee
	;; [unrolled: 1-line block ×4, first 2 shown]
	s_wait_alu 0xfffe
	s_delay_alu instid0(VALU_DEP_1) | instskip(SKIP_3) | instid1(VALU_DEP_1)
	v_fma_f64 v[47:48], v[45:46], v[47:48], s[20:21]
	s_mov_b32 s20, 0x7c89e6b0
	s_mov_b32 s21, 0x3efa0199
	s_wait_alu 0xfffe
	v_fma_f64 v[47:48], v[45:46], v[47:48], s[20:21]
	s_mov_b32 s20, 0x14761f6e
	s_mov_b32 s21, 0x3f2a01a0
	s_wait_alu 0xfffe
	s_delay_alu instid0(VALU_DEP_1) | instskip(SKIP_3) | instid1(VALU_DEP_1)
	v_fma_f64 v[47:48], v[45:46], v[47:48], s[20:21]
	s_mov_b32 s20, 0x1852b7b0
	s_mov_b32 s21, 0x3f56c16c
	s_wait_alu 0xfffe
	v_fma_f64 v[47:48], v[45:46], v[47:48], s[20:21]
	s_mov_b32 s20, 0x11122322
	s_mov_b32 s21, 0x3f811111
	;; [unrolled: 9-line block ×3, first 2 shown]
	s_wait_alu 0xfffe
	s_delay_alu instid0(VALU_DEP_1) | instskip(SKIP_3) | instid1(VALU_DEP_1)
	v_fma_f64 v[47:48], v[45:46], v[47:48], s[20:21]
	s_mov_b32 s20, 11
	s_mov_b32 s21, 0x3fe00000
	s_wait_alu 0xfffe
	v_fma_f64 v[47:48], v[45:46], v[47:48], s[20:21]
	v_cmp_nlt_f64_e64 s20, 0x40900000, v[41:42]
	v_cmp_ngt_f64_e64 s21, 0xc090cc00, v[41:42]
	s_delay_alu instid0(VALU_DEP_3) | instskip(NEXT) | instid1(VALU_DEP_1)
	v_fma_f64 v[47:48], v[45:46], v[47:48], 1.0
	v_fma_f64 v[43:44], v[45:46], v[47:48], 1.0
	s_delay_alu instid0(VALU_DEP_1) | instskip(SKIP_1) | instid1(VALU_DEP_1)
	v_ldexp_f64 v[43:44], v[43:44], v49
	s_wait_alu 0xf1ff
	v_cndmask_b32_e64 v44, 0x7ff00000, v44, s20
	s_and_b32 s20, s21, s20
	s_wait_alu 0xfffe
	s_delay_alu instid0(VALU_DEP_2) | instskip(SKIP_3) | instid1(VALU_DEP_1)
	v_cndmask_b32_e64 v41, 0, v43, s20
	s_mov_b32 s20, 0x55555555
	v_cndmask_b32_e64 v42, 0, v44, s21
	s_mov_b32 s21, 0x3fe55555
	v_add_f64_e32 v[43:44], 1.0, v[41:42]
	s_delay_alu instid0(VALU_DEP_1) | instskip(SKIP_3) | instid1(VALU_DEP_3)
	v_frexp_mant_f64_e32 v[45:46], v[43:44]
	v_frexp_exp_i32_f64_e32 v49, v[43:44]
	v_add_f64_e32 v[47:48], -1.0, v[43:44]
	s_wait_alu 0xfffe
	v_cmp_gt_f64_e64 s20, s[20:21], v[45:46]
	s_delay_alu instid0(VALU_DEP_2) | instskip(SKIP_2) | instid1(VALU_DEP_3)
	v_add_f64_e64 v[45:46], v[47:48], -v[43:44]
	v_add_f64_e64 v[47:48], v[41:42], -v[47:48]
	s_wait_alu 0xf1ff
	v_subrev_co_ci_u32_e64 v71, null, 0, v49, s20
	s_delay_alu instid0(VALU_DEP_3) | instskip(SKIP_1) | instid1(VALU_DEP_2)
	v_add_f64_e32 v[45:46], 1.0, v[45:46]
	s_mov_b32 s20, 0x55555780
	v_sub_nc_u32_e32 v51, 0, v71
	s_delay_alu instid0(VALU_DEP_1) | instskip(NEXT) | instid1(VALU_DEP_3)
	v_ldexp_f64 v[43:44], v[43:44], v51
	v_add_f64_e32 v[45:46], v[47:48], v[45:46]
	s_delay_alu instid0(VALU_DEP_2) | instskip(SKIP_1) | instid1(VALU_DEP_3)
	v_add_f64_e32 v[49:50], 1.0, v[43:44]
	v_add_f64_e32 v[55:56], -1.0, v[43:44]
	v_ldexp_f64 v[45:46], v[45:46], v51
	s_delay_alu instid0(VALU_DEP_3) | instskip(NEXT) | instid1(VALU_DEP_3)
	v_add_f64_e32 v[47:48], -1.0, v[49:50]
	v_add_f64_e32 v[57:58], 1.0, v[55:56]
	s_delay_alu instid0(VALU_DEP_2) | instskip(NEXT) | instid1(VALU_DEP_2)
	v_add_f64_e64 v[47:48], v[43:44], -v[47:48]
	v_add_f64_e64 v[43:44], v[43:44], -v[57:58]
	s_delay_alu instid0(VALU_DEP_2) | instskip(NEXT) | instid1(VALU_DEP_2)
	v_add_f64_e32 v[47:48], v[45:46], v[47:48]
	v_add_f64_e32 v[43:44], v[45:46], v[43:44]
	s_delay_alu instid0(VALU_DEP_2) | instskip(NEXT) | instid1(VALU_DEP_2)
	v_add_f64_e32 v[51:52], v[49:50], v[47:48]
	v_add_f64_e32 v[57:58], v[55:56], v[43:44]
	s_delay_alu instid0(VALU_DEP_2) | instskip(SKIP_1) | instid1(VALU_DEP_2)
	v_rcp_f64_e32 v[53:54], v[51:52]
	v_add_f64_e64 v[49:50], v[51:52], -v[49:50]
	v_add_f64_e64 v[55:56], v[57:58], -v[55:56]
	s_delay_alu instid0(VALU_DEP_2) | instskip(NEXT) | instid1(TRANS32_DEP_1)
	v_add_f64_e64 v[47:48], v[47:48], -v[49:50]
	v_fma_f64 v[59:60], -v[51:52], v[53:54], 1.0
	s_delay_alu instid0(VALU_DEP_3) | instskip(NEXT) | instid1(VALU_DEP_2)
	v_add_f64_e64 v[43:44], v[43:44], -v[55:56]
	v_fma_f64 v[53:54], v[59:60], v[53:54], v[53:54]
	s_delay_alu instid0(VALU_DEP_1) | instskip(NEXT) | instid1(VALU_DEP_1)
	v_fma_f64 v[45:46], -v[51:52], v[53:54], 1.0
	v_fma_f64 v[45:46], v[45:46], v[53:54], v[53:54]
	s_delay_alu instid0(VALU_DEP_1) | instskip(NEXT) | instid1(VALU_DEP_1)
	v_mul_f64_e32 v[53:54], v[57:58], v[45:46]
	v_mul_f64_e32 v[59:60], v[51:52], v[53:54]
	s_delay_alu instid0(VALU_DEP_1) | instskip(NEXT) | instid1(VALU_DEP_1)
	v_fma_f64 v[49:50], v[53:54], v[51:52], -v[59:60]
	v_fma_f64 v[49:50], v[53:54], v[47:48], v[49:50]
	s_delay_alu instid0(VALU_DEP_1) | instskip(NEXT) | instid1(VALU_DEP_1)
	v_add_f64_e32 v[61:62], v[59:60], v[49:50]
	v_add_f64_e64 v[69:70], v[57:58], -v[61:62]
	v_add_f64_e64 v[55:56], v[61:62], -v[59:60]
	s_delay_alu instid0(VALU_DEP_2) | instskip(NEXT) | instid1(VALU_DEP_2)
	v_add_f64_e64 v[57:58], v[57:58], -v[69:70]
	v_add_f64_e64 v[49:50], v[55:56], -v[49:50]
	s_delay_alu instid0(VALU_DEP_2) | instskip(NEXT) | instid1(VALU_DEP_1)
	v_add_f64_e64 v[57:58], v[57:58], -v[61:62]
	v_add_f64_e32 v[43:44], v[43:44], v[57:58]
	s_delay_alu instid0(VALU_DEP_1) | instskip(NEXT) | instid1(VALU_DEP_1)
	v_add_f64_e32 v[43:44], v[49:50], v[43:44]
	v_add_f64_e32 v[49:50], v[69:70], v[43:44]
	s_delay_alu instid0(VALU_DEP_1) | instskip(SKIP_1) | instid1(VALU_DEP_2)
	v_mul_f64_e32 v[55:56], v[45:46], v[49:50]
	v_add_f64_e64 v[61:62], v[69:70], -v[49:50]
	v_mul_f64_e32 v[57:58], v[51:52], v[55:56]
	s_delay_alu instid0(VALU_DEP_2) | instskip(NEXT) | instid1(VALU_DEP_2)
	v_add_f64_e32 v[43:44], v[43:44], v[61:62]
	v_fma_f64 v[51:52], v[55:56], v[51:52], -v[57:58]
	s_delay_alu instid0(VALU_DEP_1) | instskip(NEXT) | instid1(VALU_DEP_1)
	v_fma_f64 v[47:48], v[55:56], v[47:48], v[51:52]
	v_add_f64_e32 v[51:52], v[57:58], v[47:48]
	s_delay_alu instid0(VALU_DEP_1) | instskip(SKIP_1) | instid1(VALU_DEP_2)
	v_add_f64_e64 v[59:60], v[49:50], -v[51:52]
	v_add_f64_e64 v[57:58], v[51:52], -v[57:58]
	;; [unrolled: 1-line block ×3, first 2 shown]
	s_delay_alu instid0(VALU_DEP_2) | instskip(NEXT) | instid1(VALU_DEP_2)
	v_add_f64_e64 v[47:48], v[57:58], -v[47:48]
	v_add_f64_e64 v[49:50], v[49:50], -v[51:52]
	s_delay_alu instid0(VALU_DEP_1) | instskip(SKIP_1) | instid1(VALU_DEP_2)
	v_add_f64_e32 v[43:44], v[43:44], v[49:50]
	v_add_f64_e32 v[49:50], v[53:54], v[55:56]
	;; [unrolled: 1-line block ×3, first 2 shown]
	s_delay_alu instid0(VALU_DEP_2) | instskip(NEXT) | instid1(VALU_DEP_2)
	v_add_f64_e64 v[47:48], v[49:50], -v[53:54]
	v_add_f64_e32 v[43:44], v[59:60], v[43:44]
	s_delay_alu instid0(VALU_DEP_2) | instskip(NEXT) | instid1(VALU_DEP_2)
	v_add_f64_e64 v[47:48], v[55:56], -v[47:48]
	v_mul_f64_e32 v[43:44], v[45:46], v[43:44]
	s_delay_alu instid0(VALU_DEP_1) | instskip(NEXT) | instid1(VALU_DEP_1)
	v_add_f64_e32 v[43:44], v[47:48], v[43:44]
	v_add_f64_e32 v[45:46], v[49:50], v[43:44]
	s_delay_alu instid0(VALU_DEP_1) | instskip(NEXT) | instid1(VALU_DEP_1)
	v_mul_f64_e32 v[47:48], v[45:46], v[45:46]
	v_fma_f64 v[51:52], v[47:48], s[30:31], s[28:29]
	s_mov_b32 s28, 0xd7f4df2e
	s_mov_b32 s29, 0x3fc7474d
	v_mul_f64_e32 v[53:54], v[45:46], v[47:48]
	s_wait_alu 0xfffe
	s_delay_alu instid0(VALU_DEP_2) | instskip(SKIP_3) | instid1(VALU_DEP_1)
	v_fma_f64 v[51:52], v[47:48], v[51:52], s[28:29]
	s_mov_b32 s28, 0x16291751
	s_mov_b32 s29, 0x3fcc71c0
	s_wait_alu 0xfffe
	v_fma_f64 v[51:52], v[47:48], v[51:52], s[28:29]
	s_mov_b32 s28, 0x9b27acf1
	s_mov_b32 s29, 0x3fd24924
	s_wait_alu 0xfffe
	s_delay_alu instid0(VALU_DEP_1) | instskip(SKIP_3) | instid1(VALU_DEP_1)
	v_fma_f64 v[51:52], v[47:48], v[51:52], s[28:29]
	s_mov_b32 s28, 0x998ef7b6
	s_mov_b32 s29, 0x3fd99999
	s_wait_alu 0xfffe
	v_fma_f64 v[51:52], v[47:48], v[51:52], s[28:29]
	s_delay_alu instid0(VALU_DEP_1)
	v_fma_f64 v[47:48], v[47:48], v[51:52], s[20:21]
	v_ldexp_f64 v[51:52], v[45:46], 1
	v_add_f64_e64 v[45:46], v[45:46], -v[49:50]
	v_cmp_nge_f64_e64 s20, -1.0, v[41:42]
	v_cmp_neq_f64_e64 s21, 0x7ff00000, v[41:42]
	v_mul_f64_e32 v[47:48], v[53:54], v[47:48]
	v_cvt_f64_i32_e32 v[53:54], v71
	v_add_f64_e64 v[43:44], v[43:44], -v[45:46]
	s_and_b32 s20, s20, s21
	s_delay_alu instid0(VALU_DEP_3) | instskip(NEXT) | instid1(VALU_DEP_3)
	v_add_f64_e32 v[49:50], v[51:52], v[47:48]
	v_mul_f64_e32 v[55:56], s[22:23], v[53:54]
	s_delay_alu instid0(VALU_DEP_3) | instskip(NEXT) | instid1(VALU_DEP_3)
	v_ldexp_f64 v[43:44], v[43:44], 1
	v_add_f64_e64 v[45:46], v[49:50], -v[51:52]
	s_delay_alu instid0(VALU_DEP_3) | instskip(SKIP_1) | instid1(VALU_DEP_3)
	v_fma_f64 v[51:52], v[53:54], s[22:23], -v[55:56]
	v_cmp_ngt_f64_e64 s22, -1.0, v[41:42]
	v_add_f64_e64 v[45:46], v[47:48], -v[45:46]
	s_delay_alu instid0(VALU_DEP_3) | instskip(NEXT) | instid1(VALU_DEP_2)
	v_fma_f64 v[47:48], v[53:54], s[24:25], v[51:52]
	v_add_f64_e32 v[43:44], v[43:44], v[45:46]
	s_delay_alu instid0(VALU_DEP_2) | instskip(NEXT) | instid1(VALU_DEP_2)
	v_add_f64_e32 v[45:46], v[55:56], v[47:48]
	v_add_f64_e32 v[51:52], v[49:50], v[43:44]
	s_delay_alu instid0(VALU_DEP_2) | instskip(NEXT) | instid1(VALU_DEP_2)
	v_add_f64_e64 v[55:56], v[45:46], -v[55:56]
	v_add_f64_e32 v[53:54], v[45:46], v[51:52]
	v_add_f64_e64 v[49:50], v[51:52], -v[49:50]
	s_delay_alu instid0(VALU_DEP_3) | instskip(NEXT) | instid1(VALU_DEP_3)
	v_add_f64_e64 v[47:48], v[47:48], -v[55:56]
	v_add_f64_e64 v[57:58], v[53:54], -v[45:46]
	s_delay_alu instid0(VALU_DEP_3) | instskip(NEXT) | instid1(VALU_DEP_2)
	v_add_f64_e64 v[43:44], v[43:44], -v[49:50]
	v_add_f64_e64 v[59:60], v[53:54], -v[57:58]
	;; [unrolled: 1-line block ×3, first 2 shown]
	s_delay_alu instid0(VALU_DEP_3) | instskip(NEXT) | instid1(VALU_DEP_3)
	v_add_f64_e32 v[51:52], v[47:48], v[43:44]
	v_add_f64_e64 v[45:46], v[45:46], -v[59:60]
	s_delay_alu instid0(VALU_DEP_1) | instskip(NEXT) | instid1(VALU_DEP_3)
	v_add_f64_e32 v[45:46], v[49:50], v[45:46]
	v_add_f64_e64 v[49:50], v[51:52], -v[47:48]
	s_delay_alu instid0(VALU_DEP_2) | instskip(NEXT) | instid1(VALU_DEP_2)
	v_add_f64_e32 v[45:46], v[51:52], v[45:46]
	v_add_f64_e64 v[51:52], v[51:52], -v[49:50]
	v_add_f64_e64 v[43:44], v[43:44], -v[49:50]
	s_delay_alu instid0(VALU_DEP_3) | instskip(NEXT) | instid1(VALU_DEP_3)
	v_add_f64_e32 v[55:56], v[53:54], v[45:46]
	v_add_f64_e64 v[47:48], v[47:48], -v[51:52]
	s_delay_alu instid0(VALU_DEP_2) | instskip(NEXT) | instid1(VALU_DEP_2)
	v_add_f64_e64 v[49:50], v[55:56], -v[53:54]
	v_add_f64_e32 v[43:44], v[43:44], v[47:48]
	s_delay_alu instid0(VALU_DEP_2) | instskip(NEXT) | instid1(VALU_DEP_1)
	v_add_f64_e64 v[45:46], v[45:46], -v[49:50]
	v_add_f64_e32 v[43:44], v[43:44], v[45:46]
	s_delay_alu instid0(VALU_DEP_1) | instskip(SKIP_1) | instid1(VALU_DEP_1)
	v_add_f64_e32 v[43:44], v[55:56], v[43:44]
	s_wait_alu 0xfffe
	v_cndmask_b32_e64 v43, 0, v43, s20
	v_cmp_neq_f64_e64 s20, -1.0, v[41:42]
	s_delay_alu instid0(VALU_DEP_3) | instskip(SKIP_1) | instid1(VALU_DEP_1)
	v_cndmask_b32_e64 v44, 0x7ff00000, v44, s21
	s_wait_alu 0xf1ff
	v_cndmask_b32_e64 v44, 0x7ff80000, v44, s22
	s_delay_alu instid0(VALU_DEP_1) | instskip(NEXT) | instid1(VALU_DEP_1)
	v_cndmask_b32_e64 v44, 0xfff00000, v44, s20
	v_add_f64_e32 v[69:70], v[39:40], v[43:44]
.LBB80_38:
	s_wait_alu 0xfffe
	s_or_b32 exec_lo, exec_lo, s26
	v_max_num_f64_e32 v[39:40], v[25:26], v[25:26]
	s_delay_alu instid0(VALU_DEP_2) | instskip(SKIP_2) | instid1(VALU_DEP_3)
	v_max_num_f64_e32 v[41:42], v[69:70], v[69:70]
	v_cmp_u_f64_e64 s21, v[69:70], v[69:70]
	v_cmp_u_f64_e64 s20, v[25:26], v[25:26]
	v_min_num_f64_e32 v[43:44], v[41:42], v[39:40]
	v_max_num_f64_e32 v[41:42], v[41:42], v[39:40]
	s_wait_alu 0xf1ff
	s_delay_alu instid0(VALU_DEP_2) | instskip(NEXT) | instid1(VALU_DEP_3)
	v_cndmask_b32_e64 v43, v43, v69, s21
	v_cndmask_b32_e64 v44, v44, v70, s21
	s_delay_alu instid0(VALU_DEP_3) | instskip(NEXT) | instid1(VALU_DEP_4)
	v_cndmask_b32_e64 v42, v42, v70, s21
	v_cndmask_b32_e64 v41, v41, v69, s21
	s_delay_alu instid0(VALU_DEP_4) | instskip(NEXT) | instid1(VALU_DEP_4)
	v_cndmask_b32_e64 v43, v43, v25, s20
	v_cndmask_b32_e64 v44, v44, v26, s20
	s_delay_alu instid0(VALU_DEP_4) | instskip(NEXT) | instid1(VALU_DEP_4)
	v_cndmask_b32_e64 v42, v42, v26, s20
	v_cndmask_b32_e64 v41, v41, v25, s20
	s_delay_alu instid0(VALU_DEP_3) | instskip(NEXT) | instid1(VALU_DEP_2)
	v_cmp_class_f64_e64 s22, v[43:44], 0x1f8
	v_cmp_neq_f64_e64 s21, v[43:44], v[41:42]
	s_or_b32 s21, s21, s22
	s_wait_alu 0xfffe
	s_and_saveexec_b32 s28, s21
	s_cbranch_execz .LBB80_40
; %bb.39:
	v_add_f64_e64 v[43:44], v[43:44], -v[41:42]
	s_mov_b32 s22, 0x652b82fe
	s_mov_b32 s23, 0x3ff71547
	s_mov_b32 s25, 0xbfe62e42
	s_mov_b32 s24, 0xfefa39ef
	s_mov_b32 s27, 0xbc7abc9e
	s_mov_b32 s26, 0x3b39803f
	s_mov_b32 s30, 0x6a5dcb37
	s_mov_b32 s31, 0x3e5ade15
	s_mov_b32 s34, 0xbf559e2b
	s_mov_b32 s35, 0x3fc3ab76
	s_wait_alu 0xfffe
	s_delay_alu instid0(VALU_DEP_1) | instskip(SKIP_3) | instid1(VALU_DEP_2)
	v_mul_f64_e32 v[45:46], s[22:23], v[43:44]
	s_mov_b32 s22, 0xfca7ab0c
	s_mov_b32 s23, 0x3e928af3
	v_cmp_nlt_f64_e64 s21, 0x40900000, v[43:44]
	v_rndne_f64_e32 v[45:46], v[45:46]
	s_delay_alu instid0(VALU_DEP_1) | instskip(SKIP_2) | instid1(VALU_DEP_2)
	v_fma_f64 v[47:48], v[45:46], s[24:25], v[43:44]
	v_cvt_i32_f64_e32 v51, v[45:46]
	s_mov_b32 s25, 0x3fe62e42
	v_fma_f64 v[47:48], v[45:46], s[26:27], v[47:48]
	s_mov_b32 s27, 0x3c7abc9e
	s_wait_alu 0xfffe
	s_delay_alu instid0(VALU_DEP_1)
	v_fma_f64 v[49:50], v[47:48], s[30:31], s[22:23]
	s_mov_b32 s22, 0x623fde64
	s_mov_b32 s23, 0x3ec71dee
	;; [unrolled: 1-line block ×4, first 2 shown]
	s_wait_alu 0xfffe
	s_delay_alu instid0(VALU_DEP_1) | instskip(SKIP_3) | instid1(VALU_DEP_1)
	v_fma_f64 v[49:50], v[47:48], v[49:50], s[22:23]
	s_mov_b32 s22, 0x7c89e6b0
	s_mov_b32 s23, 0x3efa0199
	s_wait_alu 0xfffe
	v_fma_f64 v[49:50], v[47:48], v[49:50], s[22:23]
	s_mov_b32 s22, 0x14761f6e
	s_mov_b32 s23, 0x3f2a01a0
	s_wait_alu 0xfffe
	s_delay_alu instid0(VALU_DEP_1) | instskip(SKIP_3) | instid1(VALU_DEP_1)
	v_fma_f64 v[49:50], v[47:48], v[49:50], s[22:23]
	s_mov_b32 s22, 0x1852b7b0
	s_mov_b32 s23, 0x3f56c16c
	s_wait_alu 0xfffe
	v_fma_f64 v[49:50], v[47:48], v[49:50], s[22:23]
	s_mov_b32 s22, 0x11122322
	s_mov_b32 s23, 0x3f811111
	;; [unrolled: 9-line block ×3, first 2 shown]
	s_wait_alu 0xfffe
	s_delay_alu instid0(VALU_DEP_1) | instskip(SKIP_3) | instid1(VALU_DEP_1)
	v_fma_f64 v[49:50], v[47:48], v[49:50], s[22:23]
	s_mov_b32 s22, 11
	s_mov_b32 s23, 0x3fe00000
	s_wait_alu 0xfffe
	v_fma_f64 v[49:50], v[47:48], v[49:50], s[22:23]
	v_cmp_ngt_f64_e64 s22, 0xc090cc00, v[43:44]
	s_mov_b32 s23, 0x3fe55555
	v_fma_f64 v[49:50], v[47:48], v[49:50], 1.0
	s_delay_alu instid0(VALU_DEP_1) | instskip(NEXT) | instid1(VALU_DEP_1)
	v_fma_f64 v[45:46], v[47:48], v[49:50], 1.0
	v_ldexp_f64 v[45:46], v[45:46], v51
	s_wait_alu 0xf1ff
	s_delay_alu instid0(VALU_DEP_1) | instskip(SKIP_2) | instid1(VALU_DEP_2)
	v_cndmask_b32_e64 v46, 0x7ff00000, v46, s21
	s_and_b32 s21, s22, s21
	s_wait_alu 0xfffe
	v_cndmask_b32_e64 v43, 0, v45, s21
	s_delay_alu instid0(VALU_DEP_2) | instskip(SKIP_1) | instid1(VALU_DEP_1)
	v_cndmask_b32_e64 v44, 0, v46, s22
	s_mov_b32 s22, 0x55555555
	v_add_f64_e32 v[45:46], 1.0, v[43:44]
	s_delay_alu instid0(VALU_DEP_1) | instskip(SKIP_3) | instid1(VALU_DEP_3)
	v_frexp_mant_f64_e32 v[47:48], v[45:46]
	v_frexp_exp_i32_f64_e32 v51, v[45:46]
	v_add_f64_e32 v[49:50], -1.0, v[45:46]
	s_wait_alu 0xfffe
	v_cmp_gt_f64_e64 s21, s[22:23], v[47:48]
	s_mov_b32 s22, 0x55555780
	v_add_f64_e64 v[47:48], v[49:50], -v[45:46]
	v_add_f64_e64 v[49:50], v[43:44], -v[49:50]
	s_wait_alu 0xf1ff
	v_subrev_co_ci_u32_e64 v73, null, 0, v51, s21
	s_delay_alu instid0(VALU_DEP_3) | instskip(SKIP_1) | instid1(VALU_DEP_3)
	v_add_f64_e32 v[47:48], 1.0, v[47:48]
	v_cmp_nge_f64_e64 s21, -1.0, v[43:44]
	v_sub_nc_u32_e32 v53, 0, v73
	s_delay_alu instid0(VALU_DEP_1) | instskip(NEXT) | instid1(VALU_DEP_4)
	v_ldexp_f64 v[45:46], v[45:46], v53
	v_add_f64_e32 v[47:48], v[49:50], v[47:48]
	s_delay_alu instid0(VALU_DEP_2) | instskip(SKIP_1) | instid1(VALU_DEP_3)
	v_add_f64_e32 v[51:52], 1.0, v[45:46]
	v_add_f64_e32 v[57:58], -1.0, v[45:46]
	v_ldexp_f64 v[47:48], v[47:48], v53
	s_delay_alu instid0(VALU_DEP_3) | instskip(NEXT) | instid1(VALU_DEP_3)
	v_add_f64_e32 v[49:50], -1.0, v[51:52]
	v_add_f64_e32 v[59:60], 1.0, v[57:58]
	s_delay_alu instid0(VALU_DEP_2) | instskip(NEXT) | instid1(VALU_DEP_2)
	v_add_f64_e64 v[49:50], v[45:46], -v[49:50]
	v_add_f64_e64 v[45:46], v[45:46], -v[59:60]
	s_delay_alu instid0(VALU_DEP_2) | instskip(NEXT) | instid1(VALU_DEP_2)
	v_add_f64_e32 v[49:50], v[47:48], v[49:50]
	v_add_f64_e32 v[45:46], v[47:48], v[45:46]
	s_delay_alu instid0(VALU_DEP_2) | instskip(NEXT) | instid1(VALU_DEP_2)
	v_add_f64_e32 v[53:54], v[51:52], v[49:50]
	v_add_f64_e32 v[59:60], v[57:58], v[45:46]
	s_delay_alu instid0(VALU_DEP_2) | instskip(SKIP_1) | instid1(VALU_DEP_2)
	v_rcp_f64_e32 v[55:56], v[53:54]
	v_add_f64_e64 v[51:52], v[53:54], -v[51:52]
	v_add_f64_e64 v[57:58], v[59:60], -v[57:58]
	s_delay_alu instid0(VALU_DEP_2) | instskip(NEXT) | instid1(TRANS32_DEP_1)
	v_add_f64_e64 v[49:50], v[49:50], -v[51:52]
	v_fma_f64 v[61:62], -v[53:54], v[55:56], 1.0
	s_delay_alu instid0(VALU_DEP_3) | instskip(NEXT) | instid1(VALU_DEP_2)
	v_add_f64_e64 v[45:46], v[45:46], -v[57:58]
	v_fma_f64 v[55:56], v[61:62], v[55:56], v[55:56]
	s_delay_alu instid0(VALU_DEP_1) | instskip(NEXT) | instid1(VALU_DEP_1)
	v_fma_f64 v[47:48], -v[53:54], v[55:56], 1.0
	v_fma_f64 v[47:48], v[47:48], v[55:56], v[55:56]
	s_delay_alu instid0(VALU_DEP_1) | instskip(NEXT) | instid1(VALU_DEP_1)
	v_mul_f64_e32 v[55:56], v[59:60], v[47:48]
	v_mul_f64_e32 v[61:62], v[53:54], v[55:56]
	s_delay_alu instid0(VALU_DEP_1) | instskip(NEXT) | instid1(VALU_DEP_1)
	v_fma_f64 v[51:52], v[55:56], v[53:54], -v[61:62]
	v_fma_f64 v[51:52], v[55:56], v[49:50], v[51:52]
	s_delay_alu instid0(VALU_DEP_1) | instskip(NEXT) | instid1(VALU_DEP_1)
	v_add_f64_e32 v[69:70], v[61:62], v[51:52]
	v_add_f64_e64 v[71:72], v[59:60], -v[69:70]
	v_add_f64_e64 v[57:58], v[69:70], -v[61:62]
	s_delay_alu instid0(VALU_DEP_2) | instskip(NEXT) | instid1(VALU_DEP_2)
	v_add_f64_e64 v[59:60], v[59:60], -v[71:72]
	v_add_f64_e64 v[51:52], v[57:58], -v[51:52]
	s_delay_alu instid0(VALU_DEP_2) | instskip(NEXT) | instid1(VALU_DEP_1)
	v_add_f64_e64 v[59:60], v[59:60], -v[69:70]
	v_add_f64_e32 v[45:46], v[45:46], v[59:60]
	s_delay_alu instid0(VALU_DEP_1) | instskip(NEXT) | instid1(VALU_DEP_1)
	v_add_f64_e32 v[45:46], v[51:52], v[45:46]
	v_add_f64_e32 v[51:52], v[71:72], v[45:46]
	s_delay_alu instid0(VALU_DEP_1) | instskip(SKIP_1) | instid1(VALU_DEP_2)
	v_mul_f64_e32 v[57:58], v[47:48], v[51:52]
	v_add_f64_e64 v[69:70], v[71:72], -v[51:52]
	v_mul_f64_e32 v[59:60], v[53:54], v[57:58]
	s_delay_alu instid0(VALU_DEP_2) | instskip(NEXT) | instid1(VALU_DEP_2)
	v_add_f64_e32 v[45:46], v[45:46], v[69:70]
	v_fma_f64 v[53:54], v[57:58], v[53:54], -v[59:60]
	s_delay_alu instid0(VALU_DEP_1) | instskip(NEXT) | instid1(VALU_DEP_1)
	v_fma_f64 v[49:50], v[57:58], v[49:50], v[53:54]
	v_add_f64_e32 v[53:54], v[59:60], v[49:50]
	s_delay_alu instid0(VALU_DEP_1) | instskip(SKIP_1) | instid1(VALU_DEP_2)
	v_add_f64_e64 v[61:62], v[51:52], -v[53:54]
	v_add_f64_e64 v[59:60], v[53:54], -v[59:60]
	;; [unrolled: 1-line block ×3, first 2 shown]
	s_delay_alu instid0(VALU_DEP_2) | instskip(NEXT) | instid1(VALU_DEP_2)
	v_add_f64_e64 v[49:50], v[59:60], -v[49:50]
	v_add_f64_e64 v[51:52], v[51:52], -v[53:54]
	s_delay_alu instid0(VALU_DEP_1) | instskip(SKIP_1) | instid1(VALU_DEP_2)
	v_add_f64_e32 v[45:46], v[45:46], v[51:52]
	v_add_f64_e32 v[51:52], v[55:56], v[57:58]
	;; [unrolled: 1-line block ×3, first 2 shown]
	s_delay_alu instid0(VALU_DEP_2) | instskip(NEXT) | instid1(VALU_DEP_2)
	v_add_f64_e64 v[49:50], v[51:52], -v[55:56]
	v_add_f64_e32 v[45:46], v[61:62], v[45:46]
	s_delay_alu instid0(VALU_DEP_2) | instskip(NEXT) | instid1(VALU_DEP_2)
	v_add_f64_e64 v[49:50], v[57:58], -v[49:50]
	v_mul_f64_e32 v[45:46], v[47:48], v[45:46]
	s_delay_alu instid0(VALU_DEP_1) | instskip(NEXT) | instid1(VALU_DEP_1)
	v_add_f64_e32 v[45:46], v[49:50], v[45:46]
	v_add_f64_e32 v[47:48], v[51:52], v[45:46]
	s_delay_alu instid0(VALU_DEP_1) | instskip(NEXT) | instid1(VALU_DEP_1)
	v_mul_f64_e32 v[49:50], v[47:48], v[47:48]
	v_fma_f64 v[53:54], v[49:50], s[34:35], s[30:31]
	s_mov_b32 s30, 0xd7f4df2e
	s_mov_b32 s31, 0x3fc7474d
	v_mul_f64_e32 v[55:56], v[47:48], v[49:50]
	s_wait_alu 0xfffe
	s_delay_alu instid0(VALU_DEP_2) | instskip(SKIP_3) | instid1(VALU_DEP_1)
	v_fma_f64 v[53:54], v[49:50], v[53:54], s[30:31]
	s_mov_b32 s30, 0x16291751
	s_mov_b32 s31, 0x3fcc71c0
	s_wait_alu 0xfffe
	v_fma_f64 v[53:54], v[49:50], v[53:54], s[30:31]
	s_mov_b32 s30, 0x9b27acf1
	s_mov_b32 s31, 0x3fd24924
	s_wait_alu 0xfffe
	s_delay_alu instid0(VALU_DEP_1) | instskip(SKIP_3) | instid1(VALU_DEP_1)
	v_fma_f64 v[53:54], v[49:50], v[53:54], s[30:31]
	s_mov_b32 s30, 0x998ef7b6
	s_mov_b32 s31, 0x3fd99999
	s_wait_alu 0xfffe
	v_fma_f64 v[53:54], v[49:50], v[53:54], s[30:31]
	s_delay_alu instid0(VALU_DEP_1)
	v_fma_f64 v[49:50], v[49:50], v[53:54], s[22:23]
	v_ldexp_f64 v[53:54], v[47:48], 1
	v_add_f64_e64 v[47:48], v[47:48], -v[51:52]
	v_cmp_neq_f64_e64 s22, 0x7ff00000, v[43:44]
	v_cmp_ngt_f64_e64 s23, -1.0, v[43:44]
	v_mul_f64_e32 v[49:50], v[55:56], v[49:50]
	v_cvt_f64_i32_e32 v[55:56], v73
	v_add_f64_e64 v[45:46], v[45:46], -v[47:48]
	s_and_b32 s21, s21, s22
	s_delay_alu instid0(VALU_DEP_3) | instskip(NEXT) | instid1(VALU_DEP_3)
	v_add_f64_e32 v[51:52], v[53:54], v[49:50]
	v_mul_f64_e32 v[57:58], s[24:25], v[55:56]
	s_delay_alu instid0(VALU_DEP_3) | instskip(NEXT) | instid1(VALU_DEP_3)
	v_ldexp_f64 v[45:46], v[45:46], 1
	v_add_f64_e64 v[47:48], v[51:52], -v[53:54]
	s_delay_alu instid0(VALU_DEP_3) | instskip(NEXT) | instid1(VALU_DEP_2)
	v_fma_f64 v[53:54], v[55:56], s[24:25], -v[57:58]
	v_add_f64_e64 v[47:48], v[49:50], -v[47:48]
	s_delay_alu instid0(VALU_DEP_2) | instskip(NEXT) | instid1(VALU_DEP_2)
	v_fma_f64 v[49:50], v[55:56], s[26:27], v[53:54]
	v_add_f64_e32 v[45:46], v[45:46], v[47:48]
	s_delay_alu instid0(VALU_DEP_2) | instskip(NEXT) | instid1(VALU_DEP_2)
	v_add_f64_e32 v[47:48], v[57:58], v[49:50]
	v_add_f64_e32 v[53:54], v[51:52], v[45:46]
	s_delay_alu instid0(VALU_DEP_2) | instskip(NEXT) | instid1(VALU_DEP_2)
	v_add_f64_e64 v[57:58], v[47:48], -v[57:58]
	v_add_f64_e32 v[55:56], v[47:48], v[53:54]
	v_add_f64_e64 v[51:52], v[53:54], -v[51:52]
	s_delay_alu instid0(VALU_DEP_3) | instskip(NEXT) | instid1(VALU_DEP_3)
	v_add_f64_e64 v[49:50], v[49:50], -v[57:58]
	v_add_f64_e64 v[59:60], v[55:56], -v[47:48]
	s_delay_alu instid0(VALU_DEP_3) | instskip(NEXT) | instid1(VALU_DEP_2)
	v_add_f64_e64 v[45:46], v[45:46], -v[51:52]
	v_add_f64_e64 v[61:62], v[55:56], -v[59:60]
	;; [unrolled: 1-line block ×3, first 2 shown]
	s_delay_alu instid0(VALU_DEP_3) | instskip(NEXT) | instid1(VALU_DEP_3)
	v_add_f64_e32 v[53:54], v[49:50], v[45:46]
	v_add_f64_e64 v[47:48], v[47:48], -v[61:62]
	s_delay_alu instid0(VALU_DEP_1) | instskip(NEXT) | instid1(VALU_DEP_3)
	v_add_f64_e32 v[47:48], v[51:52], v[47:48]
	v_add_f64_e64 v[51:52], v[53:54], -v[49:50]
	s_delay_alu instid0(VALU_DEP_2) | instskip(NEXT) | instid1(VALU_DEP_2)
	v_add_f64_e32 v[47:48], v[53:54], v[47:48]
	v_add_f64_e64 v[53:54], v[53:54], -v[51:52]
	v_add_f64_e64 v[45:46], v[45:46], -v[51:52]
	s_delay_alu instid0(VALU_DEP_3) | instskip(NEXT) | instid1(VALU_DEP_3)
	v_add_f64_e32 v[57:58], v[55:56], v[47:48]
	v_add_f64_e64 v[49:50], v[49:50], -v[53:54]
	s_delay_alu instid0(VALU_DEP_2) | instskip(NEXT) | instid1(VALU_DEP_2)
	v_add_f64_e64 v[51:52], v[57:58], -v[55:56]
	v_add_f64_e32 v[45:46], v[45:46], v[49:50]
	s_delay_alu instid0(VALU_DEP_2) | instskip(NEXT) | instid1(VALU_DEP_1)
	v_add_f64_e64 v[47:48], v[47:48], -v[51:52]
	v_add_f64_e32 v[45:46], v[45:46], v[47:48]
	s_delay_alu instid0(VALU_DEP_1) | instskip(SKIP_1) | instid1(VALU_DEP_1)
	v_add_f64_e32 v[45:46], v[57:58], v[45:46]
	s_wait_alu 0xfffe
	v_cndmask_b32_e64 v45, 0, v45, s21
	v_cmp_neq_f64_e64 s21, -1.0, v[43:44]
	s_delay_alu instid0(VALU_DEP_3) | instskip(NEXT) | instid1(VALU_DEP_1)
	v_cndmask_b32_e64 v46, 0x7ff00000, v46, s22
	v_cndmask_b32_e64 v46, 0x7ff80000, v46, s23
	s_wait_alu 0xf1ff
	s_delay_alu instid0(VALU_DEP_1) | instskip(NEXT) | instid1(VALU_DEP_1)
	v_cndmask_b32_e64 v46, 0xfff00000, v46, s21
	v_add_f64_e32 v[69:70], v[41:42], v[45:46]
.LBB80_40:
	s_wait_alu 0xfffe
	s_or_b32 exec_lo, exec_lo, s28
	v_max_num_f64_e32 v[41:42], v[27:28], v[27:28]
	s_delay_alu instid0(VALU_DEP_2) | instskip(SKIP_2) | instid1(VALU_DEP_3)
	v_max_num_f64_e32 v[43:44], v[69:70], v[69:70]
	v_cmp_u_f64_e64 s22, v[69:70], v[69:70]
	v_cmp_u_f64_e64 s21, v[27:28], v[27:28]
	v_min_num_f64_e32 v[45:46], v[43:44], v[41:42]
	v_max_num_f64_e32 v[43:44], v[43:44], v[41:42]
	s_wait_alu 0xf1ff
	s_delay_alu instid0(VALU_DEP_2) | instskip(NEXT) | instid1(VALU_DEP_3)
	v_cndmask_b32_e64 v45, v45, v69, s22
	v_cndmask_b32_e64 v46, v46, v70, s22
	s_delay_alu instid0(VALU_DEP_3) | instskip(NEXT) | instid1(VALU_DEP_4)
	v_cndmask_b32_e64 v44, v44, v70, s22
	v_cndmask_b32_e64 v43, v43, v69, s22
	s_delay_alu instid0(VALU_DEP_4) | instskip(NEXT) | instid1(VALU_DEP_4)
	v_cndmask_b32_e64 v45, v45, v27, s21
	v_cndmask_b32_e64 v46, v46, v28, s21
	s_delay_alu instid0(VALU_DEP_4) | instskip(NEXT) | instid1(VALU_DEP_4)
	v_cndmask_b32_e64 v44, v44, v28, s21
	v_cndmask_b32_e64 v43, v43, v27, s21
	s_delay_alu instid0(VALU_DEP_3) | instskip(NEXT) | instid1(VALU_DEP_2)
	v_cmp_class_f64_e64 s23, v[45:46], 0x1f8
	v_cmp_neq_f64_e64 s22, v[45:46], v[43:44]
	s_or_b32 s22, s22, s23
	s_wait_alu 0xfffe
	s_and_saveexec_b32 s28, s22
	s_cbranch_execz .LBB80_42
; %bb.41:
	v_add_f64_e64 v[45:46], v[45:46], -v[43:44]
	s_mov_b32 s22, 0x652b82fe
	s_mov_b32 s23, 0x3ff71547
	;; [unrolled: 1-line block ×10, first 2 shown]
	s_wait_alu 0xfffe
	s_delay_alu instid0(VALU_DEP_1) | instskip(SKIP_2) | instid1(VALU_DEP_1)
	v_mul_f64_e32 v[47:48], s[22:23], v[45:46]
	s_mov_b32 s22, 0xfca7ab0c
	s_mov_b32 s23, 0x3e928af3
	v_rndne_f64_e32 v[47:48], v[47:48]
	s_delay_alu instid0(VALU_DEP_1) | instskip(SKIP_2) | instid1(VALU_DEP_2)
	v_fma_f64 v[49:50], v[47:48], s[24:25], v[45:46]
	v_cvt_i32_f64_e32 v53, v[47:48]
	s_mov_b32 s25, 0x3fe62e42
	v_fma_f64 v[49:50], v[47:48], s[26:27], v[49:50]
	s_mov_b32 s27, 0x3c7abc9e
	s_wait_alu 0xfffe
	s_delay_alu instid0(VALU_DEP_1)
	v_fma_f64 v[51:52], v[49:50], s[30:31], s[22:23]
	s_mov_b32 s22, 0x623fde64
	s_mov_b32 s23, 0x3ec71dee
	;; [unrolled: 1-line block ×4, first 2 shown]
	s_wait_alu 0xfffe
	s_delay_alu instid0(VALU_DEP_1) | instskip(SKIP_3) | instid1(VALU_DEP_1)
	v_fma_f64 v[51:52], v[49:50], v[51:52], s[22:23]
	s_mov_b32 s22, 0x7c89e6b0
	s_mov_b32 s23, 0x3efa0199
	s_wait_alu 0xfffe
	v_fma_f64 v[51:52], v[49:50], v[51:52], s[22:23]
	s_mov_b32 s22, 0x14761f6e
	s_mov_b32 s23, 0x3f2a01a0
	s_wait_alu 0xfffe
	s_delay_alu instid0(VALU_DEP_1) | instskip(SKIP_3) | instid1(VALU_DEP_1)
	v_fma_f64 v[51:52], v[49:50], v[51:52], s[22:23]
	s_mov_b32 s22, 0x1852b7b0
	s_mov_b32 s23, 0x3f56c16c
	s_wait_alu 0xfffe
	v_fma_f64 v[51:52], v[49:50], v[51:52], s[22:23]
	s_mov_b32 s22, 0x11122322
	s_mov_b32 s23, 0x3f811111
	;; [unrolled: 9-line block ×3, first 2 shown]
	s_wait_alu 0xfffe
	s_delay_alu instid0(VALU_DEP_1) | instskip(SKIP_3) | instid1(VALU_DEP_1)
	v_fma_f64 v[51:52], v[49:50], v[51:52], s[22:23]
	s_mov_b32 s22, 11
	s_mov_b32 s23, 0x3fe00000
	s_wait_alu 0xfffe
	v_fma_f64 v[51:52], v[49:50], v[51:52], s[22:23]
	v_cmp_nlt_f64_e64 s22, 0x40900000, v[45:46]
	v_cmp_ngt_f64_e64 s23, 0xc090cc00, v[45:46]
	s_delay_alu instid0(VALU_DEP_3) | instskip(NEXT) | instid1(VALU_DEP_1)
	v_fma_f64 v[51:52], v[49:50], v[51:52], 1.0
	v_fma_f64 v[47:48], v[49:50], v[51:52], 1.0
	s_delay_alu instid0(VALU_DEP_1) | instskip(SKIP_1) | instid1(VALU_DEP_1)
	v_ldexp_f64 v[47:48], v[47:48], v53
	s_wait_alu 0xf1ff
	v_cndmask_b32_e64 v48, 0x7ff00000, v48, s22
	s_and_b32 s22, s23, s22
	s_wait_alu 0xfffe
	s_delay_alu instid0(VALU_DEP_2) | instskip(SKIP_3) | instid1(VALU_DEP_1)
	v_cndmask_b32_e64 v45, 0, v47, s22
	s_mov_b32 s22, 0x55555555
	v_cndmask_b32_e64 v46, 0, v48, s23
	s_mov_b32 s23, 0x3fe55555
	v_add_f64_e32 v[47:48], 1.0, v[45:46]
	s_delay_alu instid0(VALU_DEP_1) | instskip(SKIP_3) | instid1(VALU_DEP_3)
	v_frexp_mant_f64_e32 v[49:50], v[47:48]
	v_frexp_exp_i32_f64_e32 v53, v[47:48]
	v_add_f64_e32 v[51:52], -1.0, v[47:48]
	s_wait_alu 0xfffe
	v_cmp_gt_f64_e64 s22, s[22:23], v[49:50]
	s_delay_alu instid0(VALU_DEP_2) | instskip(SKIP_2) | instid1(VALU_DEP_3)
	v_add_f64_e64 v[49:50], v[51:52], -v[47:48]
	v_add_f64_e64 v[51:52], v[45:46], -v[51:52]
	s_wait_alu 0xf1ff
	v_subrev_co_ci_u32_e64 v75, null, 0, v53, s22
	s_delay_alu instid0(VALU_DEP_3) | instskip(SKIP_1) | instid1(VALU_DEP_2)
	v_add_f64_e32 v[49:50], 1.0, v[49:50]
	s_mov_b32 s22, 0x55555780
	v_sub_nc_u32_e32 v55, 0, v75
	s_delay_alu instid0(VALU_DEP_1) | instskip(NEXT) | instid1(VALU_DEP_3)
	v_ldexp_f64 v[47:48], v[47:48], v55
	v_add_f64_e32 v[49:50], v[51:52], v[49:50]
	s_delay_alu instid0(VALU_DEP_2) | instskip(SKIP_1) | instid1(VALU_DEP_3)
	v_add_f64_e32 v[53:54], 1.0, v[47:48]
	v_add_f64_e32 v[59:60], -1.0, v[47:48]
	v_ldexp_f64 v[49:50], v[49:50], v55
	s_delay_alu instid0(VALU_DEP_3) | instskip(NEXT) | instid1(VALU_DEP_3)
	v_add_f64_e32 v[51:52], -1.0, v[53:54]
	v_add_f64_e32 v[61:62], 1.0, v[59:60]
	s_delay_alu instid0(VALU_DEP_2) | instskip(NEXT) | instid1(VALU_DEP_2)
	v_add_f64_e64 v[51:52], v[47:48], -v[51:52]
	v_add_f64_e64 v[47:48], v[47:48], -v[61:62]
	s_delay_alu instid0(VALU_DEP_2) | instskip(NEXT) | instid1(VALU_DEP_2)
	v_add_f64_e32 v[51:52], v[49:50], v[51:52]
	v_add_f64_e32 v[47:48], v[49:50], v[47:48]
	s_delay_alu instid0(VALU_DEP_2) | instskip(NEXT) | instid1(VALU_DEP_2)
	v_add_f64_e32 v[55:56], v[53:54], v[51:52]
	v_add_f64_e32 v[61:62], v[59:60], v[47:48]
	s_delay_alu instid0(VALU_DEP_2) | instskip(SKIP_1) | instid1(VALU_DEP_2)
	v_rcp_f64_e32 v[57:58], v[55:56]
	v_add_f64_e64 v[53:54], v[55:56], -v[53:54]
	v_add_f64_e64 v[59:60], v[61:62], -v[59:60]
	s_delay_alu instid0(VALU_DEP_2) | instskip(NEXT) | instid1(TRANS32_DEP_1)
	v_add_f64_e64 v[51:52], v[51:52], -v[53:54]
	v_fma_f64 v[69:70], -v[55:56], v[57:58], 1.0
	s_delay_alu instid0(VALU_DEP_3) | instskip(NEXT) | instid1(VALU_DEP_2)
	v_add_f64_e64 v[47:48], v[47:48], -v[59:60]
	v_fma_f64 v[57:58], v[69:70], v[57:58], v[57:58]
	s_delay_alu instid0(VALU_DEP_1) | instskip(NEXT) | instid1(VALU_DEP_1)
	v_fma_f64 v[49:50], -v[55:56], v[57:58], 1.0
	v_fma_f64 v[49:50], v[49:50], v[57:58], v[57:58]
	s_delay_alu instid0(VALU_DEP_1) | instskip(NEXT) | instid1(VALU_DEP_1)
	v_mul_f64_e32 v[57:58], v[61:62], v[49:50]
	v_mul_f64_e32 v[69:70], v[55:56], v[57:58]
	s_delay_alu instid0(VALU_DEP_1) | instskip(NEXT) | instid1(VALU_DEP_1)
	v_fma_f64 v[53:54], v[57:58], v[55:56], -v[69:70]
	v_fma_f64 v[53:54], v[57:58], v[51:52], v[53:54]
	s_delay_alu instid0(VALU_DEP_1) | instskip(NEXT) | instid1(VALU_DEP_1)
	v_add_f64_e32 v[71:72], v[69:70], v[53:54]
	v_add_f64_e64 v[73:74], v[61:62], -v[71:72]
	v_add_f64_e64 v[59:60], v[71:72], -v[69:70]
	s_delay_alu instid0(VALU_DEP_2) | instskip(NEXT) | instid1(VALU_DEP_2)
	v_add_f64_e64 v[61:62], v[61:62], -v[73:74]
	v_add_f64_e64 v[53:54], v[59:60], -v[53:54]
	s_delay_alu instid0(VALU_DEP_2) | instskip(NEXT) | instid1(VALU_DEP_1)
	v_add_f64_e64 v[61:62], v[61:62], -v[71:72]
	v_add_f64_e32 v[47:48], v[47:48], v[61:62]
	s_delay_alu instid0(VALU_DEP_1) | instskip(NEXT) | instid1(VALU_DEP_1)
	v_add_f64_e32 v[47:48], v[53:54], v[47:48]
	v_add_f64_e32 v[53:54], v[73:74], v[47:48]
	s_delay_alu instid0(VALU_DEP_1) | instskip(SKIP_1) | instid1(VALU_DEP_2)
	v_mul_f64_e32 v[59:60], v[49:50], v[53:54]
	v_add_f64_e64 v[71:72], v[73:74], -v[53:54]
	v_mul_f64_e32 v[61:62], v[55:56], v[59:60]
	s_delay_alu instid0(VALU_DEP_2) | instskip(NEXT) | instid1(VALU_DEP_2)
	v_add_f64_e32 v[47:48], v[47:48], v[71:72]
	v_fma_f64 v[55:56], v[59:60], v[55:56], -v[61:62]
	s_delay_alu instid0(VALU_DEP_1) | instskip(NEXT) | instid1(VALU_DEP_1)
	v_fma_f64 v[51:52], v[59:60], v[51:52], v[55:56]
	v_add_f64_e32 v[55:56], v[61:62], v[51:52]
	s_delay_alu instid0(VALU_DEP_1) | instskip(SKIP_1) | instid1(VALU_DEP_2)
	v_add_f64_e64 v[69:70], v[53:54], -v[55:56]
	v_add_f64_e64 v[61:62], v[55:56], -v[61:62]
	;; [unrolled: 1-line block ×3, first 2 shown]
	s_delay_alu instid0(VALU_DEP_2) | instskip(NEXT) | instid1(VALU_DEP_2)
	v_add_f64_e64 v[51:52], v[61:62], -v[51:52]
	v_add_f64_e64 v[53:54], v[53:54], -v[55:56]
	s_delay_alu instid0(VALU_DEP_1) | instskip(SKIP_1) | instid1(VALU_DEP_2)
	v_add_f64_e32 v[47:48], v[47:48], v[53:54]
	v_add_f64_e32 v[53:54], v[57:58], v[59:60]
	;; [unrolled: 1-line block ×3, first 2 shown]
	s_delay_alu instid0(VALU_DEP_2) | instskip(NEXT) | instid1(VALU_DEP_2)
	v_add_f64_e64 v[51:52], v[53:54], -v[57:58]
	v_add_f64_e32 v[47:48], v[69:70], v[47:48]
	s_delay_alu instid0(VALU_DEP_2) | instskip(NEXT) | instid1(VALU_DEP_2)
	v_add_f64_e64 v[51:52], v[59:60], -v[51:52]
	v_mul_f64_e32 v[47:48], v[49:50], v[47:48]
	s_delay_alu instid0(VALU_DEP_1) | instskip(NEXT) | instid1(VALU_DEP_1)
	v_add_f64_e32 v[47:48], v[51:52], v[47:48]
	v_add_f64_e32 v[49:50], v[53:54], v[47:48]
	s_delay_alu instid0(VALU_DEP_1) | instskip(NEXT) | instid1(VALU_DEP_1)
	v_mul_f64_e32 v[51:52], v[49:50], v[49:50]
	v_fma_f64 v[55:56], v[51:52], s[34:35], s[30:31]
	s_mov_b32 s30, 0xd7f4df2e
	s_mov_b32 s31, 0x3fc7474d
	v_mul_f64_e32 v[57:58], v[49:50], v[51:52]
	s_wait_alu 0xfffe
	s_delay_alu instid0(VALU_DEP_2) | instskip(SKIP_3) | instid1(VALU_DEP_1)
	v_fma_f64 v[55:56], v[51:52], v[55:56], s[30:31]
	s_mov_b32 s30, 0x16291751
	s_mov_b32 s31, 0x3fcc71c0
	s_wait_alu 0xfffe
	v_fma_f64 v[55:56], v[51:52], v[55:56], s[30:31]
	s_mov_b32 s30, 0x9b27acf1
	s_mov_b32 s31, 0x3fd24924
	s_wait_alu 0xfffe
	s_delay_alu instid0(VALU_DEP_1) | instskip(SKIP_3) | instid1(VALU_DEP_1)
	v_fma_f64 v[55:56], v[51:52], v[55:56], s[30:31]
	s_mov_b32 s30, 0x998ef7b6
	s_mov_b32 s31, 0x3fd99999
	s_wait_alu 0xfffe
	v_fma_f64 v[55:56], v[51:52], v[55:56], s[30:31]
	s_delay_alu instid0(VALU_DEP_1)
	v_fma_f64 v[51:52], v[51:52], v[55:56], s[22:23]
	v_ldexp_f64 v[55:56], v[49:50], 1
	v_add_f64_e64 v[49:50], v[49:50], -v[53:54]
	v_cmp_nge_f64_e64 s22, -1.0, v[45:46]
	v_cmp_neq_f64_e64 s23, 0x7ff00000, v[45:46]
	v_mul_f64_e32 v[51:52], v[57:58], v[51:52]
	v_cvt_f64_i32_e32 v[57:58], v75
	v_add_f64_e64 v[47:48], v[47:48], -v[49:50]
	s_and_b32 s22, s22, s23
	s_delay_alu instid0(VALU_DEP_3) | instskip(NEXT) | instid1(VALU_DEP_3)
	v_add_f64_e32 v[53:54], v[55:56], v[51:52]
	v_mul_f64_e32 v[59:60], s[24:25], v[57:58]
	s_delay_alu instid0(VALU_DEP_3) | instskip(NEXT) | instid1(VALU_DEP_3)
	v_ldexp_f64 v[47:48], v[47:48], 1
	v_add_f64_e64 v[49:50], v[53:54], -v[55:56]
	s_delay_alu instid0(VALU_DEP_3) | instskip(SKIP_1) | instid1(VALU_DEP_3)
	v_fma_f64 v[55:56], v[57:58], s[24:25], -v[59:60]
	v_cmp_ngt_f64_e64 s24, -1.0, v[45:46]
	v_add_f64_e64 v[49:50], v[51:52], -v[49:50]
	s_delay_alu instid0(VALU_DEP_3) | instskip(NEXT) | instid1(VALU_DEP_2)
	v_fma_f64 v[51:52], v[57:58], s[26:27], v[55:56]
	v_add_f64_e32 v[47:48], v[47:48], v[49:50]
	s_delay_alu instid0(VALU_DEP_2) | instskip(NEXT) | instid1(VALU_DEP_2)
	v_add_f64_e32 v[49:50], v[59:60], v[51:52]
	v_add_f64_e32 v[55:56], v[53:54], v[47:48]
	s_delay_alu instid0(VALU_DEP_2) | instskip(NEXT) | instid1(VALU_DEP_2)
	v_add_f64_e64 v[59:60], v[49:50], -v[59:60]
	v_add_f64_e32 v[57:58], v[49:50], v[55:56]
	v_add_f64_e64 v[53:54], v[55:56], -v[53:54]
	s_delay_alu instid0(VALU_DEP_3) | instskip(NEXT) | instid1(VALU_DEP_3)
	v_add_f64_e64 v[51:52], v[51:52], -v[59:60]
	v_add_f64_e64 v[61:62], v[57:58], -v[49:50]
	s_delay_alu instid0(VALU_DEP_3) | instskip(NEXT) | instid1(VALU_DEP_2)
	v_add_f64_e64 v[47:48], v[47:48], -v[53:54]
	v_add_f64_e64 v[69:70], v[57:58], -v[61:62]
	;; [unrolled: 1-line block ×3, first 2 shown]
	s_delay_alu instid0(VALU_DEP_3) | instskip(NEXT) | instid1(VALU_DEP_3)
	v_add_f64_e32 v[55:56], v[51:52], v[47:48]
	v_add_f64_e64 v[49:50], v[49:50], -v[69:70]
	s_delay_alu instid0(VALU_DEP_1) | instskip(NEXT) | instid1(VALU_DEP_3)
	v_add_f64_e32 v[49:50], v[53:54], v[49:50]
	v_add_f64_e64 v[53:54], v[55:56], -v[51:52]
	s_delay_alu instid0(VALU_DEP_2) | instskip(NEXT) | instid1(VALU_DEP_2)
	v_add_f64_e32 v[49:50], v[55:56], v[49:50]
	v_add_f64_e64 v[55:56], v[55:56], -v[53:54]
	v_add_f64_e64 v[47:48], v[47:48], -v[53:54]
	s_delay_alu instid0(VALU_DEP_3) | instskip(NEXT) | instid1(VALU_DEP_3)
	v_add_f64_e32 v[59:60], v[57:58], v[49:50]
	v_add_f64_e64 v[51:52], v[51:52], -v[55:56]
	s_delay_alu instid0(VALU_DEP_2) | instskip(NEXT) | instid1(VALU_DEP_2)
	v_add_f64_e64 v[53:54], v[59:60], -v[57:58]
	v_add_f64_e32 v[47:48], v[47:48], v[51:52]
	s_delay_alu instid0(VALU_DEP_2) | instskip(NEXT) | instid1(VALU_DEP_1)
	v_add_f64_e64 v[49:50], v[49:50], -v[53:54]
	v_add_f64_e32 v[47:48], v[47:48], v[49:50]
	s_delay_alu instid0(VALU_DEP_1) | instskip(SKIP_1) | instid1(VALU_DEP_1)
	v_add_f64_e32 v[47:48], v[59:60], v[47:48]
	s_wait_alu 0xfffe
	v_cndmask_b32_e64 v47, 0, v47, s22
	v_cmp_neq_f64_e64 s22, -1.0, v[45:46]
	s_delay_alu instid0(VALU_DEP_3) | instskip(SKIP_1) | instid1(VALU_DEP_1)
	v_cndmask_b32_e64 v48, 0x7ff00000, v48, s23
	s_wait_alu 0xf1ff
	v_cndmask_b32_e64 v48, 0x7ff80000, v48, s24
	s_delay_alu instid0(VALU_DEP_1) | instskip(NEXT) | instid1(VALU_DEP_1)
	v_cndmask_b32_e64 v48, 0xfff00000, v48, s22
	v_add_f64_e32 v[69:70], v[43:44], v[47:48]
.LBB80_42:
	s_wait_alu 0xfffe
	s_or_b32 exec_lo, exec_lo, s28
	v_max_num_f64_e32 v[43:44], v[21:22], v[21:22]
	s_delay_alu instid0(VALU_DEP_2) | instskip(SKIP_2) | instid1(VALU_DEP_3)
	v_max_num_f64_e32 v[45:46], v[69:70], v[69:70]
	v_cmp_u_f64_e64 s23, v[69:70], v[69:70]
	v_cmp_u_f64_e64 s22, v[21:22], v[21:22]
	v_min_num_f64_e32 v[47:48], v[45:46], v[43:44]
	v_max_num_f64_e32 v[45:46], v[45:46], v[43:44]
	s_wait_alu 0xf1ff
	s_delay_alu instid0(VALU_DEP_2) | instskip(NEXT) | instid1(VALU_DEP_3)
	v_cndmask_b32_e64 v47, v47, v69, s23
	v_cndmask_b32_e64 v48, v48, v70, s23
	s_delay_alu instid0(VALU_DEP_3) | instskip(NEXT) | instid1(VALU_DEP_4)
	v_cndmask_b32_e64 v46, v46, v70, s23
	v_cndmask_b32_e64 v45, v45, v69, s23
	s_delay_alu instid0(VALU_DEP_4) | instskip(NEXT) | instid1(VALU_DEP_4)
	v_cndmask_b32_e64 v47, v47, v21, s22
	v_cndmask_b32_e64 v48, v48, v22, s22
	s_delay_alu instid0(VALU_DEP_4) | instskip(NEXT) | instid1(VALU_DEP_4)
	v_cndmask_b32_e64 v46, v46, v22, s22
	v_cndmask_b32_e64 v45, v45, v21, s22
	s_delay_alu instid0(VALU_DEP_3) | instskip(NEXT) | instid1(VALU_DEP_2)
	v_cmp_class_f64_e64 s24, v[47:48], 0x1f8
	v_cmp_neq_f64_e64 s23, v[47:48], v[45:46]
	s_or_b32 s23, s23, s24
	s_wait_alu 0xfffe
	s_and_saveexec_b32 s30, s23
	s_cbranch_execz .LBB80_44
; %bb.43:
	v_add_f64_e64 v[47:48], v[47:48], -v[45:46]
	s_mov_b32 s24, 0x652b82fe
	s_mov_b32 s25, 0x3ff71547
	;; [unrolled: 1-line block ×10, first 2 shown]
	s_wait_alu 0xfffe
	s_delay_alu instid0(VALU_DEP_1) | instskip(SKIP_3) | instid1(VALU_DEP_2)
	v_mul_f64_e32 v[49:50], s[24:25], v[47:48]
	s_mov_b32 s24, 0xfca7ab0c
	s_mov_b32 s25, 0x3e928af3
	v_cmp_nlt_f64_e64 s23, 0x40900000, v[47:48]
	v_rndne_f64_e32 v[49:50], v[49:50]
	s_delay_alu instid0(VALU_DEP_1) | instskip(SKIP_2) | instid1(VALU_DEP_2)
	v_fma_f64 v[51:52], v[49:50], s[26:27], v[47:48]
	v_cvt_i32_f64_e32 v55, v[49:50]
	s_mov_b32 s27, 0x3fe62e42
	v_fma_f64 v[51:52], v[49:50], s[28:29], v[51:52]
	s_mov_b32 s29, 0x3c7abc9e
	s_wait_alu 0xfffe
	s_delay_alu instid0(VALU_DEP_1)
	v_fma_f64 v[53:54], v[51:52], s[34:35], s[24:25]
	s_mov_b32 s24, 0x623fde64
	s_mov_b32 s25, 0x3ec71dee
	s_mov_b32 s34, 0x6b47b09a
	s_mov_b32 s35, 0x3fc38538
	s_wait_alu 0xfffe
	s_delay_alu instid0(VALU_DEP_1) | instskip(SKIP_3) | instid1(VALU_DEP_1)
	v_fma_f64 v[53:54], v[51:52], v[53:54], s[24:25]
	s_mov_b32 s24, 0x7c89e6b0
	s_mov_b32 s25, 0x3efa0199
	s_wait_alu 0xfffe
	v_fma_f64 v[53:54], v[51:52], v[53:54], s[24:25]
	s_mov_b32 s24, 0x14761f6e
	s_mov_b32 s25, 0x3f2a01a0
	s_wait_alu 0xfffe
	s_delay_alu instid0(VALU_DEP_1) | instskip(SKIP_3) | instid1(VALU_DEP_1)
	v_fma_f64 v[53:54], v[51:52], v[53:54], s[24:25]
	s_mov_b32 s24, 0x1852b7b0
	s_mov_b32 s25, 0x3f56c16c
	s_wait_alu 0xfffe
	v_fma_f64 v[53:54], v[51:52], v[53:54], s[24:25]
	s_mov_b32 s24, 0x11122322
	s_mov_b32 s25, 0x3f811111
	;; [unrolled: 9-line block ×3, first 2 shown]
	s_wait_alu 0xfffe
	s_delay_alu instid0(VALU_DEP_1) | instskip(SKIP_3) | instid1(VALU_DEP_1)
	v_fma_f64 v[53:54], v[51:52], v[53:54], s[24:25]
	s_mov_b32 s24, 11
	s_mov_b32 s25, 0x3fe00000
	s_wait_alu 0xfffe
	v_fma_f64 v[53:54], v[51:52], v[53:54], s[24:25]
	v_cmp_ngt_f64_e64 s24, 0xc090cc00, v[47:48]
	s_mov_b32 s25, 0x3fe55555
	v_fma_f64 v[53:54], v[51:52], v[53:54], 1.0
	s_delay_alu instid0(VALU_DEP_1) | instskip(NEXT) | instid1(VALU_DEP_1)
	v_fma_f64 v[49:50], v[51:52], v[53:54], 1.0
	v_ldexp_f64 v[49:50], v[49:50], v55
	s_wait_alu 0xf1ff
	s_delay_alu instid0(VALU_DEP_1) | instskip(SKIP_2) | instid1(VALU_DEP_2)
	v_cndmask_b32_e64 v50, 0x7ff00000, v50, s23
	s_and_b32 s23, s24, s23
	s_wait_alu 0xfffe
	v_cndmask_b32_e64 v47, 0, v49, s23
	s_delay_alu instid0(VALU_DEP_2) | instskip(SKIP_1) | instid1(VALU_DEP_1)
	v_cndmask_b32_e64 v48, 0, v50, s24
	s_mov_b32 s24, 0x55555555
	v_add_f64_e32 v[49:50], 1.0, v[47:48]
	s_delay_alu instid0(VALU_DEP_1) | instskip(SKIP_3) | instid1(VALU_DEP_3)
	v_frexp_mant_f64_e32 v[51:52], v[49:50]
	v_frexp_exp_i32_f64_e32 v55, v[49:50]
	v_add_f64_e32 v[53:54], -1.0, v[49:50]
	s_wait_alu 0xfffe
	v_cmp_gt_f64_e64 s23, s[24:25], v[51:52]
	s_mov_b32 s24, 0x55555780
	v_add_f64_e64 v[51:52], v[53:54], -v[49:50]
	v_add_f64_e64 v[53:54], v[47:48], -v[53:54]
	s_wait_alu 0xf1ff
	v_subrev_co_ci_u32_e64 v96, null, 0, v55, s23
	s_delay_alu instid0(VALU_DEP_3) | instskip(SKIP_1) | instid1(VALU_DEP_3)
	v_add_f64_e32 v[51:52], 1.0, v[51:52]
	v_cmp_nge_f64_e64 s23, -1.0, v[47:48]
	v_sub_nc_u32_e32 v57, 0, v96
	s_delay_alu instid0(VALU_DEP_1) | instskip(NEXT) | instid1(VALU_DEP_4)
	v_ldexp_f64 v[49:50], v[49:50], v57
	v_add_f64_e32 v[51:52], v[53:54], v[51:52]
	s_delay_alu instid0(VALU_DEP_2) | instskip(SKIP_1) | instid1(VALU_DEP_3)
	v_add_f64_e32 v[55:56], 1.0, v[49:50]
	v_add_f64_e32 v[61:62], -1.0, v[49:50]
	v_ldexp_f64 v[51:52], v[51:52], v57
	s_delay_alu instid0(VALU_DEP_3) | instskip(NEXT) | instid1(VALU_DEP_3)
	v_add_f64_e32 v[53:54], -1.0, v[55:56]
	v_add_f64_e32 v[69:70], 1.0, v[61:62]
	s_delay_alu instid0(VALU_DEP_2) | instskip(NEXT) | instid1(VALU_DEP_2)
	v_add_f64_e64 v[53:54], v[49:50], -v[53:54]
	v_add_f64_e64 v[49:50], v[49:50], -v[69:70]
	s_delay_alu instid0(VALU_DEP_2) | instskip(NEXT) | instid1(VALU_DEP_2)
	v_add_f64_e32 v[53:54], v[51:52], v[53:54]
	v_add_f64_e32 v[49:50], v[51:52], v[49:50]
	s_delay_alu instid0(VALU_DEP_2) | instskip(NEXT) | instid1(VALU_DEP_2)
	v_add_f64_e32 v[57:58], v[55:56], v[53:54]
	v_add_f64_e32 v[69:70], v[61:62], v[49:50]
	s_delay_alu instid0(VALU_DEP_2) | instskip(SKIP_1) | instid1(VALU_DEP_2)
	v_rcp_f64_e32 v[59:60], v[57:58]
	v_add_f64_e64 v[55:56], v[57:58], -v[55:56]
	v_add_f64_e64 v[61:62], v[69:70], -v[61:62]
	s_delay_alu instid0(VALU_DEP_2) | instskip(NEXT) | instid1(TRANS32_DEP_1)
	v_add_f64_e64 v[53:54], v[53:54], -v[55:56]
	v_fma_f64 v[71:72], -v[57:58], v[59:60], 1.0
	s_delay_alu instid0(VALU_DEP_3) | instskip(NEXT) | instid1(VALU_DEP_2)
	v_add_f64_e64 v[49:50], v[49:50], -v[61:62]
	v_fma_f64 v[59:60], v[71:72], v[59:60], v[59:60]
	s_delay_alu instid0(VALU_DEP_1) | instskip(NEXT) | instid1(VALU_DEP_1)
	v_fma_f64 v[51:52], -v[57:58], v[59:60], 1.0
	v_fma_f64 v[51:52], v[51:52], v[59:60], v[59:60]
	s_delay_alu instid0(VALU_DEP_1) | instskip(NEXT) | instid1(VALU_DEP_1)
	v_mul_f64_e32 v[59:60], v[69:70], v[51:52]
	v_mul_f64_e32 v[71:72], v[57:58], v[59:60]
	s_delay_alu instid0(VALU_DEP_1) | instskip(NEXT) | instid1(VALU_DEP_1)
	v_fma_f64 v[55:56], v[59:60], v[57:58], -v[71:72]
	v_fma_f64 v[55:56], v[59:60], v[53:54], v[55:56]
	s_delay_alu instid0(VALU_DEP_1) | instskip(NEXT) | instid1(VALU_DEP_1)
	v_add_f64_e32 v[73:74], v[71:72], v[55:56]
	v_add_f64_e64 v[75:76], v[69:70], -v[73:74]
	v_add_f64_e64 v[61:62], v[73:74], -v[71:72]
	s_delay_alu instid0(VALU_DEP_2) | instskip(NEXT) | instid1(VALU_DEP_2)
	v_add_f64_e64 v[69:70], v[69:70], -v[75:76]
	v_add_f64_e64 v[55:56], v[61:62], -v[55:56]
	s_delay_alu instid0(VALU_DEP_2) | instskip(NEXT) | instid1(VALU_DEP_1)
	v_add_f64_e64 v[69:70], v[69:70], -v[73:74]
	v_add_f64_e32 v[49:50], v[49:50], v[69:70]
	s_delay_alu instid0(VALU_DEP_1) | instskip(NEXT) | instid1(VALU_DEP_1)
	v_add_f64_e32 v[49:50], v[55:56], v[49:50]
	v_add_f64_e32 v[55:56], v[75:76], v[49:50]
	s_delay_alu instid0(VALU_DEP_1) | instskip(SKIP_1) | instid1(VALU_DEP_2)
	v_mul_f64_e32 v[61:62], v[51:52], v[55:56]
	v_add_f64_e64 v[73:74], v[75:76], -v[55:56]
	v_mul_f64_e32 v[69:70], v[57:58], v[61:62]
	s_delay_alu instid0(VALU_DEP_2) | instskip(NEXT) | instid1(VALU_DEP_2)
	v_add_f64_e32 v[49:50], v[49:50], v[73:74]
	v_fma_f64 v[57:58], v[61:62], v[57:58], -v[69:70]
	s_delay_alu instid0(VALU_DEP_1) | instskip(NEXT) | instid1(VALU_DEP_1)
	v_fma_f64 v[53:54], v[61:62], v[53:54], v[57:58]
	v_add_f64_e32 v[57:58], v[69:70], v[53:54]
	s_delay_alu instid0(VALU_DEP_1) | instskip(SKIP_1) | instid1(VALU_DEP_2)
	v_add_f64_e64 v[71:72], v[55:56], -v[57:58]
	v_add_f64_e64 v[69:70], v[57:58], -v[69:70]
	;; [unrolled: 1-line block ×3, first 2 shown]
	s_delay_alu instid0(VALU_DEP_2) | instskip(NEXT) | instid1(VALU_DEP_2)
	v_add_f64_e64 v[53:54], v[69:70], -v[53:54]
	v_add_f64_e64 v[55:56], v[55:56], -v[57:58]
	s_delay_alu instid0(VALU_DEP_1) | instskip(SKIP_1) | instid1(VALU_DEP_2)
	v_add_f64_e32 v[49:50], v[49:50], v[55:56]
	v_add_f64_e32 v[55:56], v[59:60], v[61:62]
	v_add_f64_e32 v[49:50], v[53:54], v[49:50]
	s_delay_alu instid0(VALU_DEP_2) | instskip(NEXT) | instid1(VALU_DEP_2)
	v_add_f64_e64 v[53:54], v[55:56], -v[59:60]
	v_add_f64_e32 v[49:50], v[71:72], v[49:50]
	s_delay_alu instid0(VALU_DEP_2) | instskip(NEXT) | instid1(VALU_DEP_2)
	v_add_f64_e64 v[53:54], v[61:62], -v[53:54]
	v_mul_f64_e32 v[49:50], v[51:52], v[49:50]
	s_delay_alu instid0(VALU_DEP_1) | instskip(NEXT) | instid1(VALU_DEP_1)
	v_add_f64_e32 v[49:50], v[53:54], v[49:50]
	v_add_f64_e32 v[51:52], v[55:56], v[49:50]
	s_delay_alu instid0(VALU_DEP_1) | instskip(NEXT) | instid1(VALU_DEP_1)
	v_mul_f64_e32 v[53:54], v[51:52], v[51:52]
	v_fma_f64 v[57:58], v[53:54], s[36:37], s[34:35]
	s_mov_b32 s34, 0xd7f4df2e
	s_mov_b32 s35, 0x3fc7474d
	v_mul_f64_e32 v[59:60], v[51:52], v[53:54]
	s_wait_alu 0xfffe
	s_delay_alu instid0(VALU_DEP_2) | instskip(SKIP_3) | instid1(VALU_DEP_1)
	v_fma_f64 v[57:58], v[53:54], v[57:58], s[34:35]
	s_mov_b32 s34, 0x16291751
	s_mov_b32 s35, 0x3fcc71c0
	s_wait_alu 0xfffe
	v_fma_f64 v[57:58], v[53:54], v[57:58], s[34:35]
	s_mov_b32 s34, 0x9b27acf1
	s_mov_b32 s35, 0x3fd24924
	s_wait_alu 0xfffe
	s_delay_alu instid0(VALU_DEP_1) | instskip(SKIP_3) | instid1(VALU_DEP_1)
	v_fma_f64 v[57:58], v[53:54], v[57:58], s[34:35]
	s_mov_b32 s34, 0x998ef7b6
	s_mov_b32 s35, 0x3fd99999
	s_wait_alu 0xfffe
	v_fma_f64 v[57:58], v[53:54], v[57:58], s[34:35]
	s_delay_alu instid0(VALU_DEP_1)
	v_fma_f64 v[53:54], v[53:54], v[57:58], s[24:25]
	v_ldexp_f64 v[57:58], v[51:52], 1
	v_add_f64_e64 v[51:52], v[51:52], -v[55:56]
	v_cmp_neq_f64_e64 s24, 0x7ff00000, v[47:48]
	v_cmp_ngt_f64_e64 s25, -1.0, v[47:48]
	v_mul_f64_e32 v[53:54], v[59:60], v[53:54]
	v_cvt_f64_i32_e32 v[59:60], v96
	v_add_f64_e64 v[49:50], v[49:50], -v[51:52]
	s_and_b32 s23, s23, s24
	s_delay_alu instid0(VALU_DEP_3) | instskip(NEXT) | instid1(VALU_DEP_3)
	v_add_f64_e32 v[55:56], v[57:58], v[53:54]
	v_mul_f64_e32 v[61:62], s[26:27], v[59:60]
	s_delay_alu instid0(VALU_DEP_3) | instskip(NEXT) | instid1(VALU_DEP_3)
	v_ldexp_f64 v[49:50], v[49:50], 1
	v_add_f64_e64 v[51:52], v[55:56], -v[57:58]
	s_delay_alu instid0(VALU_DEP_3) | instskip(NEXT) | instid1(VALU_DEP_2)
	v_fma_f64 v[57:58], v[59:60], s[26:27], -v[61:62]
	v_add_f64_e64 v[51:52], v[53:54], -v[51:52]
	s_delay_alu instid0(VALU_DEP_2) | instskip(NEXT) | instid1(VALU_DEP_2)
	v_fma_f64 v[53:54], v[59:60], s[28:29], v[57:58]
	v_add_f64_e32 v[49:50], v[49:50], v[51:52]
	s_delay_alu instid0(VALU_DEP_2) | instskip(NEXT) | instid1(VALU_DEP_2)
	v_add_f64_e32 v[51:52], v[61:62], v[53:54]
	v_add_f64_e32 v[57:58], v[55:56], v[49:50]
	s_delay_alu instid0(VALU_DEP_2) | instskip(NEXT) | instid1(VALU_DEP_2)
	v_add_f64_e64 v[61:62], v[51:52], -v[61:62]
	v_add_f64_e32 v[59:60], v[51:52], v[57:58]
	v_add_f64_e64 v[55:56], v[57:58], -v[55:56]
	s_delay_alu instid0(VALU_DEP_3) | instskip(NEXT) | instid1(VALU_DEP_3)
	v_add_f64_e64 v[53:54], v[53:54], -v[61:62]
	v_add_f64_e64 v[69:70], v[59:60], -v[51:52]
	s_delay_alu instid0(VALU_DEP_3) | instskip(NEXT) | instid1(VALU_DEP_2)
	v_add_f64_e64 v[49:50], v[49:50], -v[55:56]
	v_add_f64_e64 v[71:72], v[59:60], -v[69:70]
	;; [unrolled: 1-line block ×3, first 2 shown]
	s_delay_alu instid0(VALU_DEP_3) | instskip(NEXT) | instid1(VALU_DEP_3)
	v_add_f64_e32 v[57:58], v[53:54], v[49:50]
	v_add_f64_e64 v[51:52], v[51:52], -v[71:72]
	s_delay_alu instid0(VALU_DEP_1) | instskip(NEXT) | instid1(VALU_DEP_3)
	v_add_f64_e32 v[51:52], v[55:56], v[51:52]
	v_add_f64_e64 v[55:56], v[57:58], -v[53:54]
	s_delay_alu instid0(VALU_DEP_2) | instskip(NEXT) | instid1(VALU_DEP_2)
	v_add_f64_e32 v[51:52], v[57:58], v[51:52]
	v_add_f64_e64 v[57:58], v[57:58], -v[55:56]
	v_add_f64_e64 v[49:50], v[49:50], -v[55:56]
	s_delay_alu instid0(VALU_DEP_3) | instskip(NEXT) | instid1(VALU_DEP_3)
	v_add_f64_e32 v[61:62], v[59:60], v[51:52]
	v_add_f64_e64 v[53:54], v[53:54], -v[57:58]
	s_delay_alu instid0(VALU_DEP_2) | instskip(NEXT) | instid1(VALU_DEP_2)
	v_add_f64_e64 v[55:56], v[61:62], -v[59:60]
	v_add_f64_e32 v[49:50], v[49:50], v[53:54]
	s_delay_alu instid0(VALU_DEP_2) | instskip(NEXT) | instid1(VALU_DEP_1)
	v_add_f64_e64 v[51:52], v[51:52], -v[55:56]
	v_add_f64_e32 v[49:50], v[49:50], v[51:52]
	s_delay_alu instid0(VALU_DEP_1) | instskip(SKIP_1) | instid1(VALU_DEP_1)
	v_add_f64_e32 v[49:50], v[61:62], v[49:50]
	s_wait_alu 0xfffe
	v_cndmask_b32_e64 v49, 0, v49, s23
	v_cmp_neq_f64_e64 s23, -1.0, v[47:48]
	s_delay_alu instid0(VALU_DEP_3) | instskip(NEXT) | instid1(VALU_DEP_1)
	v_cndmask_b32_e64 v50, 0x7ff00000, v50, s24
	v_cndmask_b32_e64 v50, 0x7ff80000, v50, s25
	s_wait_alu 0xf1ff
	s_delay_alu instid0(VALU_DEP_1) | instskip(NEXT) | instid1(VALU_DEP_1)
	v_cndmask_b32_e64 v50, 0xfff00000, v50, s23
	v_add_f64_e32 v[69:70], v[45:46], v[49:50]
.LBB80_44:
	s_wait_alu 0xfffe
	s_or_b32 exec_lo, exec_lo, s30
	v_max_num_f64_e32 v[45:46], v[23:24], v[23:24]
	s_delay_alu instid0(VALU_DEP_2) | instskip(SKIP_2) | instid1(VALU_DEP_3)
	v_max_num_f64_e32 v[47:48], v[69:70], v[69:70]
	v_cmp_u_f64_e64 s24, v[69:70], v[69:70]
	v_cmp_u_f64_e64 s23, v[23:24], v[23:24]
	v_min_num_f64_e32 v[49:50], v[47:48], v[45:46]
	v_max_num_f64_e32 v[47:48], v[47:48], v[45:46]
	s_wait_alu 0xf1ff
	s_delay_alu instid0(VALU_DEP_2) | instskip(NEXT) | instid1(VALU_DEP_3)
	v_cndmask_b32_e64 v49, v49, v69, s24
	v_cndmask_b32_e64 v50, v50, v70, s24
	s_delay_alu instid0(VALU_DEP_3) | instskip(NEXT) | instid1(VALU_DEP_4)
	v_cndmask_b32_e64 v48, v48, v70, s24
	v_cndmask_b32_e64 v47, v47, v69, s24
	s_delay_alu instid0(VALU_DEP_4) | instskip(NEXT) | instid1(VALU_DEP_4)
	v_cndmask_b32_e64 v49, v49, v23, s23
	v_cndmask_b32_e64 v50, v50, v24, s23
	s_delay_alu instid0(VALU_DEP_4) | instskip(NEXT) | instid1(VALU_DEP_4)
	v_cndmask_b32_e64 v48, v48, v24, s23
	v_cndmask_b32_e64 v47, v47, v23, s23
	s_delay_alu instid0(VALU_DEP_3) | instskip(NEXT) | instid1(VALU_DEP_2)
	v_cmp_class_f64_e64 s25, v[49:50], 0x1f8
	v_cmp_neq_f64_e64 s24, v[49:50], v[47:48]
	s_or_b32 s24, s24, s25
	s_wait_alu 0xfffe
	s_and_saveexec_b32 s30, s24
	s_cbranch_execz .LBB80_46
; %bb.45:
	v_add_f64_e64 v[49:50], v[49:50], -v[47:48]
	s_mov_b32 s24, 0x652b82fe
	s_mov_b32 s25, 0x3ff71547
	;; [unrolled: 1-line block ×10, first 2 shown]
	s_wait_alu 0xfffe
	s_delay_alu instid0(VALU_DEP_1) | instskip(SKIP_2) | instid1(VALU_DEP_1)
	v_mul_f64_e32 v[51:52], s[24:25], v[49:50]
	s_mov_b32 s24, 0xfca7ab0c
	s_mov_b32 s25, 0x3e928af3
	v_rndne_f64_e32 v[51:52], v[51:52]
	s_delay_alu instid0(VALU_DEP_1) | instskip(SKIP_2) | instid1(VALU_DEP_2)
	v_fma_f64 v[53:54], v[51:52], s[26:27], v[49:50]
	v_cvt_i32_f64_e32 v57, v[51:52]
	s_mov_b32 s27, 0x3fe62e42
	v_fma_f64 v[53:54], v[51:52], s[28:29], v[53:54]
	s_mov_b32 s29, 0x3c7abc9e
	s_wait_alu 0xfffe
	s_delay_alu instid0(VALU_DEP_1)
	v_fma_f64 v[55:56], v[53:54], s[34:35], s[24:25]
	s_mov_b32 s24, 0x623fde64
	s_mov_b32 s25, 0x3ec71dee
	;; [unrolled: 1-line block ×4, first 2 shown]
	s_wait_alu 0xfffe
	s_delay_alu instid0(VALU_DEP_1) | instskip(SKIP_3) | instid1(VALU_DEP_1)
	v_fma_f64 v[55:56], v[53:54], v[55:56], s[24:25]
	s_mov_b32 s24, 0x7c89e6b0
	s_mov_b32 s25, 0x3efa0199
	s_wait_alu 0xfffe
	v_fma_f64 v[55:56], v[53:54], v[55:56], s[24:25]
	s_mov_b32 s24, 0x14761f6e
	s_mov_b32 s25, 0x3f2a01a0
	s_wait_alu 0xfffe
	s_delay_alu instid0(VALU_DEP_1) | instskip(SKIP_3) | instid1(VALU_DEP_1)
	v_fma_f64 v[55:56], v[53:54], v[55:56], s[24:25]
	s_mov_b32 s24, 0x1852b7b0
	s_mov_b32 s25, 0x3f56c16c
	s_wait_alu 0xfffe
	v_fma_f64 v[55:56], v[53:54], v[55:56], s[24:25]
	s_mov_b32 s24, 0x11122322
	s_mov_b32 s25, 0x3f811111
	;; [unrolled: 9-line block ×3, first 2 shown]
	s_wait_alu 0xfffe
	s_delay_alu instid0(VALU_DEP_1) | instskip(SKIP_3) | instid1(VALU_DEP_1)
	v_fma_f64 v[55:56], v[53:54], v[55:56], s[24:25]
	s_mov_b32 s24, 11
	s_mov_b32 s25, 0x3fe00000
	s_wait_alu 0xfffe
	v_fma_f64 v[55:56], v[53:54], v[55:56], s[24:25]
	v_cmp_nlt_f64_e64 s24, 0x40900000, v[49:50]
	v_cmp_ngt_f64_e64 s25, 0xc090cc00, v[49:50]
	s_delay_alu instid0(VALU_DEP_3) | instskip(NEXT) | instid1(VALU_DEP_1)
	v_fma_f64 v[55:56], v[53:54], v[55:56], 1.0
	v_fma_f64 v[51:52], v[53:54], v[55:56], 1.0
	s_delay_alu instid0(VALU_DEP_1) | instskip(SKIP_1) | instid1(VALU_DEP_1)
	v_ldexp_f64 v[51:52], v[51:52], v57
	s_wait_alu 0xf1ff
	v_cndmask_b32_e64 v52, 0x7ff00000, v52, s24
	s_and_b32 s24, s25, s24
	s_wait_alu 0xfffe
	s_delay_alu instid0(VALU_DEP_2) | instskip(SKIP_3) | instid1(VALU_DEP_1)
	v_cndmask_b32_e64 v49, 0, v51, s24
	s_mov_b32 s24, 0x55555555
	v_cndmask_b32_e64 v50, 0, v52, s25
	s_mov_b32 s25, 0x3fe55555
	v_add_f64_e32 v[51:52], 1.0, v[49:50]
	s_delay_alu instid0(VALU_DEP_1) | instskip(SKIP_3) | instid1(VALU_DEP_3)
	v_frexp_mant_f64_e32 v[53:54], v[51:52]
	v_frexp_exp_i32_f64_e32 v57, v[51:52]
	v_add_f64_e32 v[55:56], -1.0, v[51:52]
	s_wait_alu 0xfffe
	v_cmp_gt_f64_e64 s24, s[24:25], v[53:54]
	s_delay_alu instid0(VALU_DEP_2) | instskip(SKIP_2) | instid1(VALU_DEP_3)
	v_add_f64_e64 v[53:54], v[55:56], -v[51:52]
	v_add_f64_e64 v[55:56], v[49:50], -v[55:56]
	s_wait_alu 0xf1ff
	v_subrev_co_ci_u32_e64 v98, null, 0, v57, s24
	s_delay_alu instid0(VALU_DEP_3) | instskip(SKIP_1) | instid1(VALU_DEP_2)
	v_add_f64_e32 v[53:54], 1.0, v[53:54]
	s_mov_b32 s24, 0x55555780
	v_sub_nc_u32_e32 v59, 0, v98
	s_delay_alu instid0(VALU_DEP_1) | instskip(NEXT) | instid1(VALU_DEP_3)
	v_ldexp_f64 v[51:52], v[51:52], v59
	v_add_f64_e32 v[53:54], v[55:56], v[53:54]
	s_delay_alu instid0(VALU_DEP_2) | instskip(SKIP_1) | instid1(VALU_DEP_3)
	v_add_f64_e32 v[57:58], 1.0, v[51:52]
	v_add_f64_e32 v[69:70], -1.0, v[51:52]
	v_ldexp_f64 v[53:54], v[53:54], v59
	s_delay_alu instid0(VALU_DEP_3) | instskip(NEXT) | instid1(VALU_DEP_3)
	v_add_f64_e32 v[55:56], -1.0, v[57:58]
	v_add_f64_e32 v[71:72], 1.0, v[69:70]
	s_delay_alu instid0(VALU_DEP_2) | instskip(NEXT) | instid1(VALU_DEP_2)
	v_add_f64_e64 v[55:56], v[51:52], -v[55:56]
	v_add_f64_e64 v[51:52], v[51:52], -v[71:72]
	s_delay_alu instid0(VALU_DEP_2) | instskip(NEXT) | instid1(VALU_DEP_2)
	v_add_f64_e32 v[55:56], v[53:54], v[55:56]
	v_add_f64_e32 v[51:52], v[53:54], v[51:52]
	s_delay_alu instid0(VALU_DEP_2) | instskip(NEXT) | instid1(VALU_DEP_2)
	v_add_f64_e32 v[59:60], v[57:58], v[55:56]
	v_add_f64_e32 v[71:72], v[69:70], v[51:52]
	s_delay_alu instid0(VALU_DEP_2) | instskip(SKIP_1) | instid1(VALU_DEP_2)
	v_rcp_f64_e32 v[61:62], v[59:60]
	v_add_f64_e64 v[57:58], v[59:60], -v[57:58]
	v_add_f64_e64 v[69:70], v[71:72], -v[69:70]
	s_delay_alu instid0(VALU_DEP_2) | instskip(NEXT) | instid1(TRANS32_DEP_1)
	v_add_f64_e64 v[55:56], v[55:56], -v[57:58]
	v_fma_f64 v[73:74], -v[59:60], v[61:62], 1.0
	s_delay_alu instid0(VALU_DEP_3) | instskip(NEXT) | instid1(VALU_DEP_2)
	v_add_f64_e64 v[51:52], v[51:52], -v[69:70]
	v_fma_f64 v[61:62], v[73:74], v[61:62], v[61:62]
	s_delay_alu instid0(VALU_DEP_1) | instskip(NEXT) | instid1(VALU_DEP_1)
	v_fma_f64 v[53:54], -v[59:60], v[61:62], 1.0
	v_fma_f64 v[53:54], v[53:54], v[61:62], v[61:62]
	s_delay_alu instid0(VALU_DEP_1) | instskip(NEXT) | instid1(VALU_DEP_1)
	v_mul_f64_e32 v[61:62], v[71:72], v[53:54]
	v_mul_f64_e32 v[73:74], v[59:60], v[61:62]
	s_delay_alu instid0(VALU_DEP_1) | instskip(NEXT) | instid1(VALU_DEP_1)
	v_fma_f64 v[57:58], v[61:62], v[59:60], -v[73:74]
	v_fma_f64 v[57:58], v[61:62], v[55:56], v[57:58]
	s_delay_alu instid0(VALU_DEP_1) | instskip(NEXT) | instid1(VALU_DEP_1)
	v_add_f64_e32 v[75:76], v[73:74], v[57:58]
	v_add_f64_e64 v[96:97], v[71:72], -v[75:76]
	v_add_f64_e64 v[69:70], v[75:76], -v[73:74]
	s_delay_alu instid0(VALU_DEP_2) | instskip(NEXT) | instid1(VALU_DEP_2)
	v_add_f64_e64 v[71:72], v[71:72], -v[96:97]
	v_add_f64_e64 v[57:58], v[69:70], -v[57:58]
	s_delay_alu instid0(VALU_DEP_2) | instskip(NEXT) | instid1(VALU_DEP_1)
	v_add_f64_e64 v[71:72], v[71:72], -v[75:76]
	v_add_f64_e32 v[51:52], v[51:52], v[71:72]
	s_delay_alu instid0(VALU_DEP_1) | instskip(NEXT) | instid1(VALU_DEP_1)
	v_add_f64_e32 v[51:52], v[57:58], v[51:52]
	v_add_f64_e32 v[57:58], v[96:97], v[51:52]
	s_delay_alu instid0(VALU_DEP_1) | instskip(SKIP_1) | instid1(VALU_DEP_2)
	v_mul_f64_e32 v[69:70], v[53:54], v[57:58]
	v_add_f64_e64 v[75:76], v[96:97], -v[57:58]
	v_mul_f64_e32 v[71:72], v[59:60], v[69:70]
	s_delay_alu instid0(VALU_DEP_2) | instskip(NEXT) | instid1(VALU_DEP_2)
	v_add_f64_e32 v[51:52], v[51:52], v[75:76]
	v_fma_f64 v[59:60], v[69:70], v[59:60], -v[71:72]
	s_delay_alu instid0(VALU_DEP_1) | instskip(NEXT) | instid1(VALU_DEP_1)
	v_fma_f64 v[55:56], v[69:70], v[55:56], v[59:60]
	v_add_f64_e32 v[59:60], v[71:72], v[55:56]
	s_delay_alu instid0(VALU_DEP_1) | instskip(SKIP_1) | instid1(VALU_DEP_2)
	v_add_f64_e64 v[73:74], v[57:58], -v[59:60]
	v_add_f64_e64 v[71:72], v[59:60], -v[71:72]
	;; [unrolled: 1-line block ×3, first 2 shown]
	s_delay_alu instid0(VALU_DEP_2) | instskip(NEXT) | instid1(VALU_DEP_2)
	v_add_f64_e64 v[55:56], v[71:72], -v[55:56]
	v_add_f64_e64 v[57:58], v[57:58], -v[59:60]
	s_delay_alu instid0(VALU_DEP_1) | instskip(SKIP_1) | instid1(VALU_DEP_2)
	v_add_f64_e32 v[51:52], v[51:52], v[57:58]
	v_add_f64_e32 v[57:58], v[61:62], v[69:70]
	;; [unrolled: 1-line block ×3, first 2 shown]
	s_delay_alu instid0(VALU_DEP_2) | instskip(NEXT) | instid1(VALU_DEP_2)
	v_add_f64_e64 v[55:56], v[57:58], -v[61:62]
	v_add_f64_e32 v[51:52], v[73:74], v[51:52]
	s_delay_alu instid0(VALU_DEP_2) | instskip(NEXT) | instid1(VALU_DEP_2)
	v_add_f64_e64 v[55:56], v[69:70], -v[55:56]
	v_mul_f64_e32 v[51:52], v[53:54], v[51:52]
	s_delay_alu instid0(VALU_DEP_1) | instskip(NEXT) | instid1(VALU_DEP_1)
	v_add_f64_e32 v[51:52], v[55:56], v[51:52]
	v_add_f64_e32 v[53:54], v[57:58], v[51:52]
	s_delay_alu instid0(VALU_DEP_1) | instskip(NEXT) | instid1(VALU_DEP_1)
	v_mul_f64_e32 v[55:56], v[53:54], v[53:54]
	v_fma_f64 v[59:60], v[55:56], s[36:37], s[34:35]
	s_mov_b32 s34, 0xd7f4df2e
	s_mov_b32 s35, 0x3fc7474d
	v_mul_f64_e32 v[61:62], v[53:54], v[55:56]
	s_wait_alu 0xfffe
	s_delay_alu instid0(VALU_DEP_2) | instskip(SKIP_3) | instid1(VALU_DEP_1)
	v_fma_f64 v[59:60], v[55:56], v[59:60], s[34:35]
	s_mov_b32 s34, 0x16291751
	s_mov_b32 s35, 0x3fcc71c0
	s_wait_alu 0xfffe
	v_fma_f64 v[59:60], v[55:56], v[59:60], s[34:35]
	s_mov_b32 s34, 0x9b27acf1
	s_mov_b32 s35, 0x3fd24924
	s_wait_alu 0xfffe
	s_delay_alu instid0(VALU_DEP_1) | instskip(SKIP_3) | instid1(VALU_DEP_1)
	v_fma_f64 v[59:60], v[55:56], v[59:60], s[34:35]
	s_mov_b32 s34, 0x998ef7b6
	s_mov_b32 s35, 0x3fd99999
	s_wait_alu 0xfffe
	v_fma_f64 v[59:60], v[55:56], v[59:60], s[34:35]
	s_delay_alu instid0(VALU_DEP_1)
	v_fma_f64 v[55:56], v[55:56], v[59:60], s[24:25]
	v_ldexp_f64 v[59:60], v[53:54], 1
	v_add_f64_e64 v[53:54], v[53:54], -v[57:58]
	v_cmp_nge_f64_e64 s24, -1.0, v[49:50]
	v_cmp_neq_f64_e64 s25, 0x7ff00000, v[49:50]
	v_mul_f64_e32 v[55:56], v[61:62], v[55:56]
	v_cvt_f64_i32_e32 v[61:62], v98
	v_add_f64_e64 v[51:52], v[51:52], -v[53:54]
	s_and_b32 s24, s24, s25
	s_delay_alu instid0(VALU_DEP_3) | instskip(NEXT) | instid1(VALU_DEP_3)
	v_add_f64_e32 v[57:58], v[59:60], v[55:56]
	v_mul_f64_e32 v[69:70], s[26:27], v[61:62]
	s_delay_alu instid0(VALU_DEP_3) | instskip(NEXT) | instid1(VALU_DEP_3)
	v_ldexp_f64 v[51:52], v[51:52], 1
	v_add_f64_e64 v[53:54], v[57:58], -v[59:60]
	s_delay_alu instid0(VALU_DEP_3) | instskip(SKIP_1) | instid1(VALU_DEP_3)
	v_fma_f64 v[59:60], v[61:62], s[26:27], -v[69:70]
	v_cmp_ngt_f64_e64 s26, -1.0, v[49:50]
	v_add_f64_e64 v[53:54], v[55:56], -v[53:54]
	s_delay_alu instid0(VALU_DEP_3) | instskip(NEXT) | instid1(VALU_DEP_2)
	v_fma_f64 v[55:56], v[61:62], s[28:29], v[59:60]
	v_add_f64_e32 v[51:52], v[51:52], v[53:54]
	s_delay_alu instid0(VALU_DEP_2) | instskip(NEXT) | instid1(VALU_DEP_2)
	v_add_f64_e32 v[53:54], v[69:70], v[55:56]
	v_add_f64_e32 v[59:60], v[57:58], v[51:52]
	s_delay_alu instid0(VALU_DEP_2) | instskip(NEXT) | instid1(VALU_DEP_2)
	v_add_f64_e64 v[69:70], v[53:54], -v[69:70]
	v_add_f64_e32 v[61:62], v[53:54], v[59:60]
	v_add_f64_e64 v[57:58], v[59:60], -v[57:58]
	s_delay_alu instid0(VALU_DEP_3) | instskip(NEXT) | instid1(VALU_DEP_3)
	v_add_f64_e64 v[55:56], v[55:56], -v[69:70]
	v_add_f64_e64 v[71:72], v[61:62], -v[53:54]
	s_delay_alu instid0(VALU_DEP_3) | instskip(NEXT) | instid1(VALU_DEP_2)
	v_add_f64_e64 v[51:52], v[51:52], -v[57:58]
	v_add_f64_e64 v[73:74], v[61:62], -v[71:72]
	;; [unrolled: 1-line block ×3, first 2 shown]
	s_delay_alu instid0(VALU_DEP_3) | instskip(NEXT) | instid1(VALU_DEP_3)
	v_add_f64_e32 v[59:60], v[55:56], v[51:52]
	v_add_f64_e64 v[53:54], v[53:54], -v[73:74]
	s_delay_alu instid0(VALU_DEP_1) | instskip(NEXT) | instid1(VALU_DEP_3)
	v_add_f64_e32 v[53:54], v[57:58], v[53:54]
	v_add_f64_e64 v[57:58], v[59:60], -v[55:56]
	s_delay_alu instid0(VALU_DEP_2) | instskip(NEXT) | instid1(VALU_DEP_2)
	v_add_f64_e32 v[53:54], v[59:60], v[53:54]
	v_add_f64_e64 v[59:60], v[59:60], -v[57:58]
	v_add_f64_e64 v[51:52], v[51:52], -v[57:58]
	s_delay_alu instid0(VALU_DEP_3) | instskip(NEXT) | instid1(VALU_DEP_3)
	v_add_f64_e32 v[69:70], v[61:62], v[53:54]
	v_add_f64_e64 v[55:56], v[55:56], -v[59:60]
	s_delay_alu instid0(VALU_DEP_2) | instskip(NEXT) | instid1(VALU_DEP_2)
	v_add_f64_e64 v[57:58], v[69:70], -v[61:62]
	v_add_f64_e32 v[51:52], v[51:52], v[55:56]
	s_delay_alu instid0(VALU_DEP_2) | instskip(NEXT) | instid1(VALU_DEP_1)
	v_add_f64_e64 v[53:54], v[53:54], -v[57:58]
	v_add_f64_e32 v[51:52], v[51:52], v[53:54]
	s_delay_alu instid0(VALU_DEP_1) | instskip(SKIP_1) | instid1(VALU_DEP_1)
	v_add_f64_e32 v[51:52], v[69:70], v[51:52]
	s_wait_alu 0xfffe
	v_cndmask_b32_e64 v51, 0, v51, s24
	v_cmp_neq_f64_e64 s24, -1.0, v[49:50]
	s_delay_alu instid0(VALU_DEP_3) | instskip(SKIP_1) | instid1(VALU_DEP_1)
	v_cndmask_b32_e64 v52, 0x7ff00000, v52, s25
	s_wait_alu 0xf1ff
	v_cndmask_b32_e64 v52, 0x7ff80000, v52, s26
	s_delay_alu instid0(VALU_DEP_1) | instskip(NEXT) | instid1(VALU_DEP_1)
	v_cndmask_b32_e64 v52, 0xfff00000, v52, s24
	v_add_f64_e32 v[69:70], v[47:48], v[51:52]
.LBB80_46:
	s_wait_alu 0xfffe
	s_or_b32 exec_lo, exec_lo, s30
	v_max_num_f64_e32 v[47:48], v[17:18], v[17:18]
	s_delay_alu instid0(VALU_DEP_2) | instskip(SKIP_2) | instid1(VALU_DEP_3)
	v_max_num_f64_e32 v[49:50], v[69:70], v[69:70]
	v_cmp_u_f64_e64 s25, v[69:70], v[69:70]
	v_cmp_u_f64_e64 s24, v[17:18], v[17:18]
	v_min_num_f64_e32 v[51:52], v[49:50], v[47:48]
	v_max_num_f64_e32 v[49:50], v[49:50], v[47:48]
	s_wait_alu 0xf1ff
	s_delay_alu instid0(VALU_DEP_2) | instskip(NEXT) | instid1(VALU_DEP_3)
	v_cndmask_b32_e64 v51, v51, v69, s25
	v_cndmask_b32_e64 v52, v52, v70, s25
	s_delay_alu instid0(VALU_DEP_3) | instskip(NEXT) | instid1(VALU_DEP_4)
	v_cndmask_b32_e64 v50, v50, v70, s25
	v_cndmask_b32_e64 v49, v49, v69, s25
	s_delay_alu instid0(VALU_DEP_4) | instskip(NEXT) | instid1(VALU_DEP_4)
	v_cndmask_b32_e64 v51, v51, v17, s24
	v_cndmask_b32_e64 v52, v52, v18, s24
	s_delay_alu instid0(VALU_DEP_4) | instskip(NEXT) | instid1(VALU_DEP_4)
	v_cndmask_b32_e64 v50, v50, v18, s24
	v_cndmask_b32_e64 v49, v49, v17, s24
	s_delay_alu instid0(VALU_DEP_3) | instskip(NEXT) | instid1(VALU_DEP_2)
	v_cmp_class_f64_e64 s26, v[51:52], 0x1f8
	v_cmp_neq_f64_e64 s25, v[51:52], v[49:50]
	s_or_b32 s25, s25, s26
	s_wait_alu 0xfffe
	s_and_saveexec_b32 s34, s25
	s_cbranch_execz .LBB80_48
; %bb.47:
	v_add_f64_e64 v[51:52], v[51:52], -v[49:50]
	s_mov_b32 s26, 0x652b82fe
	s_mov_b32 s27, 0x3ff71547
	;; [unrolled: 1-line block ×10, first 2 shown]
	s_wait_alu 0xfffe
	s_delay_alu instid0(VALU_DEP_1) | instskip(SKIP_3) | instid1(VALU_DEP_2)
	v_mul_f64_e32 v[53:54], s[26:27], v[51:52]
	s_mov_b32 s26, 0xfca7ab0c
	s_mov_b32 s27, 0x3e928af3
	v_cmp_nlt_f64_e64 s25, 0x40900000, v[51:52]
	v_rndne_f64_e32 v[53:54], v[53:54]
	s_delay_alu instid0(VALU_DEP_1) | instskip(SKIP_2) | instid1(VALU_DEP_2)
	v_fma_f64 v[55:56], v[53:54], s[28:29], v[51:52]
	v_cvt_i32_f64_e32 v59, v[53:54]
	s_mov_b32 s29, 0x3fe62e42
	v_fma_f64 v[55:56], v[53:54], s[30:31], v[55:56]
	s_mov_b32 s31, 0x3c7abc9e
	s_wait_alu 0xfffe
	s_delay_alu instid0(VALU_DEP_1)
	v_fma_f64 v[57:58], v[55:56], s[36:37], s[26:27]
	s_mov_b32 s26, 0x623fde64
	s_mov_b32 s27, 0x3ec71dee
	;; [unrolled: 1-line block ×4, first 2 shown]
	s_wait_alu 0xfffe
	s_delay_alu instid0(VALU_DEP_1) | instskip(SKIP_3) | instid1(VALU_DEP_1)
	v_fma_f64 v[57:58], v[55:56], v[57:58], s[26:27]
	s_mov_b32 s26, 0x7c89e6b0
	s_mov_b32 s27, 0x3efa0199
	s_wait_alu 0xfffe
	v_fma_f64 v[57:58], v[55:56], v[57:58], s[26:27]
	s_mov_b32 s26, 0x14761f6e
	s_mov_b32 s27, 0x3f2a01a0
	s_wait_alu 0xfffe
	s_delay_alu instid0(VALU_DEP_1) | instskip(SKIP_3) | instid1(VALU_DEP_1)
	v_fma_f64 v[57:58], v[55:56], v[57:58], s[26:27]
	s_mov_b32 s26, 0x1852b7b0
	s_mov_b32 s27, 0x3f56c16c
	s_wait_alu 0xfffe
	v_fma_f64 v[57:58], v[55:56], v[57:58], s[26:27]
	s_mov_b32 s26, 0x11122322
	s_mov_b32 s27, 0x3f811111
	;; [unrolled: 9-line block ×3, first 2 shown]
	s_wait_alu 0xfffe
	s_delay_alu instid0(VALU_DEP_1) | instskip(SKIP_3) | instid1(VALU_DEP_1)
	v_fma_f64 v[57:58], v[55:56], v[57:58], s[26:27]
	s_mov_b32 s26, 11
	s_mov_b32 s27, 0x3fe00000
	s_wait_alu 0xfffe
	v_fma_f64 v[57:58], v[55:56], v[57:58], s[26:27]
	v_cmp_ngt_f64_e64 s26, 0xc090cc00, v[51:52]
	s_mov_b32 s27, 0x3fe55555
	v_fma_f64 v[57:58], v[55:56], v[57:58], 1.0
	s_delay_alu instid0(VALU_DEP_1) | instskip(NEXT) | instid1(VALU_DEP_1)
	v_fma_f64 v[53:54], v[55:56], v[57:58], 1.0
	v_ldexp_f64 v[53:54], v[53:54], v59
	s_wait_alu 0xf1ff
	s_delay_alu instid0(VALU_DEP_1) | instskip(SKIP_2) | instid1(VALU_DEP_2)
	v_cndmask_b32_e64 v54, 0x7ff00000, v54, s25
	s_and_b32 s25, s26, s25
	s_wait_alu 0xfffe
	v_cndmask_b32_e64 v51, 0, v53, s25
	s_delay_alu instid0(VALU_DEP_2) | instskip(SKIP_1) | instid1(VALU_DEP_1)
	v_cndmask_b32_e64 v52, 0, v54, s26
	s_mov_b32 s26, 0x55555555
	v_add_f64_e32 v[53:54], 1.0, v[51:52]
	s_delay_alu instid0(VALU_DEP_1) | instskip(SKIP_3) | instid1(VALU_DEP_3)
	v_frexp_mant_f64_e32 v[55:56], v[53:54]
	v_frexp_exp_i32_f64_e32 v59, v[53:54]
	v_add_f64_e32 v[57:58], -1.0, v[53:54]
	s_wait_alu 0xfffe
	v_cmp_gt_f64_e64 s25, s[26:27], v[55:56]
	s_mov_b32 s26, 0x55555780
	v_add_f64_e64 v[55:56], v[57:58], -v[53:54]
	v_add_f64_e64 v[57:58], v[51:52], -v[57:58]
	s_wait_alu 0xf1ff
	v_subrev_co_ci_u32_e64 v100, null, 0, v59, s25
	s_delay_alu instid0(VALU_DEP_3) | instskip(SKIP_1) | instid1(VALU_DEP_3)
	v_add_f64_e32 v[55:56], 1.0, v[55:56]
	v_cmp_nge_f64_e64 s25, -1.0, v[51:52]
	v_sub_nc_u32_e32 v61, 0, v100
	s_delay_alu instid0(VALU_DEP_1) | instskip(NEXT) | instid1(VALU_DEP_4)
	v_ldexp_f64 v[53:54], v[53:54], v61
	v_add_f64_e32 v[55:56], v[57:58], v[55:56]
	s_delay_alu instid0(VALU_DEP_2) | instskip(SKIP_1) | instid1(VALU_DEP_3)
	v_add_f64_e32 v[59:60], 1.0, v[53:54]
	v_add_f64_e32 v[71:72], -1.0, v[53:54]
	v_ldexp_f64 v[55:56], v[55:56], v61
	s_delay_alu instid0(VALU_DEP_3) | instskip(NEXT) | instid1(VALU_DEP_3)
	v_add_f64_e32 v[57:58], -1.0, v[59:60]
	v_add_f64_e32 v[73:74], 1.0, v[71:72]
	s_delay_alu instid0(VALU_DEP_2) | instskip(NEXT) | instid1(VALU_DEP_2)
	v_add_f64_e64 v[57:58], v[53:54], -v[57:58]
	v_add_f64_e64 v[53:54], v[53:54], -v[73:74]
	s_delay_alu instid0(VALU_DEP_2) | instskip(NEXT) | instid1(VALU_DEP_2)
	v_add_f64_e32 v[57:58], v[55:56], v[57:58]
	v_add_f64_e32 v[53:54], v[55:56], v[53:54]
	s_delay_alu instid0(VALU_DEP_2) | instskip(NEXT) | instid1(VALU_DEP_2)
	v_add_f64_e32 v[61:62], v[59:60], v[57:58]
	v_add_f64_e32 v[73:74], v[71:72], v[53:54]
	s_delay_alu instid0(VALU_DEP_2) | instskip(SKIP_1) | instid1(VALU_DEP_2)
	v_rcp_f64_e32 v[69:70], v[61:62]
	v_add_f64_e64 v[59:60], v[61:62], -v[59:60]
	v_add_f64_e64 v[71:72], v[73:74], -v[71:72]
	s_delay_alu instid0(VALU_DEP_2) | instskip(NEXT) | instid1(TRANS32_DEP_1)
	v_add_f64_e64 v[57:58], v[57:58], -v[59:60]
	v_fma_f64 v[75:76], -v[61:62], v[69:70], 1.0
	s_delay_alu instid0(VALU_DEP_3) | instskip(NEXT) | instid1(VALU_DEP_2)
	v_add_f64_e64 v[53:54], v[53:54], -v[71:72]
	v_fma_f64 v[69:70], v[75:76], v[69:70], v[69:70]
	s_delay_alu instid0(VALU_DEP_1) | instskip(NEXT) | instid1(VALU_DEP_1)
	v_fma_f64 v[55:56], -v[61:62], v[69:70], 1.0
	v_fma_f64 v[55:56], v[55:56], v[69:70], v[69:70]
	s_delay_alu instid0(VALU_DEP_1) | instskip(NEXT) | instid1(VALU_DEP_1)
	v_mul_f64_e32 v[69:70], v[73:74], v[55:56]
	v_mul_f64_e32 v[75:76], v[61:62], v[69:70]
	s_delay_alu instid0(VALU_DEP_1) | instskip(NEXT) | instid1(VALU_DEP_1)
	v_fma_f64 v[59:60], v[69:70], v[61:62], -v[75:76]
	v_fma_f64 v[59:60], v[69:70], v[57:58], v[59:60]
	s_delay_alu instid0(VALU_DEP_1) | instskip(NEXT) | instid1(VALU_DEP_1)
	v_add_f64_e32 v[96:97], v[75:76], v[59:60]
	v_add_f64_e64 v[98:99], v[73:74], -v[96:97]
	v_add_f64_e64 v[71:72], v[96:97], -v[75:76]
	s_delay_alu instid0(VALU_DEP_2) | instskip(NEXT) | instid1(VALU_DEP_2)
	v_add_f64_e64 v[73:74], v[73:74], -v[98:99]
	v_add_f64_e64 v[59:60], v[71:72], -v[59:60]
	s_delay_alu instid0(VALU_DEP_2) | instskip(NEXT) | instid1(VALU_DEP_1)
	v_add_f64_e64 v[73:74], v[73:74], -v[96:97]
	v_add_f64_e32 v[53:54], v[53:54], v[73:74]
	s_delay_alu instid0(VALU_DEP_1) | instskip(NEXT) | instid1(VALU_DEP_1)
	v_add_f64_e32 v[53:54], v[59:60], v[53:54]
	v_add_f64_e32 v[59:60], v[98:99], v[53:54]
	s_delay_alu instid0(VALU_DEP_1) | instskip(SKIP_1) | instid1(VALU_DEP_2)
	v_mul_f64_e32 v[71:72], v[55:56], v[59:60]
	v_add_f64_e64 v[96:97], v[98:99], -v[59:60]
	v_mul_f64_e32 v[73:74], v[61:62], v[71:72]
	s_delay_alu instid0(VALU_DEP_2) | instskip(NEXT) | instid1(VALU_DEP_2)
	v_add_f64_e32 v[53:54], v[53:54], v[96:97]
	v_fma_f64 v[61:62], v[71:72], v[61:62], -v[73:74]
	s_delay_alu instid0(VALU_DEP_1) | instskip(NEXT) | instid1(VALU_DEP_1)
	v_fma_f64 v[57:58], v[71:72], v[57:58], v[61:62]
	v_add_f64_e32 v[61:62], v[73:74], v[57:58]
	s_delay_alu instid0(VALU_DEP_1) | instskip(SKIP_1) | instid1(VALU_DEP_2)
	v_add_f64_e64 v[75:76], v[59:60], -v[61:62]
	v_add_f64_e64 v[73:74], v[61:62], -v[73:74]
	;; [unrolled: 1-line block ×3, first 2 shown]
	s_delay_alu instid0(VALU_DEP_2) | instskip(NEXT) | instid1(VALU_DEP_2)
	v_add_f64_e64 v[57:58], v[73:74], -v[57:58]
	v_add_f64_e64 v[59:60], v[59:60], -v[61:62]
	s_delay_alu instid0(VALU_DEP_1) | instskip(SKIP_1) | instid1(VALU_DEP_2)
	v_add_f64_e32 v[53:54], v[53:54], v[59:60]
	v_add_f64_e32 v[59:60], v[69:70], v[71:72]
	;; [unrolled: 1-line block ×3, first 2 shown]
	s_delay_alu instid0(VALU_DEP_2) | instskip(NEXT) | instid1(VALU_DEP_2)
	v_add_f64_e64 v[57:58], v[59:60], -v[69:70]
	v_add_f64_e32 v[53:54], v[75:76], v[53:54]
	s_delay_alu instid0(VALU_DEP_2) | instskip(NEXT) | instid1(VALU_DEP_2)
	v_add_f64_e64 v[57:58], v[71:72], -v[57:58]
	v_mul_f64_e32 v[53:54], v[55:56], v[53:54]
	s_delay_alu instid0(VALU_DEP_1) | instskip(NEXT) | instid1(VALU_DEP_1)
	v_add_f64_e32 v[53:54], v[57:58], v[53:54]
	v_add_f64_e32 v[55:56], v[59:60], v[53:54]
	s_delay_alu instid0(VALU_DEP_1) | instskip(NEXT) | instid1(VALU_DEP_1)
	v_mul_f64_e32 v[57:58], v[55:56], v[55:56]
	v_fma_f64 v[61:62], v[57:58], s[38:39], s[36:37]
	s_mov_b32 s36, 0xd7f4df2e
	s_mov_b32 s37, 0x3fc7474d
	v_mul_f64_e32 v[69:70], v[55:56], v[57:58]
	s_wait_alu 0xfffe
	s_delay_alu instid0(VALU_DEP_2) | instskip(SKIP_3) | instid1(VALU_DEP_1)
	v_fma_f64 v[61:62], v[57:58], v[61:62], s[36:37]
	s_mov_b32 s36, 0x16291751
	s_mov_b32 s37, 0x3fcc71c0
	s_wait_alu 0xfffe
	v_fma_f64 v[61:62], v[57:58], v[61:62], s[36:37]
	s_mov_b32 s36, 0x9b27acf1
	s_mov_b32 s37, 0x3fd24924
	s_wait_alu 0xfffe
	s_delay_alu instid0(VALU_DEP_1) | instskip(SKIP_3) | instid1(VALU_DEP_1)
	v_fma_f64 v[61:62], v[57:58], v[61:62], s[36:37]
	s_mov_b32 s36, 0x998ef7b6
	s_mov_b32 s37, 0x3fd99999
	s_wait_alu 0xfffe
	v_fma_f64 v[61:62], v[57:58], v[61:62], s[36:37]
	s_delay_alu instid0(VALU_DEP_1)
	v_fma_f64 v[57:58], v[57:58], v[61:62], s[26:27]
	v_ldexp_f64 v[61:62], v[55:56], 1
	v_add_f64_e64 v[55:56], v[55:56], -v[59:60]
	v_cmp_neq_f64_e64 s26, 0x7ff00000, v[51:52]
	v_cmp_ngt_f64_e64 s27, -1.0, v[51:52]
	v_mul_f64_e32 v[57:58], v[69:70], v[57:58]
	v_cvt_f64_i32_e32 v[69:70], v100
	v_add_f64_e64 v[53:54], v[53:54], -v[55:56]
	s_and_b32 s25, s25, s26
	s_delay_alu instid0(VALU_DEP_3) | instskip(NEXT) | instid1(VALU_DEP_3)
	v_add_f64_e32 v[59:60], v[61:62], v[57:58]
	v_mul_f64_e32 v[71:72], s[28:29], v[69:70]
	s_delay_alu instid0(VALU_DEP_3) | instskip(NEXT) | instid1(VALU_DEP_3)
	v_ldexp_f64 v[53:54], v[53:54], 1
	v_add_f64_e64 v[55:56], v[59:60], -v[61:62]
	s_delay_alu instid0(VALU_DEP_3) | instskip(NEXT) | instid1(VALU_DEP_2)
	v_fma_f64 v[61:62], v[69:70], s[28:29], -v[71:72]
	v_add_f64_e64 v[55:56], v[57:58], -v[55:56]
	s_delay_alu instid0(VALU_DEP_2) | instskip(NEXT) | instid1(VALU_DEP_2)
	v_fma_f64 v[57:58], v[69:70], s[30:31], v[61:62]
	v_add_f64_e32 v[53:54], v[53:54], v[55:56]
	s_delay_alu instid0(VALU_DEP_2) | instskip(NEXT) | instid1(VALU_DEP_2)
	v_add_f64_e32 v[55:56], v[71:72], v[57:58]
	v_add_f64_e32 v[61:62], v[59:60], v[53:54]
	s_delay_alu instid0(VALU_DEP_2) | instskip(NEXT) | instid1(VALU_DEP_2)
	v_add_f64_e64 v[71:72], v[55:56], -v[71:72]
	v_add_f64_e32 v[69:70], v[55:56], v[61:62]
	v_add_f64_e64 v[59:60], v[61:62], -v[59:60]
	s_delay_alu instid0(VALU_DEP_3) | instskip(NEXT) | instid1(VALU_DEP_3)
	v_add_f64_e64 v[57:58], v[57:58], -v[71:72]
	v_add_f64_e64 v[73:74], v[69:70], -v[55:56]
	s_delay_alu instid0(VALU_DEP_3) | instskip(NEXT) | instid1(VALU_DEP_2)
	v_add_f64_e64 v[53:54], v[53:54], -v[59:60]
	v_add_f64_e64 v[75:76], v[69:70], -v[73:74]
	;; [unrolled: 1-line block ×3, first 2 shown]
	s_delay_alu instid0(VALU_DEP_3) | instskip(NEXT) | instid1(VALU_DEP_3)
	v_add_f64_e32 v[61:62], v[57:58], v[53:54]
	v_add_f64_e64 v[55:56], v[55:56], -v[75:76]
	s_delay_alu instid0(VALU_DEP_1) | instskip(NEXT) | instid1(VALU_DEP_3)
	v_add_f64_e32 v[55:56], v[59:60], v[55:56]
	v_add_f64_e64 v[59:60], v[61:62], -v[57:58]
	s_delay_alu instid0(VALU_DEP_2) | instskip(NEXT) | instid1(VALU_DEP_2)
	v_add_f64_e32 v[55:56], v[61:62], v[55:56]
	v_add_f64_e64 v[61:62], v[61:62], -v[59:60]
	v_add_f64_e64 v[53:54], v[53:54], -v[59:60]
	s_delay_alu instid0(VALU_DEP_3) | instskip(NEXT) | instid1(VALU_DEP_3)
	v_add_f64_e32 v[71:72], v[69:70], v[55:56]
	v_add_f64_e64 v[57:58], v[57:58], -v[61:62]
	s_delay_alu instid0(VALU_DEP_2) | instskip(NEXT) | instid1(VALU_DEP_2)
	v_add_f64_e64 v[59:60], v[71:72], -v[69:70]
	v_add_f64_e32 v[53:54], v[53:54], v[57:58]
	s_delay_alu instid0(VALU_DEP_2) | instskip(NEXT) | instid1(VALU_DEP_1)
	v_add_f64_e64 v[55:56], v[55:56], -v[59:60]
	v_add_f64_e32 v[53:54], v[53:54], v[55:56]
	s_delay_alu instid0(VALU_DEP_1) | instskip(SKIP_1) | instid1(VALU_DEP_1)
	v_add_f64_e32 v[53:54], v[71:72], v[53:54]
	s_wait_alu 0xfffe
	v_cndmask_b32_e64 v53, 0, v53, s25
	v_cmp_neq_f64_e64 s25, -1.0, v[51:52]
	s_delay_alu instid0(VALU_DEP_3) | instskip(NEXT) | instid1(VALU_DEP_1)
	v_cndmask_b32_e64 v54, 0x7ff00000, v54, s26
	v_cndmask_b32_e64 v54, 0x7ff80000, v54, s27
	s_wait_alu 0xf1ff
	s_delay_alu instid0(VALU_DEP_1) | instskip(NEXT) | instid1(VALU_DEP_1)
	v_cndmask_b32_e64 v54, 0xfff00000, v54, s25
	v_add_f64_e32 v[69:70], v[49:50], v[53:54]
.LBB80_48:
	s_wait_alu 0xfffe
	s_or_b32 exec_lo, exec_lo, s34
	v_max_num_f64_e32 v[49:50], v[19:20], v[19:20]
	s_delay_alu instid0(VALU_DEP_2) | instskip(SKIP_2) | instid1(VALU_DEP_3)
	v_max_num_f64_e32 v[51:52], v[69:70], v[69:70]
	v_cmp_u_f64_e64 s26, v[69:70], v[69:70]
	v_cmp_u_f64_e64 s25, v[19:20], v[19:20]
	v_min_num_f64_e32 v[53:54], v[51:52], v[49:50]
	v_max_num_f64_e32 v[51:52], v[51:52], v[49:50]
	s_wait_alu 0xf1ff
	s_delay_alu instid0(VALU_DEP_2) | instskip(NEXT) | instid1(VALU_DEP_3)
	v_cndmask_b32_e64 v53, v53, v69, s26
	v_cndmask_b32_e64 v54, v54, v70, s26
	s_delay_alu instid0(VALU_DEP_3) | instskip(NEXT) | instid1(VALU_DEP_4)
	v_cndmask_b32_e64 v52, v52, v70, s26
	v_cndmask_b32_e64 v51, v51, v69, s26
	s_delay_alu instid0(VALU_DEP_4) | instskip(NEXT) | instid1(VALU_DEP_4)
	v_cndmask_b32_e64 v53, v53, v19, s25
	v_cndmask_b32_e64 v54, v54, v20, s25
	s_delay_alu instid0(VALU_DEP_4) | instskip(NEXT) | instid1(VALU_DEP_4)
	v_cndmask_b32_e64 v52, v52, v20, s25
	v_cndmask_b32_e64 v51, v51, v19, s25
	s_delay_alu instid0(VALU_DEP_3) | instskip(NEXT) | instid1(VALU_DEP_2)
	v_cmp_class_f64_e64 s27, v[53:54], 0x1f8
	v_cmp_neq_f64_e64 s26, v[53:54], v[51:52]
	s_or_b32 s26, s26, s27
	s_wait_alu 0xfffe
	s_and_saveexec_b32 s34, s26
	s_cbranch_execz .LBB80_50
; %bb.49:
	v_add_f64_e64 v[53:54], v[53:54], -v[51:52]
	s_mov_b32 s26, 0x652b82fe
	s_mov_b32 s27, 0x3ff71547
	;; [unrolled: 1-line block ×10, first 2 shown]
	s_wait_alu 0xfffe
	s_delay_alu instid0(VALU_DEP_1) | instskip(SKIP_2) | instid1(VALU_DEP_1)
	v_mul_f64_e32 v[55:56], s[26:27], v[53:54]
	s_mov_b32 s26, 0xfca7ab0c
	s_mov_b32 s27, 0x3e928af3
	v_rndne_f64_e32 v[55:56], v[55:56]
	s_delay_alu instid0(VALU_DEP_1) | instskip(SKIP_2) | instid1(VALU_DEP_2)
	v_fma_f64 v[57:58], v[55:56], s[28:29], v[53:54]
	v_cvt_i32_f64_e32 v61, v[55:56]
	s_mov_b32 s29, 0x3fe62e42
	v_fma_f64 v[57:58], v[55:56], s[30:31], v[57:58]
	s_mov_b32 s31, 0x3c7abc9e
	s_wait_alu 0xfffe
	s_delay_alu instid0(VALU_DEP_1)
	v_fma_f64 v[59:60], v[57:58], s[36:37], s[26:27]
	s_mov_b32 s26, 0x623fde64
	s_mov_b32 s27, 0x3ec71dee
	;; [unrolled: 1-line block ×4, first 2 shown]
	s_wait_alu 0xfffe
	s_delay_alu instid0(VALU_DEP_1) | instskip(SKIP_3) | instid1(VALU_DEP_1)
	v_fma_f64 v[59:60], v[57:58], v[59:60], s[26:27]
	s_mov_b32 s26, 0x7c89e6b0
	s_mov_b32 s27, 0x3efa0199
	s_wait_alu 0xfffe
	v_fma_f64 v[59:60], v[57:58], v[59:60], s[26:27]
	s_mov_b32 s26, 0x14761f6e
	s_mov_b32 s27, 0x3f2a01a0
	s_wait_alu 0xfffe
	s_delay_alu instid0(VALU_DEP_1) | instskip(SKIP_3) | instid1(VALU_DEP_1)
	v_fma_f64 v[59:60], v[57:58], v[59:60], s[26:27]
	s_mov_b32 s26, 0x1852b7b0
	s_mov_b32 s27, 0x3f56c16c
	s_wait_alu 0xfffe
	v_fma_f64 v[59:60], v[57:58], v[59:60], s[26:27]
	s_mov_b32 s26, 0x11122322
	s_mov_b32 s27, 0x3f811111
	;; [unrolled: 9-line block ×3, first 2 shown]
	s_wait_alu 0xfffe
	s_delay_alu instid0(VALU_DEP_1) | instskip(SKIP_3) | instid1(VALU_DEP_1)
	v_fma_f64 v[59:60], v[57:58], v[59:60], s[26:27]
	s_mov_b32 s26, 11
	s_mov_b32 s27, 0x3fe00000
	s_wait_alu 0xfffe
	v_fma_f64 v[59:60], v[57:58], v[59:60], s[26:27]
	v_cmp_nlt_f64_e64 s26, 0x40900000, v[53:54]
	v_cmp_ngt_f64_e64 s27, 0xc090cc00, v[53:54]
	s_delay_alu instid0(VALU_DEP_3) | instskip(NEXT) | instid1(VALU_DEP_1)
	v_fma_f64 v[59:60], v[57:58], v[59:60], 1.0
	v_fma_f64 v[55:56], v[57:58], v[59:60], 1.0
	s_delay_alu instid0(VALU_DEP_1) | instskip(SKIP_1) | instid1(VALU_DEP_1)
	v_ldexp_f64 v[55:56], v[55:56], v61
	s_wait_alu 0xf1ff
	v_cndmask_b32_e64 v56, 0x7ff00000, v56, s26
	s_and_b32 s26, s27, s26
	s_wait_alu 0xfffe
	s_delay_alu instid0(VALU_DEP_2) | instskip(SKIP_3) | instid1(VALU_DEP_1)
	v_cndmask_b32_e64 v53, 0, v55, s26
	s_mov_b32 s26, 0x55555555
	v_cndmask_b32_e64 v54, 0, v56, s27
	s_mov_b32 s27, 0x3fe55555
	v_add_f64_e32 v[55:56], 1.0, v[53:54]
	s_delay_alu instid0(VALU_DEP_1) | instskip(SKIP_3) | instid1(VALU_DEP_3)
	v_frexp_mant_f64_e32 v[57:58], v[55:56]
	v_frexp_exp_i32_f64_e32 v61, v[55:56]
	v_add_f64_e32 v[59:60], -1.0, v[55:56]
	s_wait_alu 0xfffe
	v_cmp_gt_f64_e64 s26, s[26:27], v[57:58]
	s_delay_alu instid0(VALU_DEP_2) | instskip(SKIP_2) | instid1(VALU_DEP_3)
	v_add_f64_e64 v[57:58], v[59:60], -v[55:56]
	v_add_f64_e64 v[59:60], v[53:54], -v[59:60]
	s_wait_alu 0xf1ff
	v_subrev_co_ci_u32_e64 v102, null, 0, v61, s26
	s_delay_alu instid0(VALU_DEP_3) | instskip(SKIP_1) | instid1(VALU_DEP_2)
	v_add_f64_e32 v[57:58], 1.0, v[57:58]
	s_mov_b32 s26, 0x55555780
	v_sub_nc_u32_e32 v69, 0, v102
	s_delay_alu instid0(VALU_DEP_1) | instskip(NEXT) | instid1(VALU_DEP_3)
	v_ldexp_f64 v[55:56], v[55:56], v69
	v_add_f64_e32 v[57:58], v[59:60], v[57:58]
	s_delay_alu instid0(VALU_DEP_2) | instskip(SKIP_1) | instid1(VALU_DEP_3)
	v_add_f64_e32 v[61:62], 1.0, v[55:56]
	v_add_f64_e32 v[73:74], -1.0, v[55:56]
	v_ldexp_f64 v[57:58], v[57:58], v69
	s_delay_alu instid0(VALU_DEP_3) | instskip(NEXT) | instid1(VALU_DEP_3)
	v_add_f64_e32 v[59:60], -1.0, v[61:62]
	v_add_f64_e32 v[75:76], 1.0, v[73:74]
	s_delay_alu instid0(VALU_DEP_2) | instskip(NEXT) | instid1(VALU_DEP_2)
	v_add_f64_e64 v[59:60], v[55:56], -v[59:60]
	v_add_f64_e64 v[55:56], v[55:56], -v[75:76]
	s_delay_alu instid0(VALU_DEP_2) | instskip(NEXT) | instid1(VALU_DEP_2)
	v_add_f64_e32 v[59:60], v[57:58], v[59:60]
	v_add_f64_e32 v[55:56], v[57:58], v[55:56]
	s_delay_alu instid0(VALU_DEP_2) | instskip(NEXT) | instid1(VALU_DEP_2)
	v_add_f64_e32 v[69:70], v[61:62], v[59:60]
	v_add_f64_e32 v[75:76], v[73:74], v[55:56]
	s_delay_alu instid0(VALU_DEP_2) | instskip(SKIP_1) | instid1(VALU_DEP_2)
	v_rcp_f64_e32 v[71:72], v[69:70]
	v_add_f64_e64 v[61:62], v[69:70], -v[61:62]
	v_add_f64_e64 v[73:74], v[75:76], -v[73:74]
	s_delay_alu instid0(VALU_DEP_2) | instskip(NEXT) | instid1(TRANS32_DEP_1)
	v_add_f64_e64 v[59:60], v[59:60], -v[61:62]
	v_fma_f64 v[96:97], -v[69:70], v[71:72], 1.0
	s_delay_alu instid0(VALU_DEP_3) | instskip(NEXT) | instid1(VALU_DEP_2)
	v_add_f64_e64 v[55:56], v[55:56], -v[73:74]
	v_fma_f64 v[71:72], v[96:97], v[71:72], v[71:72]
	s_delay_alu instid0(VALU_DEP_1) | instskip(NEXT) | instid1(VALU_DEP_1)
	v_fma_f64 v[57:58], -v[69:70], v[71:72], 1.0
	v_fma_f64 v[57:58], v[57:58], v[71:72], v[71:72]
	s_delay_alu instid0(VALU_DEP_1) | instskip(NEXT) | instid1(VALU_DEP_1)
	v_mul_f64_e32 v[71:72], v[75:76], v[57:58]
	v_mul_f64_e32 v[96:97], v[69:70], v[71:72]
	s_delay_alu instid0(VALU_DEP_1) | instskip(NEXT) | instid1(VALU_DEP_1)
	v_fma_f64 v[61:62], v[71:72], v[69:70], -v[96:97]
	v_fma_f64 v[61:62], v[71:72], v[59:60], v[61:62]
	s_delay_alu instid0(VALU_DEP_1) | instskip(NEXT) | instid1(VALU_DEP_1)
	v_add_f64_e32 v[98:99], v[96:97], v[61:62]
	v_add_f64_e64 v[100:101], v[75:76], -v[98:99]
	v_add_f64_e64 v[73:74], v[98:99], -v[96:97]
	s_delay_alu instid0(VALU_DEP_2) | instskip(NEXT) | instid1(VALU_DEP_2)
	v_add_f64_e64 v[75:76], v[75:76], -v[100:101]
	v_add_f64_e64 v[61:62], v[73:74], -v[61:62]
	s_delay_alu instid0(VALU_DEP_2) | instskip(NEXT) | instid1(VALU_DEP_1)
	v_add_f64_e64 v[75:76], v[75:76], -v[98:99]
	v_add_f64_e32 v[55:56], v[55:56], v[75:76]
	s_delay_alu instid0(VALU_DEP_1) | instskip(NEXT) | instid1(VALU_DEP_1)
	v_add_f64_e32 v[55:56], v[61:62], v[55:56]
	v_add_f64_e32 v[61:62], v[100:101], v[55:56]
	s_delay_alu instid0(VALU_DEP_1) | instskip(SKIP_1) | instid1(VALU_DEP_2)
	v_mul_f64_e32 v[73:74], v[57:58], v[61:62]
	v_add_f64_e64 v[98:99], v[100:101], -v[61:62]
	v_mul_f64_e32 v[75:76], v[69:70], v[73:74]
	s_delay_alu instid0(VALU_DEP_2) | instskip(NEXT) | instid1(VALU_DEP_2)
	v_add_f64_e32 v[55:56], v[55:56], v[98:99]
	v_fma_f64 v[69:70], v[73:74], v[69:70], -v[75:76]
	s_delay_alu instid0(VALU_DEP_1) | instskip(NEXT) | instid1(VALU_DEP_1)
	v_fma_f64 v[59:60], v[73:74], v[59:60], v[69:70]
	v_add_f64_e32 v[69:70], v[75:76], v[59:60]
	s_delay_alu instid0(VALU_DEP_1) | instskip(SKIP_1) | instid1(VALU_DEP_2)
	v_add_f64_e64 v[96:97], v[61:62], -v[69:70]
	v_add_f64_e64 v[75:76], v[69:70], -v[75:76]
	;; [unrolled: 1-line block ×3, first 2 shown]
	s_delay_alu instid0(VALU_DEP_2) | instskip(NEXT) | instid1(VALU_DEP_2)
	v_add_f64_e64 v[59:60], v[75:76], -v[59:60]
	v_add_f64_e64 v[61:62], v[61:62], -v[69:70]
	s_delay_alu instid0(VALU_DEP_1) | instskip(SKIP_1) | instid1(VALU_DEP_2)
	v_add_f64_e32 v[55:56], v[55:56], v[61:62]
	v_add_f64_e32 v[61:62], v[71:72], v[73:74]
	;; [unrolled: 1-line block ×3, first 2 shown]
	s_delay_alu instid0(VALU_DEP_2) | instskip(NEXT) | instid1(VALU_DEP_2)
	v_add_f64_e64 v[59:60], v[61:62], -v[71:72]
	v_add_f64_e32 v[55:56], v[96:97], v[55:56]
	s_delay_alu instid0(VALU_DEP_2) | instskip(NEXT) | instid1(VALU_DEP_2)
	v_add_f64_e64 v[59:60], v[73:74], -v[59:60]
	v_mul_f64_e32 v[55:56], v[57:58], v[55:56]
	s_delay_alu instid0(VALU_DEP_1) | instskip(NEXT) | instid1(VALU_DEP_1)
	v_add_f64_e32 v[55:56], v[59:60], v[55:56]
	v_add_f64_e32 v[57:58], v[61:62], v[55:56]
	s_delay_alu instid0(VALU_DEP_1) | instskip(NEXT) | instid1(VALU_DEP_1)
	v_mul_f64_e32 v[59:60], v[57:58], v[57:58]
	v_fma_f64 v[69:70], v[59:60], s[38:39], s[36:37]
	s_mov_b32 s36, 0xd7f4df2e
	s_mov_b32 s37, 0x3fc7474d
	v_mul_f64_e32 v[71:72], v[57:58], v[59:60]
	s_wait_alu 0xfffe
	s_delay_alu instid0(VALU_DEP_2) | instskip(SKIP_3) | instid1(VALU_DEP_1)
	v_fma_f64 v[69:70], v[59:60], v[69:70], s[36:37]
	s_mov_b32 s36, 0x16291751
	s_mov_b32 s37, 0x3fcc71c0
	s_wait_alu 0xfffe
	v_fma_f64 v[69:70], v[59:60], v[69:70], s[36:37]
	s_mov_b32 s36, 0x9b27acf1
	s_mov_b32 s37, 0x3fd24924
	s_wait_alu 0xfffe
	s_delay_alu instid0(VALU_DEP_1) | instskip(SKIP_3) | instid1(VALU_DEP_1)
	v_fma_f64 v[69:70], v[59:60], v[69:70], s[36:37]
	s_mov_b32 s36, 0x998ef7b6
	s_mov_b32 s37, 0x3fd99999
	s_wait_alu 0xfffe
	v_fma_f64 v[69:70], v[59:60], v[69:70], s[36:37]
	s_delay_alu instid0(VALU_DEP_1)
	v_fma_f64 v[59:60], v[59:60], v[69:70], s[26:27]
	v_ldexp_f64 v[69:70], v[57:58], 1
	v_add_f64_e64 v[57:58], v[57:58], -v[61:62]
	v_cmp_nge_f64_e64 s26, -1.0, v[53:54]
	v_cmp_neq_f64_e64 s27, 0x7ff00000, v[53:54]
	v_mul_f64_e32 v[59:60], v[71:72], v[59:60]
	v_cvt_f64_i32_e32 v[71:72], v102
	v_add_f64_e64 v[55:56], v[55:56], -v[57:58]
	s_and_b32 s26, s26, s27
	s_delay_alu instid0(VALU_DEP_3) | instskip(NEXT) | instid1(VALU_DEP_3)
	v_add_f64_e32 v[61:62], v[69:70], v[59:60]
	v_mul_f64_e32 v[73:74], s[28:29], v[71:72]
	s_delay_alu instid0(VALU_DEP_3) | instskip(NEXT) | instid1(VALU_DEP_3)
	v_ldexp_f64 v[55:56], v[55:56], 1
	v_add_f64_e64 v[57:58], v[61:62], -v[69:70]
	s_delay_alu instid0(VALU_DEP_3) | instskip(SKIP_1) | instid1(VALU_DEP_3)
	v_fma_f64 v[69:70], v[71:72], s[28:29], -v[73:74]
	v_cmp_ngt_f64_e64 s28, -1.0, v[53:54]
	v_add_f64_e64 v[57:58], v[59:60], -v[57:58]
	s_delay_alu instid0(VALU_DEP_3) | instskip(NEXT) | instid1(VALU_DEP_2)
	v_fma_f64 v[59:60], v[71:72], s[30:31], v[69:70]
	v_add_f64_e32 v[55:56], v[55:56], v[57:58]
	s_delay_alu instid0(VALU_DEP_2) | instskip(NEXT) | instid1(VALU_DEP_2)
	v_add_f64_e32 v[57:58], v[73:74], v[59:60]
	v_add_f64_e32 v[69:70], v[61:62], v[55:56]
	s_delay_alu instid0(VALU_DEP_2) | instskip(NEXT) | instid1(VALU_DEP_2)
	v_add_f64_e64 v[73:74], v[57:58], -v[73:74]
	v_add_f64_e32 v[71:72], v[57:58], v[69:70]
	v_add_f64_e64 v[61:62], v[69:70], -v[61:62]
	s_delay_alu instid0(VALU_DEP_3) | instskip(NEXT) | instid1(VALU_DEP_3)
	v_add_f64_e64 v[59:60], v[59:60], -v[73:74]
	v_add_f64_e64 v[75:76], v[71:72], -v[57:58]
	s_delay_alu instid0(VALU_DEP_3) | instskip(NEXT) | instid1(VALU_DEP_2)
	v_add_f64_e64 v[55:56], v[55:56], -v[61:62]
	v_add_f64_e64 v[96:97], v[71:72], -v[75:76]
	v_add_f64_e64 v[61:62], v[69:70], -v[75:76]
	s_delay_alu instid0(VALU_DEP_3) | instskip(NEXT) | instid1(VALU_DEP_3)
	v_add_f64_e32 v[69:70], v[59:60], v[55:56]
	v_add_f64_e64 v[57:58], v[57:58], -v[96:97]
	s_delay_alu instid0(VALU_DEP_1) | instskip(NEXT) | instid1(VALU_DEP_3)
	v_add_f64_e32 v[57:58], v[61:62], v[57:58]
	v_add_f64_e64 v[61:62], v[69:70], -v[59:60]
	s_delay_alu instid0(VALU_DEP_2) | instskip(NEXT) | instid1(VALU_DEP_2)
	v_add_f64_e32 v[57:58], v[69:70], v[57:58]
	v_add_f64_e64 v[69:70], v[69:70], -v[61:62]
	v_add_f64_e64 v[55:56], v[55:56], -v[61:62]
	s_delay_alu instid0(VALU_DEP_3) | instskip(NEXT) | instid1(VALU_DEP_3)
	v_add_f64_e32 v[73:74], v[71:72], v[57:58]
	v_add_f64_e64 v[59:60], v[59:60], -v[69:70]
	s_delay_alu instid0(VALU_DEP_2) | instskip(NEXT) | instid1(VALU_DEP_2)
	v_add_f64_e64 v[61:62], v[73:74], -v[71:72]
	v_add_f64_e32 v[55:56], v[55:56], v[59:60]
	s_delay_alu instid0(VALU_DEP_2) | instskip(NEXT) | instid1(VALU_DEP_1)
	v_add_f64_e64 v[57:58], v[57:58], -v[61:62]
	v_add_f64_e32 v[55:56], v[55:56], v[57:58]
	s_delay_alu instid0(VALU_DEP_1) | instskip(SKIP_1) | instid1(VALU_DEP_1)
	v_add_f64_e32 v[55:56], v[73:74], v[55:56]
	s_wait_alu 0xfffe
	v_cndmask_b32_e64 v55, 0, v55, s26
	v_cmp_neq_f64_e64 s26, -1.0, v[53:54]
	s_delay_alu instid0(VALU_DEP_3) | instskip(SKIP_1) | instid1(VALU_DEP_1)
	v_cndmask_b32_e64 v56, 0x7ff00000, v56, s27
	s_wait_alu 0xf1ff
	v_cndmask_b32_e64 v56, 0x7ff80000, v56, s28
	s_delay_alu instid0(VALU_DEP_1) | instskip(NEXT) | instid1(VALU_DEP_1)
	v_cndmask_b32_e64 v56, 0xfff00000, v56, s26
	v_add_f64_e32 v[69:70], v[51:52], v[55:56]
.LBB80_50:
	s_wait_alu 0xfffe
	s_or_b32 exec_lo, exec_lo, s34
	v_max_num_f64_e32 v[51:52], v[13:14], v[13:14]
	s_delay_alu instid0(VALU_DEP_2) | instskip(SKIP_2) | instid1(VALU_DEP_3)
	v_max_num_f64_e32 v[53:54], v[69:70], v[69:70]
	v_cmp_u_f64_e64 s27, v[69:70], v[69:70]
	v_cmp_u_f64_e64 s26, v[13:14], v[13:14]
	v_min_num_f64_e32 v[55:56], v[53:54], v[51:52]
	v_max_num_f64_e32 v[53:54], v[53:54], v[51:52]
	s_wait_alu 0xf1ff
	s_delay_alu instid0(VALU_DEP_2) | instskip(NEXT) | instid1(VALU_DEP_3)
	v_cndmask_b32_e64 v55, v55, v69, s27
	v_cndmask_b32_e64 v56, v56, v70, s27
	s_delay_alu instid0(VALU_DEP_3) | instskip(NEXT) | instid1(VALU_DEP_4)
	v_cndmask_b32_e64 v54, v54, v70, s27
	v_cndmask_b32_e64 v53, v53, v69, s27
	s_delay_alu instid0(VALU_DEP_4) | instskip(NEXT) | instid1(VALU_DEP_4)
	v_cndmask_b32_e64 v55, v55, v13, s26
	v_cndmask_b32_e64 v56, v56, v14, s26
	s_delay_alu instid0(VALU_DEP_4) | instskip(NEXT) | instid1(VALU_DEP_4)
	v_cndmask_b32_e64 v54, v54, v14, s26
	v_cndmask_b32_e64 v53, v53, v13, s26
	s_delay_alu instid0(VALU_DEP_3) | instskip(NEXT) | instid1(VALU_DEP_2)
	v_cmp_class_f64_e64 s28, v[55:56], 0x1f8
	v_cmp_neq_f64_e64 s27, v[55:56], v[53:54]
	s_or_b32 s27, s27, s28
	s_wait_alu 0xfffe
	s_and_saveexec_b32 s36, s27
	s_cbranch_execz .LBB80_52
; %bb.51:
	v_add_f64_e64 v[55:56], v[55:56], -v[53:54]
	s_mov_b32 s28, 0x652b82fe
	s_mov_b32 s29, 0x3ff71547
	;; [unrolled: 1-line block ×10, first 2 shown]
	s_wait_alu 0xfffe
	s_delay_alu instid0(VALU_DEP_1) | instskip(SKIP_3) | instid1(VALU_DEP_2)
	v_mul_f64_e32 v[57:58], s[28:29], v[55:56]
	s_mov_b32 s28, 0xfca7ab0c
	s_mov_b32 s29, 0x3e928af3
	v_cmp_nlt_f64_e64 s27, 0x40900000, v[55:56]
	v_rndne_f64_e32 v[57:58], v[57:58]
	s_delay_alu instid0(VALU_DEP_1) | instskip(SKIP_2) | instid1(VALU_DEP_2)
	v_fma_f64 v[59:60], v[57:58], s[30:31], v[55:56]
	v_cvt_i32_f64_e32 v69, v[57:58]
	s_mov_b32 s31, 0x3fe62e42
	v_fma_f64 v[59:60], v[57:58], s[34:35], v[59:60]
	s_mov_b32 s35, 0x3c7abc9e
	s_wait_alu 0xfffe
	s_delay_alu instid0(VALU_DEP_1)
	v_fma_f64 v[61:62], v[59:60], s[38:39], s[28:29]
	s_mov_b32 s28, 0x623fde64
	s_mov_b32 s29, 0x3ec71dee
	;; [unrolled: 1-line block ×4, first 2 shown]
	s_wait_alu 0xfffe
	s_delay_alu instid0(VALU_DEP_1) | instskip(SKIP_3) | instid1(VALU_DEP_1)
	v_fma_f64 v[61:62], v[59:60], v[61:62], s[28:29]
	s_mov_b32 s28, 0x7c89e6b0
	s_mov_b32 s29, 0x3efa0199
	s_wait_alu 0xfffe
	v_fma_f64 v[61:62], v[59:60], v[61:62], s[28:29]
	s_mov_b32 s28, 0x14761f6e
	s_mov_b32 s29, 0x3f2a01a0
	s_wait_alu 0xfffe
	s_delay_alu instid0(VALU_DEP_1) | instskip(SKIP_3) | instid1(VALU_DEP_1)
	v_fma_f64 v[61:62], v[59:60], v[61:62], s[28:29]
	s_mov_b32 s28, 0x1852b7b0
	s_mov_b32 s29, 0x3f56c16c
	s_wait_alu 0xfffe
	v_fma_f64 v[61:62], v[59:60], v[61:62], s[28:29]
	s_mov_b32 s28, 0x11122322
	s_mov_b32 s29, 0x3f811111
	s_wait_alu 0xfffe
	s_delay_alu instid0(VALU_DEP_1) | instskip(SKIP_3) | instid1(VALU_DEP_1)
	v_fma_f64 v[61:62], v[59:60], v[61:62], s[28:29]
	s_mov_b32 s28, 0x555502a1
	s_mov_b32 s29, 0x3fa55555
	s_wait_alu 0xfffe
	v_fma_f64 v[61:62], v[59:60], v[61:62], s[28:29]
	s_mov_b32 s28, 0x55555511
	s_mov_b32 s29, 0x3fc55555
	s_wait_alu 0xfffe
	s_delay_alu instid0(VALU_DEP_1) | instskip(SKIP_3) | instid1(VALU_DEP_1)
	v_fma_f64 v[61:62], v[59:60], v[61:62], s[28:29]
	s_mov_b32 s28, 11
	s_mov_b32 s29, 0x3fe00000
	s_wait_alu 0xfffe
	v_fma_f64 v[61:62], v[59:60], v[61:62], s[28:29]
	v_cmp_ngt_f64_e64 s28, 0xc090cc00, v[55:56]
	s_mov_b32 s29, 0x3fe55555
	v_fma_f64 v[61:62], v[59:60], v[61:62], 1.0
	s_delay_alu instid0(VALU_DEP_1) | instskip(NEXT) | instid1(VALU_DEP_1)
	v_fma_f64 v[57:58], v[59:60], v[61:62], 1.0
	v_ldexp_f64 v[57:58], v[57:58], v69
	s_wait_alu 0xf1ff
	s_delay_alu instid0(VALU_DEP_1) | instskip(SKIP_2) | instid1(VALU_DEP_2)
	v_cndmask_b32_e64 v58, 0x7ff00000, v58, s27
	s_and_b32 s27, s28, s27
	s_wait_alu 0xfffe
	v_cndmask_b32_e64 v55, 0, v57, s27
	s_delay_alu instid0(VALU_DEP_2) | instskip(SKIP_1) | instid1(VALU_DEP_1)
	v_cndmask_b32_e64 v56, 0, v58, s28
	s_mov_b32 s28, 0x55555555
	v_add_f64_e32 v[57:58], 1.0, v[55:56]
	s_delay_alu instid0(VALU_DEP_1) | instskip(SKIP_3) | instid1(VALU_DEP_3)
	v_frexp_mant_f64_e32 v[59:60], v[57:58]
	v_frexp_exp_i32_f64_e32 v69, v[57:58]
	v_add_f64_e32 v[61:62], -1.0, v[57:58]
	s_wait_alu 0xfffe
	v_cmp_gt_f64_e64 s27, s[28:29], v[59:60]
	s_mov_b32 s28, 0x55555780
	v_add_f64_e64 v[59:60], v[61:62], -v[57:58]
	v_add_f64_e64 v[61:62], v[55:56], -v[61:62]
	s_wait_alu 0xf1ff
	v_subrev_co_ci_u32_e64 v104, null, 0, v69, s27
	s_delay_alu instid0(VALU_DEP_3) | instskip(SKIP_1) | instid1(VALU_DEP_3)
	v_add_f64_e32 v[59:60], 1.0, v[59:60]
	v_cmp_nge_f64_e64 s27, -1.0, v[55:56]
	v_sub_nc_u32_e32 v71, 0, v104
	s_delay_alu instid0(VALU_DEP_1) | instskip(NEXT) | instid1(VALU_DEP_4)
	v_ldexp_f64 v[57:58], v[57:58], v71
	v_add_f64_e32 v[59:60], v[61:62], v[59:60]
	s_delay_alu instid0(VALU_DEP_2) | instskip(SKIP_1) | instid1(VALU_DEP_3)
	v_add_f64_e32 v[69:70], 1.0, v[57:58]
	v_add_f64_e32 v[75:76], -1.0, v[57:58]
	v_ldexp_f64 v[59:60], v[59:60], v71
	s_delay_alu instid0(VALU_DEP_3) | instskip(NEXT) | instid1(VALU_DEP_3)
	v_add_f64_e32 v[61:62], -1.0, v[69:70]
	v_add_f64_e32 v[96:97], 1.0, v[75:76]
	s_delay_alu instid0(VALU_DEP_2) | instskip(NEXT) | instid1(VALU_DEP_2)
	v_add_f64_e64 v[61:62], v[57:58], -v[61:62]
	v_add_f64_e64 v[57:58], v[57:58], -v[96:97]
	s_delay_alu instid0(VALU_DEP_2) | instskip(NEXT) | instid1(VALU_DEP_2)
	v_add_f64_e32 v[61:62], v[59:60], v[61:62]
	v_add_f64_e32 v[57:58], v[59:60], v[57:58]
	s_delay_alu instid0(VALU_DEP_2) | instskip(NEXT) | instid1(VALU_DEP_2)
	v_add_f64_e32 v[71:72], v[69:70], v[61:62]
	v_add_f64_e32 v[96:97], v[75:76], v[57:58]
	s_delay_alu instid0(VALU_DEP_2) | instskip(SKIP_1) | instid1(VALU_DEP_2)
	v_rcp_f64_e32 v[73:74], v[71:72]
	v_add_f64_e64 v[69:70], v[71:72], -v[69:70]
	v_add_f64_e64 v[75:76], v[96:97], -v[75:76]
	s_delay_alu instid0(VALU_DEP_2) | instskip(NEXT) | instid1(TRANS32_DEP_1)
	v_add_f64_e64 v[61:62], v[61:62], -v[69:70]
	v_fma_f64 v[98:99], -v[71:72], v[73:74], 1.0
	s_delay_alu instid0(VALU_DEP_3) | instskip(NEXT) | instid1(VALU_DEP_2)
	v_add_f64_e64 v[57:58], v[57:58], -v[75:76]
	v_fma_f64 v[73:74], v[98:99], v[73:74], v[73:74]
	s_delay_alu instid0(VALU_DEP_1) | instskip(NEXT) | instid1(VALU_DEP_1)
	v_fma_f64 v[59:60], -v[71:72], v[73:74], 1.0
	v_fma_f64 v[59:60], v[59:60], v[73:74], v[73:74]
	s_delay_alu instid0(VALU_DEP_1) | instskip(NEXT) | instid1(VALU_DEP_1)
	v_mul_f64_e32 v[73:74], v[96:97], v[59:60]
	v_mul_f64_e32 v[98:99], v[71:72], v[73:74]
	s_delay_alu instid0(VALU_DEP_1) | instskip(NEXT) | instid1(VALU_DEP_1)
	v_fma_f64 v[69:70], v[73:74], v[71:72], -v[98:99]
	v_fma_f64 v[69:70], v[73:74], v[61:62], v[69:70]
	s_delay_alu instid0(VALU_DEP_1) | instskip(NEXT) | instid1(VALU_DEP_1)
	v_add_f64_e32 v[100:101], v[98:99], v[69:70]
	v_add_f64_e64 v[102:103], v[96:97], -v[100:101]
	v_add_f64_e64 v[75:76], v[100:101], -v[98:99]
	s_delay_alu instid0(VALU_DEP_2) | instskip(NEXT) | instid1(VALU_DEP_2)
	v_add_f64_e64 v[96:97], v[96:97], -v[102:103]
	v_add_f64_e64 v[69:70], v[75:76], -v[69:70]
	s_delay_alu instid0(VALU_DEP_2) | instskip(NEXT) | instid1(VALU_DEP_1)
	v_add_f64_e64 v[96:97], v[96:97], -v[100:101]
	v_add_f64_e32 v[57:58], v[57:58], v[96:97]
	s_delay_alu instid0(VALU_DEP_1) | instskip(NEXT) | instid1(VALU_DEP_1)
	v_add_f64_e32 v[57:58], v[69:70], v[57:58]
	v_add_f64_e32 v[69:70], v[102:103], v[57:58]
	s_delay_alu instid0(VALU_DEP_1) | instskip(SKIP_1) | instid1(VALU_DEP_2)
	v_mul_f64_e32 v[75:76], v[59:60], v[69:70]
	v_add_f64_e64 v[100:101], v[102:103], -v[69:70]
	v_mul_f64_e32 v[96:97], v[71:72], v[75:76]
	s_delay_alu instid0(VALU_DEP_2) | instskip(NEXT) | instid1(VALU_DEP_2)
	v_add_f64_e32 v[57:58], v[57:58], v[100:101]
	v_fma_f64 v[71:72], v[75:76], v[71:72], -v[96:97]
	s_delay_alu instid0(VALU_DEP_1) | instskip(NEXT) | instid1(VALU_DEP_1)
	v_fma_f64 v[61:62], v[75:76], v[61:62], v[71:72]
	v_add_f64_e32 v[71:72], v[96:97], v[61:62]
	s_delay_alu instid0(VALU_DEP_1) | instskip(SKIP_1) | instid1(VALU_DEP_2)
	v_add_f64_e64 v[98:99], v[69:70], -v[71:72]
	v_add_f64_e64 v[96:97], v[71:72], -v[96:97]
	;; [unrolled: 1-line block ×3, first 2 shown]
	s_delay_alu instid0(VALU_DEP_2) | instskip(NEXT) | instid1(VALU_DEP_2)
	v_add_f64_e64 v[61:62], v[96:97], -v[61:62]
	v_add_f64_e64 v[69:70], v[69:70], -v[71:72]
	s_delay_alu instid0(VALU_DEP_1) | instskip(SKIP_1) | instid1(VALU_DEP_2)
	v_add_f64_e32 v[57:58], v[57:58], v[69:70]
	v_add_f64_e32 v[69:70], v[73:74], v[75:76]
	v_add_f64_e32 v[57:58], v[61:62], v[57:58]
	s_delay_alu instid0(VALU_DEP_2) | instskip(NEXT) | instid1(VALU_DEP_2)
	v_add_f64_e64 v[61:62], v[69:70], -v[73:74]
	v_add_f64_e32 v[57:58], v[98:99], v[57:58]
	s_delay_alu instid0(VALU_DEP_2) | instskip(NEXT) | instid1(VALU_DEP_2)
	v_add_f64_e64 v[61:62], v[75:76], -v[61:62]
	v_mul_f64_e32 v[57:58], v[59:60], v[57:58]
	s_delay_alu instid0(VALU_DEP_1) | instskip(NEXT) | instid1(VALU_DEP_1)
	v_add_f64_e32 v[57:58], v[61:62], v[57:58]
	v_add_f64_e32 v[59:60], v[69:70], v[57:58]
	s_delay_alu instid0(VALU_DEP_1) | instskip(NEXT) | instid1(VALU_DEP_1)
	v_mul_f64_e32 v[61:62], v[59:60], v[59:60]
	v_fma_f64 v[71:72], v[61:62], s[40:41], s[38:39]
	s_mov_b32 s38, 0xd7f4df2e
	s_mov_b32 s39, 0x3fc7474d
	v_mul_f64_e32 v[73:74], v[59:60], v[61:62]
	s_wait_alu 0xfffe
	s_delay_alu instid0(VALU_DEP_2) | instskip(SKIP_3) | instid1(VALU_DEP_1)
	v_fma_f64 v[71:72], v[61:62], v[71:72], s[38:39]
	s_mov_b32 s38, 0x16291751
	s_mov_b32 s39, 0x3fcc71c0
	s_wait_alu 0xfffe
	v_fma_f64 v[71:72], v[61:62], v[71:72], s[38:39]
	s_mov_b32 s38, 0x9b27acf1
	s_mov_b32 s39, 0x3fd24924
	s_wait_alu 0xfffe
	s_delay_alu instid0(VALU_DEP_1) | instskip(SKIP_3) | instid1(VALU_DEP_1)
	v_fma_f64 v[71:72], v[61:62], v[71:72], s[38:39]
	s_mov_b32 s38, 0x998ef7b6
	s_mov_b32 s39, 0x3fd99999
	s_wait_alu 0xfffe
	v_fma_f64 v[71:72], v[61:62], v[71:72], s[38:39]
	s_delay_alu instid0(VALU_DEP_1)
	v_fma_f64 v[61:62], v[61:62], v[71:72], s[28:29]
	v_ldexp_f64 v[71:72], v[59:60], 1
	v_add_f64_e64 v[59:60], v[59:60], -v[69:70]
	v_cmp_neq_f64_e64 s28, 0x7ff00000, v[55:56]
	v_cmp_ngt_f64_e64 s29, -1.0, v[55:56]
	v_mul_f64_e32 v[61:62], v[73:74], v[61:62]
	v_cvt_f64_i32_e32 v[73:74], v104
	v_add_f64_e64 v[57:58], v[57:58], -v[59:60]
	s_and_b32 s27, s27, s28
	s_delay_alu instid0(VALU_DEP_3) | instskip(NEXT) | instid1(VALU_DEP_3)
	v_add_f64_e32 v[69:70], v[71:72], v[61:62]
	v_mul_f64_e32 v[75:76], s[30:31], v[73:74]
	s_delay_alu instid0(VALU_DEP_3) | instskip(NEXT) | instid1(VALU_DEP_3)
	v_ldexp_f64 v[57:58], v[57:58], 1
	v_add_f64_e64 v[59:60], v[69:70], -v[71:72]
	s_delay_alu instid0(VALU_DEP_3) | instskip(NEXT) | instid1(VALU_DEP_2)
	v_fma_f64 v[71:72], v[73:74], s[30:31], -v[75:76]
	v_add_f64_e64 v[59:60], v[61:62], -v[59:60]
	s_delay_alu instid0(VALU_DEP_2) | instskip(NEXT) | instid1(VALU_DEP_2)
	v_fma_f64 v[61:62], v[73:74], s[34:35], v[71:72]
	v_add_f64_e32 v[57:58], v[57:58], v[59:60]
	s_delay_alu instid0(VALU_DEP_2) | instskip(NEXT) | instid1(VALU_DEP_2)
	v_add_f64_e32 v[59:60], v[75:76], v[61:62]
	v_add_f64_e32 v[71:72], v[69:70], v[57:58]
	s_delay_alu instid0(VALU_DEP_2) | instskip(NEXT) | instid1(VALU_DEP_2)
	v_add_f64_e64 v[75:76], v[59:60], -v[75:76]
	v_add_f64_e32 v[73:74], v[59:60], v[71:72]
	v_add_f64_e64 v[69:70], v[71:72], -v[69:70]
	s_delay_alu instid0(VALU_DEP_3) | instskip(NEXT) | instid1(VALU_DEP_3)
	v_add_f64_e64 v[61:62], v[61:62], -v[75:76]
	v_add_f64_e64 v[96:97], v[73:74], -v[59:60]
	s_delay_alu instid0(VALU_DEP_3) | instskip(NEXT) | instid1(VALU_DEP_2)
	v_add_f64_e64 v[57:58], v[57:58], -v[69:70]
	v_add_f64_e64 v[98:99], v[73:74], -v[96:97]
	;; [unrolled: 1-line block ×3, first 2 shown]
	s_delay_alu instid0(VALU_DEP_3) | instskip(NEXT) | instid1(VALU_DEP_3)
	v_add_f64_e32 v[71:72], v[61:62], v[57:58]
	v_add_f64_e64 v[59:60], v[59:60], -v[98:99]
	s_delay_alu instid0(VALU_DEP_1) | instskip(NEXT) | instid1(VALU_DEP_3)
	v_add_f64_e32 v[59:60], v[69:70], v[59:60]
	v_add_f64_e64 v[69:70], v[71:72], -v[61:62]
	s_delay_alu instid0(VALU_DEP_2) | instskip(NEXT) | instid1(VALU_DEP_2)
	v_add_f64_e32 v[59:60], v[71:72], v[59:60]
	v_add_f64_e64 v[71:72], v[71:72], -v[69:70]
	v_add_f64_e64 v[57:58], v[57:58], -v[69:70]
	s_delay_alu instid0(VALU_DEP_3) | instskip(NEXT) | instid1(VALU_DEP_3)
	v_add_f64_e32 v[75:76], v[73:74], v[59:60]
	v_add_f64_e64 v[61:62], v[61:62], -v[71:72]
	s_delay_alu instid0(VALU_DEP_2) | instskip(NEXT) | instid1(VALU_DEP_2)
	v_add_f64_e64 v[69:70], v[75:76], -v[73:74]
	v_add_f64_e32 v[57:58], v[57:58], v[61:62]
	s_delay_alu instid0(VALU_DEP_2) | instskip(NEXT) | instid1(VALU_DEP_1)
	v_add_f64_e64 v[59:60], v[59:60], -v[69:70]
	v_add_f64_e32 v[57:58], v[57:58], v[59:60]
	s_delay_alu instid0(VALU_DEP_1) | instskip(SKIP_1) | instid1(VALU_DEP_1)
	v_add_f64_e32 v[57:58], v[75:76], v[57:58]
	s_wait_alu 0xfffe
	v_cndmask_b32_e64 v57, 0, v57, s27
	v_cmp_neq_f64_e64 s27, -1.0, v[55:56]
	s_delay_alu instid0(VALU_DEP_3) | instskip(NEXT) | instid1(VALU_DEP_1)
	v_cndmask_b32_e64 v58, 0x7ff00000, v58, s28
	v_cndmask_b32_e64 v58, 0x7ff80000, v58, s29
	s_wait_alu 0xf1ff
	s_delay_alu instid0(VALU_DEP_1) | instskip(NEXT) | instid1(VALU_DEP_1)
	v_cndmask_b32_e64 v58, 0xfff00000, v58, s27
	v_add_f64_e32 v[69:70], v[53:54], v[57:58]
.LBB80_52:
	s_wait_alu 0xfffe
	s_or_b32 exec_lo, exec_lo, s36
	v_max_num_f64_e32 v[53:54], v[15:16], v[15:16]
	s_delay_alu instid0(VALU_DEP_2) | instskip(SKIP_2) | instid1(VALU_DEP_3)
	v_max_num_f64_e32 v[55:56], v[69:70], v[69:70]
	v_cmp_u_f64_e64 s28, v[69:70], v[69:70]
	v_cmp_u_f64_e64 s27, v[15:16], v[15:16]
	v_min_num_f64_e32 v[57:58], v[55:56], v[53:54]
	v_max_num_f64_e32 v[55:56], v[55:56], v[53:54]
	s_wait_alu 0xf1ff
	s_delay_alu instid0(VALU_DEP_2) | instskip(NEXT) | instid1(VALU_DEP_3)
	v_cndmask_b32_e64 v57, v57, v69, s28
	v_cndmask_b32_e64 v58, v58, v70, s28
	s_delay_alu instid0(VALU_DEP_3) | instskip(NEXT) | instid1(VALU_DEP_4)
	v_cndmask_b32_e64 v56, v56, v70, s28
	v_cndmask_b32_e64 v55, v55, v69, s28
	s_delay_alu instid0(VALU_DEP_4) | instskip(NEXT) | instid1(VALU_DEP_4)
	v_cndmask_b32_e64 v57, v57, v15, s27
	v_cndmask_b32_e64 v58, v58, v16, s27
	s_delay_alu instid0(VALU_DEP_4) | instskip(NEXT) | instid1(VALU_DEP_4)
	v_cndmask_b32_e64 v56, v56, v16, s27
	v_cndmask_b32_e64 v55, v55, v15, s27
	s_delay_alu instid0(VALU_DEP_3) | instskip(NEXT) | instid1(VALU_DEP_2)
	v_cmp_class_f64_e64 s29, v[57:58], 0x1f8
	v_cmp_neq_f64_e64 s28, v[57:58], v[55:56]
	s_or_b32 s28, s28, s29
	s_wait_alu 0xfffe
	s_and_saveexec_b32 s36, s28
	s_cbranch_execz .LBB80_54
; %bb.53:
	v_add_f64_e64 v[57:58], v[57:58], -v[55:56]
	s_mov_b32 s28, 0x652b82fe
	s_mov_b32 s29, 0x3ff71547
	;; [unrolled: 1-line block ×10, first 2 shown]
	s_wait_alu 0xfffe
	s_delay_alu instid0(VALU_DEP_1) | instskip(SKIP_2) | instid1(VALU_DEP_1)
	v_mul_f64_e32 v[59:60], s[28:29], v[57:58]
	s_mov_b32 s28, 0xfca7ab0c
	s_mov_b32 s29, 0x3e928af3
	v_rndne_f64_e32 v[59:60], v[59:60]
	s_delay_alu instid0(VALU_DEP_1) | instskip(SKIP_2) | instid1(VALU_DEP_2)
	v_fma_f64 v[61:62], v[59:60], s[30:31], v[57:58]
	v_cvt_i32_f64_e32 v71, v[59:60]
	s_mov_b32 s31, 0x3fe62e42
	v_fma_f64 v[61:62], v[59:60], s[34:35], v[61:62]
	s_mov_b32 s35, 0x3c7abc9e
	s_wait_alu 0xfffe
	s_delay_alu instid0(VALU_DEP_1)
	v_fma_f64 v[69:70], v[61:62], s[38:39], s[28:29]
	s_mov_b32 s28, 0x623fde64
	s_mov_b32 s29, 0x3ec71dee
	;; [unrolled: 1-line block ×4, first 2 shown]
	s_wait_alu 0xfffe
	s_delay_alu instid0(VALU_DEP_1) | instskip(SKIP_3) | instid1(VALU_DEP_1)
	v_fma_f64 v[69:70], v[61:62], v[69:70], s[28:29]
	s_mov_b32 s28, 0x7c89e6b0
	s_mov_b32 s29, 0x3efa0199
	s_wait_alu 0xfffe
	v_fma_f64 v[69:70], v[61:62], v[69:70], s[28:29]
	s_mov_b32 s28, 0x14761f6e
	s_mov_b32 s29, 0x3f2a01a0
	s_wait_alu 0xfffe
	s_delay_alu instid0(VALU_DEP_1) | instskip(SKIP_3) | instid1(VALU_DEP_1)
	v_fma_f64 v[69:70], v[61:62], v[69:70], s[28:29]
	s_mov_b32 s28, 0x1852b7b0
	s_mov_b32 s29, 0x3f56c16c
	s_wait_alu 0xfffe
	v_fma_f64 v[69:70], v[61:62], v[69:70], s[28:29]
	s_mov_b32 s28, 0x11122322
	s_mov_b32 s29, 0x3f811111
	;; [unrolled: 9-line block ×3, first 2 shown]
	s_wait_alu 0xfffe
	s_delay_alu instid0(VALU_DEP_1) | instskip(SKIP_3) | instid1(VALU_DEP_1)
	v_fma_f64 v[69:70], v[61:62], v[69:70], s[28:29]
	s_mov_b32 s28, 11
	s_mov_b32 s29, 0x3fe00000
	s_wait_alu 0xfffe
	v_fma_f64 v[69:70], v[61:62], v[69:70], s[28:29]
	v_cmp_nlt_f64_e64 s28, 0x40900000, v[57:58]
	v_cmp_ngt_f64_e64 s29, 0xc090cc00, v[57:58]
	s_delay_alu instid0(VALU_DEP_3) | instskip(NEXT) | instid1(VALU_DEP_1)
	v_fma_f64 v[69:70], v[61:62], v[69:70], 1.0
	v_fma_f64 v[59:60], v[61:62], v[69:70], 1.0
	s_delay_alu instid0(VALU_DEP_1) | instskip(SKIP_1) | instid1(VALU_DEP_1)
	v_ldexp_f64 v[59:60], v[59:60], v71
	s_wait_alu 0xf1ff
	v_cndmask_b32_e64 v60, 0x7ff00000, v60, s28
	s_and_b32 s28, s29, s28
	s_wait_alu 0xfffe
	s_delay_alu instid0(VALU_DEP_2) | instskip(SKIP_3) | instid1(VALU_DEP_1)
	v_cndmask_b32_e64 v57, 0, v59, s28
	s_mov_b32 s28, 0x55555555
	v_cndmask_b32_e64 v58, 0, v60, s29
	s_mov_b32 s29, 0x3fe55555
	v_add_f64_e32 v[59:60], 1.0, v[57:58]
	s_delay_alu instid0(VALU_DEP_1) | instskip(SKIP_3) | instid1(VALU_DEP_3)
	v_frexp_mant_f64_e32 v[61:62], v[59:60]
	v_frexp_exp_i32_f64_e32 v71, v[59:60]
	v_add_f64_e32 v[69:70], -1.0, v[59:60]
	s_wait_alu 0xfffe
	v_cmp_gt_f64_e64 s28, s[28:29], v[61:62]
	s_delay_alu instid0(VALU_DEP_2) | instskip(SKIP_2) | instid1(VALU_DEP_3)
	v_add_f64_e64 v[61:62], v[69:70], -v[59:60]
	v_add_f64_e64 v[69:70], v[57:58], -v[69:70]
	s_wait_alu 0xf1ff
	v_subrev_co_ci_u32_e64 v106, null, 0, v71, s28
	s_delay_alu instid0(VALU_DEP_3) | instskip(SKIP_1) | instid1(VALU_DEP_2)
	v_add_f64_e32 v[61:62], 1.0, v[61:62]
	s_mov_b32 s28, 0x55555780
	v_sub_nc_u32_e32 v73, 0, v106
	s_delay_alu instid0(VALU_DEP_1) | instskip(NEXT) | instid1(VALU_DEP_3)
	v_ldexp_f64 v[59:60], v[59:60], v73
	v_add_f64_e32 v[61:62], v[69:70], v[61:62]
	s_delay_alu instid0(VALU_DEP_2) | instskip(SKIP_1) | instid1(VALU_DEP_3)
	v_add_f64_e32 v[71:72], 1.0, v[59:60]
	v_add_f64_e32 v[96:97], -1.0, v[59:60]
	v_ldexp_f64 v[61:62], v[61:62], v73
	s_delay_alu instid0(VALU_DEP_3) | instskip(NEXT) | instid1(VALU_DEP_3)
	v_add_f64_e32 v[69:70], -1.0, v[71:72]
	v_add_f64_e32 v[98:99], 1.0, v[96:97]
	s_delay_alu instid0(VALU_DEP_2) | instskip(NEXT) | instid1(VALU_DEP_2)
	v_add_f64_e64 v[69:70], v[59:60], -v[69:70]
	v_add_f64_e64 v[59:60], v[59:60], -v[98:99]
	s_delay_alu instid0(VALU_DEP_2) | instskip(NEXT) | instid1(VALU_DEP_2)
	v_add_f64_e32 v[69:70], v[61:62], v[69:70]
	v_add_f64_e32 v[59:60], v[61:62], v[59:60]
	s_delay_alu instid0(VALU_DEP_2) | instskip(NEXT) | instid1(VALU_DEP_2)
	v_add_f64_e32 v[73:74], v[71:72], v[69:70]
	v_add_f64_e32 v[98:99], v[96:97], v[59:60]
	s_delay_alu instid0(VALU_DEP_2) | instskip(SKIP_1) | instid1(VALU_DEP_2)
	v_rcp_f64_e32 v[75:76], v[73:74]
	v_add_f64_e64 v[71:72], v[73:74], -v[71:72]
	v_add_f64_e64 v[96:97], v[98:99], -v[96:97]
	s_delay_alu instid0(VALU_DEP_2) | instskip(NEXT) | instid1(TRANS32_DEP_1)
	v_add_f64_e64 v[69:70], v[69:70], -v[71:72]
	v_fma_f64 v[100:101], -v[73:74], v[75:76], 1.0
	s_delay_alu instid0(VALU_DEP_3) | instskip(NEXT) | instid1(VALU_DEP_2)
	v_add_f64_e64 v[59:60], v[59:60], -v[96:97]
	v_fma_f64 v[75:76], v[100:101], v[75:76], v[75:76]
	s_delay_alu instid0(VALU_DEP_1) | instskip(NEXT) | instid1(VALU_DEP_1)
	v_fma_f64 v[61:62], -v[73:74], v[75:76], 1.0
	v_fma_f64 v[61:62], v[61:62], v[75:76], v[75:76]
	s_delay_alu instid0(VALU_DEP_1) | instskip(NEXT) | instid1(VALU_DEP_1)
	v_mul_f64_e32 v[75:76], v[98:99], v[61:62]
	v_mul_f64_e32 v[100:101], v[73:74], v[75:76]
	s_delay_alu instid0(VALU_DEP_1) | instskip(NEXT) | instid1(VALU_DEP_1)
	v_fma_f64 v[71:72], v[75:76], v[73:74], -v[100:101]
	v_fma_f64 v[71:72], v[75:76], v[69:70], v[71:72]
	s_delay_alu instid0(VALU_DEP_1) | instskip(NEXT) | instid1(VALU_DEP_1)
	v_add_f64_e32 v[102:103], v[100:101], v[71:72]
	v_add_f64_e64 v[104:105], v[98:99], -v[102:103]
	v_add_f64_e64 v[96:97], v[102:103], -v[100:101]
	s_delay_alu instid0(VALU_DEP_2) | instskip(NEXT) | instid1(VALU_DEP_2)
	v_add_f64_e64 v[98:99], v[98:99], -v[104:105]
	v_add_f64_e64 v[71:72], v[96:97], -v[71:72]
	s_delay_alu instid0(VALU_DEP_2) | instskip(NEXT) | instid1(VALU_DEP_1)
	v_add_f64_e64 v[98:99], v[98:99], -v[102:103]
	v_add_f64_e32 v[59:60], v[59:60], v[98:99]
	s_delay_alu instid0(VALU_DEP_1) | instskip(NEXT) | instid1(VALU_DEP_1)
	v_add_f64_e32 v[59:60], v[71:72], v[59:60]
	v_add_f64_e32 v[71:72], v[104:105], v[59:60]
	s_delay_alu instid0(VALU_DEP_1) | instskip(SKIP_1) | instid1(VALU_DEP_2)
	v_mul_f64_e32 v[96:97], v[61:62], v[71:72]
	v_add_f64_e64 v[102:103], v[104:105], -v[71:72]
	v_mul_f64_e32 v[98:99], v[73:74], v[96:97]
	s_delay_alu instid0(VALU_DEP_2) | instskip(NEXT) | instid1(VALU_DEP_2)
	v_add_f64_e32 v[59:60], v[59:60], v[102:103]
	v_fma_f64 v[73:74], v[96:97], v[73:74], -v[98:99]
	s_delay_alu instid0(VALU_DEP_1) | instskip(NEXT) | instid1(VALU_DEP_1)
	v_fma_f64 v[69:70], v[96:97], v[69:70], v[73:74]
	v_add_f64_e32 v[73:74], v[98:99], v[69:70]
	s_delay_alu instid0(VALU_DEP_1) | instskip(SKIP_1) | instid1(VALU_DEP_2)
	v_add_f64_e64 v[100:101], v[71:72], -v[73:74]
	v_add_f64_e64 v[98:99], v[73:74], -v[98:99]
	;; [unrolled: 1-line block ×3, first 2 shown]
	s_delay_alu instid0(VALU_DEP_2) | instskip(NEXT) | instid1(VALU_DEP_2)
	v_add_f64_e64 v[69:70], v[98:99], -v[69:70]
	v_add_f64_e64 v[71:72], v[71:72], -v[73:74]
	s_delay_alu instid0(VALU_DEP_1) | instskip(SKIP_1) | instid1(VALU_DEP_2)
	v_add_f64_e32 v[59:60], v[59:60], v[71:72]
	v_add_f64_e32 v[71:72], v[75:76], v[96:97]
	;; [unrolled: 1-line block ×3, first 2 shown]
	s_delay_alu instid0(VALU_DEP_2) | instskip(NEXT) | instid1(VALU_DEP_2)
	v_add_f64_e64 v[69:70], v[71:72], -v[75:76]
	v_add_f64_e32 v[59:60], v[100:101], v[59:60]
	s_delay_alu instid0(VALU_DEP_2) | instskip(NEXT) | instid1(VALU_DEP_2)
	v_add_f64_e64 v[69:70], v[96:97], -v[69:70]
	v_mul_f64_e32 v[59:60], v[61:62], v[59:60]
	s_delay_alu instid0(VALU_DEP_1) | instskip(NEXT) | instid1(VALU_DEP_1)
	v_add_f64_e32 v[59:60], v[69:70], v[59:60]
	v_add_f64_e32 v[61:62], v[71:72], v[59:60]
	s_delay_alu instid0(VALU_DEP_1) | instskip(NEXT) | instid1(VALU_DEP_1)
	v_mul_f64_e32 v[69:70], v[61:62], v[61:62]
	v_fma_f64 v[73:74], v[69:70], s[40:41], s[38:39]
	s_mov_b32 s38, 0xd7f4df2e
	s_mov_b32 s39, 0x3fc7474d
	v_mul_f64_e32 v[75:76], v[61:62], v[69:70]
	s_wait_alu 0xfffe
	s_delay_alu instid0(VALU_DEP_2) | instskip(SKIP_3) | instid1(VALU_DEP_1)
	v_fma_f64 v[73:74], v[69:70], v[73:74], s[38:39]
	s_mov_b32 s38, 0x16291751
	s_mov_b32 s39, 0x3fcc71c0
	s_wait_alu 0xfffe
	v_fma_f64 v[73:74], v[69:70], v[73:74], s[38:39]
	s_mov_b32 s38, 0x9b27acf1
	s_mov_b32 s39, 0x3fd24924
	s_wait_alu 0xfffe
	s_delay_alu instid0(VALU_DEP_1) | instskip(SKIP_3) | instid1(VALU_DEP_1)
	v_fma_f64 v[73:74], v[69:70], v[73:74], s[38:39]
	s_mov_b32 s38, 0x998ef7b6
	s_mov_b32 s39, 0x3fd99999
	s_wait_alu 0xfffe
	v_fma_f64 v[73:74], v[69:70], v[73:74], s[38:39]
	s_delay_alu instid0(VALU_DEP_1)
	v_fma_f64 v[69:70], v[69:70], v[73:74], s[28:29]
	v_ldexp_f64 v[73:74], v[61:62], 1
	v_add_f64_e64 v[61:62], v[61:62], -v[71:72]
	v_cmp_nge_f64_e64 s28, -1.0, v[57:58]
	v_cmp_neq_f64_e64 s29, 0x7ff00000, v[57:58]
	v_mul_f64_e32 v[69:70], v[75:76], v[69:70]
	v_cvt_f64_i32_e32 v[75:76], v106
	v_add_f64_e64 v[59:60], v[59:60], -v[61:62]
	s_and_b32 s28, s28, s29
	s_delay_alu instid0(VALU_DEP_3) | instskip(NEXT) | instid1(VALU_DEP_3)
	v_add_f64_e32 v[71:72], v[73:74], v[69:70]
	v_mul_f64_e32 v[96:97], s[30:31], v[75:76]
	s_delay_alu instid0(VALU_DEP_3) | instskip(NEXT) | instid1(VALU_DEP_3)
	v_ldexp_f64 v[59:60], v[59:60], 1
	v_add_f64_e64 v[61:62], v[71:72], -v[73:74]
	s_delay_alu instid0(VALU_DEP_3) | instskip(SKIP_1) | instid1(VALU_DEP_3)
	v_fma_f64 v[73:74], v[75:76], s[30:31], -v[96:97]
	v_cmp_ngt_f64_e64 s30, -1.0, v[57:58]
	v_add_f64_e64 v[61:62], v[69:70], -v[61:62]
	s_delay_alu instid0(VALU_DEP_3) | instskip(NEXT) | instid1(VALU_DEP_2)
	v_fma_f64 v[69:70], v[75:76], s[34:35], v[73:74]
	v_add_f64_e32 v[59:60], v[59:60], v[61:62]
	s_delay_alu instid0(VALU_DEP_2) | instskip(NEXT) | instid1(VALU_DEP_2)
	v_add_f64_e32 v[61:62], v[96:97], v[69:70]
	v_add_f64_e32 v[73:74], v[71:72], v[59:60]
	s_delay_alu instid0(VALU_DEP_2) | instskip(NEXT) | instid1(VALU_DEP_2)
	v_add_f64_e64 v[96:97], v[61:62], -v[96:97]
	v_add_f64_e32 v[75:76], v[61:62], v[73:74]
	v_add_f64_e64 v[71:72], v[73:74], -v[71:72]
	s_delay_alu instid0(VALU_DEP_3) | instskip(NEXT) | instid1(VALU_DEP_3)
	v_add_f64_e64 v[69:70], v[69:70], -v[96:97]
	v_add_f64_e64 v[98:99], v[75:76], -v[61:62]
	s_delay_alu instid0(VALU_DEP_3) | instskip(NEXT) | instid1(VALU_DEP_2)
	v_add_f64_e64 v[59:60], v[59:60], -v[71:72]
	v_add_f64_e64 v[100:101], v[75:76], -v[98:99]
	;; [unrolled: 1-line block ×3, first 2 shown]
	s_delay_alu instid0(VALU_DEP_3) | instskip(NEXT) | instid1(VALU_DEP_3)
	v_add_f64_e32 v[73:74], v[69:70], v[59:60]
	v_add_f64_e64 v[61:62], v[61:62], -v[100:101]
	s_delay_alu instid0(VALU_DEP_1) | instskip(NEXT) | instid1(VALU_DEP_3)
	v_add_f64_e32 v[61:62], v[71:72], v[61:62]
	v_add_f64_e64 v[71:72], v[73:74], -v[69:70]
	s_delay_alu instid0(VALU_DEP_2) | instskip(NEXT) | instid1(VALU_DEP_2)
	v_add_f64_e32 v[61:62], v[73:74], v[61:62]
	v_add_f64_e64 v[73:74], v[73:74], -v[71:72]
	v_add_f64_e64 v[59:60], v[59:60], -v[71:72]
	s_delay_alu instid0(VALU_DEP_3) | instskip(NEXT) | instid1(VALU_DEP_3)
	v_add_f64_e32 v[96:97], v[75:76], v[61:62]
	v_add_f64_e64 v[69:70], v[69:70], -v[73:74]
	s_delay_alu instid0(VALU_DEP_2) | instskip(NEXT) | instid1(VALU_DEP_2)
	v_add_f64_e64 v[71:72], v[96:97], -v[75:76]
	v_add_f64_e32 v[59:60], v[59:60], v[69:70]
	s_delay_alu instid0(VALU_DEP_2) | instskip(NEXT) | instid1(VALU_DEP_1)
	v_add_f64_e64 v[61:62], v[61:62], -v[71:72]
	v_add_f64_e32 v[59:60], v[59:60], v[61:62]
	s_delay_alu instid0(VALU_DEP_1) | instskip(SKIP_1) | instid1(VALU_DEP_1)
	v_add_f64_e32 v[59:60], v[96:97], v[59:60]
	s_wait_alu 0xfffe
	v_cndmask_b32_e64 v59, 0, v59, s28
	v_cmp_neq_f64_e64 s28, -1.0, v[57:58]
	s_delay_alu instid0(VALU_DEP_3) | instskip(SKIP_1) | instid1(VALU_DEP_1)
	v_cndmask_b32_e64 v60, 0x7ff00000, v60, s29
	s_wait_alu 0xf1ff
	v_cndmask_b32_e64 v60, 0x7ff80000, v60, s30
	s_delay_alu instid0(VALU_DEP_1) | instskip(NEXT) | instid1(VALU_DEP_1)
	v_cndmask_b32_e64 v60, 0xfff00000, v60, s28
	v_add_f64_e32 v[69:70], v[55:56], v[59:60]
.LBB80_54:
	s_wait_alu 0xfffe
	s_or_b32 exec_lo, exec_lo, s36
	v_max_num_f64_e32 v[55:56], v[9:10], v[9:10]
	s_delay_alu instid0(VALU_DEP_2) | instskip(SKIP_2) | instid1(VALU_DEP_3)
	v_max_num_f64_e32 v[57:58], v[69:70], v[69:70]
	v_cmp_u_f64_e64 s29, v[69:70], v[69:70]
	v_cmp_u_f64_e64 s28, v[9:10], v[9:10]
	v_min_num_f64_e32 v[59:60], v[57:58], v[55:56]
	v_max_num_f64_e32 v[57:58], v[57:58], v[55:56]
	s_wait_alu 0xf1ff
	s_delay_alu instid0(VALU_DEP_2) | instskip(NEXT) | instid1(VALU_DEP_3)
	v_cndmask_b32_e64 v59, v59, v69, s29
	v_cndmask_b32_e64 v60, v60, v70, s29
	s_delay_alu instid0(VALU_DEP_3) | instskip(NEXT) | instid1(VALU_DEP_4)
	v_cndmask_b32_e64 v58, v58, v70, s29
	v_cndmask_b32_e64 v57, v57, v69, s29
	s_delay_alu instid0(VALU_DEP_4) | instskip(NEXT) | instid1(VALU_DEP_4)
	v_cndmask_b32_e64 v59, v59, v9, s28
	v_cndmask_b32_e64 v60, v60, v10, s28
	s_delay_alu instid0(VALU_DEP_4) | instskip(NEXT) | instid1(VALU_DEP_4)
	v_cndmask_b32_e64 v58, v58, v10, s28
	v_cndmask_b32_e64 v57, v57, v9, s28
	s_delay_alu instid0(VALU_DEP_3) | instskip(NEXT) | instid1(VALU_DEP_2)
	v_cmp_class_f64_e64 s30, v[59:60], 0x1f8
	v_cmp_neq_f64_e64 s29, v[59:60], v[57:58]
	s_or_b32 s29, s29, s30
	s_wait_alu 0xfffe
	s_and_saveexec_b32 s38, s29
	s_cbranch_execz .LBB80_56
; %bb.55:
	v_add_f64_e64 v[59:60], v[59:60], -v[57:58]
	s_mov_b32 s30, 0x652b82fe
	s_mov_b32 s31, 0x3ff71547
	;; [unrolled: 1-line block ×10, first 2 shown]
	s_wait_alu 0xfffe
	s_delay_alu instid0(VALU_DEP_1) | instskip(SKIP_3) | instid1(VALU_DEP_2)
	v_mul_f64_e32 v[61:62], s[30:31], v[59:60]
	s_mov_b32 s30, 0xfca7ab0c
	s_mov_b32 s31, 0x3e928af3
	v_cmp_nlt_f64_e64 s29, 0x40900000, v[59:60]
	v_rndne_f64_e32 v[61:62], v[61:62]
	s_delay_alu instid0(VALU_DEP_1) | instskip(SKIP_2) | instid1(VALU_DEP_2)
	v_fma_f64 v[69:70], v[61:62], s[34:35], v[59:60]
	v_cvt_i32_f64_e32 v73, v[61:62]
	s_mov_b32 s35, 0x3fe62e42
	v_fma_f64 v[69:70], v[61:62], s[36:37], v[69:70]
	s_mov_b32 s37, 0x3c7abc9e
	s_wait_alu 0xfffe
	s_delay_alu instid0(VALU_DEP_1)
	v_fma_f64 v[71:72], v[69:70], s[40:41], s[30:31]
	s_mov_b32 s30, 0x623fde64
	s_mov_b32 s31, 0x3ec71dee
	;; [unrolled: 1-line block ×4, first 2 shown]
	s_wait_alu 0xfffe
	s_delay_alu instid0(VALU_DEP_1) | instskip(SKIP_3) | instid1(VALU_DEP_1)
	v_fma_f64 v[71:72], v[69:70], v[71:72], s[30:31]
	s_mov_b32 s30, 0x7c89e6b0
	s_mov_b32 s31, 0x3efa0199
	s_wait_alu 0xfffe
	v_fma_f64 v[71:72], v[69:70], v[71:72], s[30:31]
	s_mov_b32 s30, 0x14761f6e
	s_mov_b32 s31, 0x3f2a01a0
	s_wait_alu 0xfffe
	s_delay_alu instid0(VALU_DEP_1) | instskip(SKIP_3) | instid1(VALU_DEP_1)
	v_fma_f64 v[71:72], v[69:70], v[71:72], s[30:31]
	s_mov_b32 s30, 0x1852b7b0
	s_mov_b32 s31, 0x3f56c16c
	s_wait_alu 0xfffe
	v_fma_f64 v[71:72], v[69:70], v[71:72], s[30:31]
	s_mov_b32 s30, 0x11122322
	s_mov_b32 s31, 0x3f811111
	;; [unrolled: 9-line block ×3, first 2 shown]
	s_wait_alu 0xfffe
	s_delay_alu instid0(VALU_DEP_1) | instskip(SKIP_3) | instid1(VALU_DEP_1)
	v_fma_f64 v[71:72], v[69:70], v[71:72], s[30:31]
	s_mov_b32 s30, 11
	s_mov_b32 s31, 0x3fe00000
	s_wait_alu 0xfffe
	v_fma_f64 v[71:72], v[69:70], v[71:72], s[30:31]
	v_cmp_ngt_f64_e64 s30, 0xc090cc00, v[59:60]
	s_mov_b32 s31, 0x3fe55555
	v_fma_f64 v[71:72], v[69:70], v[71:72], 1.0
	s_delay_alu instid0(VALU_DEP_1) | instskip(NEXT) | instid1(VALU_DEP_1)
	v_fma_f64 v[61:62], v[69:70], v[71:72], 1.0
	v_ldexp_f64 v[61:62], v[61:62], v73
	s_wait_alu 0xf1ff
	s_delay_alu instid0(VALU_DEP_1) | instskip(SKIP_2) | instid1(VALU_DEP_2)
	v_cndmask_b32_e64 v62, 0x7ff00000, v62, s29
	s_and_b32 s29, s30, s29
	s_wait_alu 0xfffe
	v_cndmask_b32_e64 v59, 0, v61, s29
	s_delay_alu instid0(VALU_DEP_2) | instskip(SKIP_1) | instid1(VALU_DEP_1)
	v_cndmask_b32_e64 v60, 0, v62, s30
	s_mov_b32 s30, 0x55555555
	v_add_f64_e32 v[61:62], 1.0, v[59:60]
	s_delay_alu instid0(VALU_DEP_1) | instskip(SKIP_3) | instid1(VALU_DEP_3)
	v_frexp_mant_f64_e32 v[69:70], v[61:62]
	v_frexp_exp_i32_f64_e32 v73, v[61:62]
	v_add_f64_e32 v[71:72], -1.0, v[61:62]
	s_wait_alu 0xfffe
	v_cmp_gt_f64_e64 s29, s[30:31], v[69:70]
	s_mov_b32 s30, 0x55555780
	v_add_f64_e64 v[69:70], v[71:72], -v[61:62]
	v_add_f64_e64 v[71:72], v[59:60], -v[71:72]
	s_wait_alu 0xf1ff
	v_subrev_co_ci_u32_e64 v108, null, 0, v73, s29
	s_delay_alu instid0(VALU_DEP_3) | instskip(SKIP_1) | instid1(VALU_DEP_3)
	v_add_f64_e32 v[69:70], 1.0, v[69:70]
	v_cmp_nge_f64_e64 s29, -1.0, v[59:60]
	v_sub_nc_u32_e32 v75, 0, v108
	s_delay_alu instid0(VALU_DEP_1) | instskip(NEXT) | instid1(VALU_DEP_4)
	v_ldexp_f64 v[61:62], v[61:62], v75
	v_add_f64_e32 v[69:70], v[71:72], v[69:70]
	s_delay_alu instid0(VALU_DEP_2) | instskip(SKIP_1) | instid1(VALU_DEP_3)
	v_add_f64_e32 v[73:74], 1.0, v[61:62]
	v_add_f64_e32 v[98:99], -1.0, v[61:62]
	v_ldexp_f64 v[69:70], v[69:70], v75
	s_delay_alu instid0(VALU_DEP_3) | instskip(NEXT) | instid1(VALU_DEP_3)
	v_add_f64_e32 v[71:72], -1.0, v[73:74]
	v_add_f64_e32 v[100:101], 1.0, v[98:99]
	s_delay_alu instid0(VALU_DEP_2) | instskip(NEXT) | instid1(VALU_DEP_2)
	v_add_f64_e64 v[71:72], v[61:62], -v[71:72]
	v_add_f64_e64 v[61:62], v[61:62], -v[100:101]
	s_delay_alu instid0(VALU_DEP_2) | instskip(NEXT) | instid1(VALU_DEP_2)
	v_add_f64_e32 v[71:72], v[69:70], v[71:72]
	v_add_f64_e32 v[61:62], v[69:70], v[61:62]
	s_delay_alu instid0(VALU_DEP_2) | instskip(NEXT) | instid1(VALU_DEP_2)
	v_add_f64_e32 v[75:76], v[73:74], v[71:72]
	v_add_f64_e32 v[100:101], v[98:99], v[61:62]
	s_delay_alu instid0(VALU_DEP_2) | instskip(SKIP_1) | instid1(VALU_DEP_2)
	v_rcp_f64_e32 v[96:97], v[75:76]
	v_add_f64_e64 v[73:74], v[75:76], -v[73:74]
	v_add_f64_e64 v[98:99], v[100:101], -v[98:99]
	s_delay_alu instid0(VALU_DEP_2) | instskip(NEXT) | instid1(TRANS32_DEP_1)
	v_add_f64_e64 v[71:72], v[71:72], -v[73:74]
	v_fma_f64 v[102:103], -v[75:76], v[96:97], 1.0
	s_delay_alu instid0(VALU_DEP_3) | instskip(NEXT) | instid1(VALU_DEP_2)
	v_add_f64_e64 v[61:62], v[61:62], -v[98:99]
	v_fma_f64 v[96:97], v[102:103], v[96:97], v[96:97]
	s_delay_alu instid0(VALU_DEP_1) | instskip(NEXT) | instid1(VALU_DEP_1)
	v_fma_f64 v[69:70], -v[75:76], v[96:97], 1.0
	v_fma_f64 v[69:70], v[69:70], v[96:97], v[96:97]
	s_delay_alu instid0(VALU_DEP_1) | instskip(NEXT) | instid1(VALU_DEP_1)
	v_mul_f64_e32 v[96:97], v[100:101], v[69:70]
	v_mul_f64_e32 v[102:103], v[75:76], v[96:97]
	s_delay_alu instid0(VALU_DEP_1) | instskip(NEXT) | instid1(VALU_DEP_1)
	v_fma_f64 v[73:74], v[96:97], v[75:76], -v[102:103]
	v_fma_f64 v[73:74], v[96:97], v[71:72], v[73:74]
	s_delay_alu instid0(VALU_DEP_1) | instskip(NEXT) | instid1(VALU_DEP_1)
	v_add_f64_e32 v[104:105], v[102:103], v[73:74]
	v_add_f64_e64 v[106:107], v[100:101], -v[104:105]
	v_add_f64_e64 v[98:99], v[104:105], -v[102:103]
	s_delay_alu instid0(VALU_DEP_2) | instskip(NEXT) | instid1(VALU_DEP_2)
	v_add_f64_e64 v[100:101], v[100:101], -v[106:107]
	v_add_f64_e64 v[73:74], v[98:99], -v[73:74]
	s_delay_alu instid0(VALU_DEP_2) | instskip(NEXT) | instid1(VALU_DEP_1)
	v_add_f64_e64 v[100:101], v[100:101], -v[104:105]
	v_add_f64_e32 v[61:62], v[61:62], v[100:101]
	s_delay_alu instid0(VALU_DEP_1) | instskip(NEXT) | instid1(VALU_DEP_1)
	v_add_f64_e32 v[61:62], v[73:74], v[61:62]
	v_add_f64_e32 v[73:74], v[106:107], v[61:62]
	s_delay_alu instid0(VALU_DEP_1) | instskip(SKIP_1) | instid1(VALU_DEP_2)
	v_mul_f64_e32 v[98:99], v[69:70], v[73:74]
	v_add_f64_e64 v[104:105], v[106:107], -v[73:74]
	v_mul_f64_e32 v[100:101], v[75:76], v[98:99]
	s_delay_alu instid0(VALU_DEP_2) | instskip(NEXT) | instid1(VALU_DEP_2)
	v_add_f64_e32 v[61:62], v[61:62], v[104:105]
	v_fma_f64 v[75:76], v[98:99], v[75:76], -v[100:101]
	s_delay_alu instid0(VALU_DEP_1) | instskip(NEXT) | instid1(VALU_DEP_1)
	v_fma_f64 v[71:72], v[98:99], v[71:72], v[75:76]
	v_add_f64_e32 v[75:76], v[100:101], v[71:72]
	s_delay_alu instid0(VALU_DEP_1) | instskip(SKIP_1) | instid1(VALU_DEP_2)
	v_add_f64_e64 v[102:103], v[73:74], -v[75:76]
	v_add_f64_e64 v[100:101], v[75:76], -v[100:101]
	;; [unrolled: 1-line block ×3, first 2 shown]
	s_delay_alu instid0(VALU_DEP_2) | instskip(NEXT) | instid1(VALU_DEP_2)
	v_add_f64_e64 v[71:72], v[100:101], -v[71:72]
	v_add_f64_e64 v[73:74], v[73:74], -v[75:76]
	s_delay_alu instid0(VALU_DEP_1) | instskip(SKIP_1) | instid1(VALU_DEP_2)
	v_add_f64_e32 v[61:62], v[61:62], v[73:74]
	v_add_f64_e32 v[73:74], v[96:97], v[98:99]
	;; [unrolled: 1-line block ×3, first 2 shown]
	s_delay_alu instid0(VALU_DEP_2) | instskip(NEXT) | instid1(VALU_DEP_2)
	v_add_f64_e64 v[71:72], v[73:74], -v[96:97]
	v_add_f64_e32 v[61:62], v[102:103], v[61:62]
	s_delay_alu instid0(VALU_DEP_2) | instskip(NEXT) | instid1(VALU_DEP_2)
	v_add_f64_e64 v[71:72], v[98:99], -v[71:72]
	v_mul_f64_e32 v[61:62], v[69:70], v[61:62]
	s_delay_alu instid0(VALU_DEP_1) | instskip(NEXT) | instid1(VALU_DEP_1)
	v_add_f64_e32 v[61:62], v[71:72], v[61:62]
	v_add_f64_e32 v[69:70], v[73:74], v[61:62]
	s_delay_alu instid0(VALU_DEP_1) | instskip(NEXT) | instid1(VALU_DEP_1)
	v_mul_f64_e32 v[71:72], v[69:70], v[69:70]
	v_fma_f64 v[75:76], v[71:72], s[42:43], s[40:41]
	s_mov_b32 s40, 0xd7f4df2e
	s_mov_b32 s41, 0x3fc7474d
	v_mul_f64_e32 v[96:97], v[69:70], v[71:72]
	s_wait_alu 0xfffe
	s_delay_alu instid0(VALU_DEP_2) | instskip(SKIP_3) | instid1(VALU_DEP_1)
	v_fma_f64 v[75:76], v[71:72], v[75:76], s[40:41]
	s_mov_b32 s40, 0x16291751
	s_mov_b32 s41, 0x3fcc71c0
	s_wait_alu 0xfffe
	v_fma_f64 v[75:76], v[71:72], v[75:76], s[40:41]
	s_mov_b32 s40, 0x9b27acf1
	s_mov_b32 s41, 0x3fd24924
	s_wait_alu 0xfffe
	s_delay_alu instid0(VALU_DEP_1) | instskip(SKIP_3) | instid1(VALU_DEP_1)
	v_fma_f64 v[75:76], v[71:72], v[75:76], s[40:41]
	s_mov_b32 s40, 0x998ef7b6
	s_mov_b32 s41, 0x3fd99999
	s_wait_alu 0xfffe
	v_fma_f64 v[75:76], v[71:72], v[75:76], s[40:41]
	s_delay_alu instid0(VALU_DEP_1)
	v_fma_f64 v[71:72], v[71:72], v[75:76], s[30:31]
	v_ldexp_f64 v[75:76], v[69:70], 1
	v_add_f64_e64 v[69:70], v[69:70], -v[73:74]
	v_cmp_neq_f64_e64 s30, 0x7ff00000, v[59:60]
	v_cmp_ngt_f64_e64 s31, -1.0, v[59:60]
	v_mul_f64_e32 v[71:72], v[96:97], v[71:72]
	v_cvt_f64_i32_e32 v[96:97], v108
	v_add_f64_e64 v[61:62], v[61:62], -v[69:70]
	s_and_b32 s29, s29, s30
	s_delay_alu instid0(VALU_DEP_3) | instskip(NEXT) | instid1(VALU_DEP_3)
	v_add_f64_e32 v[73:74], v[75:76], v[71:72]
	v_mul_f64_e32 v[98:99], s[34:35], v[96:97]
	s_delay_alu instid0(VALU_DEP_3) | instskip(NEXT) | instid1(VALU_DEP_3)
	v_ldexp_f64 v[61:62], v[61:62], 1
	v_add_f64_e64 v[69:70], v[73:74], -v[75:76]
	s_delay_alu instid0(VALU_DEP_3) | instskip(NEXT) | instid1(VALU_DEP_2)
	v_fma_f64 v[75:76], v[96:97], s[34:35], -v[98:99]
	v_add_f64_e64 v[69:70], v[71:72], -v[69:70]
	s_delay_alu instid0(VALU_DEP_2) | instskip(NEXT) | instid1(VALU_DEP_2)
	v_fma_f64 v[71:72], v[96:97], s[36:37], v[75:76]
	v_add_f64_e32 v[61:62], v[61:62], v[69:70]
	s_delay_alu instid0(VALU_DEP_2) | instskip(NEXT) | instid1(VALU_DEP_2)
	v_add_f64_e32 v[69:70], v[98:99], v[71:72]
	v_add_f64_e32 v[75:76], v[73:74], v[61:62]
	s_delay_alu instid0(VALU_DEP_2) | instskip(NEXT) | instid1(VALU_DEP_2)
	v_add_f64_e64 v[98:99], v[69:70], -v[98:99]
	v_add_f64_e32 v[96:97], v[69:70], v[75:76]
	v_add_f64_e64 v[73:74], v[75:76], -v[73:74]
	s_delay_alu instid0(VALU_DEP_3) | instskip(NEXT) | instid1(VALU_DEP_3)
	v_add_f64_e64 v[71:72], v[71:72], -v[98:99]
	v_add_f64_e64 v[100:101], v[96:97], -v[69:70]
	s_delay_alu instid0(VALU_DEP_3) | instskip(NEXT) | instid1(VALU_DEP_2)
	v_add_f64_e64 v[61:62], v[61:62], -v[73:74]
	v_add_f64_e64 v[102:103], v[96:97], -v[100:101]
	;; [unrolled: 1-line block ×3, first 2 shown]
	s_delay_alu instid0(VALU_DEP_3) | instskip(NEXT) | instid1(VALU_DEP_3)
	v_add_f64_e32 v[75:76], v[71:72], v[61:62]
	v_add_f64_e64 v[69:70], v[69:70], -v[102:103]
	s_delay_alu instid0(VALU_DEP_1) | instskip(NEXT) | instid1(VALU_DEP_3)
	v_add_f64_e32 v[69:70], v[73:74], v[69:70]
	v_add_f64_e64 v[73:74], v[75:76], -v[71:72]
	s_delay_alu instid0(VALU_DEP_2) | instskip(NEXT) | instid1(VALU_DEP_2)
	v_add_f64_e32 v[69:70], v[75:76], v[69:70]
	v_add_f64_e64 v[75:76], v[75:76], -v[73:74]
	v_add_f64_e64 v[61:62], v[61:62], -v[73:74]
	s_delay_alu instid0(VALU_DEP_3) | instskip(NEXT) | instid1(VALU_DEP_3)
	v_add_f64_e32 v[98:99], v[96:97], v[69:70]
	v_add_f64_e64 v[71:72], v[71:72], -v[75:76]
	s_delay_alu instid0(VALU_DEP_2) | instskip(NEXT) | instid1(VALU_DEP_2)
	v_add_f64_e64 v[73:74], v[98:99], -v[96:97]
	v_add_f64_e32 v[61:62], v[61:62], v[71:72]
	s_delay_alu instid0(VALU_DEP_2) | instskip(NEXT) | instid1(VALU_DEP_1)
	v_add_f64_e64 v[69:70], v[69:70], -v[73:74]
	v_add_f64_e32 v[61:62], v[61:62], v[69:70]
	s_delay_alu instid0(VALU_DEP_1) | instskip(SKIP_1) | instid1(VALU_DEP_1)
	v_add_f64_e32 v[61:62], v[98:99], v[61:62]
	s_wait_alu 0xfffe
	v_cndmask_b32_e64 v61, 0, v61, s29
	v_cmp_neq_f64_e64 s29, -1.0, v[59:60]
	s_delay_alu instid0(VALU_DEP_3) | instskip(NEXT) | instid1(VALU_DEP_1)
	v_cndmask_b32_e64 v62, 0x7ff00000, v62, s30
	v_cndmask_b32_e64 v62, 0x7ff80000, v62, s31
	s_wait_alu 0xf1ff
	s_delay_alu instid0(VALU_DEP_1) | instskip(NEXT) | instid1(VALU_DEP_1)
	v_cndmask_b32_e64 v62, 0xfff00000, v62, s29
	v_add_f64_e32 v[69:70], v[57:58], v[61:62]
.LBB80_56:
	s_wait_alu 0xfffe
	s_or_b32 exec_lo, exec_lo, s38
	v_max_num_f64_e32 v[57:58], v[11:12], v[11:12]
	s_delay_alu instid0(VALU_DEP_2) | instskip(SKIP_2) | instid1(VALU_DEP_3)
	v_max_num_f64_e32 v[59:60], v[69:70], v[69:70]
	v_cmp_u_f64_e64 s30, v[69:70], v[69:70]
	v_cmp_u_f64_e64 s29, v[11:12], v[11:12]
	v_min_num_f64_e32 v[61:62], v[59:60], v[57:58]
	v_max_num_f64_e32 v[59:60], v[59:60], v[57:58]
	s_wait_alu 0xf1ff
	s_delay_alu instid0(VALU_DEP_2) | instskip(NEXT) | instid1(VALU_DEP_3)
	v_cndmask_b32_e64 v61, v61, v69, s30
	v_cndmask_b32_e64 v62, v62, v70, s30
	s_delay_alu instid0(VALU_DEP_3) | instskip(NEXT) | instid1(VALU_DEP_4)
	v_cndmask_b32_e64 v60, v60, v70, s30
	v_cndmask_b32_e64 v59, v59, v69, s30
	s_delay_alu instid0(VALU_DEP_4) | instskip(NEXT) | instid1(VALU_DEP_4)
	v_cndmask_b32_e64 v61, v61, v11, s29
	v_cndmask_b32_e64 v62, v62, v12, s29
	s_delay_alu instid0(VALU_DEP_4) | instskip(NEXT) | instid1(VALU_DEP_4)
	v_cndmask_b32_e64 v60, v60, v12, s29
	v_cndmask_b32_e64 v59, v59, v11, s29
	s_delay_alu instid0(VALU_DEP_3) | instskip(NEXT) | instid1(VALU_DEP_2)
	v_cmp_class_f64_e64 s31, v[61:62], 0x1f8
	v_cmp_neq_f64_e64 s30, v[61:62], v[59:60]
	s_or_b32 s30, s30, s31
	s_wait_alu 0xfffe
	s_and_saveexec_b32 s38, s30
	s_cbranch_execz .LBB80_58
; %bb.57:
	v_add_f64_e64 v[61:62], v[61:62], -v[59:60]
	s_mov_b32 s30, 0x652b82fe
	s_mov_b32 s31, 0x3ff71547
	;; [unrolled: 1-line block ×10, first 2 shown]
	s_wait_alu 0xfffe
	s_delay_alu instid0(VALU_DEP_1) | instskip(SKIP_2) | instid1(VALU_DEP_1)
	v_mul_f64_e32 v[69:70], s[30:31], v[61:62]
	s_mov_b32 s30, 0xfca7ab0c
	s_mov_b32 s31, 0x3e928af3
	v_rndne_f64_e32 v[69:70], v[69:70]
	s_delay_alu instid0(VALU_DEP_1) | instskip(SKIP_2) | instid1(VALU_DEP_2)
	v_fma_f64 v[71:72], v[69:70], s[34:35], v[61:62]
	v_cvt_i32_f64_e32 v75, v[69:70]
	s_mov_b32 s35, 0x3fe62e42
	v_fma_f64 v[71:72], v[69:70], s[36:37], v[71:72]
	s_mov_b32 s37, 0x3c7abc9e
	s_wait_alu 0xfffe
	s_delay_alu instid0(VALU_DEP_1)
	v_fma_f64 v[73:74], v[71:72], s[40:41], s[30:31]
	s_mov_b32 s30, 0x623fde64
	s_mov_b32 s31, 0x3ec71dee
	;; [unrolled: 1-line block ×4, first 2 shown]
	s_wait_alu 0xfffe
	s_delay_alu instid0(VALU_DEP_1) | instskip(SKIP_3) | instid1(VALU_DEP_1)
	v_fma_f64 v[73:74], v[71:72], v[73:74], s[30:31]
	s_mov_b32 s30, 0x7c89e6b0
	s_mov_b32 s31, 0x3efa0199
	s_wait_alu 0xfffe
	v_fma_f64 v[73:74], v[71:72], v[73:74], s[30:31]
	s_mov_b32 s30, 0x14761f6e
	s_mov_b32 s31, 0x3f2a01a0
	s_wait_alu 0xfffe
	s_delay_alu instid0(VALU_DEP_1) | instskip(SKIP_3) | instid1(VALU_DEP_1)
	v_fma_f64 v[73:74], v[71:72], v[73:74], s[30:31]
	s_mov_b32 s30, 0x1852b7b0
	s_mov_b32 s31, 0x3f56c16c
	s_wait_alu 0xfffe
	v_fma_f64 v[73:74], v[71:72], v[73:74], s[30:31]
	s_mov_b32 s30, 0x11122322
	s_mov_b32 s31, 0x3f811111
	;; [unrolled: 9-line block ×3, first 2 shown]
	s_wait_alu 0xfffe
	s_delay_alu instid0(VALU_DEP_1) | instskip(SKIP_3) | instid1(VALU_DEP_1)
	v_fma_f64 v[73:74], v[71:72], v[73:74], s[30:31]
	s_mov_b32 s30, 11
	s_mov_b32 s31, 0x3fe00000
	s_wait_alu 0xfffe
	v_fma_f64 v[73:74], v[71:72], v[73:74], s[30:31]
	v_cmp_nlt_f64_e64 s30, 0x40900000, v[61:62]
	v_cmp_ngt_f64_e64 s31, 0xc090cc00, v[61:62]
	s_delay_alu instid0(VALU_DEP_3) | instskip(NEXT) | instid1(VALU_DEP_1)
	v_fma_f64 v[73:74], v[71:72], v[73:74], 1.0
	v_fma_f64 v[69:70], v[71:72], v[73:74], 1.0
	s_delay_alu instid0(VALU_DEP_1) | instskip(SKIP_1) | instid1(VALU_DEP_1)
	v_ldexp_f64 v[69:70], v[69:70], v75
	s_wait_alu 0xf1ff
	v_cndmask_b32_e64 v70, 0x7ff00000, v70, s30
	s_and_b32 s30, s31, s30
	s_wait_alu 0xfffe
	s_delay_alu instid0(VALU_DEP_2) | instskip(SKIP_3) | instid1(VALU_DEP_1)
	v_cndmask_b32_e64 v61, 0, v69, s30
	s_mov_b32 s30, 0x55555555
	v_cndmask_b32_e64 v62, 0, v70, s31
	s_mov_b32 s31, 0x3fe55555
	v_add_f64_e32 v[69:70], 1.0, v[61:62]
	s_delay_alu instid0(VALU_DEP_1) | instskip(SKIP_3) | instid1(VALU_DEP_3)
	v_frexp_mant_f64_e32 v[71:72], v[69:70]
	v_frexp_exp_i32_f64_e32 v75, v[69:70]
	v_add_f64_e32 v[73:74], -1.0, v[69:70]
	s_wait_alu 0xfffe
	v_cmp_gt_f64_e64 s30, s[30:31], v[71:72]
	s_delay_alu instid0(VALU_DEP_2) | instskip(SKIP_2) | instid1(VALU_DEP_3)
	v_add_f64_e64 v[71:72], v[73:74], -v[69:70]
	v_add_f64_e64 v[73:74], v[61:62], -v[73:74]
	s_wait_alu 0xf1ff
	v_subrev_co_ci_u32_e64 v110, null, 0, v75, s30
	s_delay_alu instid0(VALU_DEP_3) | instskip(SKIP_1) | instid1(VALU_DEP_2)
	v_add_f64_e32 v[71:72], 1.0, v[71:72]
	s_mov_b32 s30, 0x55555780
	v_sub_nc_u32_e32 v96, 0, v110
	s_delay_alu instid0(VALU_DEP_1) | instskip(NEXT) | instid1(VALU_DEP_3)
	v_ldexp_f64 v[69:70], v[69:70], v96
	v_add_f64_e32 v[71:72], v[73:74], v[71:72]
	s_delay_alu instid0(VALU_DEP_2) | instskip(SKIP_1) | instid1(VALU_DEP_3)
	v_add_f64_e32 v[75:76], 1.0, v[69:70]
	v_add_f64_e32 v[100:101], -1.0, v[69:70]
	v_ldexp_f64 v[71:72], v[71:72], v96
	s_delay_alu instid0(VALU_DEP_3) | instskip(NEXT) | instid1(VALU_DEP_3)
	v_add_f64_e32 v[73:74], -1.0, v[75:76]
	v_add_f64_e32 v[102:103], 1.0, v[100:101]
	s_delay_alu instid0(VALU_DEP_2) | instskip(NEXT) | instid1(VALU_DEP_2)
	v_add_f64_e64 v[73:74], v[69:70], -v[73:74]
	v_add_f64_e64 v[69:70], v[69:70], -v[102:103]
	s_delay_alu instid0(VALU_DEP_2) | instskip(NEXT) | instid1(VALU_DEP_2)
	v_add_f64_e32 v[73:74], v[71:72], v[73:74]
	v_add_f64_e32 v[69:70], v[71:72], v[69:70]
	s_delay_alu instid0(VALU_DEP_2) | instskip(NEXT) | instid1(VALU_DEP_2)
	v_add_f64_e32 v[96:97], v[75:76], v[73:74]
	v_add_f64_e32 v[102:103], v[100:101], v[69:70]
	s_delay_alu instid0(VALU_DEP_2) | instskip(SKIP_1) | instid1(VALU_DEP_2)
	v_rcp_f64_e32 v[98:99], v[96:97]
	v_add_f64_e64 v[75:76], v[96:97], -v[75:76]
	v_add_f64_e64 v[100:101], v[102:103], -v[100:101]
	s_delay_alu instid0(VALU_DEP_2) | instskip(NEXT) | instid1(TRANS32_DEP_1)
	v_add_f64_e64 v[73:74], v[73:74], -v[75:76]
	v_fma_f64 v[104:105], -v[96:97], v[98:99], 1.0
	s_delay_alu instid0(VALU_DEP_3) | instskip(NEXT) | instid1(VALU_DEP_2)
	v_add_f64_e64 v[69:70], v[69:70], -v[100:101]
	v_fma_f64 v[98:99], v[104:105], v[98:99], v[98:99]
	s_delay_alu instid0(VALU_DEP_1) | instskip(NEXT) | instid1(VALU_DEP_1)
	v_fma_f64 v[71:72], -v[96:97], v[98:99], 1.0
	v_fma_f64 v[71:72], v[71:72], v[98:99], v[98:99]
	s_delay_alu instid0(VALU_DEP_1) | instskip(NEXT) | instid1(VALU_DEP_1)
	v_mul_f64_e32 v[98:99], v[102:103], v[71:72]
	v_mul_f64_e32 v[104:105], v[96:97], v[98:99]
	s_delay_alu instid0(VALU_DEP_1) | instskip(NEXT) | instid1(VALU_DEP_1)
	v_fma_f64 v[75:76], v[98:99], v[96:97], -v[104:105]
	v_fma_f64 v[75:76], v[98:99], v[73:74], v[75:76]
	s_delay_alu instid0(VALU_DEP_1) | instskip(NEXT) | instid1(VALU_DEP_1)
	v_add_f64_e32 v[106:107], v[104:105], v[75:76]
	v_add_f64_e64 v[108:109], v[102:103], -v[106:107]
	v_add_f64_e64 v[100:101], v[106:107], -v[104:105]
	s_delay_alu instid0(VALU_DEP_2) | instskip(NEXT) | instid1(VALU_DEP_2)
	v_add_f64_e64 v[102:103], v[102:103], -v[108:109]
	v_add_f64_e64 v[75:76], v[100:101], -v[75:76]
	s_delay_alu instid0(VALU_DEP_2) | instskip(NEXT) | instid1(VALU_DEP_1)
	v_add_f64_e64 v[102:103], v[102:103], -v[106:107]
	v_add_f64_e32 v[69:70], v[69:70], v[102:103]
	s_delay_alu instid0(VALU_DEP_1) | instskip(NEXT) | instid1(VALU_DEP_1)
	v_add_f64_e32 v[69:70], v[75:76], v[69:70]
	v_add_f64_e32 v[75:76], v[108:109], v[69:70]
	s_delay_alu instid0(VALU_DEP_1) | instskip(SKIP_1) | instid1(VALU_DEP_2)
	v_mul_f64_e32 v[100:101], v[71:72], v[75:76]
	v_add_f64_e64 v[106:107], v[108:109], -v[75:76]
	v_mul_f64_e32 v[102:103], v[96:97], v[100:101]
	s_delay_alu instid0(VALU_DEP_2) | instskip(NEXT) | instid1(VALU_DEP_2)
	v_add_f64_e32 v[69:70], v[69:70], v[106:107]
	v_fma_f64 v[96:97], v[100:101], v[96:97], -v[102:103]
	s_delay_alu instid0(VALU_DEP_1) | instskip(NEXT) | instid1(VALU_DEP_1)
	v_fma_f64 v[73:74], v[100:101], v[73:74], v[96:97]
	v_add_f64_e32 v[96:97], v[102:103], v[73:74]
	s_delay_alu instid0(VALU_DEP_1) | instskip(SKIP_1) | instid1(VALU_DEP_2)
	v_add_f64_e64 v[104:105], v[75:76], -v[96:97]
	v_add_f64_e64 v[102:103], v[96:97], -v[102:103]
	;; [unrolled: 1-line block ×3, first 2 shown]
	s_delay_alu instid0(VALU_DEP_2) | instskip(NEXT) | instid1(VALU_DEP_2)
	v_add_f64_e64 v[73:74], v[102:103], -v[73:74]
	v_add_f64_e64 v[75:76], v[75:76], -v[96:97]
	s_delay_alu instid0(VALU_DEP_1) | instskip(SKIP_1) | instid1(VALU_DEP_2)
	v_add_f64_e32 v[69:70], v[69:70], v[75:76]
	v_add_f64_e32 v[75:76], v[98:99], v[100:101]
	;; [unrolled: 1-line block ×3, first 2 shown]
	s_delay_alu instid0(VALU_DEP_2) | instskip(NEXT) | instid1(VALU_DEP_2)
	v_add_f64_e64 v[73:74], v[75:76], -v[98:99]
	v_add_f64_e32 v[69:70], v[104:105], v[69:70]
	s_delay_alu instid0(VALU_DEP_2) | instskip(NEXT) | instid1(VALU_DEP_2)
	v_add_f64_e64 v[73:74], v[100:101], -v[73:74]
	v_mul_f64_e32 v[69:70], v[71:72], v[69:70]
	s_delay_alu instid0(VALU_DEP_1) | instskip(NEXT) | instid1(VALU_DEP_1)
	v_add_f64_e32 v[69:70], v[73:74], v[69:70]
	v_add_f64_e32 v[71:72], v[75:76], v[69:70]
	s_delay_alu instid0(VALU_DEP_1) | instskip(NEXT) | instid1(VALU_DEP_1)
	v_mul_f64_e32 v[73:74], v[71:72], v[71:72]
	v_fma_f64 v[96:97], v[73:74], s[42:43], s[40:41]
	s_mov_b32 s40, 0xd7f4df2e
	s_mov_b32 s41, 0x3fc7474d
	v_mul_f64_e32 v[98:99], v[71:72], v[73:74]
	s_wait_alu 0xfffe
	s_delay_alu instid0(VALU_DEP_2) | instskip(SKIP_3) | instid1(VALU_DEP_1)
	v_fma_f64 v[96:97], v[73:74], v[96:97], s[40:41]
	s_mov_b32 s40, 0x16291751
	s_mov_b32 s41, 0x3fcc71c0
	s_wait_alu 0xfffe
	v_fma_f64 v[96:97], v[73:74], v[96:97], s[40:41]
	s_mov_b32 s40, 0x9b27acf1
	s_mov_b32 s41, 0x3fd24924
	s_wait_alu 0xfffe
	s_delay_alu instid0(VALU_DEP_1) | instskip(SKIP_3) | instid1(VALU_DEP_1)
	v_fma_f64 v[96:97], v[73:74], v[96:97], s[40:41]
	s_mov_b32 s40, 0x998ef7b6
	s_mov_b32 s41, 0x3fd99999
	s_wait_alu 0xfffe
	v_fma_f64 v[96:97], v[73:74], v[96:97], s[40:41]
	s_delay_alu instid0(VALU_DEP_1)
	v_fma_f64 v[73:74], v[73:74], v[96:97], s[30:31]
	v_ldexp_f64 v[96:97], v[71:72], 1
	v_add_f64_e64 v[71:72], v[71:72], -v[75:76]
	v_cmp_nge_f64_e64 s30, -1.0, v[61:62]
	v_cmp_neq_f64_e64 s31, 0x7ff00000, v[61:62]
	v_mul_f64_e32 v[73:74], v[98:99], v[73:74]
	v_cvt_f64_i32_e32 v[98:99], v110
	v_add_f64_e64 v[69:70], v[69:70], -v[71:72]
	s_and_b32 s30, s30, s31
	s_delay_alu instid0(VALU_DEP_3) | instskip(NEXT) | instid1(VALU_DEP_3)
	v_add_f64_e32 v[75:76], v[96:97], v[73:74]
	v_mul_f64_e32 v[100:101], s[34:35], v[98:99]
	s_delay_alu instid0(VALU_DEP_3) | instskip(NEXT) | instid1(VALU_DEP_3)
	v_ldexp_f64 v[69:70], v[69:70], 1
	v_add_f64_e64 v[71:72], v[75:76], -v[96:97]
	s_delay_alu instid0(VALU_DEP_3) | instskip(SKIP_1) | instid1(VALU_DEP_3)
	v_fma_f64 v[96:97], v[98:99], s[34:35], -v[100:101]
	v_cmp_ngt_f64_e64 s34, -1.0, v[61:62]
	v_add_f64_e64 v[71:72], v[73:74], -v[71:72]
	s_delay_alu instid0(VALU_DEP_3) | instskip(NEXT) | instid1(VALU_DEP_2)
	v_fma_f64 v[73:74], v[98:99], s[36:37], v[96:97]
	v_add_f64_e32 v[69:70], v[69:70], v[71:72]
	s_delay_alu instid0(VALU_DEP_2) | instskip(NEXT) | instid1(VALU_DEP_2)
	v_add_f64_e32 v[71:72], v[100:101], v[73:74]
	v_add_f64_e32 v[96:97], v[75:76], v[69:70]
	s_delay_alu instid0(VALU_DEP_2) | instskip(NEXT) | instid1(VALU_DEP_2)
	v_add_f64_e64 v[100:101], v[71:72], -v[100:101]
	v_add_f64_e32 v[98:99], v[71:72], v[96:97]
	v_add_f64_e64 v[75:76], v[96:97], -v[75:76]
	s_delay_alu instid0(VALU_DEP_3) | instskip(NEXT) | instid1(VALU_DEP_3)
	v_add_f64_e64 v[73:74], v[73:74], -v[100:101]
	v_add_f64_e64 v[102:103], v[98:99], -v[71:72]
	s_delay_alu instid0(VALU_DEP_3) | instskip(NEXT) | instid1(VALU_DEP_2)
	v_add_f64_e64 v[69:70], v[69:70], -v[75:76]
	v_add_f64_e64 v[104:105], v[98:99], -v[102:103]
	;; [unrolled: 1-line block ×3, first 2 shown]
	s_delay_alu instid0(VALU_DEP_3) | instskip(NEXT) | instid1(VALU_DEP_3)
	v_add_f64_e32 v[96:97], v[73:74], v[69:70]
	v_add_f64_e64 v[71:72], v[71:72], -v[104:105]
	s_delay_alu instid0(VALU_DEP_1) | instskip(NEXT) | instid1(VALU_DEP_3)
	v_add_f64_e32 v[71:72], v[75:76], v[71:72]
	v_add_f64_e64 v[75:76], v[96:97], -v[73:74]
	s_delay_alu instid0(VALU_DEP_2) | instskip(NEXT) | instid1(VALU_DEP_2)
	v_add_f64_e32 v[71:72], v[96:97], v[71:72]
	v_add_f64_e64 v[96:97], v[96:97], -v[75:76]
	v_add_f64_e64 v[69:70], v[69:70], -v[75:76]
	s_delay_alu instid0(VALU_DEP_3) | instskip(NEXT) | instid1(VALU_DEP_3)
	v_add_f64_e32 v[100:101], v[98:99], v[71:72]
	v_add_f64_e64 v[73:74], v[73:74], -v[96:97]
	s_delay_alu instid0(VALU_DEP_2) | instskip(NEXT) | instid1(VALU_DEP_2)
	v_add_f64_e64 v[75:76], v[100:101], -v[98:99]
	v_add_f64_e32 v[69:70], v[69:70], v[73:74]
	s_delay_alu instid0(VALU_DEP_2) | instskip(NEXT) | instid1(VALU_DEP_1)
	v_add_f64_e64 v[71:72], v[71:72], -v[75:76]
	v_add_f64_e32 v[69:70], v[69:70], v[71:72]
	s_delay_alu instid0(VALU_DEP_1) | instskip(SKIP_1) | instid1(VALU_DEP_1)
	v_add_f64_e32 v[69:70], v[100:101], v[69:70]
	s_wait_alu 0xfffe
	v_cndmask_b32_e64 v69, 0, v69, s30
	v_cmp_neq_f64_e64 s30, -1.0, v[61:62]
	s_delay_alu instid0(VALU_DEP_3) | instskip(SKIP_1) | instid1(VALU_DEP_1)
	v_cndmask_b32_e64 v70, 0x7ff00000, v70, s31
	s_wait_alu 0xf1ff
	v_cndmask_b32_e64 v70, 0x7ff80000, v70, s34
	s_delay_alu instid0(VALU_DEP_1) | instskip(NEXT) | instid1(VALU_DEP_1)
	v_cndmask_b32_e64 v70, 0xfff00000, v70, s30
	v_add_f64_e32 v[69:70], v[59:60], v[69:70]
.LBB80_58:
	s_wait_alu 0xfffe
	s_or_b32 exec_lo, exec_lo, s38
	v_max_num_f64_e32 v[59:60], v[5:6], v[5:6]
	s_delay_alu instid0(VALU_DEP_2) | instskip(SKIP_2) | instid1(VALU_DEP_3)
	v_max_num_f64_e32 v[61:62], v[69:70], v[69:70]
	v_cmp_u_f64_e64 s31, v[69:70], v[69:70]
	v_cmp_u_f64_e64 s30, v[5:6], v[5:6]
	v_min_num_f64_e32 v[71:72], v[61:62], v[59:60]
	v_max_num_f64_e32 v[61:62], v[61:62], v[59:60]
	s_wait_alu 0xf1ff
	s_delay_alu instid0(VALU_DEP_2) | instskip(NEXT) | instid1(VALU_DEP_3)
	v_cndmask_b32_e64 v71, v71, v69, s31
	v_cndmask_b32_e64 v72, v72, v70, s31
	s_delay_alu instid0(VALU_DEP_3) | instskip(NEXT) | instid1(VALU_DEP_4)
	v_cndmask_b32_e64 v62, v62, v70, s31
	v_cndmask_b32_e64 v61, v61, v69, s31
	s_delay_alu instid0(VALU_DEP_4) | instskip(NEXT) | instid1(VALU_DEP_4)
	v_cndmask_b32_e64 v71, v71, v5, s30
	v_cndmask_b32_e64 v72, v72, v6, s30
	s_delay_alu instid0(VALU_DEP_4) | instskip(NEXT) | instid1(VALU_DEP_4)
	v_cndmask_b32_e64 v62, v62, v6, s30
	v_cndmask_b32_e64 v61, v61, v5, s30
	s_delay_alu instid0(VALU_DEP_3) | instskip(NEXT) | instid1(VALU_DEP_2)
	v_cmp_class_f64_e64 s34, v[71:72], 0x1f8
	v_cmp_neq_f64_e64 s31, v[71:72], v[61:62]
	s_or_b32 s31, s31, s34
	s_wait_alu 0xfffe
	s_and_saveexec_b32 s40, s31
	s_cbranch_execz .LBB80_60
; %bb.59:
	v_add_f64_e64 v[69:70], v[71:72], -v[61:62]
	s_mov_b32 s34, 0x652b82fe
	s_mov_b32 s35, 0x3ff71547
	;; [unrolled: 1-line block ×10, first 2 shown]
	s_wait_alu 0xfffe
	s_delay_alu instid0(VALU_DEP_1) | instskip(SKIP_3) | instid1(VALU_DEP_2)
	v_mul_f64_e32 v[71:72], s[34:35], v[69:70]
	s_mov_b32 s34, 0xfca7ab0c
	s_mov_b32 s35, 0x3e928af3
	v_cmp_nlt_f64_e64 s31, 0x40900000, v[69:70]
	v_rndne_f64_e32 v[71:72], v[71:72]
	s_delay_alu instid0(VALU_DEP_1) | instskip(SKIP_2) | instid1(VALU_DEP_2)
	v_fma_f64 v[73:74], v[71:72], s[36:37], v[69:70]
	v_cvt_i32_f64_e32 v96, v[71:72]
	s_mov_b32 s37, 0x3fe62e42
	v_fma_f64 v[73:74], v[71:72], s[38:39], v[73:74]
	s_mov_b32 s39, 0x3c7abc9e
	s_wait_alu 0xfffe
	s_delay_alu instid0(VALU_DEP_1)
	v_fma_f64 v[75:76], v[73:74], s[42:43], s[34:35]
	s_mov_b32 s34, 0x623fde64
	s_mov_b32 s35, 0x3ec71dee
	;; [unrolled: 1-line block ×4, first 2 shown]
	s_wait_alu 0xfffe
	s_delay_alu instid0(VALU_DEP_1) | instskip(SKIP_3) | instid1(VALU_DEP_1)
	v_fma_f64 v[75:76], v[73:74], v[75:76], s[34:35]
	s_mov_b32 s34, 0x7c89e6b0
	s_mov_b32 s35, 0x3efa0199
	s_wait_alu 0xfffe
	v_fma_f64 v[75:76], v[73:74], v[75:76], s[34:35]
	s_mov_b32 s34, 0x14761f6e
	s_mov_b32 s35, 0x3f2a01a0
	s_wait_alu 0xfffe
	s_delay_alu instid0(VALU_DEP_1) | instskip(SKIP_3) | instid1(VALU_DEP_1)
	v_fma_f64 v[75:76], v[73:74], v[75:76], s[34:35]
	s_mov_b32 s34, 0x1852b7b0
	s_mov_b32 s35, 0x3f56c16c
	s_wait_alu 0xfffe
	v_fma_f64 v[75:76], v[73:74], v[75:76], s[34:35]
	s_mov_b32 s34, 0x11122322
	s_mov_b32 s35, 0x3f811111
	;; [unrolled: 9-line block ×3, first 2 shown]
	s_wait_alu 0xfffe
	s_delay_alu instid0(VALU_DEP_1) | instskip(SKIP_3) | instid1(VALU_DEP_1)
	v_fma_f64 v[75:76], v[73:74], v[75:76], s[34:35]
	s_mov_b32 s34, 11
	s_mov_b32 s35, 0x3fe00000
	s_wait_alu 0xfffe
	v_fma_f64 v[75:76], v[73:74], v[75:76], s[34:35]
	v_cmp_ngt_f64_e64 s34, 0xc090cc00, v[69:70]
	s_mov_b32 s35, 0x3fe55555
	v_fma_f64 v[75:76], v[73:74], v[75:76], 1.0
	s_delay_alu instid0(VALU_DEP_1) | instskip(NEXT) | instid1(VALU_DEP_1)
	v_fma_f64 v[71:72], v[73:74], v[75:76], 1.0
	v_ldexp_f64 v[71:72], v[71:72], v96
	s_wait_alu 0xf1ff
	s_delay_alu instid0(VALU_DEP_1) | instskip(SKIP_2) | instid1(VALU_DEP_2)
	v_cndmask_b32_e64 v72, 0x7ff00000, v72, s31
	s_and_b32 s31, s34, s31
	s_wait_alu 0xfffe
	v_cndmask_b32_e64 v69, 0, v71, s31
	s_delay_alu instid0(VALU_DEP_2) | instskip(SKIP_1) | instid1(VALU_DEP_1)
	v_cndmask_b32_e64 v70, 0, v72, s34
	s_mov_b32 s34, 0x55555555
	v_add_f64_e32 v[71:72], 1.0, v[69:70]
	s_delay_alu instid0(VALU_DEP_1) | instskip(SKIP_3) | instid1(VALU_DEP_3)
	v_frexp_mant_f64_e32 v[73:74], v[71:72]
	v_frexp_exp_i32_f64_e32 v96, v[71:72]
	v_add_f64_e32 v[75:76], -1.0, v[71:72]
	s_wait_alu 0xfffe
	v_cmp_gt_f64_e64 s31, s[34:35], v[73:74]
	s_mov_b32 s34, 0x55555780
	v_add_f64_e64 v[73:74], v[75:76], -v[71:72]
	v_add_f64_e64 v[75:76], v[69:70], -v[75:76]
	s_wait_alu 0xf1ff
	v_subrev_co_ci_u32_e64 v112, null, 0, v96, s31
	s_delay_alu instid0(VALU_DEP_3) | instskip(SKIP_1) | instid1(VALU_DEP_3)
	v_add_f64_e32 v[73:74], 1.0, v[73:74]
	v_cmp_nge_f64_e64 s31, -1.0, v[69:70]
	v_sub_nc_u32_e32 v98, 0, v112
	s_delay_alu instid0(VALU_DEP_1) | instskip(NEXT) | instid1(VALU_DEP_4)
	v_ldexp_f64 v[71:72], v[71:72], v98
	v_add_f64_e32 v[73:74], v[75:76], v[73:74]
	s_delay_alu instid0(VALU_DEP_2) | instskip(SKIP_1) | instid1(VALU_DEP_3)
	v_add_f64_e32 v[96:97], 1.0, v[71:72]
	v_add_f64_e32 v[102:103], -1.0, v[71:72]
	v_ldexp_f64 v[73:74], v[73:74], v98
	s_delay_alu instid0(VALU_DEP_3) | instskip(NEXT) | instid1(VALU_DEP_3)
	v_add_f64_e32 v[75:76], -1.0, v[96:97]
	v_add_f64_e32 v[104:105], 1.0, v[102:103]
	s_delay_alu instid0(VALU_DEP_2) | instskip(NEXT) | instid1(VALU_DEP_2)
	v_add_f64_e64 v[75:76], v[71:72], -v[75:76]
	v_add_f64_e64 v[71:72], v[71:72], -v[104:105]
	s_delay_alu instid0(VALU_DEP_2) | instskip(NEXT) | instid1(VALU_DEP_2)
	v_add_f64_e32 v[75:76], v[73:74], v[75:76]
	v_add_f64_e32 v[71:72], v[73:74], v[71:72]
	s_delay_alu instid0(VALU_DEP_2) | instskip(NEXT) | instid1(VALU_DEP_2)
	v_add_f64_e32 v[98:99], v[96:97], v[75:76]
	v_add_f64_e32 v[104:105], v[102:103], v[71:72]
	s_delay_alu instid0(VALU_DEP_2) | instskip(SKIP_1) | instid1(VALU_DEP_2)
	v_rcp_f64_e32 v[100:101], v[98:99]
	v_add_f64_e64 v[96:97], v[98:99], -v[96:97]
	v_add_f64_e64 v[102:103], v[104:105], -v[102:103]
	s_delay_alu instid0(VALU_DEP_2) | instskip(NEXT) | instid1(TRANS32_DEP_1)
	v_add_f64_e64 v[75:76], v[75:76], -v[96:97]
	v_fma_f64 v[106:107], -v[98:99], v[100:101], 1.0
	s_delay_alu instid0(VALU_DEP_3) | instskip(NEXT) | instid1(VALU_DEP_2)
	v_add_f64_e64 v[71:72], v[71:72], -v[102:103]
	v_fma_f64 v[100:101], v[106:107], v[100:101], v[100:101]
	s_delay_alu instid0(VALU_DEP_1) | instskip(NEXT) | instid1(VALU_DEP_1)
	v_fma_f64 v[73:74], -v[98:99], v[100:101], 1.0
	v_fma_f64 v[73:74], v[73:74], v[100:101], v[100:101]
	s_delay_alu instid0(VALU_DEP_1) | instskip(NEXT) | instid1(VALU_DEP_1)
	v_mul_f64_e32 v[100:101], v[104:105], v[73:74]
	v_mul_f64_e32 v[106:107], v[98:99], v[100:101]
	s_delay_alu instid0(VALU_DEP_1) | instskip(NEXT) | instid1(VALU_DEP_1)
	v_fma_f64 v[96:97], v[100:101], v[98:99], -v[106:107]
	v_fma_f64 v[96:97], v[100:101], v[75:76], v[96:97]
	s_delay_alu instid0(VALU_DEP_1) | instskip(NEXT) | instid1(VALU_DEP_1)
	v_add_f64_e32 v[108:109], v[106:107], v[96:97]
	v_add_f64_e64 v[110:111], v[104:105], -v[108:109]
	v_add_f64_e64 v[102:103], v[108:109], -v[106:107]
	s_delay_alu instid0(VALU_DEP_2) | instskip(NEXT) | instid1(VALU_DEP_2)
	v_add_f64_e64 v[104:105], v[104:105], -v[110:111]
	v_add_f64_e64 v[96:97], v[102:103], -v[96:97]
	s_delay_alu instid0(VALU_DEP_2) | instskip(NEXT) | instid1(VALU_DEP_1)
	v_add_f64_e64 v[104:105], v[104:105], -v[108:109]
	v_add_f64_e32 v[71:72], v[71:72], v[104:105]
	s_delay_alu instid0(VALU_DEP_1) | instskip(NEXT) | instid1(VALU_DEP_1)
	v_add_f64_e32 v[71:72], v[96:97], v[71:72]
	v_add_f64_e32 v[96:97], v[110:111], v[71:72]
	s_delay_alu instid0(VALU_DEP_1) | instskip(SKIP_1) | instid1(VALU_DEP_2)
	v_mul_f64_e32 v[102:103], v[73:74], v[96:97]
	v_add_f64_e64 v[108:109], v[110:111], -v[96:97]
	v_mul_f64_e32 v[104:105], v[98:99], v[102:103]
	s_delay_alu instid0(VALU_DEP_2) | instskip(NEXT) | instid1(VALU_DEP_2)
	v_add_f64_e32 v[71:72], v[71:72], v[108:109]
	v_fma_f64 v[98:99], v[102:103], v[98:99], -v[104:105]
	s_delay_alu instid0(VALU_DEP_1) | instskip(NEXT) | instid1(VALU_DEP_1)
	v_fma_f64 v[75:76], v[102:103], v[75:76], v[98:99]
	v_add_f64_e32 v[98:99], v[104:105], v[75:76]
	s_delay_alu instid0(VALU_DEP_1) | instskip(SKIP_1) | instid1(VALU_DEP_2)
	v_add_f64_e64 v[106:107], v[96:97], -v[98:99]
	v_add_f64_e64 v[104:105], v[98:99], -v[104:105]
	;; [unrolled: 1-line block ×3, first 2 shown]
	s_delay_alu instid0(VALU_DEP_2) | instskip(NEXT) | instid1(VALU_DEP_2)
	v_add_f64_e64 v[75:76], v[104:105], -v[75:76]
	v_add_f64_e64 v[96:97], v[96:97], -v[98:99]
	s_delay_alu instid0(VALU_DEP_1) | instskip(SKIP_1) | instid1(VALU_DEP_2)
	v_add_f64_e32 v[71:72], v[71:72], v[96:97]
	v_add_f64_e32 v[96:97], v[100:101], v[102:103]
	;; [unrolled: 1-line block ×3, first 2 shown]
	s_delay_alu instid0(VALU_DEP_2) | instskip(NEXT) | instid1(VALU_DEP_2)
	v_add_f64_e64 v[75:76], v[96:97], -v[100:101]
	v_add_f64_e32 v[71:72], v[106:107], v[71:72]
	s_delay_alu instid0(VALU_DEP_2) | instskip(NEXT) | instid1(VALU_DEP_2)
	v_add_f64_e64 v[75:76], v[102:103], -v[75:76]
	v_mul_f64_e32 v[71:72], v[73:74], v[71:72]
	s_delay_alu instid0(VALU_DEP_1) | instskip(NEXT) | instid1(VALU_DEP_1)
	v_add_f64_e32 v[71:72], v[75:76], v[71:72]
	v_add_f64_e32 v[73:74], v[96:97], v[71:72]
	s_delay_alu instid0(VALU_DEP_1) | instskip(NEXT) | instid1(VALU_DEP_1)
	v_mul_f64_e32 v[75:76], v[73:74], v[73:74]
	v_fma_f64 v[98:99], v[75:76], s[44:45], s[42:43]
	s_mov_b32 s42, 0xd7f4df2e
	s_mov_b32 s43, 0x3fc7474d
	v_mul_f64_e32 v[100:101], v[73:74], v[75:76]
	s_wait_alu 0xfffe
	s_delay_alu instid0(VALU_DEP_2) | instskip(SKIP_3) | instid1(VALU_DEP_1)
	v_fma_f64 v[98:99], v[75:76], v[98:99], s[42:43]
	s_mov_b32 s42, 0x16291751
	s_mov_b32 s43, 0x3fcc71c0
	s_wait_alu 0xfffe
	v_fma_f64 v[98:99], v[75:76], v[98:99], s[42:43]
	s_mov_b32 s42, 0x9b27acf1
	s_mov_b32 s43, 0x3fd24924
	s_wait_alu 0xfffe
	s_delay_alu instid0(VALU_DEP_1) | instskip(SKIP_3) | instid1(VALU_DEP_1)
	v_fma_f64 v[98:99], v[75:76], v[98:99], s[42:43]
	s_mov_b32 s42, 0x998ef7b6
	s_mov_b32 s43, 0x3fd99999
	s_wait_alu 0xfffe
	v_fma_f64 v[98:99], v[75:76], v[98:99], s[42:43]
	s_delay_alu instid0(VALU_DEP_1)
	v_fma_f64 v[75:76], v[75:76], v[98:99], s[34:35]
	v_ldexp_f64 v[98:99], v[73:74], 1
	v_add_f64_e64 v[73:74], v[73:74], -v[96:97]
	v_cmp_neq_f64_e64 s34, 0x7ff00000, v[69:70]
	v_cmp_ngt_f64_e64 s35, -1.0, v[69:70]
	v_mul_f64_e32 v[75:76], v[100:101], v[75:76]
	v_cvt_f64_i32_e32 v[100:101], v112
	v_add_f64_e64 v[71:72], v[71:72], -v[73:74]
	s_and_b32 s31, s31, s34
	s_delay_alu instid0(VALU_DEP_3) | instskip(NEXT) | instid1(VALU_DEP_3)
	v_add_f64_e32 v[96:97], v[98:99], v[75:76]
	v_mul_f64_e32 v[102:103], s[36:37], v[100:101]
	s_delay_alu instid0(VALU_DEP_3) | instskip(NEXT) | instid1(VALU_DEP_3)
	v_ldexp_f64 v[71:72], v[71:72], 1
	v_add_f64_e64 v[73:74], v[96:97], -v[98:99]
	s_delay_alu instid0(VALU_DEP_3) | instskip(NEXT) | instid1(VALU_DEP_2)
	v_fma_f64 v[98:99], v[100:101], s[36:37], -v[102:103]
	v_add_f64_e64 v[73:74], v[75:76], -v[73:74]
	s_delay_alu instid0(VALU_DEP_2) | instskip(NEXT) | instid1(VALU_DEP_2)
	v_fma_f64 v[75:76], v[100:101], s[38:39], v[98:99]
	v_add_f64_e32 v[71:72], v[71:72], v[73:74]
	s_delay_alu instid0(VALU_DEP_2) | instskip(NEXT) | instid1(VALU_DEP_2)
	v_add_f64_e32 v[73:74], v[102:103], v[75:76]
	v_add_f64_e32 v[98:99], v[96:97], v[71:72]
	s_delay_alu instid0(VALU_DEP_2) | instskip(NEXT) | instid1(VALU_DEP_2)
	v_add_f64_e64 v[102:103], v[73:74], -v[102:103]
	v_add_f64_e32 v[100:101], v[73:74], v[98:99]
	v_add_f64_e64 v[96:97], v[98:99], -v[96:97]
	s_delay_alu instid0(VALU_DEP_3) | instskip(NEXT) | instid1(VALU_DEP_3)
	v_add_f64_e64 v[75:76], v[75:76], -v[102:103]
	v_add_f64_e64 v[104:105], v[100:101], -v[73:74]
	s_delay_alu instid0(VALU_DEP_3) | instskip(NEXT) | instid1(VALU_DEP_2)
	v_add_f64_e64 v[71:72], v[71:72], -v[96:97]
	v_add_f64_e64 v[106:107], v[100:101], -v[104:105]
	;; [unrolled: 1-line block ×3, first 2 shown]
	s_delay_alu instid0(VALU_DEP_3) | instskip(NEXT) | instid1(VALU_DEP_3)
	v_add_f64_e32 v[98:99], v[75:76], v[71:72]
	v_add_f64_e64 v[73:74], v[73:74], -v[106:107]
	s_delay_alu instid0(VALU_DEP_1) | instskip(NEXT) | instid1(VALU_DEP_3)
	v_add_f64_e32 v[73:74], v[96:97], v[73:74]
	v_add_f64_e64 v[96:97], v[98:99], -v[75:76]
	s_delay_alu instid0(VALU_DEP_2) | instskip(NEXT) | instid1(VALU_DEP_2)
	v_add_f64_e32 v[73:74], v[98:99], v[73:74]
	v_add_f64_e64 v[98:99], v[98:99], -v[96:97]
	v_add_f64_e64 v[71:72], v[71:72], -v[96:97]
	s_delay_alu instid0(VALU_DEP_3) | instskip(NEXT) | instid1(VALU_DEP_3)
	v_add_f64_e32 v[102:103], v[100:101], v[73:74]
	v_add_f64_e64 v[75:76], v[75:76], -v[98:99]
	s_delay_alu instid0(VALU_DEP_2) | instskip(NEXT) | instid1(VALU_DEP_2)
	v_add_f64_e64 v[96:97], v[102:103], -v[100:101]
	v_add_f64_e32 v[71:72], v[71:72], v[75:76]
	s_delay_alu instid0(VALU_DEP_2) | instskip(NEXT) | instid1(VALU_DEP_1)
	v_add_f64_e64 v[73:74], v[73:74], -v[96:97]
	v_add_f64_e32 v[71:72], v[71:72], v[73:74]
	s_delay_alu instid0(VALU_DEP_1) | instskip(SKIP_1) | instid1(VALU_DEP_1)
	v_add_f64_e32 v[71:72], v[102:103], v[71:72]
	s_wait_alu 0xfffe
	v_cndmask_b32_e64 v71, 0, v71, s31
	v_cmp_neq_f64_e64 s31, -1.0, v[69:70]
	s_delay_alu instid0(VALU_DEP_3) | instskip(NEXT) | instid1(VALU_DEP_1)
	v_cndmask_b32_e64 v72, 0x7ff00000, v72, s34
	v_cndmask_b32_e64 v72, 0x7ff80000, v72, s35
	s_wait_alu 0xf1ff
	s_delay_alu instid0(VALU_DEP_1) | instskip(NEXT) | instid1(VALU_DEP_1)
	v_cndmask_b32_e64 v72, 0xfff00000, v72, s31
	v_add_f64_e32 v[69:70], v[61:62], v[71:72]
.LBB80_60:
	s_wait_alu 0xfffe
	s_or_b32 exec_lo, exec_lo, s40
	v_max_num_f64_e32 v[61:62], v[7:8], v[7:8]
	s_delay_alu instid0(VALU_DEP_2) | instskip(SKIP_2) | instid1(VALU_DEP_3)
	v_max_num_f64_e32 v[71:72], v[69:70], v[69:70]
	v_cmp_u_f64_e64 s34, v[69:70], v[69:70]
	v_cmp_u_f64_e64 s31, v[7:8], v[7:8]
	v_min_num_f64_e32 v[73:74], v[71:72], v[61:62]
	v_max_num_f64_e32 v[71:72], v[71:72], v[61:62]
	s_wait_alu 0xf1ff
	s_delay_alu instid0(VALU_DEP_2) | instskip(NEXT) | instid1(VALU_DEP_3)
	v_cndmask_b32_e64 v73, v73, v69, s34
	v_cndmask_b32_e64 v74, v74, v70, s34
	s_delay_alu instid0(VALU_DEP_3) | instskip(NEXT) | instid1(VALU_DEP_4)
	v_cndmask_b32_e64 v72, v72, v70, s34
	v_cndmask_b32_e64 v71, v71, v69, s34
	s_delay_alu instid0(VALU_DEP_4) | instskip(NEXT) | instid1(VALU_DEP_4)
	v_cndmask_b32_e64 v73, v73, v7, s31
	v_cndmask_b32_e64 v74, v74, v8, s31
	s_delay_alu instid0(VALU_DEP_4) | instskip(NEXT) | instid1(VALU_DEP_4)
	v_cndmask_b32_e64 v72, v72, v8, s31
	v_cndmask_b32_e64 v71, v71, v7, s31
	s_delay_alu instid0(VALU_DEP_3) | instskip(NEXT) | instid1(VALU_DEP_2)
	v_cmp_class_f64_e64 s35, v[73:74], 0x1f8
	v_cmp_neq_f64_e64 s34, v[73:74], v[71:72]
	s_or_b32 s34, s34, s35
	s_wait_alu 0xfffe
	s_and_saveexec_b32 s40, s34
	s_cbranch_execz .LBB80_62
; %bb.61:
	v_add_f64_e64 v[69:70], v[73:74], -v[71:72]
	s_mov_b32 s34, 0x652b82fe
	s_mov_b32 s35, 0x3ff71547
	;; [unrolled: 1-line block ×10, first 2 shown]
	s_wait_alu 0xfffe
	s_delay_alu instid0(VALU_DEP_1) | instskip(SKIP_2) | instid1(VALU_DEP_1)
	v_mul_f64_e32 v[73:74], s[34:35], v[69:70]
	s_mov_b32 s34, 0xfca7ab0c
	s_mov_b32 s35, 0x3e928af3
	v_rndne_f64_e32 v[73:74], v[73:74]
	s_delay_alu instid0(VALU_DEP_1) | instskip(SKIP_2) | instid1(VALU_DEP_2)
	v_fma_f64 v[75:76], v[73:74], s[36:37], v[69:70]
	v_cvt_i32_f64_e32 v98, v[73:74]
	s_mov_b32 s37, 0x3fe62e42
	v_fma_f64 v[75:76], v[73:74], s[38:39], v[75:76]
	s_mov_b32 s39, 0x3c7abc9e
	s_wait_alu 0xfffe
	s_delay_alu instid0(VALU_DEP_1)
	v_fma_f64 v[96:97], v[75:76], s[42:43], s[34:35]
	s_mov_b32 s34, 0x623fde64
	s_mov_b32 s35, 0x3ec71dee
	;; [unrolled: 1-line block ×4, first 2 shown]
	s_wait_alu 0xfffe
	s_delay_alu instid0(VALU_DEP_1) | instskip(SKIP_3) | instid1(VALU_DEP_1)
	v_fma_f64 v[96:97], v[75:76], v[96:97], s[34:35]
	s_mov_b32 s34, 0x7c89e6b0
	s_mov_b32 s35, 0x3efa0199
	s_wait_alu 0xfffe
	v_fma_f64 v[96:97], v[75:76], v[96:97], s[34:35]
	s_mov_b32 s34, 0x14761f6e
	s_mov_b32 s35, 0x3f2a01a0
	s_wait_alu 0xfffe
	s_delay_alu instid0(VALU_DEP_1) | instskip(SKIP_3) | instid1(VALU_DEP_1)
	v_fma_f64 v[96:97], v[75:76], v[96:97], s[34:35]
	s_mov_b32 s34, 0x1852b7b0
	s_mov_b32 s35, 0x3f56c16c
	s_wait_alu 0xfffe
	v_fma_f64 v[96:97], v[75:76], v[96:97], s[34:35]
	s_mov_b32 s34, 0x11122322
	s_mov_b32 s35, 0x3f811111
	;; [unrolled: 9-line block ×3, first 2 shown]
	s_wait_alu 0xfffe
	s_delay_alu instid0(VALU_DEP_1) | instskip(SKIP_3) | instid1(VALU_DEP_1)
	v_fma_f64 v[96:97], v[75:76], v[96:97], s[34:35]
	s_mov_b32 s34, 11
	s_mov_b32 s35, 0x3fe00000
	s_wait_alu 0xfffe
	v_fma_f64 v[96:97], v[75:76], v[96:97], s[34:35]
	v_cmp_nlt_f64_e64 s34, 0x40900000, v[69:70]
	v_cmp_ngt_f64_e64 s35, 0xc090cc00, v[69:70]
	s_delay_alu instid0(VALU_DEP_3) | instskip(NEXT) | instid1(VALU_DEP_1)
	v_fma_f64 v[96:97], v[75:76], v[96:97], 1.0
	v_fma_f64 v[73:74], v[75:76], v[96:97], 1.0
	s_delay_alu instid0(VALU_DEP_1) | instskip(SKIP_1) | instid1(VALU_DEP_1)
	v_ldexp_f64 v[73:74], v[73:74], v98
	s_wait_alu 0xf1ff
	v_cndmask_b32_e64 v74, 0x7ff00000, v74, s34
	s_and_b32 s34, s35, s34
	s_wait_alu 0xfffe
	s_delay_alu instid0(VALU_DEP_2) | instskip(SKIP_3) | instid1(VALU_DEP_1)
	v_cndmask_b32_e64 v69, 0, v73, s34
	s_mov_b32 s34, 0x55555555
	v_cndmask_b32_e64 v70, 0, v74, s35
	s_mov_b32 s35, 0x3fe55555
	v_add_f64_e32 v[73:74], 1.0, v[69:70]
	s_delay_alu instid0(VALU_DEP_1) | instskip(SKIP_3) | instid1(VALU_DEP_3)
	v_frexp_mant_f64_e32 v[75:76], v[73:74]
	v_frexp_exp_i32_f64_e32 v98, v[73:74]
	v_add_f64_e32 v[96:97], -1.0, v[73:74]
	s_wait_alu 0xfffe
	v_cmp_gt_f64_e64 s34, s[34:35], v[75:76]
	s_delay_alu instid0(VALU_DEP_2) | instskip(SKIP_2) | instid1(VALU_DEP_3)
	v_add_f64_e64 v[75:76], v[96:97], -v[73:74]
	v_add_f64_e64 v[96:97], v[69:70], -v[96:97]
	s_wait_alu 0xf1ff
	v_subrev_co_ci_u32_e64 v114, null, 0, v98, s34
	s_delay_alu instid0(VALU_DEP_3) | instskip(SKIP_1) | instid1(VALU_DEP_2)
	v_add_f64_e32 v[75:76], 1.0, v[75:76]
	s_mov_b32 s34, 0x55555780
	v_sub_nc_u32_e32 v100, 0, v114
	s_delay_alu instid0(VALU_DEP_1) | instskip(NEXT) | instid1(VALU_DEP_3)
	v_ldexp_f64 v[73:74], v[73:74], v100
	v_add_f64_e32 v[75:76], v[96:97], v[75:76]
	s_delay_alu instid0(VALU_DEP_2) | instskip(SKIP_1) | instid1(VALU_DEP_3)
	v_add_f64_e32 v[98:99], 1.0, v[73:74]
	v_add_f64_e32 v[104:105], -1.0, v[73:74]
	v_ldexp_f64 v[75:76], v[75:76], v100
	s_delay_alu instid0(VALU_DEP_3) | instskip(NEXT) | instid1(VALU_DEP_3)
	v_add_f64_e32 v[96:97], -1.0, v[98:99]
	v_add_f64_e32 v[106:107], 1.0, v[104:105]
	s_delay_alu instid0(VALU_DEP_2) | instskip(NEXT) | instid1(VALU_DEP_2)
	v_add_f64_e64 v[96:97], v[73:74], -v[96:97]
	v_add_f64_e64 v[73:74], v[73:74], -v[106:107]
	s_delay_alu instid0(VALU_DEP_2) | instskip(NEXT) | instid1(VALU_DEP_2)
	v_add_f64_e32 v[96:97], v[75:76], v[96:97]
	v_add_f64_e32 v[73:74], v[75:76], v[73:74]
	s_delay_alu instid0(VALU_DEP_2) | instskip(NEXT) | instid1(VALU_DEP_2)
	v_add_f64_e32 v[100:101], v[98:99], v[96:97]
	v_add_f64_e32 v[106:107], v[104:105], v[73:74]
	s_delay_alu instid0(VALU_DEP_2) | instskip(SKIP_1) | instid1(VALU_DEP_2)
	v_rcp_f64_e32 v[102:103], v[100:101]
	v_add_f64_e64 v[98:99], v[100:101], -v[98:99]
	v_add_f64_e64 v[104:105], v[106:107], -v[104:105]
	s_delay_alu instid0(VALU_DEP_2) | instskip(NEXT) | instid1(TRANS32_DEP_1)
	v_add_f64_e64 v[96:97], v[96:97], -v[98:99]
	v_fma_f64 v[108:109], -v[100:101], v[102:103], 1.0
	s_delay_alu instid0(VALU_DEP_3) | instskip(NEXT) | instid1(VALU_DEP_2)
	v_add_f64_e64 v[73:74], v[73:74], -v[104:105]
	v_fma_f64 v[102:103], v[108:109], v[102:103], v[102:103]
	s_delay_alu instid0(VALU_DEP_1) | instskip(NEXT) | instid1(VALU_DEP_1)
	v_fma_f64 v[75:76], -v[100:101], v[102:103], 1.0
	v_fma_f64 v[75:76], v[75:76], v[102:103], v[102:103]
	s_delay_alu instid0(VALU_DEP_1) | instskip(NEXT) | instid1(VALU_DEP_1)
	v_mul_f64_e32 v[102:103], v[106:107], v[75:76]
	v_mul_f64_e32 v[108:109], v[100:101], v[102:103]
	s_delay_alu instid0(VALU_DEP_1) | instskip(NEXT) | instid1(VALU_DEP_1)
	v_fma_f64 v[98:99], v[102:103], v[100:101], -v[108:109]
	v_fma_f64 v[98:99], v[102:103], v[96:97], v[98:99]
	s_delay_alu instid0(VALU_DEP_1) | instskip(NEXT) | instid1(VALU_DEP_1)
	v_add_f64_e32 v[110:111], v[108:109], v[98:99]
	v_add_f64_e64 v[112:113], v[106:107], -v[110:111]
	v_add_f64_e64 v[104:105], v[110:111], -v[108:109]
	s_delay_alu instid0(VALU_DEP_2) | instskip(NEXT) | instid1(VALU_DEP_2)
	v_add_f64_e64 v[106:107], v[106:107], -v[112:113]
	v_add_f64_e64 v[98:99], v[104:105], -v[98:99]
	s_delay_alu instid0(VALU_DEP_2) | instskip(NEXT) | instid1(VALU_DEP_1)
	v_add_f64_e64 v[106:107], v[106:107], -v[110:111]
	v_add_f64_e32 v[73:74], v[73:74], v[106:107]
	s_delay_alu instid0(VALU_DEP_1) | instskip(NEXT) | instid1(VALU_DEP_1)
	v_add_f64_e32 v[73:74], v[98:99], v[73:74]
	v_add_f64_e32 v[98:99], v[112:113], v[73:74]
	s_delay_alu instid0(VALU_DEP_1) | instskip(SKIP_1) | instid1(VALU_DEP_2)
	v_mul_f64_e32 v[104:105], v[75:76], v[98:99]
	v_add_f64_e64 v[110:111], v[112:113], -v[98:99]
	v_mul_f64_e32 v[106:107], v[100:101], v[104:105]
	s_delay_alu instid0(VALU_DEP_2) | instskip(NEXT) | instid1(VALU_DEP_2)
	v_add_f64_e32 v[73:74], v[73:74], v[110:111]
	v_fma_f64 v[100:101], v[104:105], v[100:101], -v[106:107]
	s_delay_alu instid0(VALU_DEP_1) | instskip(NEXT) | instid1(VALU_DEP_1)
	v_fma_f64 v[96:97], v[104:105], v[96:97], v[100:101]
	v_add_f64_e32 v[100:101], v[106:107], v[96:97]
	s_delay_alu instid0(VALU_DEP_1) | instskip(SKIP_1) | instid1(VALU_DEP_2)
	v_add_f64_e64 v[108:109], v[98:99], -v[100:101]
	v_add_f64_e64 v[106:107], v[100:101], -v[106:107]
	;; [unrolled: 1-line block ×3, first 2 shown]
	s_delay_alu instid0(VALU_DEP_2) | instskip(NEXT) | instid1(VALU_DEP_2)
	v_add_f64_e64 v[96:97], v[106:107], -v[96:97]
	v_add_f64_e64 v[98:99], v[98:99], -v[100:101]
	s_delay_alu instid0(VALU_DEP_1) | instskip(SKIP_1) | instid1(VALU_DEP_2)
	v_add_f64_e32 v[73:74], v[73:74], v[98:99]
	v_add_f64_e32 v[98:99], v[102:103], v[104:105]
	;; [unrolled: 1-line block ×3, first 2 shown]
	s_delay_alu instid0(VALU_DEP_2) | instskip(NEXT) | instid1(VALU_DEP_2)
	v_add_f64_e64 v[96:97], v[98:99], -v[102:103]
	v_add_f64_e32 v[73:74], v[108:109], v[73:74]
	s_delay_alu instid0(VALU_DEP_2) | instskip(NEXT) | instid1(VALU_DEP_2)
	v_add_f64_e64 v[96:97], v[104:105], -v[96:97]
	v_mul_f64_e32 v[73:74], v[75:76], v[73:74]
	s_delay_alu instid0(VALU_DEP_1) | instskip(NEXT) | instid1(VALU_DEP_1)
	v_add_f64_e32 v[73:74], v[96:97], v[73:74]
	v_add_f64_e32 v[75:76], v[98:99], v[73:74]
	s_delay_alu instid0(VALU_DEP_1) | instskip(NEXT) | instid1(VALU_DEP_1)
	v_mul_f64_e32 v[96:97], v[75:76], v[75:76]
	v_fma_f64 v[100:101], v[96:97], s[44:45], s[42:43]
	s_mov_b32 s42, 0xd7f4df2e
	s_mov_b32 s43, 0x3fc7474d
	v_mul_f64_e32 v[102:103], v[75:76], v[96:97]
	s_wait_alu 0xfffe
	s_delay_alu instid0(VALU_DEP_2) | instskip(SKIP_3) | instid1(VALU_DEP_1)
	v_fma_f64 v[100:101], v[96:97], v[100:101], s[42:43]
	s_mov_b32 s42, 0x16291751
	s_mov_b32 s43, 0x3fcc71c0
	s_wait_alu 0xfffe
	v_fma_f64 v[100:101], v[96:97], v[100:101], s[42:43]
	s_mov_b32 s42, 0x9b27acf1
	s_mov_b32 s43, 0x3fd24924
	s_wait_alu 0xfffe
	s_delay_alu instid0(VALU_DEP_1) | instskip(SKIP_3) | instid1(VALU_DEP_1)
	v_fma_f64 v[100:101], v[96:97], v[100:101], s[42:43]
	s_mov_b32 s42, 0x998ef7b6
	s_mov_b32 s43, 0x3fd99999
	s_wait_alu 0xfffe
	v_fma_f64 v[100:101], v[96:97], v[100:101], s[42:43]
	s_delay_alu instid0(VALU_DEP_1)
	v_fma_f64 v[96:97], v[96:97], v[100:101], s[34:35]
	v_ldexp_f64 v[100:101], v[75:76], 1
	v_add_f64_e64 v[75:76], v[75:76], -v[98:99]
	v_cmp_nge_f64_e64 s34, -1.0, v[69:70]
	v_cmp_neq_f64_e64 s35, 0x7ff00000, v[69:70]
	v_mul_f64_e32 v[96:97], v[102:103], v[96:97]
	v_cvt_f64_i32_e32 v[102:103], v114
	v_add_f64_e64 v[73:74], v[73:74], -v[75:76]
	s_and_b32 s34, s34, s35
	s_delay_alu instid0(VALU_DEP_3) | instskip(NEXT) | instid1(VALU_DEP_3)
	v_add_f64_e32 v[98:99], v[100:101], v[96:97]
	v_mul_f64_e32 v[104:105], s[36:37], v[102:103]
	s_delay_alu instid0(VALU_DEP_3) | instskip(NEXT) | instid1(VALU_DEP_3)
	v_ldexp_f64 v[73:74], v[73:74], 1
	v_add_f64_e64 v[75:76], v[98:99], -v[100:101]
	s_delay_alu instid0(VALU_DEP_3) | instskip(SKIP_1) | instid1(VALU_DEP_3)
	v_fma_f64 v[100:101], v[102:103], s[36:37], -v[104:105]
	v_cmp_ngt_f64_e64 s36, -1.0, v[69:70]
	v_add_f64_e64 v[75:76], v[96:97], -v[75:76]
	s_delay_alu instid0(VALU_DEP_3) | instskip(NEXT) | instid1(VALU_DEP_2)
	v_fma_f64 v[96:97], v[102:103], s[38:39], v[100:101]
	v_add_f64_e32 v[73:74], v[73:74], v[75:76]
	s_delay_alu instid0(VALU_DEP_2) | instskip(NEXT) | instid1(VALU_DEP_2)
	v_add_f64_e32 v[75:76], v[104:105], v[96:97]
	v_add_f64_e32 v[100:101], v[98:99], v[73:74]
	s_delay_alu instid0(VALU_DEP_2) | instskip(NEXT) | instid1(VALU_DEP_2)
	v_add_f64_e64 v[104:105], v[75:76], -v[104:105]
	v_add_f64_e32 v[102:103], v[75:76], v[100:101]
	v_add_f64_e64 v[98:99], v[100:101], -v[98:99]
	s_delay_alu instid0(VALU_DEP_3) | instskip(NEXT) | instid1(VALU_DEP_3)
	v_add_f64_e64 v[96:97], v[96:97], -v[104:105]
	v_add_f64_e64 v[106:107], v[102:103], -v[75:76]
	s_delay_alu instid0(VALU_DEP_3) | instskip(NEXT) | instid1(VALU_DEP_2)
	v_add_f64_e64 v[73:74], v[73:74], -v[98:99]
	v_add_f64_e64 v[108:109], v[102:103], -v[106:107]
	;; [unrolled: 1-line block ×3, first 2 shown]
	s_delay_alu instid0(VALU_DEP_3) | instskip(NEXT) | instid1(VALU_DEP_3)
	v_add_f64_e32 v[100:101], v[96:97], v[73:74]
	v_add_f64_e64 v[75:76], v[75:76], -v[108:109]
	s_delay_alu instid0(VALU_DEP_1) | instskip(NEXT) | instid1(VALU_DEP_3)
	v_add_f64_e32 v[75:76], v[98:99], v[75:76]
	v_add_f64_e64 v[98:99], v[100:101], -v[96:97]
	s_delay_alu instid0(VALU_DEP_2) | instskip(NEXT) | instid1(VALU_DEP_2)
	v_add_f64_e32 v[75:76], v[100:101], v[75:76]
	v_add_f64_e64 v[100:101], v[100:101], -v[98:99]
	v_add_f64_e64 v[73:74], v[73:74], -v[98:99]
	s_delay_alu instid0(VALU_DEP_3) | instskip(NEXT) | instid1(VALU_DEP_3)
	v_add_f64_e32 v[104:105], v[102:103], v[75:76]
	v_add_f64_e64 v[96:97], v[96:97], -v[100:101]
	s_delay_alu instid0(VALU_DEP_2) | instskip(NEXT) | instid1(VALU_DEP_2)
	v_add_f64_e64 v[98:99], v[104:105], -v[102:103]
	v_add_f64_e32 v[73:74], v[73:74], v[96:97]
	s_delay_alu instid0(VALU_DEP_2) | instskip(NEXT) | instid1(VALU_DEP_1)
	v_add_f64_e64 v[75:76], v[75:76], -v[98:99]
	v_add_f64_e32 v[73:74], v[73:74], v[75:76]
	s_delay_alu instid0(VALU_DEP_1) | instskip(SKIP_1) | instid1(VALU_DEP_1)
	v_add_f64_e32 v[73:74], v[104:105], v[73:74]
	s_wait_alu 0xfffe
	v_cndmask_b32_e64 v73, 0, v73, s34
	v_cmp_neq_f64_e64 s34, -1.0, v[69:70]
	s_delay_alu instid0(VALU_DEP_3) | instskip(SKIP_1) | instid1(VALU_DEP_1)
	v_cndmask_b32_e64 v74, 0x7ff00000, v74, s35
	s_wait_alu 0xf1ff
	v_cndmask_b32_e64 v74, 0x7ff80000, v74, s36
	s_delay_alu instid0(VALU_DEP_1) | instskip(NEXT) | instid1(VALU_DEP_1)
	v_cndmask_b32_e64 v74, 0xfff00000, v74, s34
	v_add_f64_e32 v[69:70], v[71:72], v[73:74]
.LBB80_62:
	s_wait_alu 0xfffe
	s_or_b32 exec_lo, exec_lo, s40
	s_load_b64 s[36:37], s[0:1], 0x20
	v_mbcnt_lo_u32_b32 v96, -1, 0
	s_delay_alu instid0(VALU_DEP_2) | instskip(NEXT) | instid1(VALU_DEP_3)
	v_mov_b32_dpp v71, v69 row_shr:1 row_mask:0xf bank_mask:0xf
	v_mov_b32_dpp v72, v70 row_shr:1 row_mask:0xf bank_mask:0xf
	v_dual_mov_b32 v73, v69 :: v_dual_mov_b32 v74, v70
	s_delay_alu instid0(VALU_DEP_4) | instskip(SKIP_1) | instid1(VALU_DEP_1)
	v_and_b32_e32 v75, 15, v96
	s_mov_b32 s40, exec_lo
	v_cmpx_ne_u32_e32 0, v75
	s_cbranch_execz .LBB80_66
; %bb.63:
	v_max_num_f64_e32 v[73:74], v[71:72], v[71:72]
	v_max_num_f64_e32 v[97:98], v[69:70], v[69:70]
	v_cmp_u_f64_e64 s0, v[71:72], v[71:72]
	v_cmp_u_f64_e64 s1, v[69:70], v[69:70]
	s_delay_alu instid0(VALU_DEP_3) | instskip(SKIP_1) | instid1(VALU_DEP_2)
	v_min_num_f64_e32 v[99:100], v[73:74], v[97:98]
	v_max_num_f64_e32 v[73:74], v[73:74], v[97:98]
	v_cndmask_b32_e64 v76, v100, v72, s0
	s_delay_alu instid0(VALU_DEP_3) | instskip(NEXT) | instid1(VALU_DEP_3)
	v_cndmask_b32_e64 v97, v99, v71, s0
	v_cndmask_b32_e64 v98, v74, v72, s0
	s_delay_alu instid0(VALU_DEP_4) | instskip(NEXT) | instid1(VALU_DEP_4)
	v_cndmask_b32_e64 v99, v73, v71, s0
	v_cndmask_b32_e64 v74, v76, v70, s1
	s_delay_alu instid0(VALU_DEP_4) | instskip(NEXT) | instid1(VALU_DEP_4)
	v_cndmask_b32_e64 v73, v97, v69, s1
	v_cndmask_b32_e64 v70, v98, v70, s1
	s_delay_alu instid0(VALU_DEP_4) | instskip(NEXT) | instid1(VALU_DEP_3)
	v_cndmask_b32_e64 v69, v99, v69, s1
	v_cmp_class_f64_e64 s1, v[73:74], 0x1f8
	s_delay_alu instid0(VALU_DEP_2)
	v_cmp_neq_f64_e64 s0, v[73:74], v[69:70]
	s_or_b32 s0, s0, s1
	s_wait_alu 0xfffe
	s_and_saveexec_b32 s41, s0
	s_cbranch_execz .LBB80_65
; %bb.64:
	v_add_f64_e64 v[71:72], v[73:74], -v[69:70]
	s_mov_b32 s0, 0x652b82fe
	s_mov_b32 s1, 0x3ff71547
	;; [unrolled: 1-line block ×10, first 2 shown]
	s_wait_alu 0xfffe
	s_delay_alu instid0(VALU_DEP_1) | instskip(SKIP_2) | instid1(VALU_DEP_1)
	v_mul_f64_e32 v[73:74], s[0:1], v[71:72]
	s_mov_b32 s0, 0xfca7ab0c
	s_mov_b32 s1, 0x3e928af3
	v_rndne_f64_e32 v[73:74], v[73:74]
	s_delay_alu instid0(VALU_DEP_1) | instskip(SKIP_2) | instid1(VALU_DEP_2)
	v_fma_f64 v[97:98], v[73:74], s[34:35], v[71:72]
	v_cvt_i32_f64_e32 v76, v[73:74]
	s_mov_b32 s35, 0x3fe62e42
	v_fma_f64 v[97:98], v[73:74], s[38:39], v[97:98]
	s_mov_b32 s39, 0x3c7abc9e
	s_wait_alu 0xfffe
	s_delay_alu instid0(VALU_DEP_1)
	v_fma_f64 v[99:100], v[97:98], s[42:43], s[0:1]
	s_mov_b32 s0, 0x623fde64
	s_mov_b32 s1, 0x3ec71dee
	;; [unrolled: 1-line block ×4, first 2 shown]
	s_wait_alu 0xfffe
	s_delay_alu instid0(VALU_DEP_1) | instskip(SKIP_3) | instid1(VALU_DEP_1)
	v_fma_f64 v[99:100], v[97:98], v[99:100], s[0:1]
	s_mov_b32 s0, 0x7c89e6b0
	s_mov_b32 s1, 0x3efa0199
	s_wait_alu 0xfffe
	v_fma_f64 v[99:100], v[97:98], v[99:100], s[0:1]
	s_mov_b32 s0, 0x14761f6e
	s_mov_b32 s1, 0x3f2a01a0
	s_wait_alu 0xfffe
	s_delay_alu instid0(VALU_DEP_1) | instskip(SKIP_3) | instid1(VALU_DEP_1)
	v_fma_f64 v[99:100], v[97:98], v[99:100], s[0:1]
	s_mov_b32 s0, 0x1852b7b0
	s_mov_b32 s1, 0x3f56c16c
	s_wait_alu 0xfffe
	v_fma_f64 v[99:100], v[97:98], v[99:100], s[0:1]
	s_mov_b32 s0, 0x11122322
	s_mov_b32 s1, 0x3f811111
	;; [unrolled: 9-line block ×3, first 2 shown]
	s_wait_alu 0xfffe
	s_delay_alu instid0(VALU_DEP_1) | instskip(SKIP_3) | instid1(VALU_DEP_1)
	v_fma_f64 v[99:100], v[97:98], v[99:100], s[0:1]
	s_mov_b32 s0, 11
	s_mov_b32 s1, 0x3fe00000
	s_wait_alu 0xfffe
	v_fma_f64 v[99:100], v[97:98], v[99:100], s[0:1]
	v_cmp_nlt_f64_e64 s0, 0x40900000, v[71:72]
	v_cmp_ngt_f64_e64 s1, 0xc090cc00, v[71:72]
	s_delay_alu instid0(VALU_DEP_3) | instskip(NEXT) | instid1(VALU_DEP_1)
	v_fma_f64 v[99:100], v[97:98], v[99:100], 1.0
	v_fma_f64 v[73:74], v[97:98], v[99:100], 1.0
	s_delay_alu instid0(VALU_DEP_1) | instskip(SKIP_1) | instid1(VALU_DEP_1)
	v_ldexp_f64 v[73:74], v[73:74], v76
	s_wait_alu 0xf1ff
	v_cndmask_b32_e64 v74, 0x7ff00000, v74, s0
	s_and_b32 s0, s1, s0
	s_wait_alu 0xfffe
	s_delay_alu instid0(VALU_DEP_2) | instskip(SKIP_3) | instid1(VALU_DEP_1)
	v_cndmask_b32_e64 v71, 0, v73, s0
	s_mov_b32 s0, 0x55555555
	v_cndmask_b32_e64 v72, 0, v74, s1
	s_mov_b32 s1, 0x3fe55555
	v_add_f64_e32 v[73:74], 1.0, v[71:72]
	s_delay_alu instid0(VALU_DEP_1) | instskip(SKIP_3) | instid1(VALU_DEP_3)
	v_frexp_mant_f64_e32 v[97:98], v[73:74]
	v_frexp_exp_i32_f64_e32 v76, v[73:74]
	v_add_f64_e32 v[99:100], -1.0, v[73:74]
	s_wait_alu 0xfffe
	v_cmp_gt_f64_e64 s0, s[0:1], v[97:98]
	s_delay_alu instid0(VALU_DEP_2) | instskip(SKIP_2) | instid1(VALU_DEP_3)
	v_add_f64_e64 v[97:98], v[99:100], -v[73:74]
	v_add_f64_e64 v[99:100], v[71:72], -v[99:100]
	s_wait_alu 0xf1ff
	v_subrev_co_ci_u32_e64 v76, null, 0, v76, s0
	s_delay_alu instid0(VALU_DEP_3) | instskip(SKIP_1) | instid1(VALU_DEP_2)
	v_add_f64_e32 v[97:98], 1.0, v[97:98]
	s_mov_b32 s0, 0x55555780
	v_sub_nc_u32_e32 v103, 0, v76
	s_delay_alu instid0(VALU_DEP_1) | instskip(NEXT) | instid1(VALU_DEP_3)
	v_ldexp_f64 v[73:74], v[73:74], v103
	v_add_f64_e32 v[97:98], v[99:100], v[97:98]
	s_delay_alu instid0(VALU_DEP_2) | instskip(SKIP_1) | instid1(VALU_DEP_3)
	v_add_f64_e32 v[101:102], 1.0, v[73:74]
	v_add_f64_e32 v[107:108], -1.0, v[73:74]
	v_ldexp_f64 v[97:98], v[97:98], v103
	s_delay_alu instid0(VALU_DEP_3) | instskip(NEXT) | instid1(VALU_DEP_3)
	v_add_f64_e32 v[99:100], -1.0, v[101:102]
	v_add_f64_e32 v[109:110], 1.0, v[107:108]
	s_delay_alu instid0(VALU_DEP_2) | instskip(NEXT) | instid1(VALU_DEP_2)
	v_add_f64_e64 v[99:100], v[73:74], -v[99:100]
	v_add_f64_e64 v[73:74], v[73:74], -v[109:110]
	s_delay_alu instid0(VALU_DEP_2) | instskip(NEXT) | instid1(VALU_DEP_2)
	v_add_f64_e32 v[99:100], v[97:98], v[99:100]
	v_add_f64_e32 v[73:74], v[97:98], v[73:74]
	s_delay_alu instid0(VALU_DEP_2) | instskip(NEXT) | instid1(VALU_DEP_2)
	v_add_f64_e32 v[103:104], v[101:102], v[99:100]
	v_add_f64_e32 v[109:110], v[107:108], v[73:74]
	s_delay_alu instid0(VALU_DEP_2) | instskip(SKIP_1) | instid1(VALU_DEP_2)
	v_rcp_f64_e32 v[105:106], v[103:104]
	v_add_f64_e64 v[101:102], v[103:104], -v[101:102]
	v_add_f64_e64 v[107:108], v[109:110], -v[107:108]
	s_delay_alu instid0(VALU_DEP_2) | instskip(NEXT) | instid1(TRANS32_DEP_1)
	v_add_f64_e64 v[99:100], v[99:100], -v[101:102]
	v_fma_f64 v[111:112], -v[103:104], v[105:106], 1.0
	s_delay_alu instid0(VALU_DEP_3) | instskip(NEXT) | instid1(VALU_DEP_2)
	v_add_f64_e64 v[73:74], v[73:74], -v[107:108]
	v_fma_f64 v[105:106], v[111:112], v[105:106], v[105:106]
	s_delay_alu instid0(VALU_DEP_1) | instskip(NEXT) | instid1(VALU_DEP_1)
	v_fma_f64 v[97:98], -v[103:104], v[105:106], 1.0
	v_fma_f64 v[97:98], v[97:98], v[105:106], v[105:106]
	s_delay_alu instid0(VALU_DEP_1) | instskip(NEXT) | instid1(VALU_DEP_1)
	v_mul_f64_e32 v[105:106], v[109:110], v[97:98]
	v_mul_f64_e32 v[111:112], v[103:104], v[105:106]
	s_delay_alu instid0(VALU_DEP_1) | instskip(NEXT) | instid1(VALU_DEP_1)
	v_fma_f64 v[101:102], v[105:106], v[103:104], -v[111:112]
	v_fma_f64 v[101:102], v[105:106], v[99:100], v[101:102]
	s_delay_alu instid0(VALU_DEP_1) | instskip(NEXT) | instid1(VALU_DEP_1)
	v_add_f64_e32 v[113:114], v[111:112], v[101:102]
	v_add_f64_e64 v[115:116], v[109:110], -v[113:114]
	v_add_f64_e64 v[107:108], v[113:114], -v[111:112]
	s_delay_alu instid0(VALU_DEP_2) | instskip(NEXT) | instid1(VALU_DEP_2)
	v_add_f64_e64 v[109:110], v[109:110], -v[115:116]
	v_add_f64_e64 v[101:102], v[107:108], -v[101:102]
	s_delay_alu instid0(VALU_DEP_2) | instskip(NEXT) | instid1(VALU_DEP_1)
	v_add_f64_e64 v[109:110], v[109:110], -v[113:114]
	v_add_f64_e32 v[73:74], v[73:74], v[109:110]
	s_delay_alu instid0(VALU_DEP_1) | instskip(NEXT) | instid1(VALU_DEP_1)
	v_add_f64_e32 v[73:74], v[101:102], v[73:74]
	v_add_f64_e32 v[101:102], v[115:116], v[73:74]
	s_delay_alu instid0(VALU_DEP_1) | instskip(SKIP_1) | instid1(VALU_DEP_2)
	v_mul_f64_e32 v[107:108], v[97:98], v[101:102]
	v_add_f64_e64 v[113:114], v[115:116], -v[101:102]
	v_mul_f64_e32 v[109:110], v[103:104], v[107:108]
	s_delay_alu instid0(VALU_DEP_2) | instskip(NEXT) | instid1(VALU_DEP_2)
	v_add_f64_e32 v[73:74], v[73:74], v[113:114]
	v_fma_f64 v[103:104], v[107:108], v[103:104], -v[109:110]
	s_delay_alu instid0(VALU_DEP_1) | instskip(NEXT) | instid1(VALU_DEP_1)
	v_fma_f64 v[99:100], v[107:108], v[99:100], v[103:104]
	v_add_f64_e32 v[103:104], v[109:110], v[99:100]
	s_delay_alu instid0(VALU_DEP_1) | instskip(SKIP_1) | instid1(VALU_DEP_2)
	v_add_f64_e64 v[111:112], v[101:102], -v[103:104]
	v_add_f64_e64 v[109:110], v[103:104], -v[109:110]
	;; [unrolled: 1-line block ×3, first 2 shown]
	s_delay_alu instid0(VALU_DEP_2) | instskip(NEXT) | instid1(VALU_DEP_2)
	v_add_f64_e64 v[99:100], v[109:110], -v[99:100]
	v_add_f64_e64 v[101:102], v[101:102], -v[103:104]
	s_delay_alu instid0(VALU_DEP_1) | instskip(SKIP_1) | instid1(VALU_DEP_2)
	v_add_f64_e32 v[73:74], v[73:74], v[101:102]
	v_add_f64_e32 v[101:102], v[105:106], v[107:108]
	;; [unrolled: 1-line block ×3, first 2 shown]
	s_delay_alu instid0(VALU_DEP_2) | instskip(NEXT) | instid1(VALU_DEP_2)
	v_add_f64_e64 v[99:100], v[101:102], -v[105:106]
	v_add_f64_e32 v[73:74], v[111:112], v[73:74]
	s_delay_alu instid0(VALU_DEP_2) | instskip(NEXT) | instid1(VALU_DEP_2)
	v_add_f64_e64 v[99:100], v[107:108], -v[99:100]
	v_mul_f64_e32 v[73:74], v[97:98], v[73:74]
	s_delay_alu instid0(VALU_DEP_1) | instskip(NEXT) | instid1(VALU_DEP_1)
	v_add_f64_e32 v[73:74], v[99:100], v[73:74]
	v_add_f64_e32 v[97:98], v[101:102], v[73:74]
	s_delay_alu instid0(VALU_DEP_1) | instskip(NEXT) | instid1(VALU_DEP_1)
	v_mul_f64_e32 v[99:100], v[97:98], v[97:98]
	v_fma_f64 v[103:104], v[99:100], s[44:45], s[42:43]
	s_mov_b32 s42, 0xd7f4df2e
	s_mov_b32 s43, 0x3fc7474d
	v_mul_f64_e32 v[105:106], v[97:98], v[99:100]
	s_wait_alu 0xfffe
	s_delay_alu instid0(VALU_DEP_2) | instskip(SKIP_3) | instid1(VALU_DEP_1)
	v_fma_f64 v[103:104], v[99:100], v[103:104], s[42:43]
	s_mov_b32 s42, 0x16291751
	s_mov_b32 s43, 0x3fcc71c0
	s_wait_alu 0xfffe
	v_fma_f64 v[103:104], v[99:100], v[103:104], s[42:43]
	s_mov_b32 s42, 0x9b27acf1
	s_mov_b32 s43, 0x3fd24924
	s_wait_alu 0xfffe
	s_delay_alu instid0(VALU_DEP_1) | instskip(SKIP_3) | instid1(VALU_DEP_1)
	v_fma_f64 v[103:104], v[99:100], v[103:104], s[42:43]
	s_mov_b32 s42, 0x998ef7b6
	s_mov_b32 s43, 0x3fd99999
	s_wait_alu 0xfffe
	v_fma_f64 v[103:104], v[99:100], v[103:104], s[42:43]
	s_delay_alu instid0(VALU_DEP_1)
	v_fma_f64 v[99:100], v[99:100], v[103:104], s[0:1]
	v_ldexp_f64 v[103:104], v[97:98], 1
	v_add_f64_e64 v[97:98], v[97:98], -v[101:102]
	v_cmp_nge_f64_e64 s0, -1.0, v[71:72]
	v_cmp_neq_f64_e64 s1, 0x7ff00000, v[71:72]
	v_mul_f64_e32 v[99:100], v[105:106], v[99:100]
	v_cvt_f64_i32_e32 v[105:106], v76
	v_add_f64_e64 v[73:74], v[73:74], -v[97:98]
	s_and_b32 s0, s0, s1
	s_delay_alu instid0(VALU_DEP_3) | instskip(NEXT) | instid1(VALU_DEP_3)
	v_add_f64_e32 v[101:102], v[103:104], v[99:100]
	v_mul_f64_e32 v[107:108], s[34:35], v[105:106]
	s_delay_alu instid0(VALU_DEP_3) | instskip(NEXT) | instid1(VALU_DEP_3)
	v_ldexp_f64 v[73:74], v[73:74], 1
	v_add_f64_e64 v[97:98], v[101:102], -v[103:104]
	s_delay_alu instid0(VALU_DEP_3) | instskip(SKIP_1) | instid1(VALU_DEP_3)
	v_fma_f64 v[103:104], v[105:106], s[34:35], -v[107:108]
	v_cmp_ngt_f64_e64 s34, -1.0, v[71:72]
	v_add_f64_e64 v[97:98], v[99:100], -v[97:98]
	s_delay_alu instid0(VALU_DEP_3) | instskip(NEXT) | instid1(VALU_DEP_2)
	v_fma_f64 v[99:100], v[105:106], s[38:39], v[103:104]
	v_add_f64_e32 v[73:74], v[73:74], v[97:98]
	s_delay_alu instid0(VALU_DEP_2) | instskip(NEXT) | instid1(VALU_DEP_2)
	v_add_f64_e32 v[97:98], v[107:108], v[99:100]
	v_add_f64_e32 v[103:104], v[101:102], v[73:74]
	s_delay_alu instid0(VALU_DEP_2) | instskip(NEXT) | instid1(VALU_DEP_2)
	v_add_f64_e64 v[107:108], v[97:98], -v[107:108]
	v_add_f64_e32 v[105:106], v[97:98], v[103:104]
	v_add_f64_e64 v[101:102], v[103:104], -v[101:102]
	s_delay_alu instid0(VALU_DEP_3) | instskip(NEXT) | instid1(VALU_DEP_3)
	v_add_f64_e64 v[99:100], v[99:100], -v[107:108]
	v_add_f64_e64 v[109:110], v[105:106], -v[97:98]
	s_delay_alu instid0(VALU_DEP_3) | instskip(NEXT) | instid1(VALU_DEP_2)
	v_add_f64_e64 v[73:74], v[73:74], -v[101:102]
	v_add_f64_e64 v[111:112], v[105:106], -v[109:110]
	;; [unrolled: 1-line block ×3, first 2 shown]
	s_delay_alu instid0(VALU_DEP_3) | instskip(NEXT) | instid1(VALU_DEP_3)
	v_add_f64_e32 v[103:104], v[99:100], v[73:74]
	v_add_f64_e64 v[97:98], v[97:98], -v[111:112]
	s_delay_alu instid0(VALU_DEP_1) | instskip(NEXT) | instid1(VALU_DEP_3)
	v_add_f64_e32 v[97:98], v[101:102], v[97:98]
	v_add_f64_e64 v[101:102], v[103:104], -v[99:100]
	s_delay_alu instid0(VALU_DEP_2) | instskip(NEXT) | instid1(VALU_DEP_2)
	v_add_f64_e32 v[97:98], v[103:104], v[97:98]
	v_add_f64_e64 v[103:104], v[103:104], -v[101:102]
	v_add_f64_e64 v[73:74], v[73:74], -v[101:102]
	s_delay_alu instid0(VALU_DEP_3) | instskip(NEXT) | instid1(VALU_DEP_3)
	v_add_f64_e32 v[107:108], v[105:106], v[97:98]
	v_add_f64_e64 v[99:100], v[99:100], -v[103:104]
	s_delay_alu instid0(VALU_DEP_2) | instskip(NEXT) | instid1(VALU_DEP_2)
	v_add_f64_e64 v[101:102], v[107:108], -v[105:106]
	v_add_f64_e32 v[73:74], v[73:74], v[99:100]
	s_delay_alu instid0(VALU_DEP_2) | instskip(NEXT) | instid1(VALU_DEP_1)
	v_add_f64_e64 v[97:98], v[97:98], -v[101:102]
	v_add_f64_e32 v[73:74], v[73:74], v[97:98]
	s_delay_alu instid0(VALU_DEP_1) | instskip(SKIP_1) | instid1(VALU_DEP_1)
	v_add_f64_e32 v[73:74], v[107:108], v[73:74]
	s_wait_alu 0xfffe
	v_cndmask_b32_e64 v73, 0, v73, s0
	v_cmp_neq_f64_e64 s0, -1.0, v[71:72]
	s_delay_alu instid0(VALU_DEP_3) | instskip(SKIP_1) | instid1(VALU_DEP_1)
	v_cndmask_b32_e64 v74, 0x7ff00000, v74, s1
	s_wait_alu 0xf1ff
	v_cndmask_b32_e64 v74, 0x7ff80000, v74, s34
	s_delay_alu instid0(VALU_DEP_1) | instskip(NEXT) | instid1(VALU_DEP_1)
	v_cndmask_b32_e64 v74, 0xfff00000, v74, s0
	v_add_f64_e32 v[71:72], v[69:70], v[73:74]
.LBB80_65:
	s_wait_alu 0xfffe
	s_or_b32 exec_lo, exec_lo, s41
	s_delay_alu instid0(VALU_DEP_1)
	v_dual_mov_b32 v73, v71 :: v_dual_mov_b32 v74, v72
	v_dual_mov_b32 v69, v71 :: v_dual_mov_b32 v70, v72
.LBB80_66:
	s_wait_alu 0xfffe
	s_or_b32 exec_lo, exec_lo, s40
	s_delay_alu instid0(VALU_DEP_2)
	v_mov_b32_dpp v71, v73 row_shr:2 row_mask:0xf bank_mask:0xf
	v_mov_b32_dpp v72, v74 row_shr:2 row_mask:0xf bank_mask:0xf
	s_mov_b32 s40, exec_lo
	v_cmpx_lt_u32_e32 1, v75
	s_cbranch_execz .LBB80_70
; %bb.67:
	s_delay_alu instid0(VALU_DEP_2) | instskip(SKIP_3) | instid1(VALU_DEP_3)
	v_max_num_f64_e32 v[73:74], v[71:72], v[71:72]
	v_max_num_f64_e32 v[97:98], v[69:70], v[69:70]
	v_cmp_u_f64_e64 s0, v[71:72], v[71:72]
	v_cmp_u_f64_e64 s1, v[69:70], v[69:70]
	v_min_num_f64_e32 v[99:100], v[73:74], v[97:98]
	v_max_num_f64_e32 v[73:74], v[73:74], v[97:98]
	s_wait_alu 0xf1ff
	s_delay_alu instid0(VALU_DEP_2) | instskip(NEXT) | instid1(VALU_DEP_3)
	v_cndmask_b32_e64 v76, v100, v72, s0
	v_cndmask_b32_e64 v97, v99, v71, s0
	s_delay_alu instid0(VALU_DEP_3) | instskip(NEXT) | instid1(VALU_DEP_4)
	v_cndmask_b32_e64 v98, v74, v72, s0
	v_cndmask_b32_e64 v99, v73, v71, s0
	s_delay_alu instid0(VALU_DEP_4) | instskip(NEXT) | instid1(VALU_DEP_4)
	v_cndmask_b32_e64 v74, v76, v70, s1
	v_cndmask_b32_e64 v73, v97, v69, s1
	s_delay_alu instid0(VALU_DEP_4) | instskip(NEXT) | instid1(VALU_DEP_4)
	v_cndmask_b32_e64 v70, v98, v70, s1
	v_cndmask_b32_e64 v69, v99, v69, s1
	s_delay_alu instid0(VALU_DEP_3) | instskip(NEXT) | instid1(VALU_DEP_2)
	v_cmp_class_f64_e64 s1, v[73:74], 0x1f8
	v_cmp_neq_f64_e64 s0, v[73:74], v[69:70]
	s_or_b32 s0, s0, s1
	s_wait_alu 0xfffe
	s_and_saveexec_b32 s41, s0
	s_cbranch_execz .LBB80_69
; %bb.68:
	v_add_f64_e64 v[71:72], v[73:74], -v[69:70]
	s_mov_b32 s0, 0x652b82fe
	s_mov_b32 s1, 0x3ff71547
	;; [unrolled: 1-line block ×10, first 2 shown]
	s_wait_alu 0xfffe
	s_delay_alu instid0(VALU_DEP_1) | instskip(SKIP_2) | instid1(VALU_DEP_1)
	v_mul_f64_e32 v[73:74], s[0:1], v[71:72]
	s_mov_b32 s0, 0xfca7ab0c
	s_mov_b32 s1, 0x3e928af3
	v_rndne_f64_e32 v[73:74], v[73:74]
	s_delay_alu instid0(VALU_DEP_1) | instskip(SKIP_2) | instid1(VALU_DEP_2)
	v_fma_f64 v[97:98], v[73:74], s[34:35], v[71:72]
	v_cvt_i32_f64_e32 v76, v[73:74]
	s_mov_b32 s35, 0x3fe62e42
	v_fma_f64 v[97:98], v[73:74], s[38:39], v[97:98]
	s_mov_b32 s39, 0x3c7abc9e
	s_wait_alu 0xfffe
	s_delay_alu instid0(VALU_DEP_1)
	v_fma_f64 v[99:100], v[97:98], s[42:43], s[0:1]
	s_mov_b32 s0, 0x623fde64
	s_mov_b32 s1, 0x3ec71dee
	;; [unrolled: 1-line block ×4, first 2 shown]
	s_wait_alu 0xfffe
	s_delay_alu instid0(VALU_DEP_1) | instskip(SKIP_3) | instid1(VALU_DEP_1)
	v_fma_f64 v[99:100], v[97:98], v[99:100], s[0:1]
	s_mov_b32 s0, 0x7c89e6b0
	s_mov_b32 s1, 0x3efa0199
	s_wait_alu 0xfffe
	v_fma_f64 v[99:100], v[97:98], v[99:100], s[0:1]
	s_mov_b32 s0, 0x14761f6e
	s_mov_b32 s1, 0x3f2a01a0
	s_wait_alu 0xfffe
	s_delay_alu instid0(VALU_DEP_1) | instskip(SKIP_3) | instid1(VALU_DEP_1)
	v_fma_f64 v[99:100], v[97:98], v[99:100], s[0:1]
	s_mov_b32 s0, 0x1852b7b0
	s_mov_b32 s1, 0x3f56c16c
	s_wait_alu 0xfffe
	v_fma_f64 v[99:100], v[97:98], v[99:100], s[0:1]
	s_mov_b32 s0, 0x11122322
	s_mov_b32 s1, 0x3f811111
	s_wait_alu 0xfffe
	s_delay_alu instid0(VALU_DEP_1) | instskip(SKIP_3) | instid1(VALU_DEP_1)
	v_fma_f64 v[99:100], v[97:98], v[99:100], s[0:1]
	s_mov_b32 s0, 0x555502a1
	s_mov_b32 s1, 0x3fa55555
	s_wait_alu 0xfffe
	v_fma_f64 v[99:100], v[97:98], v[99:100], s[0:1]
	s_mov_b32 s0, 0x55555511
	s_mov_b32 s1, 0x3fc55555
	s_wait_alu 0xfffe
	s_delay_alu instid0(VALU_DEP_1) | instskip(SKIP_3) | instid1(VALU_DEP_1)
	v_fma_f64 v[99:100], v[97:98], v[99:100], s[0:1]
	s_mov_b32 s0, 11
	s_mov_b32 s1, 0x3fe00000
	s_wait_alu 0xfffe
	v_fma_f64 v[99:100], v[97:98], v[99:100], s[0:1]
	v_cmp_nlt_f64_e64 s0, 0x40900000, v[71:72]
	v_cmp_ngt_f64_e64 s1, 0xc090cc00, v[71:72]
	s_delay_alu instid0(VALU_DEP_3) | instskip(NEXT) | instid1(VALU_DEP_1)
	v_fma_f64 v[99:100], v[97:98], v[99:100], 1.0
	v_fma_f64 v[73:74], v[97:98], v[99:100], 1.0
	s_delay_alu instid0(VALU_DEP_1) | instskip(SKIP_1) | instid1(VALU_DEP_1)
	v_ldexp_f64 v[73:74], v[73:74], v76
	s_wait_alu 0xf1ff
	v_cndmask_b32_e64 v74, 0x7ff00000, v74, s0
	s_and_b32 s0, s1, s0
	s_wait_alu 0xfffe
	s_delay_alu instid0(VALU_DEP_2) | instskip(SKIP_3) | instid1(VALU_DEP_1)
	v_cndmask_b32_e64 v71, 0, v73, s0
	s_mov_b32 s0, 0x55555555
	v_cndmask_b32_e64 v72, 0, v74, s1
	s_mov_b32 s1, 0x3fe55555
	v_add_f64_e32 v[73:74], 1.0, v[71:72]
	s_delay_alu instid0(VALU_DEP_1) | instskip(SKIP_3) | instid1(VALU_DEP_3)
	v_frexp_mant_f64_e32 v[97:98], v[73:74]
	v_frexp_exp_i32_f64_e32 v76, v[73:74]
	v_add_f64_e32 v[99:100], -1.0, v[73:74]
	s_wait_alu 0xfffe
	v_cmp_gt_f64_e64 s0, s[0:1], v[97:98]
	s_delay_alu instid0(VALU_DEP_2) | instskip(SKIP_2) | instid1(VALU_DEP_3)
	v_add_f64_e64 v[97:98], v[99:100], -v[73:74]
	v_add_f64_e64 v[99:100], v[71:72], -v[99:100]
	s_wait_alu 0xf1ff
	v_subrev_co_ci_u32_e64 v76, null, 0, v76, s0
	s_delay_alu instid0(VALU_DEP_3) | instskip(SKIP_1) | instid1(VALU_DEP_2)
	v_add_f64_e32 v[97:98], 1.0, v[97:98]
	s_mov_b32 s0, 0x55555780
	v_sub_nc_u32_e32 v103, 0, v76
	s_delay_alu instid0(VALU_DEP_1) | instskip(NEXT) | instid1(VALU_DEP_3)
	v_ldexp_f64 v[73:74], v[73:74], v103
	v_add_f64_e32 v[97:98], v[99:100], v[97:98]
	s_delay_alu instid0(VALU_DEP_2) | instskip(SKIP_1) | instid1(VALU_DEP_3)
	v_add_f64_e32 v[101:102], 1.0, v[73:74]
	v_add_f64_e32 v[107:108], -1.0, v[73:74]
	v_ldexp_f64 v[97:98], v[97:98], v103
	s_delay_alu instid0(VALU_DEP_3) | instskip(NEXT) | instid1(VALU_DEP_3)
	v_add_f64_e32 v[99:100], -1.0, v[101:102]
	v_add_f64_e32 v[109:110], 1.0, v[107:108]
	s_delay_alu instid0(VALU_DEP_2) | instskip(NEXT) | instid1(VALU_DEP_2)
	v_add_f64_e64 v[99:100], v[73:74], -v[99:100]
	v_add_f64_e64 v[73:74], v[73:74], -v[109:110]
	s_delay_alu instid0(VALU_DEP_2) | instskip(NEXT) | instid1(VALU_DEP_2)
	v_add_f64_e32 v[99:100], v[97:98], v[99:100]
	v_add_f64_e32 v[73:74], v[97:98], v[73:74]
	s_delay_alu instid0(VALU_DEP_2) | instskip(NEXT) | instid1(VALU_DEP_2)
	v_add_f64_e32 v[103:104], v[101:102], v[99:100]
	v_add_f64_e32 v[109:110], v[107:108], v[73:74]
	s_delay_alu instid0(VALU_DEP_2) | instskip(SKIP_1) | instid1(VALU_DEP_2)
	v_rcp_f64_e32 v[105:106], v[103:104]
	v_add_f64_e64 v[101:102], v[103:104], -v[101:102]
	v_add_f64_e64 v[107:108], v[109:110], -v[107:108]
	s_delay_alu instid0(VALU_DEP_2) | instskip(NEXT) | instid1(TRANS32_DEP_1)
	v_add_f64_e64 v[99:100], v[99:100], -v[101:102]
	v_fma_f64 v[111:112], -v[103:104], v[105:106], 1.0
	s_delay_alu instid0(VALU_DEP_3) | instskip(NEXT) | instid1(VALU_DEP_2)
	v_add_f64_e64 v[73:74], v[73:74], -v[107:108]
	v_fma_f64 v[105:106], v[111:112], v[105:106], v[105:106]
	s_delay_alu instid0(VALU_DEP_1) | instskip(NEXT) | instid1(VALU_DEP_1)
	v_fma_f64 v[97:98], -v[103:104], v[105:106], 1.0
	v_fma_f64 v[97:98], v[97:98], v[105:106], v[105:106]
	s_delay_alu instid0(VALU_DEP_1) | instskip(NEXT) | instid1(VALU_DEP_1)
	v_mul_f64_e32 v[105:106], v[109:110], v[97:98]
	v_mul_f64_e32 v[111:112], v[103:104], v[105:106]
	s_delay_alu instid0(VALU_DEP_1) | instskip(NEXT) | instid1(VALU_DEP_1)
	v_fma_f64 v[101:102], v[105:106], v[103:104], -v[111:112]
	v_fma_f64 v[101:102], v[105:106], v[99:100], v[101:102]
	s_delay_alu instid0(VALU_DEP_1) | instskip(NEXT) | instid1(VALU_DEP_1)
	v_add_f64_e32 v[113:114], v[111:112], v[101:102]
	v_add_f64_e64 v[115:116], v[109:110], -v[113:114]
	v_add_f64_e64 v[107:108], v[113:114], -v[111:112]
	s_delay_alu instid0(VALU_DEP_2) | instskip(NEXT) | instid1(VALU_DEP_2)
	v_add_f64_e64 v[109:110], v[109:110], -v[115:116]
	v_add_f64_e64 v[101:102], v[107:108], -v[101:102]
	s_delay_alu instid0(VALU_DEP_2) | instskip(NEXT) | instid1(VALU_DEP_1)
	v_add_f64_e64 v[109:110], v[109:110], -v[113:114]
	v_add_f64_e32 v[73:74], v[73:74], v[109:110]
	s_delay_alu instid0(VALU_DEP_1) | instskip(NEXT) | instid1(VALU_DEP_1)
	v_add_f64_e32 v[73:74], v[101:102], v[73:74]
	v_add_f64_e32 v[101:102], v[115:116], v[73:74]
	s_delay_alu instid0(VALU_DEP_1) | instskip(SKIP_1) | instid1(VALU_DEP_2)
	v_mul_f64_e32 v[107:108], v[97:98], v[101:102]
	v_add_f64_e64 v[113:114], v[115:116], -v[101:102]
	v_mul_f64_e32 v[109:110], v[103:104], v[107:108]
	s_delay_alu instid0(VALU_DEP_2) | instskip(NEXT) | instid1(VALU_DEP_2)
	v_add_f64_e32 v[73:74], v[73:74], v[113:114]
	v_fma_f64 v[103:104], v[107:108], v[103:104], -v[109:110]
	s_delay_alu instid0(VALU_DEP_1) | instskip(NEXT) | instid1(VALU_DEP_1)
	v_fma_f64 v[99:100], v[107:108], v[99:100], v[103:104]
	v_add_f64_e32 v[103:104], v[109:110], v[99:100]
	s_delay_alu instid0(VALU_DEP_1) | instskip(SKIP_1) | instid1(VALU_DEP_2)
	v_add_f64_e64 v[111:112], v[101:102], -v[103:104]
	v_add_f64_e64 v[109:110], v[103:104], -v[109:110]
	;; [unrolled: 1-line block ×3, first 2 shown]
	s_delay_alu instid0(VALU_DEP_2) | instskip(NEXT) | instid1(VALU_DEP_2)
	v_add_f64_e64 v[99:100], v[109:110], -v[99:100]
	v_add_f64_e64 v[101:102], v[101:102], -v[103:104]
	s_delay_alu instid0(VALU_DEP_1) | instskip(SKIP_1) | instid1(VALU_DEP_2)
	v_add_f64_e32 v[73:74], v[73:74], v[101:102]
	v_add_f64_e32 v[101:102], v[105:106], v[107:108]
	;; [unrolled: 1-line block ×3, first 2 shown]
	s_delay_alu instid0(VALU_DEP_2) | instskip(NEXT) | instid1(VALU_DEP_2)
	v_add_f64_e64 v[99:100], v[101:102], -v[105:106]
	v_add_f64_e32 v[73:74], v[111:112], v[73:74]
	s_delay_alu instid0(VALU_DEP_2) | instskip(NEXT) | instid1(VALU_DEP_2)
	v_add_f64_e64 v[99:100], v[107:108], -v[99:100]
	v_mul_f64_e32 v[73:74], v[97:98], v[73:74]
	s_delay_alu instid0(VALU_DEP_1) | instskip(NEXT) | instid1(VALU_DEP_1)
	v_add_f64_e32 v[73:74], v[99:100], v[73:74]
	v_add_f64_e32 v[97:98], v[101:102], v[73:74]
	s_delay_alu instid0(VALU_DEP_1) | instskip(NEXT) | instid1(VALU_DEP_1)
	v_mul_f64_e32 v[99:100], v[97:98], v[97:98]
	v_fma_f64 v[103:104], v[99:100], s[44:45], s[42:43]
	s_mov_b32 s42, 0xd7f4df2e
	s_mov_b32 s43, 0x3fc7474d
	v_mul_f64_e32 v[105:106], v[97:98], v[99:100]
	s_wait_alu 0xfffe
	s_delay_alu instid0(VALU_DEP_2) | instskip(SKIP_3) | instid1(VALU_DEP_1)
	v_fma_f64 v[103:104], v[99:100], v[103:104], s[42:43]
	s_mov_b32 s42, 0x16291751
	s_mov_b32 s43, 0x3fcc71c0
	s_wait_alu 0xfffe
	v_fma_f64 v[103:104], v[99:100], v[103:104], s[42:43]
	s_mov_b32 s42, 0x9b27acf1
	s_mov_b32 s43, 0x3fd24924
	s_wait_alu 0xfffe
	s_delay_alu instid0(VALU_DEP_1) | instskip(SKIP_3) | instid1(VALU_DEP_1)
	v_fma_f64 v[103:104], v[99:100], v[103:104], s[42:43]
	s_mov_b32 s42, 0x998ef7b6
	s_mov_b32 s43, 0x3fd99999
	s_wait_alu 0xfffe
	v_fma_f64 v[103:104], v[99:100], v[103:104], s[42:43]
	s_delay_alu instid0(VALU_DEP_1)
	v_fma_f64 v[99:100], v[99:100], v[103:104], s[0:1]
	v_ldexp_f64 v[103:104], v[97:98], 1
	v_add_f64_e64 v[97:98], v[97:98], -v[101:102]
	v_cmp_nge_f64_e64 s0, -1.0, v[71:72]
	v_cmp_neq_f64_e64 s1, 0x7ff00000, v[71:72]
	v_mul_f64_e32 v[99:100], v[105:106], v[99:100]
	v_cvt_f64_i32_e32 v[105:106], v76
	v_add_f64_e64 v[73:74], v[73:74], -v[97:98]
	s_and_b32 s0, s0, s1
	s_delay_alu instid0(VALU_DEP_3) | instskip(NEXT) | instid1(VALU_DEP_3)
	v_add_f64_e32 v[101:102], v[103:104], v[99:100]
	v_mul_f64_e32 v[107:108], s[34:35], v[105:106]
	s_delay_alu instid0(VALU_DEP_3) | instskip(NEXT) | instid1(VALU_DEP_3)
	v_ldexp_f64 v[73:74], v[73:74], 1
	v_add_f64_e64 v[97:98], v[101:102], -v[103:104]
	s_delay_alu instid0(VALU_DEP_3) | instskip(SKIP_1) | instid1(VALU_DEP_3)
	v_fma_f64 v[103:104], v[105:106], s[34:35], -v[107:108]
	v_cmp_ngt_f64_e64 s34, -1.0, v[71:72]
	v_add_f64_e64 v[97:98], v[99:100], -v[97:98]
	s_delay_alu instid0(VALU_DEP_3) | instskip(NEXT) | instid1(VALU_DEP_2)
	v_fma_f64 v[99:100], v[105:106], s[38:39], v[103:104]
	v_add_f64_e32 v[73:74], v[73:74], v[97:98]
	s_delay_alu instid0(VALU_DEP_2) | instskip(NEXT) | instid1(VALU_DEP_2)
	v_add_f64_e32 v[97:98], v[107:108], v[99:100]
	v_add_f64_e32 v[103:104], v[101:102], v[73:74]
	s_delay_alu instid0(VALU_DEP_2) | instskip(NEXT) | instid1(VALU_DEP_2)
	v_add_f64_e64 v[107:108], v[97:98], -v[107:108]
	v_add_f64_e32 v[105:106], v[97:98], v[103:104]
	v_add_f64_e64 v[101:102], v[103:104], -v[101:102]
	s_delay_alu instid0(VALU_DEP_3) | instskip(NEXT) | instid1(VALU_DEP_3)
	v_add_f64_e64 v[99:100], v[99:100], -v[107:108]
	v_add_f64_e64 v[109:110], v[105:106], -v[97:98]
	s_delay_alu instid0(VALU_DEP_3) | instskip(NEXT) | instid1(VALU_DEP_2)
	v_add_f64_e64 v[73:74], v[73:74], -v[101:102]
	v_add_f64_e64 v[111:112], v[105:106], -v[109:110]
	;; [unrolled: 1-line block ×3, first 2 shown]
	s_delay_alu instid0(VALU_DEP_3) | instskip(NEXT) | instid1(VALU_DEP_3)
	v_add_f64_e32 v[103:104], v[99:100], v[73:74]
	v_add_f64_e64 v[97:98], v[97:98], -v[111:112]
	s_delay_alu instid0(VALU_DEP_1) | instskip(NEXT) | instid1(VALU_DEP_3)
	v_add_f64_e32 v[97:98], v[101:102], v[97:98]
	v_add_f64_e64 v[101:102], v[103:104], -v[99:100]
	s_delay_alu instid0(VALU_DEP_2) | instskip(NEXT) | instid1(VALU_DEP_2)
	v_add_f64_e32 v[97:98], v[103:104], v[97:98]
	v_add_f64_e64 v[103:104], v[103:104], -v[101:102]
	v_add_f64_e64 v[73:74], v[73:74], -v[101:102]
	s_delay_alu instid0(VALU_DEP_3) | instskip(NEXT) | instid1(VALU_DEP_3)
	v_add_f64_e32 v[107:108], v[105:106], v[97:98]
	v_add_f64_e64 v[99:100], v[99:100], -v[103:104]
	s_delay_alu instid0(VALU_DEP_2) | instskip(NEXT) | instid1(VALU_DEP_2)
	v_add_f64_e64 v[101:102], v[107:108], -v[105:106]
	v_add_f64_e32 v[73:74], v[73:74], v[99:100]
	s_delay_alu instid0(VALU_DEP_2) | instskip(NEXT) | instid1(VALU_DEP_1)
	v_add_f64_e64 v[97:98], v[97:98], -v[101:102]
	v_add_f64_e32 v[73:74], v[73:74], v[97:98]
	s_delay_alu instid0(VALU_DEP_1) | instskip(SKIP_1) | instid1(VALU_DEP_1)
	v_add_f64_e32 v[73:74], v[107:108], v[73:74]
	s_wait_alu 0xfffe
	v_cndmask_b32_e64 v73, 0, v73, s0
	v_cmp_neq_f64_e64 s0, -1.0, v[71:72]
	s_delay_alu instid0(VALU_DEP_3) | instskip(SKIP_1) | instid1(VALU_DEP_1)
	v_cndmask_b32_e64 v74, 0x7ff00000, v74, s1
	s_wait_alu 0xf1ff
	v_cndmask_b32_e64 v74, 0x7ff80000, v74, s34
	s_delay_alu instid0(VALU_DEP_1) | instskip(NEXT) | instid1(VALU_DEP_1)
	v_cndmask_b32_e64 v74, 0xfff00000, v74, s0
	v_add_f64_e32 v[71:72], v[69:70], v[73:74]
.LBB80_69:
	s_wait_alu 0xfffe
	s_or_b32 exec_lo, exec_lo, s41
	s_delay_alu instid0(VALU_DEP_1)
	v_dual_mov_b32 v69, v71 :: v_dual_mov_b32 v70, v72
	v_dual_mov_b32 v73, v71 :: v_dual_mov_b32 v74, v72
.LBB80_70:
	s_wait_alu 0xfffe
	s_or_b32 exec_lo, exec_lo, s40
	s_delay_alu instid0(VALU_DEP_1) | instskip(NEXT) | instid1(VALU_DEP_2)
	v_mov_b32_dpp v71, v73 row_shr:4 row_mask:0xf bank_mask:0xf
	v_mov_b32_dpp v72, v74 row_shr:4 row_mask:0xf bank_mask:0xf
	s_mov_b32 s40, exec_lo
	v_cmpx_lt_u32_e32 3, v75
	s_cbranch_execz .LBB80_74
; %bb.71:
	s_delay_alu instid0(VALU_DEP_2) | instskip(SKIP_3) | instid1(VALU_DEP_3)
	v_max_num_f64_e32 v[73:74], v[71:72], v[71:72]
	v_max_num_f64_e32 v[97:98], v[69:70], v[69:70]
	v_cmp_u_f64_e64 s0, v[71:72], v[71:72]
	v_cmp_u_f64_e64 s1, v[69:70], v[69:70]
	v_min_num_f64_e32 v[99:100], v[73:74], v[97:98]
	v_max_num_f64_e32 v[73:74], v[73:74], v[97:98]
	s_wait_alu 0xf1ff
	s_delay_alu instid0(VALU_DEP_2) | instskip(NEXT) | instid1(VALU_DEP_3)
	v_cndmask_b32_e64 v76, v100, v72, s0
	v_cndmask_b32_e64 v97, v99, v71, s0
	s_delay_alu instid0(VALU_DEP_3) | instskip(NEXT) | instid1(VALU_DEP_4)
	v_cndmask_b32_e64 v98, v74, v72, s0
	v_cndmask_b32_e64 v99, v73, v71, s0
	s_delay_alu instid0(VALU_DEP_4) | instskip(NEXT) | instid1(VALU_DEP_4)
	v_cndmask_b32_e64 v74, v76, v70, s1
	v_cndmask_b32_e64 v73, v97, v69, s1
	s_delay_alu instid0(VALU_DEP_4) | instskip(NEXT) | instid1(VALU_DEP_4)
	v_cndmask_b32_e64 v70, v98, v70, s1
	v_cndmask_b32_e64 v69, v99, v69, s1
	s_delay_alu instid0(VALU_DEP_3) | instskip(NEXT) | instid1(VALU_DEP_2)
	v_cmp_class_f64_e64 s1, v[73:74], 0x1f8
	v_cmp_neq_f64_e64 s0, v[73:74], v[69:70]
	s_or_b32 s0, s0, s1
	s_wait_alu 0xfffe
	s_and_saveexec_b32 s41, s0
	s_cbranch_execz .LBB80_73
; %bb.72:
	v_add_f64_e64 v[71:72], v[73:74], -v[69:70]
	s_mov_b32 s0, 0x652b82fe
	s_mov_b32 s1, 0x3ff71547
	;; [unrolled: 1-line block ×10, first 2 shown]
	s_wait_alu 0xfffe
	s_delay_alu instid0(VALU_DEP_1) | instskip(SKIP_2) | instid1(VALU_DEP_1)
	v_mul_f64_e32 v[73:74], s[0:1], v[71:72]
	s_mov_b32 s0, 0xfca7ab0c
	s_mov_b32 s1, 0x3e928af3
	v_rndne_f64_e32 v[73:74], v[73:74]
	s_delay_alu instid0(VALU_DEP_1) | instskip(SKIP_2) | instid1(VALU_DEP_2)
	v_fma_f64 v[97:98], v[73:74], s[34:35], v[71:72]
	v_cvt_i32_f64_e32 v76, v[73:74]
	s_mov_b32 s35, 0x3fe62e42
	v_fma_f64 v[97:98], v[73:74], s[38:39], v[97:98]
	s_mov_b32 s39, 0x3c7abc9e
	s_wait_alu 0xfffe
	s_delay_alu instid0(VALU_DEP_1)
	v_fma_f64 v[99:100], v[97:98], s[42:43], s[0:1]
	s_mov_b32 s0, 0x623fde64
	s_mov_b32 s1, 0x3ec71dee
	;; [unrolled: 1-line block ×4, first 2 shown]
	s_wait_alu 0xfffe
	s_delay_alu instid0(VALU_DEP_1) | instskip(SKIP_3) | instid1(VALU_DEP_1)
	v_fma_f64 v[99:100], v[97:98], v[99:100], s[0:1]
	s_mov_b32 s0, 0x7c89e6b0
	s_mov_b32 s1, 0x3efa0199
	s_wait_alu 0xfffe
	v_fma_f64 v[99:100], v[97:98], v[99:100], s[0:1]
	s_mov_b32 s0, 0x14761f6e
	s_mov_b32 s1, 0x3f2a01a0
	s_wait_alu 0xfffe
	s_delay_alu instid0(VALU_DEP_1) | instskip(SKIP_3) | instid1(VALU_DEP_1)
	v_fma_f64 v[99:100], v[97:98], v[99:100], s[0:1]
	s_mov_b32 s0, 0x1852b7b0
	s_mov_b32 s1, 0x3f56c16c
	s_wait_alu 0xfffe
	v_fma_f64 v[99:100], v[97:98], v[99:100], s[0:1]
	s_mov_b32 s0, 0x11122322
	s_mov_b32 s1, 0x3f811111
	;; [unrolled: 9-line block ×3, first 2 shown]
	s_wait_alu 0xfffe
	s_delay_alu instid0(VALU_DEP_1) | instskip(SKIP_3) | instid1(VALU_DEP_1)
	v_fma_f64 v[99:100], v[97:98], v[99:100], s[0:1]
	s_mov_b32 s0, 11
	s_mov_b32 s1, 0x3fe00000
	s_wait_alu 0xfffe
	v_fma_f64 v[99:100], v[97:98], v[99:100], s[0:1]
	v_cmp_nlt_f64_e64 s0, 0x40900000, v[71:72]
	v_cmp_ngt_f64_e64 s1, 0xc090cc00, v[71:72]
	s_delay_alu instid0(VALU_DEP_3) | instskip(NEXT) | instid1(VALU_DEP_1)
	v_fma_f64 v[99:100], v[97:98], v[99:100], 1.0
	v_fma_f64 v[73:74], v[97:98], v[99:100], 1.0
	s_delay_alu instid0(VALU_DEP_1) | instskip(SKIP_1) | instid1(VALU_DEP_1)
	v_ldexp_f64 v[73:74], v[73:74], v76
	s_wait_alu 0xf1ff
	v_cndmask_b32_e64 v74, 0x7ff00000, v74, s0
	s_and_b32 s0, s1, s0
	s_wait_alu 0xfffe
	s_delay_alu instid0(VALU_DEP_2) | instskip(SKIP_3) | instid1(VALU_DEP_1)
	v_cndmask_b32_e64 v71, 0, v73, s0
	s_mov_b32 s0, 0x55555555
	v_cndmask_b32_e64 v72, 0, v74, s1
	s_mov_b32 s1, 0x3fe55555
	v_add_f64_e32 v[73:74], 1.0, v[71:72]
	s_delay_alu instid0(VALU_DEP_1) | instskip(SKIP_3) | instid1(VALU_DEP_3)
	v_frexp_mant_f64_e32 v[97:98], v[73:74]
	v_frexp_exp_i32_f64_e32 v76, v[73:74]
	v_add_f64_e32 v[99:100], -1.0, v[73:74]
	s_wait_alu 0xfffe
	v_cmp_gt_f64_e64 s0, s[0:1], v[97:98]
	s_delay_alu instid0(VALU_DEP_2) | instskip(SKIP_2) | instid1(VALU_DEP_3)
	v_add_f64_e64 v[97:98], v[99:100], -v[73:74]
	v_add_f64_e64 v[99:100], v[71:72], -v[99:100]
	s_wait_alu 0xf1ff
	v_subrev_co_ci_u32_e64 v76, null, 0, v76, s0
	s_delay_alu instid0(VALU_DEP_3) | instskip(SKIP_1) | instid1(VALU_DEP_2)
	v_add_f64_e32 v[97:98], 1.0, v[97:98]
	s_mov_b32 s0, 0x55555780
	v_sub_nc_u32_e32 v103, 0, v76
	s_delay_alu instid0(VALU_DEP_1) | instskip(NEXT) | instid1(VALU_DEP_3)
	v_ldexp_f64 v[73:74], v[73:74], v103
	v_add_f64_e32 v[97:98], v[99:100], v[97:98]
	s_delay_alu instid0(VALU_DEP_2) | instskip(SKIP_1) | instid1(VALU_DEP_3)
	v_add_f64_e32 v[101:102], 1.0, v[73:74]
	v_add_f64_e32 v[107:108], -1.0, v[73:74]
	v_ldexp_f64 v[97:98], v[97:98], v103
	s_delay_alu instid0(VALU_DEP_3) | instskip(NEXT) | instid1(VALU_DEP_3)
	v_add_f64_e32 v[99:100], -1.0, v[101:102]
	v_add_f64_e32 v[109:110], 1.0, v[107:108]
	s_delay_alu instid0(VALU_DEP_2) | instskip(NEXT) | instid1(VALU_DEP_2)
	v_add_f64_e64 v[99:100], v[73:74], -v[99:100]
	v_add_f64_e64 v[73:74], v[73:74], -v[109:110]
	s_delay_alu instid0(VALU_DEP_2) | instskip(NEXT) | instid1(VALU_DEP_2)
	v_add_f64_e32 v[99:100], v[97:98], v[99:100]
	v_add_f64_e32 v[73:74], v[97:98], v[73:74]
	s_delay_alu instid0(VALU_DEP_2) | instskip(NEXT) | instid1(VALU_DEP_2)
	v_add_f64_e32 v[103:104], v[101:102], v[99:100]
	v_add_f64_e32 v[109:110], v[107:108], v[73:74]
	s_delay_alu instid0(VALU_DEP_2) | instskip(SKIP_1) | instid1(VALU_DEP_2)
	v_rcp_f64_e32 v[105:106], v[103:104]
	v_add_f64_e64 v[101:102], v[103:104], -v[101:102]
	v_add_f64_e64 v[107:108], v[109:110], -v[107:108]
	s_delay_alu instid0(VALU_DEP_2) | instskip(NEXT) | instid1(TRANS32_DEP_1)
	v_add_f64_e64 v[99:100], v[99:100], -v[101:102]
	v_fma_f64 v[111:112], -v[103:104], v[105:106], 1.0
	s_delay_alu instid0(VALU_DEP_3) | instskip(NEXT) | instid1(VALU_DEP_2)
	v_add_f64_e64 v[73:74], v[73:74], -v[107:108]
	v_fma_f64 v[105:106], v[111:112], v[105:106], v[105:106]
	s_delay_alu instid0(VALU_DEP_1) | instskip(NEXT) | instid1(VALU_DEP_1)
	v_fma_f64 v[97:98], -v[103:104], v[105:106], 1.0
	v_fma_f64 v[97:98], v[97:98], v[105:106], v[105:106]
	s_delay_alu instid0(VALU_DEP_1) | instskip(NEXT) | instid1(VALU_DEP_1)
	v_mul_f64_e32 v[105:106], v[109:110], v[97:98]
	v_mul_f64_e32 v[111:112], v[103:104], v[105:106]
	s_delay_alu instid0(VALU_DEP_1) | instskip(NEXT) | instid1(VALU_DEP_1)
	v_fma_f64 v[101:102], v[105:106], v[103:104], -v[111:112]
	v_fma_f64 v[101:102], v[105:106], v[99:100], v[101:102]
	s_delay_alu instid0(VALU_DEP_1) | instskip(NEXT) | instid1(VALU_DEP_1)
	v_add_f64_e32 v[113:114], v[111:112], v[101:102]
	v_add_f64_e64 v[115:116], v[109:110], -v[113:114]
	v_add_f64_e64 v[107:108], v[113:114], -v[111:112]
	s_delay_alu instid0(VALU_DEP_2) | instskip(NEXT) | instid1(VALU_DEP_2)
	v_add_f64_e64 v[109:110], v[109:110], -v[115:116]
	v_add_f64_e64 v[101:102], v[107:108], -v[101:102]
	s_delay_alu instid0(VALU_DEP_2) | instskip(NEXT) | instid1(VALU_DEP_1)
	v_add_f64_e64 v[109:110], v[109:110], -v[113:114]
	v_add_f64_e32 v[73:74], v[73:74], v[109:110]
	s_delay_alu instid0(VALU_DEP_1) | instskip(NEXT) | instid1(VALU_DEP_1)
	v_add_f64_e32 v[73:74], v[101:102], v[73:74]
	v_add_f64_e32 v[101:102], v[115:116], v[73:74]
	s_delay_alu instid0(VALU_DEP_1) | instskip(SKIP_1) | instid1(VALU_DEP_2)
	v_mul_f64_e32 v[107:108], v[97:98], v[101:102]
	v_add_f64_e64 v[113:114], v[115:116], -v[101:102]
	v_mul_f64_e32 v[109:110], v[103:104], v[107:108]
	s_delay_alu instid0(VALU_DEP_2) | instskip(NEXT) | instid1(VALU_DEP_2)
	v_add_f64_e32 v[73:74], v[73:74], v[113:114]
	v_fma_f64 v[103:104], v[107:108], v[103:104], -v[109:110]
	s_delay_alu instid0(VALU_DEP_1) | instskip(NEXT) | instid1(VALU_DEP_1)
	v_fma_f64 v[99:100], v[107:108], v[99:100], v[103:104]
	v_add_f64_e32 v[103:104], v[109:110], v[99:100]
	s_delay_alu instid0(VALU_DEP_1) | instskip(SKIP_1) | instid1(VALU_DEP_2)
	v_add_f64_e64 v[111:112], v[101:102], -v[103:104]
	v_add_f64_e64 v[109:110], v[103:104], -v[109:110]
	;; [unrolled: 1-line block ×3, first 2 shown]
	s_delay_alu instid0(VALU_DEP_2) | instskip(NEXT) | instid1(VALU_DEP_2)
	v_add_f64_e64 v[99:100], v[109:110], -v[99:100]
	v_add_f64_e64 v[101:102], v[101:102], -v[103:104]
	s_delay_alu instid0(VALU_DEP_1) | instskip(SKIP_1) | instid1(VALU_DEP_2)
	v_add_f64_e32 v[73:74], v[73:74], v[101:102]
	v_add_f64_e32 v[101:102], v[105:106], v[107:108]
	;; [unrolled: 1-line block ×3, first 2 shown]
	s_delay_alu instid0(VALU_DEP_2) | instskip(NEXT) | instid1(VALU_DEP_2)
	v_add_f64_e64 v[99:100], v[101:102], -v[105:106]
	v_add_f64_e32 v[73:74], v[111:112], v[73:74]
	s_delay_alu instid0(VALU_DEP_2) | instskip(NEXT) | instid1(VALU_DEP_2)
	v_add_f64_e64 v[99:100], v[107:108], -v[99:100]
	v_mul_f64_e32 v[73:74], v[97:98], v[73:74]
	s_delay_alu instid0(VALU_DEP_1) | instskip(NEXT) | instid1(VALU_DEP_1)
	v_add_f64_e32 v[73:74], v[99:100], v[73:74]
	v_add_f64_e32 v[97:98], v[101:102], v[73:74]
	s_delay_alu instid0(VALU_DEP_1) | instskip(NEXT) | instid1(VALU_DEP_1)
	v_mul_f64_e32 v[99:100], v[97:98], v[97:98]
	v_fma_f64 v[103:104], v[99:100], s[44:45], s[42:43]
	s_mov_b32 s42, 0xd7f4df2e
	s_mov_b32 s43, 0x3fc7474d
	v_mul_f64_e32 v[105:106], v[97:98], v[99:100]
	s_wait_alu 0xfffe
	s_delay_alu instid0(VALU_DEP_2) | instskip(SKIP_3) | instid1(VALU_DEP_1)
	v_fma_f64 v[103:104], v[99:100], v[103:104], s[42:43]
	s_mov_b32 s42, 0x16291751
	s_mov_b32 s43, 0x3fcc71c0
	s_wait_alu 0xfffe
	v_fma_f64 v[103:104], v[99:100], v[103:104], s[42:43]
	s_mov_b32 s42, 0x9b27acf1
	s_mov_b32 s43, 0x3fd24924
	s_wait_alu 0xfffe
	s_delay_alu instid0(VALU_DEP_1) | instskip(SKIP_3) | instid1(VALU_DEP_1)
	v_fma_f64 v[103:104], v[99:100], v[103:104], s[42:43]
	s_mov_b32 s42, 0x998ef7b6
	s_mov_b32 s43, 0x3fd99999
	s_wait_alu 0xfffe
	v_fma_f64 v[103:104], v[99:100], v[103:104], s[42:43]
	s_delay_alu instid0(VALU_DEP_1)
	v_fma_f64 v[99:100], v[99:100], v[103:104], s[0:1]
	v_ldexp_f64 v[103:104], v[97:98], 1
	v_add_f64_e64 v[97:98], v[97:98], -v[101:102]
	v_cmp_nge_f64_e64 s0, -1.0, v[71:72]
	v_cmp_neq_f64_e64 s1, 0x7ff00000, v[71:72]
	v_mul_f64_e32 v[99:100], v[105:106], v[99:100]
	v_cvt_f64_i32_e32 v[105:106], v76
	v_add_f64_e64 v[73:74], v[73:74], -v[97:98]
	s_and_b32 s0, s0, s1
	s_delay_alu instid0(VALU_DEP_3) | instskip(NEXT) | instid1(VALU_DEP_3)
	v_add_f64_e32 v[101:102], v[103:104], v[99:100]
	v_mul_f64_e32 v[107:108], s[34:35], v[105:106]
	s_delay_alu instid0(VALU_DEP_3) | instskip(NEXT) | instid1(VALU_DEP_3)
	v_ldexp_f64 v[73:74], v[73:74], 1
	v_add_f64_e64 v[97:98], v[101:102], -v[103:104]
	s_delay_alu instid0(VALU_DEP_3) | instskip(SKIP_1) | instid1(VALU_DEP_3)
	v_fma_f64 v[103:104], v[105:106], s[34:35], -v[107:108]
	v_cmp_ngt_f64_e64 s34, -1.0, v[71:72]
	v_add_f64_e64 v[97:98], v[99:100], -v[97:98]
	s_delay_alu instid0(VALU_DEP_3) | instskip(NEXT) | instid1(VALU_DEP_2)
	v_fma_f64 v[99:100], v[105:106], s[38:39], v[103:104]
	v_add_f64_e32 v[73:74], v[73:74], v[97:98]
	s_delay_alu instid0(VALU_DEP_2) | instskip(NEXT) | instid1(VALU_DEP_2)
	v_add_f64_e32 v[97:98], v[107:108], v[99:100]
	v_add_f64_e32 v[103:104], v[101:102], v[73:74]
	s_delay_alu instid0(VALU_DEP_2) | instskip(NEXT) | instid1(VALU_DEP_2)
	v_add_f64_e64 v[107:108], v[97:98], -v[107:108]
	v_add_f64_e32 v[105:106], v[97:98], v[103:104]
	v_add_f64_e64 v[101:102], v[103:104], -v[101:102]
	s_delay_alu instid0(VALU_DEP_3) | instskip(NEXT) | instid1(VALU_DEP_3)
	v_add_f64_e64 v[99:100], v[99:100], -v[107:108]
	v_add_f64_e64 v[109:110], v[105:106], -v[97:98]
	s_delay_alu instid0(VALU_DEP_3) | instskip(NEXT) | instid1(VALU_DEP_2)
	v_add_f64_e64 v[73:74], v[73:74], -v[101:102]
	v_add_f64_e64 v[111:112], v[105:106], -v[109:110]
	;; [unrolled: 1-line block ×3, first 2 shown]
	s_delay_alu instid0(VALU_DEP_3) | instskip(NEXT) | instid1(VALU_DEP_3)
	v_add_f64_e32 v[103:104], v[99:100], v[73:74]
	v_add_f64_e64 v[97:98], v[97:98], -v[111:112]
	s_delay_alu instid0(VALU_DEP_1) | instskip(NEXT) | instid1(VALU_DEP_3)
	v_add_f64_e32 v[97:98], v[101:102], v[97:98]
	v_add_f64_e64 v[101:102], v[103:104], -v[99:100]
	s_delay_alu instid0(VALU_DEP_2) | instskip(NEXT) | instid1(VALU_DEP_2)
	v_add_f64_e32 v[97:98], v[103:104], v[97:98]
	v_add_f64_e64 v[103:104], v[103:104], -v[101:102]
	v_add_f64_e64 v[73:74], v[73:74], -v[101:102]
	s_delay_alu instid0(VALU_DEP_3) | instskip(NEXT) | instid1(VALU_DEP_3)
	v_add_f64_e32 v[107:108], v[105:106], v[97:98]
	v_add_f64_e64 v[99:100], v[99:100], -v[103:104]
	s_delay_alu instid0(VALU_DEP_2) | instskip(NEXT) | instid1(VALU_DEP_2)
	v_add_f64_e64 v[101:102], v[107:108], -v[105:106]
	v_add_f64_e32 v[73:74], v[73:74], v[99:100]
	s_delay_alu instid0(VALU_DEP_2) | instskip(NEXT) | instid1(VALU_DEP_1)
	v_add_f64_e64 v[97:98], v[97:98], -v[101:102]
	v_add_f64_e32 v[73:74], v[73:74], v[97:98]
	s_delay_alu instid0(VALU_DEP_1) | instskip(SKIP_1) | instid1(VALU_DEP_1)
	v_add_f64_e32 v[73:74], v[107:108], v[73:74]
	s_wait_alu 0xfffe
	v_cndmask_b32_e64 v73, 0, v73, s0
	v_cmp_neq_f64_e64 s0, -1.0, v[71:72]
	s_delay_alu instid0(VALU_DEP_3) | instskip(SKIP_1) | instid1(VALU_DEP_1)
	v_cndmask_b32_e64 v74, 0x7ff00000, v74, s1
	s_wait_alu 0xf1ff
	v_cndmask_b32_e64 v74, 0x7ff80000, v74, s34
	s_delay_alu instid0(VALU_DEP_1) | instskip(NEXT) | instid1(VALU_DEP_1)
	v_cndmask_b32_e64 v74, 0xfff00000, v74, s0
	v_add_f64_e32 v[71:72], v[69:70], v[73:74]
.LBB80_73:
	s_wait_alu 0xfffe
	s_or_b32 exec_lo, exec_lo, s41
	s_delay_alu instid0(VALU_DEP_1)
	v_dual_mov_b32 v69, v71 :: v_dual_mov_b32 v70, v72
	v_dual_mov_b32 v73, v71 :: v_dual_mov_b32 v74, v72
.LBB80_74:
	s_wait_alu 0xfffe
	s_or_b32 exec_lo, exec_lo, s40
	s_delay_alu instid0(VALU_DEP_1) | instskip(NEXT) | instid1(VALU_DEP_2)
	v_mov_b32_dpp v71, v73 row_shr:8 row_mask:0xf bank_mask:0xf
	v_mov_b32_dpp v72, v74 row_shr:8 row_mask:0xf bank_mask:0xf
	s_mov_b32 s40, exec_lo
	v_cmpx_lt_u32_e32 7, v75
	s_cbranch_execz .LBB80_78
; %bb.75:
	s_delay_alu instid0(VALU_DEP_2) | instskip(SKIP_3) | instid1(VALU_DEP_3)
	v_max_num_f64_e32 v[73:74], v[71:72], v[71:72]
	v_max_num_f64_e32 v[75:76], v[69:70], v[69:70]
	v_cmp_u_f64_e64 s0, v[71:72], v[71:72]
	v_cmp_u_f64_e64 s1, v[69:70], v[69:70]
	v_min_num_f64_e32 v[97:98], v[73:74], v[75:76]
	v_max_num_f64_e32 v[73:74], v[73:74], v[75:76]
	s_wait_alu 0xf1ff
	s_delay_alu instid0(VALU_DEP_2) | instskip(NEXT) | instid1(VALU_DEP_3)
	v_cndmask_b32_e64 v75, v98, v72, s0
	v_cndmask_b32_e64 v76, v97, v71, s0
	s_delay_alu instid0(VALU_DEP_3) | instskip(NEXT) | instid1(VALU_DEP_4)
	v_cndmask_b32_e64 v97, v74, v72, s0
	v_cndmask_b32_e64 v98, v73, v71, s0
	s_delay_alu instid0(VALU_DEP_4) | instskip(NEXT) | instid1(VALU_DEP_4)
	v_cndmask_b32_e64 v74, v75, v70, s1
	v_cndmask_b32_e64 v73, v76, v69, s1
	s_delay_alu instid0(VALU_DEP_4) | instskip(NEXT) | instid1(VALU_DEP_4)
	v_cndmask_b32_e64 v70, v97, v70, s1
	v_cndmask_b32_e64 v69, v98, v69, s1
	s_delay_alu instid0(VALU_DEP_3) | instskip(NEXT) | instid1(VALU_DEP_2)
	v_cmp_class_f64_e64 s1, v[73:74], 0x1f8
	v_cmp_neq_f64_e64 s0, v[73:74], v[69:70]
	s_or_b32 s0, s0, s1
	s_wait_alu 0xfffe
	s_and_saveexec_b32 s41, s0
	s_cbranch_execz .LBB80_77
; %bb.76:
	v_add_f64_e64 v[71:72], v[73:74], -v[69:70]
	s_mov_b32 s0, 0x652b82fe
	s_mov_b32 s1, 0x3ff71547
	s_mov_b32 s35, 0xbfe62e42
	s_mov_b32 s34, 0xfefa39ef
	s_mov_b32 s39, 0xbc7abc9e
	s_mov_b32 s38, 0x3b39803f
	s_mov_b32 s42, 0x6a5dcb37
	s_mov_b32 s43, 0x3e5ade15
	s_mov_b32 s44, 0xbf559e2b
	s_mov_b32 s45, 0x3fc3ab76
	s_wait_alu 0xfffe
	s_delay_alu instid0(VALU_DEP_1) | instskip(SKIP_2) | instid1(VALU_DEP_1)
	v_mul_f64_e32 v[73:74], s[0:1], v[71:72]
	s_mov_b32 s0, 0xfca7ab0c
	s_mov_b32 s1, 0x3e928af3
	v_rndne_f64_e32 v[73:74], v[73:74]
	s_delay_alu instid0(VALU_DEP_1) | instskip(SKIP_2) | instid1(VALU_DEP_2)
	v_fma_f64 v[75:76], v[73:74], s[34:35], v[71:72]
	v_cvt_i32_f64_e32 v99, v[73:74]
	s_mov_b32 s35, 0x3fe62e42
	v_fma_f64 v[75:76], v[73:74], s[38:39], v[75:76]
	s_mov_b32 s39, 0x3c7abc9e
	s_wait_alu 0xfffe
	s_delay_alu instid0(VALU_DEP_1)
	v_fma_f64 v[97:98], v[75:76], s[42:43], s[0:1]
	s_mov_b32 s0, 0x623fde64
	s_mov_b32 s1, 0x3ec71dee
	;; [unrolled: 1-line block ×4, first 2 shown]
	s_wait_alu 0xfffe
	s_delay_alu instid0(VALU_DEP_1) | instskip(SKIP_3) | instid1(VALU_DEP_1)
	v_fma_f64 v[97:98], v[75:76], v[97:98], s[0:1]
	s_mov_b32 s0, 0x7c89e6b0
	s_mov_b32 s1, 0x3efa0199
	s_wait_alu 0xfffe
	v_fma_f64 v[97:98], v[75:76], v[97:98], s[0:1]
	s_mov_b32 s0, 0x14761f6e
	s_mov_b32 s1, 0x3f2a01a0
	s_wait_alu 0xfffe
	s_delay_alu instid0(VALU_DEP_1) | instskip(SKIP_3) | instid1(VALU_DEP_1)
	v_fma_f64 v[97:98], v[75:76], v[97:98], s[0:1]
	s_mov_b32 s0, 0x1852b7b0
	s_mov_b32 s1, 0x3f56c16c
	s_wait_alu 0xfffe
	v_fma_f64 v[97:98], v[75:76], v[97:98], s[0:1]
	s_mov_b32 s0, 0x11122322
	s_mov_b32 s1, 0x3f811111
	;; [unrolled: 9-line block ×3, first 2 shown]
	s_wait_alu 0xfffe
	s_delay_alu instid0(VALU_DEP_1) | instskip(SKIP_3) | instid1(VALU_DEP_1)
	v_fma_f64 v[97:98], v[75:76], v[97:98], s[0:1]
	s_mov_b32 s0, 11
	s_mov_b32 s1, 0x3fe00000
	s_wait_alu 0xfffe
	v_fma_f64 v[97:98], v[75:76], v[97:98], s[0:1]
	v_cmp_nlt_f64_e64 s0, 0x40900000, v[71:72]
	v_cmp_ngt_f64_e64 s1, 0xc090cc00, v[71:72]
	s_delay_alu instid0(VALU_DEP_3) | instskip(NEXT) | instid1(VALU_DEP_1)
	v_fma_f64 v[97:98], v[75:76], v[97:98], 1.0
	v_fma_f64 v[73:74], v[75:76], v[97:98], 1.0
	s_delay_alu instid0(VALU_DEP_1) | instskip(SKIP_1) | instid1(VALU_DEP_1)
	v_ldexp_f64 v[73:74], v[73:74], v99
	s_wait_alu 0xf1ff
	v_cndmask_b32_e64 v74, 0x7ff00000, v74, s0
	s_and_b32 s0, s1, s0
	s_wait_alu 0xfffe
	s_delay_alu instid0(VALU_DEP_2) | instskip(SKIP_3) | instid1(VALU_DEP_1)
	v_cndmask_b32_e64 v71, 0, v73, s0
	s_mov_b32 s0, 0x55555555
	v_cndmask_b32_e64 v72, 0, v74, s1
	s_mov_b32 s1, 0x3fe55555
	v_add_f64_e32 v[73:74], 1.0, v[71:72]
	s_delay_alu instid0(VALU_DEP_1) | instskip(SKIP_3) | instid1(VALU_DEP_3)
	v_frexp_mant_f64_e32 v[75:76], v[73:74]
	v_frexp_exp_i32_f64_e32 v99, v[73:74]
	v_add_f64_e32 v[97:98], -1.0, v[73:74]
	s_wait_alu 0xfffe
	v_cmp_gt_f64_e64 s0, s[0:1], v[75:76]
	s_delay_alu instid0(VALU_DEP_2) | instskip(SKIP_2) | instid1(VALU_DEP_3)
	v_add_f64_e64 v[75:76], v[97:98], -v[73:74]
	v_add_f64_e64 v[97:98], v[71:72], -v[97:98]
	s_wait_alu 0xf1ff
	v_subrev_co_ci_u32_e64 v115, null, 0, v99, s0
	s_delay_alu instid0(VALU_DEP_3) | instskip(SKIP_1) | instid1(VALU_DEP_2)
	v_add_f64_e32 v[75:76], 1.0, v[75:76]
	s_mov_b32 s0, 0x55555780
	v_sub_nc_u32_e32 v101, 0, v115
	s_delay_alu instid0(VALU_DEP_1) | instskip(NEXT) | instid1(VALU_DEP_3)
	v_ldexp_f64 v[73:74], v[73:74], v101
	v_add_f64_e32 v[75:76], v[97:98], v[75:76]
	s_delay_alu instid0(VALU_DEP_2) | instskip(SKIP_1) | instid1(VALU_DEP_3)
	v_add_f64_e32 v[99:100], 1.0, v[73:74]
	v_add_f64_e32 v[105:106], -1.0, v[73:74]
	v_ldexp_f64 v[75:76], v[75:76], v101
	s_delay_alu instid0(VALU_DEP_3) | instskip(NEXT) | instid1(VALU_DEP_3)
	v_add_f64_e32 v[97:98], -1.0, v[99:100]
	v_add_f64_e32 v[107:108], 1.0, v[105:106]
	s_delay_alu instid0(VALU_DEP_2) | instskip(NEXT) | instid1(VALU_DEP_2)
	v_add_f64_e64 v[97:98], v[73:74], -v[97:98]
	v_add_f64_e64 v[73:74], v[73:74], -v[107:108]
	s_delay_alu instid0(VALU_DEP_2) | instskip(NEXT) | instid1(VALU_DEP_2)
	v_add_f64_e32 v[97:98], v[75:76], v[97:98]
	v_add_f64_e32 v[73:74], v[75:76], v[73:74]
	s_delay_alu instid0(VALU_DEP_2) | instskip(NEXT) | instid1(VALU_DEP_2)
	v_add_f64_e32 v[101:102], v[99:100], v[97:98]
	v_add_f64_e32 v[107:108], v[105:106], v[73:74]
	s_delay_alu instid0(VALU_DEP_2) | instskip(SKIP_1) | instid1(VALU_DEP_2)
	v_rcp_f64_e32 v[103:104], v[101:102]
	v_add_f64_e64 v[99:100], v[101:102], -v[99:100]
	v_add_f64_e64 v[105:106], v[107:108], -v[105:106]
	s_delay_alu instid0(VALU_DEP_2) | instskip(NEXT) | instid1(TRANS32_DEP_1)
	v_add_f64_e64 v[97:98], v[97:98], -v[99:100]
	v_fma_f64 v[109:110], -v[101:102], v[103:104], 1.0
	s_delay_alu instid0(VALU_DEP_3) | instskip(NEXT) | instid1(VALU_DEP_2)
	v_add_f64_e64 v[73:74], v[73:74], -v[105:106]
	v_fma_f64 v[103:104], v[109:110], v[103:104], v[103:104]
	s_delay_alu instid0(VALU_DEP_1) | instskip(NEXT) | instid1(VALU_DEP_1)
	v_fma_f64 v[75:76], -v[101:102], v[103:104], 1.0
	v_fma_f64 v[75:76], v[75:76], v[103:104], v[103:104]
	s_delay_alu instid0(VALU_DEP_1) | instskip(NEXT) | instid1(VALU_DEP_1)
	v_mul_f64_e32 v[103:104], v[107:108], v[75:76]
	v_mul_f64_e32 v[109:110], v[101:102], v[103:104]
	s_delay_alu instid0(VALU_DEP_1) | instskip(NEXT) | instid1(VALU_DEP_1)
	v_fma_f64 v[99:100], v[103:104], v[101:102], -v[109:110]
	v_fma_f64 v[99:100], v[103:104], v[97:98], v[99:100]
	s_delay_alu instid0(VALU_DEP_1) | instskip(NEXT) | instid1(VALU_DEP_1)
	v_add_f64_e32 v[111:112], v[109:110], v[99:100]
	v_add_f64_e64 v[113:114], v[107:108], -v[111:112]
	v_add_f64_e64 v[105:106], v[111:112], -v[109:110]
	s_delay_alu instid0(VALU_DEP_2) | instskip(NEXT) | instid1(VALU_DEP_2)
	v_add_f64_e64 v[107:108], v[107:108], -v[113:114]
	v_add_f64_e64 v[99:100], v[105:106], -v[99:100]
	s_delay_alu instid0(VALU_DEP_2) | instskip(NEXT) | instid1(VALU_DEP_1)
	v_add_f64_e64 v[107:108], v[107:108], -v[111:112]
	v_add_f64_e32 v[73:74], v[73:74], v[107:108]
	s_delay_alu instid0(VALU_DEP_1) | instskip(NEXT) | instid1(VALU_DEP_1)
	v_add_f64_e32 v[73:74], v[99:100], v[73:74]
	v_add_f64_e32 v[99:100], v[113:114], v[73:74]
	s_delay_alu instid0(VALU_DEP_1) | instskip(SKIP_1) | instid1(VALU_DEP_2)
	v_mul_f64_e32 v[105:106], v[75:76], v[99:100]
	v_add_f64_e64 v[111:112], v[113:114], -v[99:100]
	v_mul_f64_e32 v[107:108], v[101:102], v[105:106]
	s_delay_alu instid0(VALU_DEP_2) | instskip(NEXT) | instid1(VALU_DEP_2)
	v_add_f64_e32 v[73:74], v[73:74], v[111:112]
	v_fma_f64 v[101:102], v[105:106], v[101:102], -v[107:108]
	s_delay_alu instid0(VALU_DEP_1) | instskip(NEXT) | instid1(VALU_DEP_1)
	v_fma_f64 v[97:98], v[105:106], v[97:98], v[101:102]
	v_add_f64_e32 v[101:102], v[107:108], v[97:98]
	s_delay_alu instid0(VALU_DEP_1) | instskip(SKIP_1) | instid1(VALU_DEP_2)
	v_add_f64_e64 v[109:110], v[99:100], -v[101:102]
	v_add_f64_e64 v[107:108], v[101:102], -v[107:108]
	;; [unrolled: 1-line block ×3, first 2 shown]
	s_delay_alu instid0(VALU_DEP_2) | instskip(NEXT) | instid1(VALU_DEP_2)
	v_add_f64_e64 v[97:98], v[107:108], -v[97:98]
	v_add_f64_e64 v[99:100], v[99:100], -v[101:102]
	s_delay_alu instid0(VALU_DEP_1) | instskip(SKIP_1) | instid1(VALU_DEP_2)
	v_add_f64_e32 v[73:74], v[73:74], v[99:100]
	v_add_f64_e32 v[99:100], v[103:104], v[105:106]
	;; [unrolled: 1-line block ×3, first 2 shown]
	s_delay_alu instid0(VALU_DEP_2) | instskip(NEXT) | instid1(VALU_DEP_2)
	v_add_f64_e64 v[97:98], v[99:100], -v[103:104]
	v_add_f64_e32 v[73:74], v[109:110], v[73:74]
	s_delay_alu instid0(VALU_DEP_2) | instskip(NEXT) | instid1(VALU_DEP_2)
	v_add_f64_e64 v[97:98], v[105:106], -v[97:98]
	v_mul_f64_e32 v[73:74], v[75:76], v[73:74]
	s_delay_alu instid0(VALU_DEP_1) | instskip(NEXT) | instid1(VALU_DEP_1)
	v_add_f64_e32 v[73:74], v[97:98], v[73:74]
	v_add_f64_e32 v[75:76], v[99:100], v[73:74]
	s_delay_alu instid0(VALU_DEP_1) | instskip(NEXT) | instid1(VALU_DEP_1)
	v_mul_f64_e32 v[97:98], v[75:76], v[75:76]
	v_fma_f64 v[101:102], v[97:98], s[44:45], s[42:43]
	s_mov_b32 s42, 0xd7f4df2e
	s_mov_b32 s43, 0x3fc7474d
	v_mul_f64_e32 v[103:104], v[75:76], v[97:98]
	s_wait_alu 0xfffe
	s_delay_alu instid0(VALU_DEP_2) | instskip(SKIP_3) | instid1(VALU_DEP_1)
	v_fma_f64 v[101:102], v[97:98], v[101:102], s[42:43]
	s_mov_b32 s42, 0x16291751
	s_mov_b32 s43, 0x3fcc71c0
	s_wait_alu 0xfffe
	v_fma_f64 v[101:102], v[97:98], v[101:102], s[42:43]
	s_mov_b32 s42, 0x9b27acf1
	s_mov_b32 s43, 0x3fd24924
	s_wait_alu 0xfffe
	s_delay_alu instid0(VALU_DEP_1) | instskip(SKIP_3) | instid1(VALU_DEP_1)
	v_fma_f64 v[101:102], v[97:98], v[101:102], s[42:43]
	s_mov_b32 s42, 0x998ef7b6
	s_mov_b32 s43, 0x3fd99999
	s_wait_alu 0xfffe
	v_fma_f64 v[101:102], v[97:98], v[101:102], s[42:43]
	s_delay_alu instid0(VALU_DEP_1)
	v_fma_f64 v[97:98], v[97:98], v[101:102], s[0:1]
	v_ldexp_f64 v[101:102], v[75:76], 1
	v_add_f64_e64 v[75:76], v[75:76], -v[99:100]
	v_cmp_nge_f64_e64 s0, -1.0, v[71:72]
	v_cmp_neq_f64_e64 s1, 0x7ff00000, v[71:72]
	v_mul_f64_e32 v[97:98], v[103:104], v[97:98]
	v_cvt_f64_i32_e32 v[103:104], v115
	v_add_f64_e64 v[73:74], v[73:74], -v[75:76]
	s_and_b32 s0, s0, s1
	s_delay_alu instid0(VALU_DEP_3) | instskip(NEXT) | instid1(VALU_DEP_3)
	v_add_f64_e32 v[99:100], v[101:102], v[97:98]
	v_mul_f64_e32 v[105:106], s[34:35], v[103:104]
	s_delay_alu instid0(VALU_DEP_3) | instskip(NEXT) | instid1(VALU_DEP_3)
	v_ldexp_f64 v[73:74], v[73:74], 1
	v_add_f64_e64 v[75:76], v[99:100], -v[101:102]
	s_delay_alu instid0(VALU_DEP_3) | instskip(SKIP_1) | instid1(VALU_DEP_3)
	v_fma_f64 v[101:102], v[103:104], s[34:35], -v[105:106]
	v_cmp_ngt_f64_e64 s34, -1.0, v[71:72]
	v_add_f64_e64 v[75:76], v[97:98], -v[75:76]
	s_delay_alu instid0(VALU_DEP_3) | instskip(NEXT) | instid1(VALU_DEP_2)
	v_fma_f64 v[97:98], v[103:104], s[38:39], v[101:102]
	v_add_f64_e32 v[73:74], v[73:74], v[75:76]
	s_delay_alu instid0(VALU_DEP_2) | instskip(NEXT) | instid1(VALU_DEP_2)
	v_add_f64_e32 v[75:76], v[105:106], v[97:98]
	v_add_f64_e32 v[101:102], v[99:100], v[73:74]
	s_delay_alu instid0(VALU_DEP_2) | instskip(NEXT) | instid1(VALU_DEP_2)
	v_add_f64_e64 v[105:106], v[75:76], -v[105:106]
	v_add_f64_e32 v[103:104], v[75:76], v[101:102]
	v_add_f64_e64 v[99:100], v[101:102], -v[99:100]
	s_delay_alu instid0(VALU_DEP_3) | instskip(NEXT) | instid1(VALU_DEP_3)
	v_add_f64_e64 v[97:98], v[97:98], -v[105:106]
	v_add_f64_e64 v[107:108], v[103:104], -v[75:76]
	s_delay_alu instid0(VALU_DEP_3) | instskip(NEXT) | instid1(VALU_DEP_2)
	v_add_f64_e64 v[73:74], v[73:74], -v[99:100]
	v_add_f64_e64 v[109:110], v[103:104], -v[107:108]
	;; [unrolled: 1-line block ×3, first 2 shown]
	s_delay_alu instid0(VALU_DEP_3) | instskip(NEXT) | instid1(VALU_DEP_3)
	v_add_f64_e32 v[101:102], v[97:98], v[73:74]
	v_add_f64_e64 v[75:76], v[75:76], -v[109:110]
	s_delay_alu instid0(VALU_DEP_1) | instskip(NEXT) | instid1(VALU_DEP_3)
	v_add_f64_e32 v[75:76], v[99:100], v[75:76]
	v_add_f64_e64 v[99:100], v[101:102], -v[97:98]
	s_delay_alu instid0(VALU_DEP_2) | instskip(NEXT) | instid1(VALU_DEP_2)
	v_add_f64_e32 v[75:76], v[101:102], v[75:76]
	v_add_f64_e64 v[101:102], v[101:102], -v[99:100]
	v_add_f64_e64 v[73:74], v[73:74], -v[99:100]
	s_delay_alu instid0(VALU_DEP_3) | instskip(NEXT) | instid1(VALU_DEP_3)
	v_add_f64_e32 v[105:106], v[103:104], v[75:76]
	v_add_f64_e64 v[97:98], v[97:98], -v[101:102]
	s_delay_alu instid0(VALU_DEP_2) | instskip(NEXT) | instid1(VALU_DEP_2)
	v_add_f64_e64 v[99:100], v[105:106], -v[103:104]
	v_add_f64_e32 v[73:74], v[73:74], v[97:98]
	s_delay_alu instid0(VALU_DEP_2) | instskip(NEXT) | instid1(VALU_DEP_1)
	v_add_f64_e64 v[75:76], v[75:76], -v[99:100]
	v_add_f64_e32 v[73:74], v[73:74], v[75:76]
	s_delay_alu instid0(VALU_DEP_1) | instskip(SKIP_1) | instid1(VALU_DEP_1)
	v_add_f64_e32 v[73:74], v[105:106], v[73:74]
	s_wait_alu 0xfffe
	v_cndmask_b32_e64 v73, 0, v73, s0
	v_cmp_neq_f64_e64 s0, -1.0, v[71:72]
	s_delay_alu instid0(VALU_DEP_3) | instskip(SKIP_1) | instid1(VALU_DEP_1)
	v_cndmask_b32_e64 v74, 0x7ff00000, v74, s1
	s_wait_alu 0xf1ff
	v_cndmask_b32_e64 v74, 0x7ff80000, v74, s34
	s_delay_alu instid0(VALU_DEP_1) | instskip(NEXT) | instid1(VALU_DEP_1)
	v_cndmask_b32_e64 v74, 0xfff00000, v74, s0
	v_add_f64_e32 v[71:72], v[69:70], v[73:74]
.LBB80_77:
	s_wait_alu 0xfffe
	s_or_b32 exec_lo, exec_lo, s41
	s_delay_alu instid0(VALU_DEP_1)
	v_dual_mov_b32 v73, v71 :: v_dual_mov_b32 v74, v72
	v_dual_mov_b32 v69, v71 :: v_dual_mov_b32 v70, v72
.LBB80_78:
	s_wait_alu 0xfffe
	s_or_b32 exec_lo, exec_lo, s40
	ds_swizzle_b32 v71, v73 offset:swizzle(BROADCAST,32,15)
	ds_swizzle_b32 v72, v74 offset:swizzle(BROADCAST,32,15)
	v_and_b32_e32 v73, 16, v96
	s_mov_b32 s40, exec_lo
	s_delay_alu instid0(VALU_DEP_1)
	v_cmpx_ne_u32_e32 0, v73
	s_cbranch_execz .LBB80_82
; %bb.79:
	s_wait_dscnt 0x0
	v_max_num_f64_e32 v[73:74], v[71:72], v[71:72]
	v_max_num_f64_e32 v[75:76], v[69:70], v[69:70]
	v_cmp_u_f64_e64 s0, v[71:72], v[71:72]
	v_cmp_u_f64_e64 s1, v[69:70], v[69:70]
	s_delay_alu instid0(VALU_DEP_3) | instskip(SKIP_2) | instid1(VALU_DEP_2)
	v_min_num_f64_e32 v[97:98], v[73:74], v[75:76]
	v_max_num_f64_e32 v[73:74], v[73:74], v[75:76]
	s_wait_alu 0xf1ff
	v_cndmask_b32_e64 v75, v98, v72, s0
	s_delay_alu instid0(VALU_DEP_3) | instskip(NEXT) | instid1(VALU_DEP_3)
	v_cndmask_b32_e64 v76, v97, v71, s0
	v_cndmask_b32_e64 v97, v74, v72, s0
	s_delay_alu instid0(VALU_DEP_4) | instskip(NEXT) | instid1(VALU_DEP_4)
	v_cndmask_b32_e64 v98, v73, v71, s0
	v_cndmask_b32_e64 v74, v75, v70, s1
	s_delay_alu instid0(VALU_DEP_4) | instskip(NEXT) | instid1(VALU_DEP_4)
	v_cndmask_b32_e64 v73, v76, v69, s1
	v_cndmask_b32_e64 v70, v97, v70, s1
	s_delay_alu instid0(VALU_DEP_4) | instskip(NEXT) | instid1(VALU_DEP_3)
	v_cndmask_b32_e64 v69, v98, v69, s1
	v_cmp_class_f64_e64 s1, v[73:74], 0x1f8
	s_delay_alu instid0(VALU_DEP_2)
	v_cmp_neq_f64_e64 s0, v[73:74], v[69:70]
	s_or_b32 s0, s0, s1
	s_wait_alu 0xfffe
	s_and_saveexec_b32 s41, s0
	s_cbranch_execz .LBB80_81
; %bb.80:
	v_add_f64_e64 v[71:72], v[73:74], -v[69:70]
	s_mov_b32 s0, 0x652b82fe
	s_mov_b32 s1, 0x3ff71547
	;; [unrolled: 1-line block ×10, first 2 shown]
	s_wait_alu 0xfffe
	s_delay_alu instid0(VALU_DEP_1) | instskip(SKIP_2) | instid1(VALU_DEP_1)
	v_mul_f64_e32 v[73:74], s[0:1], v[71:72]
	s_mov_b32 s0, 0xfca7ab0c
	s_mov_b32 s1, 0x3e928af3
	v_rndne_f64_e32 v[73:74], v[73:74]
	s_delay_alu instid0(VALU_DEP_1) | instskip(SKIP_2) | instid1(VALU_DEP_2)
	v_fma_f64 v[75:76], v[73:74], s[34:35], v[71:72]
	v_cvt_i32_f64_e32 v99, v[73:74]
	s_mov_b32 s35, 0x3fe62e42
	v_fma_f64 v[75:76], v[73:74], s[38:39], v[75:76]
	s_mov_b32 s39, 0x3c7abc9e
	s_wait_alu 0xfffe
	s_delay_alu instid0(VALU_DEP_1)
	v_fma_f64 v[97:98], v[75:76], s[42:43], s[0:1]
	s_mov_b32 s0, 0x623fde64
	s_mov_b32 s1, 0x3ec71dee
	;; [unrolled: 1-line block ×4, first 2 shown]
	s_wait_alu 0xfffe
	s_delay_alu instid0(VALU_DEP_1) | instskip(SKIP_3) | instid1(VALU_DEP_1)
	v_fma_f64 v[97:98], v[75:76], v[97:98], s[0:1]
	s_mov_b32 s0, 0x7c89e6b0
	s_mov_b32 s1, 0x3efa0199
	s_wait_alu 0xfffe
	v_fma_f64 v[97:98], v[75:76], v[97:98], s[0:1]
	s_mov_b32 s0, 0x14761f6e
	s_mov_b32 s1, 0x3f2a01a0
	s_wait_alu 0xfffe
	s_delay_alu instid0(VALU_DEP_1) | instskip(SKIP_3) | instid1(VALU_DEP_1)
	v_fma_f64 v[97:98], v[75:76], v[97:98], s[0:1]
	s_mov_b32 s0, 0x1852b7b0
	s_mov_b32 s1, 0x3f56c16c
	s_wait_alu 0xfffe
	v_fma_f64 v[97:98], v[75:76], v[97:98], s[0:1]
	s_mov_b32 s0, 0x11122322
	s_mov_b32 s1, 0x3f811111
	;; [unrolled: 9-line block ×3, first 2 shown]
	s_wait_alu 0xfffe
	s_delay_alu instid0(VALU_DEP_1) | instskip(SKIP_3) | instid1(VALU_DEP_1)
	v_fma_f64 v[97:98], v[75:76], v[97:98], s[0:1]
	s_mov_b32 s0, 11
	s_mov_b32 s1, 0x3fe00000
	s_wait_alu 0xfffe
	v_fma_f64 v[97:98], v[75:76], v[97:98], s[0:1]
	v_cmp_nlt_f64_e64 s0, 0x40900000, v[71:72]
	v_cmp_ngt_f64_e64 s1, 0xc090cc00, v[71:72]
	s_delay_alu instid0(VALU_DEP_3) | instskip(NEXT) | instid1(VALU_DEP_1)
	v_fma_f64 v[97:98], v[75:76], v[97:98], 1.0
	v_fma_f64 v[73:74], v[75:76], v[97:98], 1.0
	s_delay_alu instid0(VALU_DEP_1) | instskip(SKIP_1) | instid1(VALU_DEP_1)
	v_ldexp_f64 v[73:74], v[73:74], v99
	s_wait_alu 0xf1ff
	v_cndmask_b32_e64 v74, 0x7ff00000, v74, s0
	s_and_b32 s0, s1, s0
	s_wait_alu 0xfffe
	s_delay_alu instid0(VALU_DEP_2) | instskip(SKIP_3) | instid1(VALU_DEP_1)
	v_cndmask_b32_e64 v71, 0, v73, s0
	s_mov_b32 s0, 0x55555555
	v_cndmask_b32_e64 v72, 0, v74, s1
	s_mov_b32 s1, 0x3fe55555
	v_add_f64_e32 v[73:74], 1.0, v[71:72]
	s_delay_alu instid0(VALU_DEP_1) | instskip(SKIP_3) | instid1(VALU_DEP_3)
	v_frexp_mant_f64_e32 v[75:76], v[73:74]
	v_frexp_exp_i32_f64_e32 v99, v[73:74]
	v_add_f64_e32 v[97:98], -1.0, v[73:74]
	s_wait_alu 0xfffe
	v_cmp_gt_f64_e64 s0, s[0:1], v[75:76]
	s_delay_alu instid0(VALU_DEP_2) | instskip(SKIP_2) | instid1(VALU_DEP_3)
	v_add_f64_e64 v[75:76], v[97:98], -v[73:74]
	v_add_f64_e64 v[97:98], v[71:72], -v[97:98]
	s_wait_alu 0xf1ff
	v_subrev_co_ci_u32_e64 v115, null, 0, v99, s0
	s_delay_alu instid0(VALU_DEP_3) | instskip(SKIP_1) | instid1(VALU_DEP_2)
	v_add_f64_e32 v[75:76], 1.0, v[75:76]
	s_mov_b32 s0, 0x55555780
	v_sub_nc_u32_e32 v101, 0, v115
	s_delay_alu instid0(VALU_DEP_1) | instskip(NEXT) | instid1(VALU_DEP_3)
	v_ldexp_f64 v[73:74], v[73:74], v101
	v_add_f64_e32 v[75:76], v[97:98], v[75:76]
	s_delay_alu instid0(VALU_DEP_2) | instskip(SKIP_1) | instid1(VALU_DEP_3)
	v_add_f64_e32 v[99:100], 1.0, v[73:74]
	v_add_f64_e32 v[105:106], -1.0, v[73:74]
	v_ldexp_f64 v[75:76], v[75:76], v101
	s_delay_alu instid0(VALU_DEP_3) | instskip(NEXT) | instid1(VALU_DEP_3)
	v_add_f64_e32 v[97:98], -1.0, v[99:100]
	v_add_f64_e32 v[107:108], 1.0, v[105:106]
	s_delay_alu instid0(VALU_DEP_2) | instskip(NEXT) | instid1(VALU_DEP_2)
	v_add_f64_e64 v[97:98], v[73:74], -v[97:98]
	v_add_f64_e64 v[73:74], v[73:74], -v[107:108]
	s_delay_alu instid0(VALU_DEP_2) | instskip(NEXT) | instid1(VALU_DEP_2)
	v_add_f64_e32 v[97:98], v[75:76], v[97:98]
	v_add_f64_e32 v[73:74], v[75:76], v[73:74]
	s_delay_alu instid0(VALU_DEP_2) | instskip(NEXT) | instid1(VALU_DEP_2)
	v_add_f64_e32 v[101:102], v[99:100], v[97:98]
	v_add_f64_e32 v[107:108], v[105:106], v[73:74]
	s_delay_alu instid0(VALU_DEP_2) | instskip(SKIP_1) | instid1(VALU_DEP_2)
	v_rcp_f64_e32 v[103:104], v[101:102]
	v_add_f64_e64 v[99:100], v[101:102], -v[99:100]
	v_add_f64_e64 v[105:106], v[107:108], -v[105:106]
	s_delay_alu instid0(VALU_DEP_2) | instskip(NEXT) | instid1(TRANS32_DEP_1)
	v_add_f64_e64 v[97:98], v[97:98], -v[99:100]
	v_fma_f64 v[109:110], -v[101:102], v[103:104], 1.0
	s_delay_alu instid0(VALU_DEP_3) | instskip(NEXT) | instid1(VALU_DEP_2)
	v_add_f64_e64 v[73:74], v[73:74], -v[105:106]
	v_fma_f64 v[103:104], v[109:110], v[103:104], v[103:104]
	s_delay_alu instid0(VALU_DEP_1) | instskip(NEXT) | instid1(VALU_DEP_1)
	v_fma_f64 v[75:76], -v[101:102], v[103:104], 1.0
	v_fma_f64 v[75:76], v[75:76], v[103:104], v[103:104]
	s_delay_alu instid0(VALU_DEP_1) | instskip(NEXT) | instid1(VALU_DEP_1)
	v_mul_f64_e32 v[103:104], v[107:108], v[75:76]
	v_mul_f64_e32 v[109:110], v[101:102], v[103:104]
	s_delay_alu instid0(VALU_DEP_1) | instskip(NEXT) | instid1(VALU_DEP_1)
	v_fma_f64 v[99:100], v[103:104], v[101:102], -v[109:110]
	v_fma_f64 v[99:100], v[103:104], v[97:98], v[99:100]
	s_delay_alu instid0(VALU_DEP_1) | instskip(NEXT) | instid1(VALU_DEP_1)
	v_add_f64_e32 v[111:112], v[109:110], v[99:100]
	v_add_f64_e64 v[113:114], v[107:108], -v[111:112]
	v_add_f64_e64 v[105:106], v[111:112], -v[109:110]
	s_delay_alu instid0(VALU_DEP_2) | instskip(NEXT) | instid1(VALU_DEP_2)
	v_add_f64_e64 v[107:108], v[107:108], -v[113:114]
	v_add_f64_e64 v[99:100], v[105:106], -v[99:100]
	s_delay_alu instid0(VALU_DEP_2) | instskip(NEXT) | instid1(VALU_DEP_1)
	v_add_f64_e64 v[107:108], v[107:108], -v[111:112]
	v_add_f64_e32 v[73:74], v[73:74], v[107:108]
	s_delay_alu instid0(VALU_DEP_1) | instskip(NEXT) | instid1(VALU_DEP_1)
	v_add_f64_e32 v[73:74], v[99:100], v[73:74]
	v_add_f64_e32 v[99:100], v[113:114], v[73:74]
	s_delay_alu instid0(VALU_DEP_1) | instskip(SKIP_1) | instid1(VALU_DEP_2)
	v_mul_f64_e32 v[105:106], v[75:76], v[99:100]
	v_add_f64_e64 v[111:112], v[113:114], -v[99:100]
	v_mul_f64_e32 v[107:108], v[101:102], v[105:106]
	s_delay_alu instid0(VALU_DEP_2) | instskip(NEXT) | instid1(VALU_DEP_2)
	v_add_f64_e32 v[73:74], v[73:74], v[111:112]
	v_fma_f64 v[101:102], v[105:106], v[101:102], -v[107:108]
	s_delay_alu instid0(VALU_DEP_1) | instskip(NEXT) | instid1(VALU_DEP_1)
	v_fma_f64 v[97:98], v[105:106], v[97:98], v[101:102]
	v_add_f64_e32 v[101:102], v[107:108], v[97:98]
	s_delay_alu instid0(VALU_DEP_1) | instskip(SKIP_1) | instid1(VALU_DEP_2)
	v_add_f64_e64 v[109:110], v[99:100], -v[101:102]
	v_add_f64_e64 v[107:108], v[101:102], -v[107:108]
	;; [unrolled: 1-line block ×3, first 2 shown]
	s_delay_alu instid0(VALU_DEP_2) | instskip(NEXT) | instid1(VALU_DEP_2)
	v_add_f64_e64 v[97:98], v[107:108], -v[97:98]
	v_add_f64_e64 v[99:100], v[99:100], -v[101:102]
	s_delay_alu instid0(VALU_DEP_1) | instskip(SKIP_1) | instid1(VALU_DEP_2)
	v_add_f64_e32 v[73:74], v[73:74], v[99:100]
	v_add_f64_e32 v[99:100], v[103:104], v[105:106]
	;; [unrolled: 1-line block ×3, first 2 shown]
	s_delay_alu instid0(VALU_DEP_2) | instskip(NEXT) | instid1(VALU_DEP_2)
	v_add_f64_e64 v[97:98], v[99:100], -v[103:104]
	v_add_f64_e32 v[73:74], v[109:110], v[73:74]
	s_delay_alu instid0(VALU_DEP_2) | instskip(NEXT) | instid1(VALU_DEP_2)
	v_add_f64_e64 v[97:98], v[105:106], -v[97:98]
	v_mul_f64_e32 v[73:74], v[75:76], v[73:74]
	s_delay_alu instid0(VALU_DEP_1) | instskip(NEXT) | instid1(VALU_DEP_1)
	v_add_f64_e32 v[73:74], v[97:98], v[73:74]
	v_add_f64_e32 v[75:76], v[99:100], v[73:74]
	s_delay_alu instid0(VALU_DEP_1) | instskip(NEXT) | instid1(VALU_DEP_1)
	v_mul_f64_e32 v[97:98], v[75:76], v[75:76]
	v_fma_f64 v[101:102], v[97:98], s[44:45], s[42:43]
	s_mov_b32 s42, 0xd7f4df2e
	s_mov_b32 s43, 0x3fc7474d
	v_mul_f64_e32 v[103:104], v[75:76], v[97:98]
	s_wait_alu 0xfffe
	s_delay_alu instid0(VALU_DEP_2) | instskip(SKIP_3) | instid1(VALU_DEP_1)
	v_fma_f64 v[101:102], v[97:98], v[101:102], s[42:43]
	s_mov_b32 s42, 0x16291751
	s_mov_b32 s43, 0x3fcc71c0
	s_wait_alu 0xfffe
	v_fma_f64 v[101:102], v[97:98], v[101:102], s[42:43]
	s_mov_b32 s42, 0x9b27acf1
	s_mov_b32 s43, 0x3fd24924
	s_wait_alu 0xfffe
	s_delay_alu instid0(VALU_DEP_1) | instskip(SKIP_3) | instid1(VALU_DEP_1)
	v_fma_f64 v[101:102], v[97:98], v[101:102], s[42:43]
	s_mov_b32 s42, 0x998ef7b6
	s_mov_b32 s43, 0x3fd99999
	s_wait_alu 0xfffe
	v_fma_f64 v[101:102], v[97:98], v[101:102], s[42:43]
	s_delay_alu instid0(VALU_DEP_1)
	v_fma_f64 v[97:98], v[97:98], v[101:102], s[0:1]
	v_ldexp_f64 v[101:102], v[75:76], 1
	v_add_f64_e64 v[75:76], v[75:76], -v[99:100]
	v_cmp_nge_f64_e64 s0, -1.0, v[71:72]
	v_cmp_neq_f64_e64 s1, 0x7ff00000, v[71:72]
	v_mul_f64_e32 v[97:98], v[103:104], v[97:98]
	v_cvt_f64_i32_e32 v[103:104], v115
	v_add_f64_e64 v[73:74], v[73:74], -v[75:76]
	s_and_b32 s0, s0, s1
	s_delay_alu instid0(VALU_DEP_3) | instskip(NEXT) | instid1(VALU_DEP_3)
	v_add_f64_e32 v[99:100], v[101:102], v[97:98]
	v_mul_f64_e32 v[105:106], s[34:35], v[103:104]
	s_delay_alu instid0(VALU_DEP_3) | instskip(NEXT) | instid1(VALU_DEP_3)
	v_ldexp_f64 v[73:74], v[73:74], 1
	v_add_f64_e64 v[75:76], v[99:100], -v[101:102]
	s_delay_alu instid0(VALU_DEP_3) | instskip(SKIP_1) | instid1(VALU_DEP_3)
	v_fma_f64 v[101:102], v[103:104], s[34:35], -v[105:106]
	v_cmp_ngt_f64_e64 s34, -1.0, v[71:72]
	v_add_f64_e64 v[75:76], v[97:98], -v[75:76]
	s_delay_alu instid0(VALU_DEP_3) | instskip(NEXT) | instid1(VALU_DEP_2)
	v_fma_f64 v[97:98], v[103:104], s[38:39], v[101:102]
	v_add_f64_e32 v[73:74], v[73:74], v[75:76]
	s_delay_alu instid0(VALU_DEP_2) | instskip(NEXT) | instid1(VALU_DEP_2)
	v_add_f64_e32 v[75:76], v[105:106], v[97:98]
	v_add_f64_e32 v[101:102], v[99:100], v[73:74]
	s_delay_alu instid0(VALU_DEP_2) | instskip(NEXT) | instid1(VALU_DEP_2)
	v_add_f64_e64 v[105:106], v[75:76], -v[105:106]
	v_add_f64_e32 v[103:104], v[75:76], v[101:102]
	v_add_f64_e64 v[99:100], v[101:102], -v[99:100]
	s_delay_alu instid0(VALU_DEP_3) | instskip(NEXT) | instid1(VALU_DEP_3)
	v_add_f64_e64 v[97:98], v[97:98], -v[105:106]
	v_add_f64_e64 v[107:108], v[103:104], -v[75:76]
	s_delay_alu instid0(VALU_DEP_3) | instskip(NEXT) | instid1(VALU_DEP_2)
	v_add_f64_e64 v[73:74], v[73:74], -v[99:100]
	v_add_f64_e64 v[109:110], v[103:104], -v[107:108]
	;; [unrolled: 1-line block ×3, first 2 shown]
	s_delay_alu instid0(VALU_DEP_3) | instskip(NEXT) | instid1(VALU_DEP_3)
	v_add_f64_e32 v[101:102], v[97:98], v[73:74]
	v_add_f64_e64 v[75:76], v[75:76], -v[109:110]
	s_delay_alu instid0(VALU_DEP_1) | instskip(NEXT) | instid1(VALU_DEP_3)
	v_add_f64_e32 v[75:76], v[99:100], v[75:76]
	v_add_f64_e64 v[99:100], v[101:102], -v[97:98]
	s_delay_alu instid0(VALU_DEP_2) | instskip(NEXT) | instid1(VALU_DEP_2)
	v_add_f64_e32 v[75:76], v[101:102], v[75:76]
	v_add_f64_e64 v[101:102], v[101:102], -v[99:100]
	v_add_f64_e64 v[73:74], v[73:74], -v[99:100]
	s_delay_alu instid0(VALU_DEP_3) | instskip(NEXT) | instid1(VALU_DEP_3)
	v_add_f64_e32 v[105:106], v[103:104], v[75:76]
	v_add_f64_e64 v[97:98], v[97:98], -v[101:102]
	s_delay_alu instid0(VALU_DEP_2) | instskip(NEXT) | instid1(VALU_DEP_2)
	v_add_f64_e64 v[99:100], v[105:106], -v[103:104]
	v_add_f64_e32 v[73:74], v[73:74], v[97:98]
	s_delay_alu instid0(VALU_DEP_2) | instskip(NEXT) | instid1(VALU_DEP_1)
	v_add_f64_e64 v[75:76], v[75:76], -v[99:100]
	v_add_f64_e32 v[73:74], v[73:74], v[75:76]
	s_delay_alu instid0(VALU_DEP_1) | instskip(SKIP_1) | instid1(VALU_DEP_1)
	v_add_f64_e32 v[73:74], v[105:106], v[73:74]
	s_wait_alu 0xfffe
	v_cndmask_b32_e64 v73, 0, v73, s0
	v_cmp_neq_f64_e64 s0, -1.0, v[71:72]
	s_delay_alu instid0(VALU_DEP_3) | instskip(SKIP_1) | instid1(VALU_DEP_1)
	v_cndmask_b32_e64 v74, 0x7ff00000, v74, s1
	s_wait_alu 0xf1ff
	v_cndmask_b32_e64 v74, 0x7ff80000, v74, s34
	s_delay_alu instid0(VALU_DEP_1) | instskip(NEXT) | instid1(VALU_DEP_1)
	v_cndmask_b32_e64 v74, 0xfff00000, v74, s0
	v_add_f64_e32 v[71:72], v[69:70], v[73:74]
.LBB80_81:
	s_wait_alu 0xfffe
	s_or_b32 exec_lo, exec_lo, s41
	s_delay_alu instid0(VALU_DEP_1)
	v_dual_mov_b32 v69, v71 :: v_dual_mov_b32 v70, v72
.LBB80_82:
	s_wait_alu 0xfffe
	s_or_b32 exec_lo, exec_lo, s40
	s_wait_dscnt 0x1
	v_or_b32_e32 v71, 31, v0
	s_mov_b32 s1, exec_lo
	s_delay_alu instid0(VALU_DEP_1)
	v_cmpx_eq_u32_e64 v0, v71
; %bb.83:
	ds_store_b64 v95, v[69:70]
; %bb.84:
	s_wait_alu 0xfffe
	s_or_b32 exec_lo, exec_lo, s1
	s_delay_alu instid0(SALU_CYCLE_1)
	s_mov_b32 s40, exec_lo
	s_wait_loadcnt_dscnt 0x0
	s_barrier_signal -1
	s_barrier_wait -1
	global_inv scope:SCOPE_SE
	v_cmpx_gt_u32_e32 8, v0
	s_cbranch_execz .LBB80_98
; %bb.85:
	ds_load_b64 v[71:72], v77
	v_and_b32_e32 v97, 7, v96
	s_mov_b32 s41, exec_lo
	s_wait_dscnt 0x0
	v_mov_b32_dpp v73, v71 row_shr:1 row_mask:0xf bank_mask:0xf
	v_mov_b32_dpp v74, v72 row_shr:1 row_mask:0xf bank_mask:0xf
	v_dual_mov_b32 v75, v71 :: v_dual_mov_b32 v76, v72
	v_cmpx_ne_u32_e32 0, v97
	s_cbranch_execz .LBB80_89
; %bb.86:
	s_delay_alu instid0(VALU_DEP_3) | instskip(SKIP_3) | instid1(VALU_DEP_3)
	v_max_num_f64_e32 v[75:76], v[73:74], v[73:74]
	v_max_num_f64_e32 v[98:99], v[71:72], v[71:72]
	v_cmp_u_f64_e64 s0, v[73:74], v[73:74]
	v_cmp_u_f64_e64 s1, v[71:72], v[71:72]
	v_min_num_f64_e32 v[100:101], v[75:76], v[98:99]
	v_max_num_f64_e32 v[75:76], v[75:76], v[98:99]
	s_wait_alu 0xf1ff
	s_delay_alu instid0(VALU_DEP_2) | instskip(NEXT) | instid1(VALU_DEP_3)
	v_cndmask_b32_e64 v98, v101, v74, s0
	v_cndmask_b32_e64 v99, v100, v73, s0
	s_delay_alu instid0(VALU_DEP_3) | instskip(NEXT) | instid1(VALU_DEP_4)
	v_cndmask_b32_e64 v100, v76, v74, s0
	v_cndmask_b32_e64 v101, v75, v73, s0
	s_delay_alu instid0(VALU_DEP_4) | instskip(NEXT) | instid1(VALU_DEP_4)
	v_cndmask_b32_e64 v76, v98, v72, s1
	v_cndmask_b32_e64 v75, v99, v71, s1
	s_delay_alu instid0(VALU_DEP_4) | instskip(NEXT) | instid1(VALU_DEP_4)
	v_cndmask_b32_e64 v72, v100, v72, s1
	v_cndmask_b32_e64 v71, v101, v71, s1
	s_delay_alu instid0(VALU_DEP_3) | instskip(NEXT) | instid1(VALU_DEP_2)
	v_cmp_class_f64_e64 s1, v[75:76], 0x1f8
	v_cmp_neq_f64_e64 s0, v[75:76], v[71:72]
	s_or_b32 s0, s0, s1
	s_wait_alu 0xfffe
	s_and_saveexec_b32 s42, s0
	s_cbranch_execz .LBB80_88
; %bb.87:
	v_add_f64_e64 v[73:74], v[75:76], -v[71:72]
	s_mov_b32 s0, 0x652b82fe
	s_mov_b32 s1, 0x3ff71547
	;; [unrolled: 1-line block ×10, first 2 shown]
	s_wait_alu 0xfffe
	s_delay_alu instid0(VALU_DEP_1) | instskip(SKIP_2) | instid1(VALU_DEP_1)
	v_mul_f64_e32 v[75:76], s[0:1], v[73:74]
	s_mov_b32 s0, 0xfca7ab0c
	s_mov_b32 s1, 0x3e928af3
	v_rndne_f64_e32 v[75:76], v[75:76]
	s_delay_alu instid0(VALU_DEP_1) | instskip(SKIP_2) | instid1(VALU_DEP_2)
	v_fma_f64 v[98:99], v[75:76], s[34:35], v[73:74]
	v_cvt_i32_f64_e32 v102, v[75:76]
	s_mov_b32 s35, 0x3fe62e42
	v_fma_f64 v[98:99], v[75:76], s[38:39], v[98:99]
	s_mov_b32 s39, 0x3c7abc9e
	s_wait_alu 0xfffe
	s_delay_alu instid0(VALU_DEP_1)
	v_fma_f64 v[100:101], v[98:99], s[44:45], s[0:1]
	s_mov_b32 s0, 0x623fde64
	s_mov_b32 s1, 0x3ec71dee
	;; [unrolled: 1-line block ×4, first 2 shown]
	s_wait_alu 0xfffe
	s_delay_alu instid0(VALU_DEP_1) | instskip(SKIP_3) | instid1(VALU_DEP_1)
	v_fma_f64 v[100:101], v[98:99], v[100:101], s[0:1]
	s_mov_b32 s0, 0x7c89e6b0
	s_mov_b32 s1, 0x3efa0199
	s_wait_alu 0xfffe
	v_fma_f64 v[100:101], v[98:99], v[100:101], s[0:1]
	s_mov_b32 s0, 0x14761f6e
	s_mov_b32 s1, 0x3f2a01a0
	s_wait_alu 0xfffe
	s_delay_alu instid0(VALU_DEP_1) | instskip(SKIP_3) | instid1(VALU_DEP_1)
	v_fma_f64 v[100:101], v[98:99], v[100:101], s[0:1]
	s_mov_b32 s0, 0x1852b7b0
	s_mov_b32 s1, 0x3f56c16c
	s_wait_alu 0xfffe
	v_fma_f64 v[100:101], v[98:99], v[100:101], s[0:1]
	s_mov_b32 s0, 0x11122322
	s_mov_b32 s1, 0x3f811111
	;; [unrolled: 9-line block ×3, first 2 shown]
	s_wait_alu 0xfffe
	s_delay_alu instid0(VALU_DEP_1) | instskip(SKIP_3) | instid1(VALU_DEP_1)
	v_fma_f64 v[100:101], v[98:99], v[100:101], s[0:1]
	s_mov_b32 s0, 11
	s_mov_b32 s1, 0x3fe00000
	s_wait_alu 0xfffe
	v_fma_f64 v[100:101], v[98:99], v[100:101], s[0:1]
	v_cmp_nlt_f64_e64 s0, 0x40900000, v[73:74]
	v_cmp_ngt_f64_e64 s1, 0xc090cc00, v[73:74]
	s_delay_alu instid0(VALU_DEP_3) | instskip(NEXT) | instid1(VALU_DEP_1)
	v_fma_f64 v[100:101], v[98:99], v[100:101], 1.0
	v_fma_f64 v[75:76], v[98:99], v[100:101], 1.0
	s_delay_alu instid0(VALU_DEP_1) | instskip(SKIP_1) | instid1(VALU_DEP_1)
	v_ldexp_f64 v[75:76], v[75:76], v102
	s_wait_alu 0xf1ff
	v_cndmask_b32_e64 v76, 0x7ff00000, v76, s0
	s_and_b32 s0, s1, s0
	s_wait_alu 0xfffe
	s_delay_alu instid0(VALU_DEP_2) | instskip(SKIP_3) | instid1(VALU_DEP_1)
	v_cndmask_b32_e64 v73, 0, v75, s0
	s_mov_b32 s0, 0x55555555
	v_cndmask_b32_e64 v74, 0, v76, s1
	s_mov_b32 s1, 0x3fe55555
	v_add_f64_e32 v[75:76], 1.0, v[73:74]
	s_delay_alu instid0(VALU_DEP_1) | instskip(SKIP_3) | instid1(VALU_DEP_3)
	v_frexp_mant_f64_e32 v[98:99], v[75:76]
	v_frexp_exp_i32_f64_e32 v102, v[75:76]
	v_add_f64_e32 v[100:101], -1.0, v[75:76]
	s_wait_alu 0xfffe
	v_cmp_gt_f64_e64 s0, s[0:1], v[98:99]
	s_delay_alu instid0(VALU_DEP_2) | instskip(SKIP_2) | instid1(VALU_DEP_3)
	v_add_f64_e64 v[98:99], v[100:101], -v[75:76]
	v_add_f64_e64 v[100:101], v[73:74], -v[100:101]
	s_wait_alu 0xf1ff
	v_subrev_co_ci_u32_e64 v118, null, 0, v102, s0
	s_delay_alu instid0(VALU_DEP_3) | instskip(SKIP_1) | instid1(VALU_DEP_2)
	v_add_f64_e32 v[98:99], 1.0, v[98:99]
	s_mov_b32 s0, 0x55555780
	v_sub_nc_u32_e32 v104, 0, v118
	s_delay_alu instid0(VALU_DEP_1) | instskip(NEXT) | instid1(VALU_DEP_3)
	v_ldexp_f64 v[75:76], v[75:76], v104
	v_add_f64_e32 v[98:99], v[100:101], v[98:99]
	s_delay_alu instid0(VALU_DEP_2) | instskip(SKIP_1) | instid1(VALU_DEP_3)
	v_add_f64_e32 v[102:103], 1.0, v[75:76]
	v_add_f64_e32 v[108:109], -1.0, v[75:76]
	v_ldexp_f64 v[98:99], v[98:99], v104
	s_delay_alu instid0(VALU_DEP_3) | instskip(NEXT) | instid1(VALU_DEP_3)
	v_add_f64_e32 v[100:101], -1.0, v[102:103]
	v_add_f64_e32 v[110:111], 1.0, v[108:109]
	s_delay_alu instid0(VALU_DEP_2) | instskip(NEXT) | instid1(VALU_DEP_2)
	v_add_f64_e64 v[100:101], v[75:76], -v[100:101]
	v_add_f64_e64 v[75:76], v[75:76], -v[110:111]
	s_delay_alu instid0(VALU_DEP_2) | instskip(NEXT) | instid1(VALU_DEP_2)
	v_add_f64_e32 v[100:101], v[98:99], v[100:101]
	v_add_f64_e32 v[75:76], v[98:99], v[75:76]
	s_delay_alu instid0(VALU_DEP_2) | instskip(NEXT) | instid1(VALU_DEP_2)
	v_add_f64_e32 v[104:105], v[102:103], v[100:101]
	v_add_f64_e32 v[110:111], v[108:109], v[75:76]
	s_delay_alu instid0(VALU_DEP_2) | instskip(SKIP_1) | instid1(VALU_DEP_2)
	v_rcp_f64_e32 v[106:107], v[104:105]
	v_add_f64_e64 v[102:103], v[104:105], -v[102:103]
	v_add_f64_e64 v[108:109], v[110:111], -v[108:109]
	s_delay_alu instid0(VALU_DEP_2) | instskip(NEXT) | instid1(TRANS32_DEP_1)
	v_add_f64_e64 v[100:101], v[100:101], -v[102:103]
	v_fma_f64 v[112:113], -v[104:105], v[106:107], 1.0
	s_delay_alu instid0(VALU_DEP_3) | instskip(NEXT) | instid1(VALU_DEP_2)
	v_add_f64_e64 v[75:76], v[75:76], -v[108:109]
	v_fma_f64 v[106:107], v[112:113], v[106:107], v[106:107]
	s_delay_alu instid0(VALU_DEP_1) | instskip(NEXT) | instid1(VALU_DEP_1)
	v_fma_f64 v[98:99], -v[104:105], v[106:107], 1.0
	v_fma_f64 v[98:99], v[98:99], v[106:107], v[106:107]
	s_delay_alu instid0(VALU_DEP_1) | instskip(NEXT) | instid1(VALU_DEP_1)
	v_mul_f64_e32 v[106:107], v[110:111], v[98:99]
	v_mul_f64_e32 v[112:113], v[104:105], v[106:107]
	s_delay_alu instid0(VALU_DEP_1) | instskip(NEXT) | instid1(VALU_DEP_1)
	v_fma_f64 v[102:103], v[106:107], v[104:105], -v[112:113]
	v_fma_f64 v[102:103], v[106:107], v[100:101], v[102:103]
	s_delay_alu instid0(VALU_DEP_1) | instskip(NEXT) | instid1(VALU_DEP_1)
	v_add_f64_e32 v[114:115], v[112:113], v[102:103]
	v_add_f64_e64 v[116:117], v[110:111], -v[114:115]
	v_add_f64_e64 v[108:109], v[114:115], -v[112:113]
	s_delay_alu instid0(VALU_DEP_2) | instskip(NEXT) | instid1(VALU_DEP_2)
	v_add_f64_e64 v[110:111], v[110:111], -v[116:117]
	v_add_f64_e64 v[102:103], v[108:109], -v[102:103]
	s_delay_alu instid0(VALU_DEP_2) | instskip(NEXT) | instid1(VALU_DEP_1)
	v_add_f64_e64 v[110:111], v[110:111], -v[114:115]
	v_add_f64_e32 v[75:76], v[75:76], v[110:111]
	s_delay_alu instid0(VALU_DEP_1) | instskip(NEXT) | instid1(VALU_DEP_1)
	v_add_f64_e32 v[75:76], v[102:103], v[75:76]
	v_add_f64_e32 v[102:103], v[116:117], v[75:76]
	s_delay_alu instid0(VALU_DEP_1) | instskip(SKIP_1) | instid1(VALU_DEP_2)
	v_mul_f64_e32 v[108:109], v[98:99], v[102:103]
	v_add_f64_e64 v[114:115], v[116:117], -v[102:103]
	v_mul_f64_e32 v[110:111], v[104:105], v[108:109]
	s_delay_alu instid0(VALU_DEP_2) | instskip(NEXT) | instid1(VALU_DEP_2)
	v_add_f64_e32 v[75:76], v[75:76], v[114:115]
	v_fma_f64 v[104:105], v[108:109], v[104:105], -v[110:111]
	s_delay_alu instid0(VALU_DEP_1) | instskip(NEXT) | instid1(VALU_DEP_1)
	v_fma_f64 v[100:101], v[108:109], v[100:101], v[104:105]
	v_add_f64_e32 v[104:105], v[110:111], v[100:101]
	s_delay_alu instid0(VALU_DEP_1) | instskip(SKIP_1) | instid1(VALU_DEP_2)
	v_add_f64_e64 v[112:113], v[102:103], -v[104:105]
	v_add_f64_e64 v[110:111], v[104:105], -v[110:111]
	;; [unrolled: 1-line block ×3, first 2 shown]
	s_delay_alu instid0(VALU_DEP_2) | instskip(NEXT) | instid1(VALU_DEP_2)
	v_add_f64_e64 v[100:101], v[110:111], -v[100:101]
	v_add_f64_e64 v[102:103], v[102:103], -v[104:105]
	s_delay_alu instid0(VALU_DEP_1) | instskip(SKIP_1) | instid1(VALU_DEP_2)
	v_add_f64_e32 v[75:76], v[75:76], v[102:103]
	v_add_f64_e32 v[102:103], v[106:107], v[108:109]
	;; [unrolled: 1-line block ×3, first 2 shown]
	s_delay_alu instid0(VALU_DEP_2) | instskip(NEXT) | instid1(VALU_DEP_2)
	v_add_f64_e64 v[100:101], v[102:103], -v[106:107]
	v_add_f64_e32 v[75:76], v[112:113], v[75:76]
	s_delay_alu instid0(VALU_DEP_2) | instskip(NEXT) | instid1(VALU_DEP_2)
	v_add_f64_e64 v[100:101], v[108:109], -v[100:101]
	v_mul_f64_e32 v[75:76], v[98:99], v[75:76]
	s_delay_alu instid0(VALU_DEP_1) | instskip(NEXT) | instid1(VALU_DEP_1)
	v_add_f64_e32 v[75:76], v[100:101], v[75:76]
	v_add_f64_e32 v[98:99], v[102:103], v[75:76]
	s_delay_alu instid0(VALU_DEP_1) | instskip(NEXT) | instid1(VALU_DEP_1)
	v_mul_f64_e32 v[100:101], v[98:99], v[98:99]
	v_fma_f64 v[104:105], v[100:101], s[46:47], s[44:45]
	s_mov_b32 s44, 0xd7f4df2e
	s_mov_b32 s45, 0x3fc7474d
	v_mul_f64_e32 v[106:107], v[98:99], v[100:101]
	s_wait_alu 0xfffe
	s_delay_alu instid0(VALU_DEP_2) | instskip(SKIP_3) | instid1(VALU_DEP_1)
	v_fma_f64 v[104:105], v[100:101], v[104:105], s[44:45]
	s_mov_b32 s44, 0x16291751
	s_mov_b32 s45, 0x3fcc71c0
	s_wait_alu 0xfffe
	v_fma_f64 v[104:105], v[100:101], v[104:105], s[44:45]
	s_mov_b32 s44, 0x9b27acf1
	s_mov_b32 s45, 0x3fd24924
	s_wait_alu 0xfffe
	s_delay_alu instid0(VALU_DEP_1) | instskip(SKIP_3) | instid1(VALU_DEP_1)
	v_fma_f64 v[104:105], v[100:101], v[104:105], s[44:45]
	s_mov_b32 s44, 0x998ef7b6
	s_mov_b32 s45, 0x3fd99999
	s_wait_alu 0xfffe
	v_fma_f64 v[104:105], v[100:101], v[104:105], s[44:45]
	s_delay_alu instid0(VALU_DEP_1)
	v_fma_f64 v[100:101], v[100:101], v[104:105], s[0:1]
	v_ldexp_f64 v[104:105], v[98:99], 1
	v_add_f64_e64 v[98:99], v[98:99], -v[102:103]
	v_cmp_nge_f64_e64 s0, -1.0, v[73:74]
	v_cmp_neq_f64_e64 s1, 0x7ff00000, v[73:74]
	v_mul_f64_e32 v[100:101], v[106:107], v[100:101]
	v_cvt_f64_i32_e32 v[106:107], v118
	v_add_f64_e64 v[75:76], v[75:76], -v[98:99]
	s_and_b32 s0, s0, s1
	s_delay_alu instid0(VALU_DEP_3) | instskip(NEXT) | instid1(VALU_DEP_3)
	v_add_f64_e32 v[102:103], v[104:105], v[100:101]
	v_mul_f64_e32 v[108:109], s[34:35], v[106:107]
	s_delay_alu instid0(VALU_DEP_3) | instskip(NEXT) | instid1(VALU_DEP_3)
	v_ldexp_f64 v[75:76], v[75:76], 1
	v_add_f64_e64 v[98:99], v[102:103], -v[104:105]
	s_delay_alu instid0(VALU_DEP_3) | instskip(SKIP_1) | instid1(VALU_DEP_3)
	v_fma_f64 v[104:105], v[106:107], s[34:35], -v[108:109]
	v_cmp_ngt_f64_e64 s34, -1.0, v[73:74]
	v_add_f64_e64 v[98:99], v[100:101], -v[98:99]
	s_delay_alu instid0(VALU_DEP_3) | instskip(NEXT) | instid1(VALU_DEP_2)
	v_fma_f64 v[100:101], v[106:107], s[38:39], v[104:105]
	v_add_f64_e32 v[75:76], v[75:76], v[98:99]
	s_delay_alu instid0(VALU_DEP_2) | instskip(NEXT) | instid1(VALU_DEP_2)
	v_add_f64_e32 v[98:99], v[108:109], v[100:101]
	v_add_f64_e32 v[104:105], v[102:103], v[75:76]
	s_delay_alu instid0(VALU_DEP_2) | instskip(NEXT) | instid1(VALU_DEP_2)
	v_add_f64_e64 v[108:109], v[98:99], -v[108:109]
	v_add_f64_e32 v[106:107], v[98:99], v[104:105]
	v_add_f64_e64 v[102:103], v[104:105], -v[102:103]
	s_delay_alu instid0(VALU_DEP_3) | instskip(NEXT) | instid1(VALU_DEP_3)
	v_add_f64_e64 v[100:101], v[100:101], -v[108:109]
	v_add_f64_e64 v[110:111], v[106:107], -v[98:99]
	s_delay_alu instid0(VALU_DEP_3) | instskip(NEXT) | instid1(VALU_DEP_2)
	v_add_f64_e64 v[75:76], v[75:76], -v[102:103]
	v_add_f64_e64 v[112:113], v[106:107], -v[110:111]
	;; [unrolled: 1-line block ×3, first 2 shown]
	s_delay_alu instid0(VALU_DEP_3) | instskip(NEXT) | instid1(VALU_DEP_3)
	v_add_f64_e32 v[104:105], v[100:101], v[75:76]
	v_add_f64_e64 v[98:99], v[98:99], -v[112:113]
	s_delay_alu instid0(VALU_DEP_1) | instskip(NEXT) | instid1(VALU_DEP_3)
	v_add_f64_e32 v[98:99], v[102:103], v[98:99]
	v_add_f64_e64 v[102:103], v[104:105], -v[100:101]
	s_delay_alu instid0(VALU_DEP_2) | instskip(NEXT) | instid1(VALU_DEP_2)
	v_add_f64_e32 v[98:99], v[104:105], v[98:99]
	v_add_f64_e64 v[104:105], v[104:105], -v[102:103]
	v_add_f64_e64 v[75:76], v[75:76], -v[102:103]
	s_delay_alu instid0(VALU_DEP_3) | instskip(NEXT) | instid1(VALU_DEP_3)
	v_add_f64_e32 v[108:109], v[106:107], v[98:99]
	v_add_f64_e64 v[100:101], v[100:101], -v[104:105]
	s_delay_alu instid0(VALU_DEP_2) | instskip(NEXT) | instid1(VALU_DEP_2)
	v_add_f64_e64 v[102:103], v[108:109], -v[106:107]
	v_add_f64_e32 v[75:76], v[75:76], v[100:101]
	s_delay_alu instid0(VALU_DEP_2) | instskip(NEXT) | instid1(VALU_DEP_1)
	v_add_f64_e64 v[98:99], v[98:99], -v[102:103]
	v_add_f64_e32 v[75:76], v[75:76], v[98:99]
	s_delay_alu instid0(VALU_DEP_1) | instskip(SKIP_1) | instid1(VALU_DEP_1)
	v_add_f64_e32 v[75:76], v[108:109], v[75:76]
	s_wait_alu 0xfffe
	v_cndmask_b32_e64 v75, 0, v75, s0
	v_cmp_neq_f64_e64 s0, -1.0, v[73:74]
	s_delay_alu instid0(VALU_DEP_3) | instskip(SKIP_1) | instid1(VALU_DEP_1)
	v_cndmask_b32_e64 v76, 0x7ff00000, v76, s1
	s_wait_alu 0xf1ff
	v_cndmask_b32_e64 v76, 0x7ff80000, v76, s34
	s_delay_alu instid0(VALU_DEP_1) | instskip(NEXT) | instid1(VALU_DEP_1)
	v_cndmask_b32_e64 v76, 0xfff00000, v76, s0
	v_add_f64_e32 v[73:74], v[71:72], v[75:76]
.LBB80_88:
	s_wait_alu 0xfffe
	s_or_b32 exec_lo, exec_lo, s42
	s_delay_alu instid0(VALU_DEP_1)
	v_dual_mov_b32 v75, v73 :: v_dual_mov_b32 v76, v74
	v_dual_mov_b32 v71, v73 :: v_dual_mov_b32 v72, v74
.LBB80_89:
	s_wait_alu 0xfffe
	s_or_b32 exec_lo, exec_lo, s41
	s_delay_alu instid0(VALU_DEP_2)
	v_mov_b32_dpp v73, v75 row_shr:2 row_mask:0xf bank_mask:0xf
	v_mov_b32_dpp v74, v76 row_shr:2 row_mask:0xf bank_mask:0xf
	s_mov_b32 s41, exec_lo
	v_cmpx_lt_u32_e32 1, v97
	s_cbranch_execz .LBB80_93
; %bb.90:
	s_delay_alu instid0(VALU_DEP_2) | instskip(SKIP_3) | instid1(VALU_DEP_3)
	v_max_num_f64_e32 v[75:76], v[73:74], v[73:74]
	v_max_num_f64_e32 v[98:99], v[71:72], v[71:72]
	v_cmp_u_f64_e64 s0, v[73:74], v[73:74]
	v_cmp_u_f64_e64 s1, v[71:72], v[71:72]
	v_min_num_f64_e32 v[100:101], v[75:76], v[98:99]
	v_max_num_f64_e32 v[75:76], v[75:76], v[98:99]
	s_wait_alu 0xf1ff
	s_delay_alu instid0(VALU_DEP_2) | instskip(NEXT) | instid1(VALU_DEP_3)
	v_cndmask_b32_e64 v98, v101, v74, s0
	v_cndmask_b32_e64 v99, v100, v73, s0
	s_delay_alu instid0(VALU_DEP_3) | instskip(NEXT) | instid1(VALU_DEP_4)
	v_cndmask_b32_e64 v100, v76, v74, s0
	v_cndmask_b32_e64 v101, v75, v73, s0
	s_delay_alu instid0(VALU_DEP_4) | instskip(NEXT) | instid1(VALU_DEP_4)
	v_cndmask_b32_e64 v76, v98, v72, s1
	v_cndmask_b32_e64 v75, v99, v71, s1
	s_delay_alu instid0(VALU_DEP_4) | instskip(NEXT) | instid1(VALU_DEP_4)
	v_cndmask_b32_e64 v72, v100, v72, s1
	v_cndmask_b32_e64 v71, v101, v71, s1
	s_delay_alu instid0(VALU_DEP_3) | instskip(NEXT) | instid1(VALU_DEP_2)
	v_cmp_class_f64_e64 s1, v[75:76], 0x1f8
	v_cmp_neq_f64_e64 s0, v[75:76], v[71:72]
	s_or_b32 s0, s0, s1
	s_wait_alu 0xfffe
	s_and_saveexec_b32 s42, s0
	s_cbranch_execz .LBB80_92
; %bb.91:
	v_add_f64_e64 v[73:74], v[75:76], -v[71:72]
	s_mov_b32 s0, 0x652b82fe
	s_mov_b32 s1, 0x3ff71547
	;; [unrolled: 1-line block ×10, first 2 shown]
	s_wait_alu 0xfffe
	s_delay_alu instid0(VALU_DEP_1) | instskip(SKIP_2) | instid1(VALU_DEP_1)
	v_mul_f64_e32 v[75:76], s[0:1], v[73:74]
	s_mov_b32 s0, 0xfca7ab0c
	s_mov_b32 s1, 0x3e928af3
	v_rndne_f64_e32 v[75:76], v[75:76]
	s_delay_alu instid0(VALU_DEP_1) | instskip(SKIP_2) | instid1(VALU_DEP_2)
	v_fma_f64 v[98:99], v[75:76], s[34:35], v[73:74]
	v_cvt_i32_f64_e32 v102, v[75:76]
	s_mov_b32 s35, 0x3fe62e42
	v_fma_f64 v[98:99], v[75:76], s[38:39], v[98:99]
	s_mov_b32 s39, 0x3c7abc9e
	s_wait_alu 0xfffe
	s_delay_alu instid0(VALU_DEP_1)
	v_fma_f64 v[100:101], v[98:99], s[44:45], s[0:1]
	s_mov_b32 s0, 0x623fde64
	s_mov_b32 s1, 0x3ec71dee
	;; [unrolled: 1-line block ×4, first 2 shown]
	s_wait_alu 0xfffe
	s_delay_alu instid0(VALU_DEP_1) | instskip(SKIP_3) | instid1(VALU_DEP_1)
	v_fma_f64 v[100:101], v[98:99], v[100:101], s[0:1]
	s_mov_b32 s0, 0x7c89e6b0
	s_mov_b32 s1, 0x3efa0199
	s_wait_alu 0xfffe
	v_fma_f64 v[100:101], v[98:99], v[100:101], s[0:1]
	s_mov_b32 s0, 0x14761f6e
	s_mov_b32 s1, 0x3f2a01a0
	s_wait_alu 0xfffe
	s_delay_alu instid0(VALU_DEP_1) | instskip(SKIP_3) | instid1(VALU_DEP_1)
	v_fma_f64 v[100:101], v[98:99], v[100:101], s[0:1]
	s_mov_b32 s0, 0x1852b7b0
	s_mov_b32 s1, 0x3f56c16c
	s_wait_alu 0xfffe
	v_fma_f64 v[100:101], v[98:99], v[100:101], s[0:1]
	s_mov_b32 s0, 0x11122322
	s_mov_b32 s1, 0x3f811111
	;; [unrolled: 9-line block ×3, first 2 shown]
	s_wait_alu 0xfffe
	s_delay_alu instid0(VALU_DEP_1) | instskip(SKIP_3) | instid1(VALU_DEP_1)
	v_fma_f64 v[100:101], v[98:99], v[100:101], s[0:1]
	s_mov_b32 s0, 11
	s_mov_b32 s1, 0x3fe00000
	s_wait_alu 0xfffe
	v_fma_f64 v[100:101], v[98:99], v[100:101], s[0:1]
	v_cmp_nlt_f64_e64 s0, 0x40900000, v[73:74]
	v_cmp_ngt_f64_e64 s1, 0xc090cc00, v[73:74]
	s_delay_alu instid0(VALU_DEP_3) | instskip(NEXT) | instid1(VALU_DEP_1)
	v_fma_f64 v[100:101], v[98:99], v[100:101], 1.0
	v_fma_f64 v[75:76], v[98:99], v[100:101], 1.0
	s_delay_alu instid0(VALU_DEP_1) | instskip(SKIP_1) | instid1(VALU_DEP_1)
	v_ldexp_f64 v[75:76], v[75:76], v102
	s_wait_alu 0xf1ff
	v_cndmask_b32_e64 v76, 0x7ff00000, v76, s0
	s_and_b32 s0, s1, s0
	s_wait_alu 0xfffe
	s_delay_alu instid0(VALU_DEP_2) | instskip(SKIP_3) | instid1(VALU_DEP_1)
	v_cndmask_b32_e64 v73, 0, v75, s0
	s_mov_b32 s0, 0x55555555
	v_cndmask_b32_e64 v74, 0, v76, s1
	s_mov_b32 s1, 0x3fe55555
	v_add_f64_e32 v[75:76], 1.0, v[73:74]
	s_delay_alu instid0(VALU_DEP_1) | instskip(SKIP_3) | instid1(VALU_DEP_3)
	v_frexp_mant_f64_e32 v[98:99], v[75:76]
	v_frexp_exp_i32_f64_e32 v102, v[75:76]
	v_add_f64_e32 v[100:101], -1.0, v[75:76]
	s_wait_alu 0xfffe
	v_cmp_gt_f64_e64 s0, s[0:1], v[98:99]
	s_delay_alu instid0(VALU_DEP_2) | instskip(SKIP_2) | instid1(VALU_DEP_3)
	v_add_f64_e64 v[98:99], v[100:101], -v[75:76]
	v_add_f64_e64 v[100:101], v[73:74], -v[100:101]
	s_wait_alu 0xf1ff
	v_subrev_co_ci_u32_e64 v118, null, 0, v102, s0
	s_delay_alu instid0(VALU_DEP_3) | instskip(SKIP_1) | instid1(VALU_DEP_2)
	v_add_f64_e32 v[98:99], 1.0, v[98:99]
	s_mov_b32 s0, 0x55555780
	v_sub_nc_u32_e32 v104, 0, v118
	s_delay_alu instid0(VALU_DEP_1) | instskip(NEXT) | instid1(VALU_DEP_3)
	v_ldexp_f64 v[75:76], v[75:76], v104
	v_add_f64_e32 v[98:99], v[100:101], v[98:99]
	s_delay_alu instid0(VALU_DEP_2) | instskip(SKIP_1) | instid1(VALU_DEP_3)
	v_add_f64_e32 v[102:103], 1.0, v[75:76]
	v_add_f64_e32 v[108:109], -1.0, v[75:76]
	v_ldexp_f64 v[98:99], v[98:99], v104
	s_delay_alu instid0(VALU_DEP_3) | instskip(NEXT) | instid1(VALU_DEP_3)
	v_add_f64_e32 v[100:101], -1.0, v[102:103]
	v_add_f64_e32 v[110:111], 1.0, v[108:109]
	s_delay_alu instid0(VALU_DEP_2) | instskip(NEXT) | instid1(VALU_DEP_2)
	v_add_f64_e64 v[100:101], v[75:76], -v[100:101]
	v_add_f64_e64 v[75:76], v[75:76], -v[110:111]
	s_delay_alu instid0(VALU_DEP_2) | instskip(NEXT) | instid1(VALU_DEP_2)
	v_add_f64_e32 v[100:101], v[98:99], v[100:101]
	v_add_f64_e32 v[75:76], v[98:99], v[75:76]
	s_delay_alu instid0(VALU_DEP_2) | instskip(NEXT) | instid1(VALU_DEP_2)
	v_add_f64_e32 v[104:105], v[102:103], v[100:101]
	v_add_f64_e32 v[110:111], v[108:109], v[75:76]
	s_delay_alu instid0(VALU_DEP_2) | instskip(SKIP_1) | instid1(VALU_DEP_2)
	v_rcp_f64_e32 v[106:107], v[104:105]
	v_add_f64_e64 v[102:103], v[104:105], -v[102:103]
	v_add_f64_e64 v[108:109], v[110:111], -v[108:109]
	s_delay_alu instid0(VALU_DEP_2) | instskip(NEXT) | instid1(TRANS32_DEP_1)
	v_add_f64_e64 v[100:101], v[100:101], -v[102:103]
	v_fma_f64 v[112:113], -v[104:105], v[106:107], 1.0
	s_delay_alu instid0(VALU_DEP_3) | instskip(NEXT) | instid1(VALU_DEP_2)
	v_add_f64_e64 v[75:76], v[75:76], -v[108:109]
	v_fma_f64 v[106:107], v[112:113], v[106:107], v[106:107]
	s_delay_alu instid0(VALU_DEP_1) | instskip(NEXT) | instid1(VALU_DEP_1)
	v_fma_f64 v[98:99], -v[104:105], v[106:107], 1.0
	v_fma_f64 v[98:99], v[98:99], v[106:107], v[106:107]
	s_delay_alu instid0(VALU_DEP_1) | instskip(NEXT) | instid1(VALU_DEP_1)
	v_mul_f64_e32 v[106:107], v[110:111], v[98:99]
	v_mul_f64_e32 v[112:113], v[104:105], v[106:107]
	s_delay_alu instid0(VALU_DEP_1) | instskip(NEXT) | instid1(VALU_DEP_1)
	v_fma_f64 v[102:103], v[106:107], v[104:105], -v[112:113]
	v_fma_f64 v[102:103], v[106:107], v[100:101], v[102:103]
	s_delay_alu instid0(VALU_DEP_1) | instskip(NEXT) | instid1(VALU_DEP_1)
	v_add_f64_e32 v[114:115], v[112:113], v[102:103]
	v_add_f64_e64 v[116:117], v[110:111], -v[114:115]
	v_add_f64_e64 v[108:109], v[114:115], -v[112:113]
	s_delay_alu instid0(VALU_DEP_2) | instskip(NEXT) | instid1(VALU_DEP_2)
	v_add_f64_e64 v[110:111], v[110:111], -v[116:117]
	v_add_f64_e64 v[102:103], v[108:109], -v[102:103]
	s_delay_alu instid0(VALU_DEP_2) | instskip(NEXT) | instid1(VALU_DEP_1)
	v_add_f64_e64 v[110:111], v[110:111], -v[114:115]
	v_add_f64_e32 v[75:76], v[75:76], v[110:111]
	s_delay_alu instid0(VALU_DEP_1) | instskip(NEXT) | instid1(VALU_DEP_1)
	v_add_f64_e32 v[75:76], v[102:103], v[75:76]
	v_add_f64_e32 v[102:103], v[116:117], v[75:76]
	s_delay_alu instid0(VALU_DEP_1) | instskip(SKIP_1) | instid1(VALU_DEP_2)
	v_mul_f64_e32 v[108:109], v[98:99], v[102:103]
	v_add_f64_e64 v[114:115], v[116:117], -v[102:103]
	v_mul_f64_e32 v[110:111], v[104:105], v[108:109]
	s_delay_alu instid0(VALU_DEP_2) | instskip(NEXT) | instid1(VALU_DEP_2)
	v_add_f64_e32 v[75:76], v[75:76], v[114:115]
	v_fma_f64 v[104:105], v[108:109], v[104:105], -v[110:111]
	s_delay_alu instid0(VALU_DEP_1) | instskip(NEXT) | instid1(VALU_DEP_1)
	v_fma_f64 v[100:101], v[108:109], v[100:101], v[104:105]
	v_add_f64_e32 v[104:105], v[110:111], v[100:101]
	s_delay_alu instid0(VALU_DEP_1) | instskip(SKIP_1) | instid1(VALU_DEP_2)
	v_add_f64_e64 v[112:113], v[102:103], -v[104:105]
	v_add_f64_e64 v[110:111], v[104:105], -v[110:111]
	;; [unrolled: 1-line block ×3, first 2 shown]
	s_delay_alu instid0(VALU_DEP_2) | instskip(NEXT) | instid1(VALU_DEP_2)
	v_add_f64_e64 v[100:101], v[110:111], -v[100:101]
	v_add_f64_e64 v[102:103], v[102:103], -v[104:105]
	s_delay_alu instid0(VALU_DEP_1) | instskip(SKIP_1) | instid1(VALU_DEP_2)
	v_add_f64_e32 v[75:76], v[75:76], v[102:103]
	v_add_f64_e32 v[102:103], v[106:107], v[108:109]
	v_add_f64_e32 v[75:76], v[100:101], v[75:76]
	s_delay_alu instid0(VALU_DEP_2) | instskip(NEXT) | instid1(VALU_DEP_2)
	v_add_f64_e64 v[100:101], v[102:103], -v[106:107]
	v_add_f64_e32 v[75:76], v[112:113], v[75:76]
	s_delay_alu instid0(VALU_DEP_2) | instskip(NEXT) | instid1(VALU_DEP_2)
	v_add_f64_e64 v[100:101], v[108:109], -v[100:101]
	v_mul_f64_e32 v[75:76], v[98:99], v[75:76]
	s_delay_alu instid0(VALU_DEP_1) | instskip(NEXT) | instid1(VALU_DEP_1)
	v_add_f64_e32 v[75:76], v[100:101], v[75:76]
	v_add_f64_e32 v[98:99], v[102:103], v[75:76]
	s_delay_alu instid0(VALU_DEP_1) | instskip(NEXT) | instid1(VALU_DEP_1)
	v_mul_f64_e32 v[100:101], v[98:99], v[98:99]
	v_fma_f64 v[104:105], v[100:101], s[46:47], s[44:45]
	s_mov_b32 s44, 0xd7f4df2e
	s_mov_b32 s45, 0x3fc7474d
	v_mul_f64_e32 v[106:107], v[98:99], v[100:101]
	s_wait_alu 0xfffe
	s_delay_alu instid0(VALU_DEP_2) | instskip(SKIP_3) | instid1(VALU_DEP_1)
	v_fma_f64 v[104:105], v[100:101], v[104:105], s[44:45]
	s_mov_b32 s44, 0x16291751
	s_mov_b32 s45, 0x3fcc71c0
	s_wait_alu 0xfffe
	v_fma_f64 v[104:105], v[100:101], v[104:105], s[44:45]
	s_mov_b32 s44, 0x9b27acf1
	s_mov_b32 s45, 0x3fd24924
	s_wait_alu 0xfffe
	s_delay_alu instid0(VALU_DEP_1) | instskip(SKIP_3) | instid1(VALU_DEP_1)
	v_fma_f64 v[104:105], v[100:101], v[104:105], s[44:45]
	s_mov_b32 s44, 0x998ef7b6
	s_mov_b32 s45, 0x3fd99999
	s_wait_alu 0xfffe
	v_fma_f64 v[104:105], v[100:101], v[104:105], s[44:45]
	s_delay_alu instid0(VALU_DEP_1)
	v_fma_f64 v[100:101], v[100:101], v[104:105], s[0:1]
	v_ldexp_f64 v[104:105], v[98:99], 1
	v_add_f64_e64 v[98:99], v[98:99], -v[102:103]
	v_cmp_nge_f64_e64 s0, -1.0, v[73:74]
	v_cmp_neq_f64_e64 s1, 0x7ff00000, v[73:74]
	v_mul_f64_e32 v[100:101], v[106:107], v[100:101]
	v_cvt_f64_i32_e32 v[106:107], v118
	v_add_f64_e64 v[75:76], v[75:76], -v[98:99]
	s_and_b32 s0, s0, s1
	s_delay_alu instid0(VALU_DEP_3) | instskip(NEXT) | instid1(VALU_DEP_3)
	v_add_f64_e32 v[102:103], v[104:105], v[100:101]
	v_mul_f64_e32 v[108:109], s[34:35], v[106:107]
	s_delay_alu instid0(VALU_DEP_3) | instskip(NEXT) | instid1(VALU_DEP_3)
	v_ldexp_f64 v[75:76], v[75:76], 1
	v_add_f64_e64 v[98:99], v[102:103], -v[104:105]
	s_delay_alu instid0(VALU_DEP_3) | instskip(SKIP_1) | instid1(VALU_DEP_3)
	v_fma_f64 v[104:105], v[106:107], s[34:35], -v[108:109]
	v_cmp_ngt_f64_e64 s34, -1.0, v[73:74]
	v_add_f64_e64 v[98:99], v[100:101], -v[98:99]
	s_delay_alu instid0(VALU_DEP_3) | instskip(NEXT) | instid1(VALU_DEP_2)
	v_fma_f64 v[100:101], v[106:107], s[38:39], v[104:105]
	v_add_f64_e32 v[75:76], v[75:76], v[98:99]
	s_delay_alu instid0(VALU_DEP_2) | instskip(NEXT) | instid1(VALU_DEP_2)
	v_add_f64_e32 v[98:99], v[108:109], v[100:101]
	v_add_f64_e32 v[104:105], v[102:103], v[75:76]
	s_delay_alu instid0(VALU_DEP_2) | instskip(NEXT) | instid1(VALU_DEP_2)
	v_add_f64_e64 v[108:109], v[98:99], -v[108:109]
	v_add_f64_e32 v[106:107], v[98:99], v[104:105]
	v_add_f64_e64 v[102:103], v[104:105], -v[102:103]
	s_delay_alu instid0(VALU_DEP_3) | instskip(NEXT) | instid1(VALU_DEP_3)
	v_add_f64_e64 v[100:101], v[100:101], -v[108:109]
	v_add_f64_e64 v[110:111], v[106:107], -v[98:99]
	s_delay_alu instid0(VALU_DEP_3) | instskip(NEXT) | instid1(VALU_DEP_2)
	v_add_f64_e64 v[75:76], v[75:76], -v[102:103]
	v_add_f64_e64 v[112:113], v[106:107], -v[110:111]
	;; [unrolled: 1-line block ×3, first 2 shown]
	s_delay_alu instid0(VALU_DEP_3) | instskip(NEXT) | instid1(VALU_DEP_3)
	v_add_f64_e32 v[104:105], v[100:101], v[75:76]
	v_add_f64_e64 v[98:99], v[98:99], -v[112:113]
	s_delay_alu instid0(VALU_DEP_1) | instskip(NEXT) | instid1(VALU_DEP_3)
	v_add_f64_e32 v[98:99], v[102:103], v[98:99]
	v_add_f64_e64 v[102:103], v[104:105], -v[100:101]
	s_delay_alu instid0(VALU_DEP_2) | instskip(NEXT) | instid1(VALU_DEP_2)
	v_add_f64_e32 v[98:99], v[104:105], v[98:99]
	v_add_f64_e64 v[104:105], v[104:105], -v[102:103]
	v_add_f64_e64 v[75:76], v[75:76], -v[102:103]
	s_delay_alu instid0(VALU_DEP_3) | instskip(NEXT) | instid1(VALU_DEP_3)
	v_add_f64_e32 v[108:109], v[106:107], v[98:99]
	v_add_f64_e64 v[100:101], v[100:101], -v[104:105]
	s_delay_alu instid0(VALU_DEP_2) | instskip(NEXT) | instid1(VALU_DEP_2)
	v_add_f64_e64 v[102:103], v[108:109], -v[106:107]
	v_add_f64_e32 v[75:76], v[75:76], v[100:101]
	s_delay_alu instid0(VALU_DEP_2) | instskip(NEXT) | instid1(VALU_DEP_1)
	v_add_f64_e64 v[98:99], v[98:99], -v[102:103]
	v_add_f64_e32 v[75:76], v[75:76], v[98:99]
	s_delay_alu instid0(VALU_DEP_1) | instskip(SKIP_1) | instid1(VALU_DEP_1)
	v_add_f64_e32 v[75:76], v[108:109], v[75:76]
	s_wait_alu 0xfffe
	v_cndmask_b32_e64 v75, 0, v75, s0
	v_cmp_neq_f64_e64 s0, -1.0, v[73:74]
	s_delay_alu instid0(VALU_DEP_3) | instskip(SKIP_1) | instid1(VALU_DEP_1)
	v_cndmask_b32_e64 v76, 0x7ff00000, v76, s1
	s_wait_alu 0xf1ff
	v_cndmask_b32_e64 v76, 0x7ff80000, v76, s34
	s_delay_alu instid0(VALU_DEP_1) | instskip(NEXT) | instid1(VALU_DEP_1)
	v_cndmask_b32_e64 v76, 0xfff00000, v76, s0
	v_add_f64_e32 v[73:74], v[71:72], v[75:76]
.LBB80_92:
	s_wait_alu 0xfffe
	s_or_b32 exec_lo, exec_lo, s42
	s_delay_alu instid0(VALU_DEP_1)
	v_dual_mov_b32 v75, v73 :: v_dual_mov_b32 v76, v74
	v_dual_mov_b32 v71, v73 :: v_dual_mov_b32 v72, v74
.LBB80_93:
	s_wait_alu 0xfffe
	s_or_b32 exec_lo, exec_lo, s41
	s_delay_alu instid0(VALU_DEP_2)
	v_mov_b32_dpp v73, v75 row_shr:4 row_mask:0xf bank_mask:0xf
	v_mov_b32_dpp v74, v76 row_shr:4 row_mask:0xf bank_mask:0xf
	s_mov_b32 s41, exec_lo
	v_cmpx_lt_u32_e32 3, v97
	s_cbranch_execz .LBB80_97
; %bb.94:
	s_delay_alu instid0(VALU_DEP_2) | instskip(SKIP_3) | instid1(VALU_DEP_3)
	v_max_num_f64_e32 v[75:76], v[73:74], v[73:74]
	v_max_num_f64_e32 v[97:98], v[71:72], v[71:72]
	v_cmp_u_f64_e64 s0, v[73:74], v[73:74]
	v_cmp_u_f64_e64 s1, v[71:72], v[71:72]
	v_min_num_f64_e32 v[99:100], v[75:76], v[97:98]
	v_max_num_f64_e32 v[75:76], v[75:76], v[97:98]
	s_wait_alu 0xf1ff
	s_delay_alu instid0(VALU_DEP_2) | instskip(NEXT) | instid1(VALU_DEP_3)
	v_cndmask_b32_e64 v97, v100, v74, s0
	v_cndmask_b32_e64 v98, v99, v73, s0
	s_delay_alu instid0(VALU_DEP_3) | instskip(NEXT) | instid1(VALU_DEP_4)
	v_cndmask_b32_e64 v99, v76, v74, s0
	v_cndmask_b32_e64 v100, v75, v73, s0
	s_delay_alu instid0(VALU_DEP_4) | instskip(NEXT) | instid1(VALU_DEP_4)
	v_cndmask_b32_e64 v76, v97, v72, s1
	v_cndmask_b32_e64 v75, v98, v71, s1
	s_delay_alu instid0(VALU_DEP_4) | instskip(NEXT) | instid1(VALU_DEP_4)
	v_cndmask_b32_e64 v72, v99, v72, s1
	v_cndmask_b32_e64 v71, v100, v71, s1
	s_delay_alu instid0(VALU_DEP_3) | instskip(NEXT) | instid1(VALU_DEP_2)
	v_cmp_class_f64_e64 s1, v[75:76], 0x1f8
	v_cmp_neq_f64_e64 s0, v[75:76], v[71:72]
	s_or_b32 s0, s0, s1
	s_wait_alu 0xfffe
	s_and_saveexec_b32 s42, s0
	s_cbranch_execz .LBB80_96
; %bb.95:
	v_add_f64_e64 v[73:74], v[75:76], -v[71:72]
	s_mov_b32 s0, 0x652b82fe
	s_mov_b32 s1, 0x3ff71547
	;; [unrolled: 1-line block ×10, first 2 shown]
	s_wait_alu 0xfffe
	s_delay_alu instid0(VALU_DEP_1) | instskip(SKIP_2) | instid1(VALU_DEP_1)
	v_mul_f64_e32 v[75:76], s[0:1], v[73:74]
	s_mov_b32 s0, 0xfca7ab0c
	s_mov_b32 s1, 0x3e928af3
	v_rndne_f64_e32 v[75:76], v[75:76]
	s_delay_alu instid0(VALU_DEP_1) | instskip(SKIP_2) | instid1(VALU_DEP_2)
	v_fma_f64 v[97:98], v[75:76], s[34:35], v[73:74]
	v_cvt_i32_f64_e32 v101, v[75:76]
	s_mov_b32 s35, 0x3fe62e42
	v_fma_f64 v[97:98], v[75:76], s[38:39], v[97:98]
	s_mov_b32 s39, 0x3c7abc9e
	s_wait_alu 0xfffe
	s_delay_alu instid0(VALU_DEP_1)
	v_fma_f64 v[99:100], v[97:98], s[44:45], s[0:1]
	s_mov_b32 s0, 0x623fde64
	s_mov_b32 s1, 0x3ec71dee
	;; [unrolled: 1-line block ×4, first 2 shown]
	s_wait_alu 0xfffe
	s_delay_alu instid0(VALU_DEP_1) | instskip(SKIP_3) | instid1(VALU_DEP_1)
	v_fma_f64 v[99:100], v[97:98], v[99:100], s[0:1]
	s_mov_b32 s0, 0x7c89e6b0
	s_mov_b32 s1, 0x3efa0199
	s_wait_alu 0xfffe
	v_fma_f64 v[99:100], v[97:98], v[99:100], s[0:1]
	s_mov_b32 s0, 0x14761f6e
	s_mov_b32 s1, 0x3f2a01a0
	s_wait_alu 0xfffe
	s_delay_alu instid0(VALU_DEP_1) | instskip(SKIP_3) | instid1(VALU_DEP_1)
	v_fma_f64 v[99:100], v[97:98], v[99:100], s[0:1]
	s_mov_b32 s0, 0x1852b7b0
	s_mov_b32 s1, 0x3f56c16c
	s_wait_alu 0xfffe
	v_fma_f64 v[99:100], v[97:98], v[99:100], s[0:1]
	s_mov_b32 s0, 0x11122322
	s_mov_b32 s1, 0x3f811111
	;; [unrolled: 9-line block ×3, first 2 shown]
	s_wait_alu 0xfffe
	s_delay_alu instid0(VALU_DEP_1) | instskip(SKIP_3) | instid1(VALU_DEP_1)
	v_fma_f64 v[99:100], v[97:98], v[99:100], s[0:1]
	s_mov_b32 s0, 11
	s_mov_b32 s1, 0x3fe00000
	s_wait_alu 0xfffe
	v_fma_f64 v[99:100], v[97:98], v[99:100], s[0:1]
	v_cmp_nlt_f64_e64 s0, 0x40900000, v[73:74]
	v_cmp_ngt_f64_e64 s1, 0xc090cc00, v[73:74]
	s_delay_alu instid0(VALU_DEP_3) | instskip(NEXT) | instid1(VALU_DEP_1)
	v_fma_f64 v[99:100], v[97:98], v[99:100], 1.0
	v_fma_f64 v[75:76], v[97:98], v[99:100], 1.0
	s_delay_alu instid0(VALU_DEP_1) | instskip(SKIP_1) | instid1(VALU_DEP_1)
	v_ldexp_f64 v[75:76], v[75:76], v101
	s_wait_alu 0xf1ff
	v_cndmask_b32_e64 v76, 0x7ff00000, v76, s0
	s_and_b32 s0, s1, s0
	s_wait_alu 0xfffe
	s_delay_alu instid0(VALU_DEP_2) | instskip(SKIP_3) | instid1(VALU_DEP_1)
	v_cndmask_b32_e64 v73, 0, v75, s0
	s_mov_b32 s0, 0x55555555
	v_cndmask_b32_e64 v74, 0, v76, s1
	s_mov_b32 s1, 0x3fe55555
	v_add_f64_e32 v[75:76], 1.0, v[73:74]
	s_delay_alu instid0(VALU_DEP_1) | instskip(SKIP_3) | instid1(VALU_DEP_3)
	v_frexp_mant_f64_e32 v[97:98], v[75:76]
	v_frexp_exp_i32_f64_e32 v101, v[75:76]
	v_add_f64_e32 v[99:100], -1.0, v[75:76]
	s_wait_alu 0xfffe
	v_cmp_gt_f64_e64 s0, s[0:1], v[97:98]
	s_delay_alu instid0(VALU_DEP_2) | instskip(SKIP_2) | instid1(VALU_DEP_3)
	v_add_f64_e64 v[97:98], v[99:100], -v[75:76]
	v_add_f64_e64 v[99:100], v[73:74], -v[99:100]
	s_wait_alu 0xf1ff
	v_subrev_co_ci_u32_e64 v117, null, 0, v101, s0
	s_delay_alu instid0(VALU_DEP_3) | instskip(SKIP_1) | instid1(VALU_DEP_2)
	v_add_f64_e32 v[97:98], 1.0, v[97:98]
	s_mov_b32 s0, 0x55555780
	v_sub_nc_u32_e32 v103, 0, v117
	s_delay_alu instid0(VALU_DEP_1) | instskip(NEXT) | instid1(VALU_DEP_3)
	v_ldexp_f64 v[75:76], v[75:76], v103
	v_add_f64_e32 v[97:98], v[99:100], v[97:98]
	s_delay_alu instid0(VALU_DEP_2) | instskip(SKIP_1) | instid1(VALU_DEP_3)
	v_add_f64_e32 v[101:102], 1.0, v[75:76]
	v_add_f64_e32 v[107:108], -1.0, v[75:76]
	v_ldexp_f64 v[97:98], v[97:98], v103
	s_delay_alu instid0(VALU_DEP_3) | instskip(NEXT) | instid1(VALU_DEP_3)
	v_add_f64_e32 v[99:100], -1.0, v[101:102]
	v_add_f64_e32 v[109:110], 1.0, v[107:108]
	s_delay_alu instid0(VALU_DEP_2) | instskip(NEXT) | instid1(VALU_DEP_2)
	v_add_f64_e64 v[99:100], v[75:76], -v[99:100]
	v_add_f64_e64 v[75:76], v[75:76], -v[109:110]
	s_delay_alu instid0(VALU_DEP_2) | instskip(NEXT) | instid1(VALU_DEP_2)
	v_add_f64_e32 v[99:100], v[97:98], v[99:100]
	v_add_f64_e32 v[75:76], v[97:98], v[75:76]
	s_delay_alu instid0(VALU_DEP_2) | instskip(NEXT) | instid1(VALU_DEP_2)
	v_add_f64_e32 v[103:104], v[101:102], v[99:100]
	v_add_f64_e32 v[109:110], v[107:108], v[75:76]
	s_delay_alu instid0(VALU_DEP_2) | instskip(SKIP_1) | instid1(VALU_DEP_2)
	v_rcp_f64_e32 v[105:106], v[103:104]
	v_add_f64_e64 v[101:102], v[103:104], -v[101:102]
	v_add_f64_e64 v[107:108], v[109:110], -v[107:108]
	s_delay_alu instid0(VALU_DEP_2) | instskip(NEXT) | instid1(TRANS32_DEP_1)
	v_add_f64_e64 v[99:100], v[99:100], -v[101:102]
	v_fma_f64 v[111:112], -v[103:104], v[105:106], 1.0
	s_delay_alu instid0(VALU_DEP_3) | instskip(NEXT) | instid1(VALU_DEP_2)
	v_add_f64_e64 v[75:76], v[75:76], -v[107:108]
	v_fma_f64 v[105:106], v[111:112], v[105:106], v[105:106]
	s_delay_alu instid0(VALU_DEP_1) | instskip(NEXT) | instid1(VALU_DEP_1)
	v_fma_f64 v[97:98], -v[103:104], v[105:106], 1.0
	v_fma_f64 v[97:98], v[97:98], v[105:106], v[105:106]
	s_delay_alu instid0(VALU_DEP_1) | instskip(NEXT) | instid1(VALU_DEP_1)
	v_mul_f64_e32 v[105:106], v[109:110], v[97:98]
	v_mul_f64_e32 v[111:112], v[103:104], v[105:106]
	s_delay_alu instid0(VALU_DEP_1) | instskip(NEXT) | instid1(VALU_DEP_1)
	v_fma_f64 v[101:102], v[105:106], v[103:104], -v[111:112]
	v_fma_f64 v[101:102], v[105:106], v[99:100], v[101:102]
	s_delay_alu instid0(VALU_DEP_1) | instskip(NEXT) | instid1(VALU_DEP_1)
	v_add_f64_e32 v[113:114], v[111:112], v[101:102]
	v_add_f64_e64 v[115:116], v[109:110], -v[113:114]
	v_add_f64_e64 v[107:108], v[113:114], -v[111:112]
	s_delay_alu instid0(VALU_DEP_2) | instskip(NEXT) | instid1(VALU_DEP_2)
	v_add_f64_e64 v[109:110], v[109:110], -v[115:116]
	v_add_f64_e64 v[101:102], v[107:108], -v[101:102]
	s_delay_alu instid0(VALU_DEP_2) | instskip(NEXT) | instid1(VALU_DEP_1)
	v_add_f64_e64 v[109:110], v[109:110], -v[113:114]
	v_add_f64_e32 v[75:76], v[75:76], v[109:110]
	s_delay_alu instid0(VALU_DEP_1) | instskip(NEXT) | instid1(VALU_DEP_1)
	v_add_f64_e32 v[75:76], v[101:102], v[75:76]
	v_add_f64_e32 v[101:102], v[115:116], v[75:76]
	s_delay_alu instid0(VALU_DEP_1) | instskip(SKIP_1) | instid1(VALU_DEP_2)
	v_mul_f64_e32 v[107:108], v[97:98], v[101:102]
	v_add_f64_e64 v[113:114], v[115:116], -v[101:102]
	v_mul_f64_e32 v[109:110], v[103:104], v[107:108]
	s_delay_alu instid0(VALU_DEP_2) | instskip(NEXT) | instid1(VALU_DEP_2)
	v_add_f64_e32 v[75:76], v[75:76], v[113:114]
	v_fma_f64 v[103:104], v[107:108], v[103:104], -v[109:110]
	s_delay_alu instid0(VALU_DEP_1) | instskip(NEXT) | instid1(VALU_DEP_1)
	v_fma_f64 v[99:100], v[107:108], v[99:100], v[103:104]
	v_add_f64_e32 v[103:104], v[109:110], v[99:100]
	s_delay_alu instid0(VALU_DEP_1) | instskip(SKIP_1) | instid1(VALU_DEP_2)
	v_add_f64_e64 v[111:112], v[101:102], -v[103:104]
	v_add_f64_e64 v[109:110], v[103:104], -v[109:110]
	;; [unrolled: 1-line block ×3, first 2 shown]
	s_delay_alu instid0(VALU_DEP_2) | instskip(NEXT) | instid1(VALU_DEP_2)
	v_add_f64_e64 v[99:100], v[109:110], -v[99:100]
	v_add_f64_e64 v[101:102], v[101:102], -v[103:104]
	s_delay_alu instid0(VALU_DEP_1) | instskip(SKIP_1) | instid1(VALU_DEP_2)
	v_add_f64_e32 v[75:76], v[75:76], v[101:102]
	v_add_f64_e32 v[101:102], v[105:106], v[107:108]
	;; [unrolled: 1-line block ×3, first 2 shown]
	s_delay_alu instid0(VALU_DEP_2) | instskip(NEXT) | instid1(VALU_DEP_2)
	v_add_f64_e64 v[99:100], v[101:102], -v[105:106]
	v_add_f64_e32 v[75:76], v[111:112], v[75:76]
	s_delay_alu instid0(VALU_DEP_2) | instskip(NEXT) | instid1(VALU_DEP_2)
	v_add_f64_e64 v[99:100], v[107:108], -v[99:100]
	v_mul_f64_e32 v[75:76], v[97:98], v[75:76]
	s_delay_alu instid0(VALU_DEP_1) | instskip(NEXT) | instid1(VALU_DEP_1)
	v_add_f64_e32 v[75:76], v[99:100], v[75:76]
	v_add_f64_e32 v[97:98], v[101:102], v[75:76]
	s_delay_alu instid0(VALU_DEP_1) | instskip(NEXT) | instid1(VALU_DEP_1)
	v_mul_f64_e32 v[99:100], v[97:98], v[97:98]
	v_fma_f64 v[103:104], v[99:100], s[46:47], s[44:45]
	s_mov_b32 s44, 0xd7f4df2e
	s_mov_b32 s45, 0x3fc7474d
	v_mul_f64_e32 v[105:106], v[97:98], v[99:100]
	s_wait_alu 0xfffe
	s_delay_alu instid0(VALU_DEP_2) | instskip(SKIP_3) | instid1(VALU_DEP_1)
	v_fma_f64 v[103:104], v[99:100], v[103:104], s[44:45]
	s_mov_b32 s44, 0x16291751
	s_mov_b32 s45, 0x3fcc71c0
	s_wait_alu 0xfffe
	v_fma_f64 v[103:104], v[99:100], v[103:104], s[44:45]
	s_mov_b32 s44, 0x9b27acf1
	s_mov_b32 s45, 0x3fd24924
	s_wait_alu 0xfffe
	s_delay_alu instid0(VALU_DEP_1) | instskip(SKIP_3) | instid1(VALU_DEP_1)
	v_fma_f64 v[103:104], v[99:100], v[103:104], s[44:45]
	s_mov_b32 s44, 0x998ef7b6
	s_mov_b32 s45, 0x3fd99999
	s_wait_alu 0xfffe
	v_fma_f64 v[103:104], v[99:100], v[103:104], s[44:45]
	s_delay_alu instid0(VALU_DEP_1)
	v_fma_f64 v[99:100], v[99:100], v[103:104], s[0:1]
	v_ldexp_f64 v[103:104], v[97:98], 1
	v_add_f64_e64 v[97:98], v[97:98], -v[101:102]
	v_cmp_nge_f64_e64 s0, -1.0, v[73:74]
	v_cmp_neq_f64_e64 s1, 0x7ff00000, v[73:74]
	v_mul_f64_e32 v[99:100], v[105:106], v[99:100]
	v_cvt_f64_i32_e32 v[105:106], v117
	v_add_f64_e64 v[75:76], v[75:76], -v[97:98]
	s_and_b32 s0, s0, s1
	s_delay_alu instid0(VALU_DEP_3) | instskip(NEXT) | instid1(VALU_DEP_3)
	v_add_f64_e32 v[101:102], v[103:104], v[99:100]
	v_mul_f64_e32 v[107:108], s[34:35], v[105:106]
	s_delay_alu instid0(VALU_DEP_3) | instskip(NEXT) | instid1(VALU_DEP_3)
	v_ldexp_f64 v[75:76], v[75:76], 1
	v_add_f64_e64 v[97:98], v[101:102], -v[103:104]
	s_delay_alu instid0(VALU_DEP_3) | instskip(SKIP_1) | instid1(VALU_DEP_3)
	v_fma_f64 v[103:104], v[105:106], s[34:35], -v[107:108]
	v_cmp_ngt_f64_e64 s34, -1.0, v[73:74]
	v_add_f64_e64 v[97:98], v[99:100], -v[97:98]
	s_delay_alu instid0(VALU_DEP_3) | instskip(NEXT) | instid1(VALU_DEP_2)
	v_fma_f64 v[99:100], v[105:106], s[38:39], v[103:104]
	v_add_f64_e32 v[75:76], v[75:76], v[97:98]
	s_delay_alu instid0(VALU_DEP_2) | instskip(NEXT) | instid1(VALU_DEP_2)
	v_add_f64_e32 v[97:98], v[107:108], v[99:100]
	v_add_f64_e32 v[103:104], v[101:102], v[75:76]
	s_delay_alu instid0(VALU_DEP_2) | instskip(NEXT) | instid1(VALU_DEP_2)
	v_add_f64_e64 v[107:108], v[97:98], -v[107:108]
	v_add_f64_e32 v[105:106], v[97:98], v[103:104]
	v_add_f64_e64 v[101:102], v[103:104], -v[101:102]
	s_delay_alu instid0(VALU_DEP_3) | instskip(NEXT) | instid1(VALU_DEP_3)
	v_add_f64_e64 v[99:100], v[99:100], -v[107:108]
	v_add_f64_e64 v[109:110], v[105:106], -v[97:98]
	s_delay_alu instid0(VALU_DEP_3) | instskip(NEXT) | instid1(VALU_DEP_2)
	v_add_f64_e64 v[75:76], v[75:76], -v[101:102]
	v_add_f64_e64 v[111:112], v[105:106], -v[109:110]
	;; [unrolled: 1-line block ×3, first 2 shown]
	s_delay_alu instid0(VALU_DEP_3) | instskip(NEXT) | instid1(VALU_DEP_3)
	v_add_f64_e32 v[103:104], v[99:100], v[75:76]
	v_add_f64_e64 v[97:98], v[97:98], -v[111:112]
	s_delay_alu instid0(VALU_DEP_1) | instskip(NEXT) | instid1(VALU_DEP_3)
	v_add_f64_e32 v[97:98], v[101:102], v[97:98]
	v_add_f64_e64 v[101:102], v[103:104], -v[99:100]
	s_delay_alu instid0(VALU_DEP_2) | instskip(NEXT) | instid1(VALU_DEP_2)
	v_add_f64_e32 v[97:98], v[103:104], v[97:98]
	v_add_f64_e64 v[103:104], v[103:104], -v[101:102]
	v_add_f64_e64 v[75:76], v[75:76], -v[101:102]
	s_delay_alu instid0(VALU_DEP_3) | instskip(NEXT) | instid1(VALU_DEP_3)
	v_add_f64_e32 v[107:108], v[105:106], v[97:98]
	v_add_f64_e64 v[99:100], v[99:100], -v[103:104]
	s_delay_alu instid0(VALU_DEP_2) | instskip(NEXT) | instid1(VALU_DEP_2)
	v_add_f64_e64 v[101:102], v[107:108], -v[105:106]
	v_add_f64_e32 v[75:76], v[75:76], v[99:100]
	s_delay_alu instid0(VALU_DEP_2) | instskip(NEXT) | instid1(VALU_DEP_1)
	v_add_f64_e64 v[97:98], v[97:98], -v[101:102]
	v_add_f64_e32 v[75:76], v[75:76], v[97:98]
	s_delay_alu instid0(VALU_DEP_1) | instskip(SKIP_1) | instid1(VALU_DEP_1)
	v_add_f64_e32 v[75:76], v[107:108], v[75:76]
	s_wait_alu 0xfffe
	v_cndmask_b32_e64 v75, 0, v75, s0
	v_cmp_neq_f64_e64 s0, -1.0, v[73:74]
	s_delay_alu instid0(VALU_DEP_3) | instskip(SKIP_1) | instid1(VALU_DEP_1)
	v_cndmask_b32_e64 v76, 0x7ff00000, v76, s1
	s_wait_alu 0xf1ff
	v_cndmask_b32_e64 v76, 0x7ff80000, v76, s34
	s_delay_alu instid0(VALU_DEP_1) | instskip(NEXT) | instid1(VALU_DEP_1)
	v_cndmask_b32_e64 v76, 0xfff00000, v76, s0
	v_add_f64_e32 v[73:74], v[71:72], v[75:76]
.LBB80_96:
	s_wait_alu 0xfffe
	s_or_b32 exec_lo, exec_lo, s42
	s_delay_alu instid0(VALU_DEP_1)
	v_dual_mov_b32 v71, v73 :: v_dual_mov_b32 v72, v74
.LBB80_97:
	s_wait_alu 0xfffe
	s_or_b32 exec_lo, exec_lo, s41
	ds_store_b64 v77, v[71:72]
.LBB80_98:
	s_wait_alu 0xfffe
	s_or_b32 exec_lo, exec_lo, s40
	s_delay_alu instid0(SALU_CYCLE_1)
	s_mov_b32 s40, exec_lo
	s_wait_loadcnt_dscnt 0x0
	s_barrier_signal -1
	s_barrier_wait -1
	global_inv scope:SCOPE_SE
                                        ; implicit-def: $vgpr71_vgpr72
	v_cmpx_lt_u32_e32 31, v0
	s_cbranch_execz .LBB80_102
; %bb.99:
	v_add_nc_u32_e32 v71, -8, v95
	v_max_num_f64_e32 v[73:74], v[69:70], v[69:70]
	v_cmp_u_f64_e64 s1, v[69:70], v[69:70]
	ds_load_b64 v[71:72], v71
	s_wait_dscnt 0x0
	v_max_num_f64_e32 v[75:76], v[71:72], v[71:72]
	v_cmp_u_f64_e64 s0, v[71:72], v[71:72]
	s_delay_alu instid0(VALU_DEP_2) | instskip(SKIP_2) | instid1(VALU_DEP_2)
	v_min_num_f64_e32 v[97:98], v[75:76], v[73:74]
	v_max_num_f64_e32 v[73:74], v[75:76], v[73:74]
	s_wait_alu 0xf1ff
	v_cndmask_b32_e64 v75, v97, v71, s0
	s_delay_alu instid0(VALU_DEP_3) | instskip(NEXT) | instid1(VALU_DEP_3)
	v_cndmask_b32_e64 v76, v98, v72, s0
	v_cndmask_b32_e64 v74, v74, v72, s0
	s_delay_alu instid0(VALU_DEP_4) | instskip(NEXT) | instid1(VALU_DEP_4)
	v_cndmask_b32_e64 v73, v73, v71, s0
	v_cndmask_b32_e64 v75, v75, v69, s1
	s_delay_alu instid0(VALU_DEP_4) | instskip(NEXT) | instid1(VALU_DEP_4)
	v_cndmask_b32_e64 v76, v76, v70, s1
	v_cndmask_b32_e64 v74, v74, v70, s1
	s_delay_alu instid0(VALU_DEP_4) | instskip(SKIP_1) | instid1(VALU_DEP_4)
	v_cndmask_b32_e64 v73, v73, v69, s1
	v_dual_mov_b32 v69, v71 :: v_dual_mov_b32 v70, v72
	v_cmp_class_f64_e64 s1, v[75:76], 0x1f8
	s_delay_alu instid0(VALU_DEP_3)
	v_cmp_neq_f64_e64 s0, v[75:76], v[73:74]
	s_or_b32 s0, s0, s1
	s_wait_alu 0xfffe
	s_and_saveexec_b32 s41, s0
	s_cbranch_execz .LBB80_101
; %bb.100:
	v_add_f64_e64 v[69:70], v[75:76], -v[73:74]
	s_mov_b32 s0, 0x652b82fe
	s_mov_b32 s1, 0x3ff71547
	;; [unrolled: 1-line block ×10, first 2 shown]
	s_wait_alu 0xfffe
	s_delay_alu instid0(VALU_DEP_1) | instskip(SKIP_2) | instid1(VALU_DEP_1)
	v_mul_f64_e32 v[75:76], s[0:1], v[69:70]
	s_mov_b32 s0, 0xfca7ab0c
	s_mov_b32 s1, 0x3e928af3
	v_rndne_f64_e32 v[75:76], v[75:76]
	s_delay_alu instid0(VALU_DEP_1) | instskip(SKIP_2) | instid1(VALU_DEP_2)
	v_fma_f64 v[97:98], v[75:76], s[34:35], v[69:70]
	v_cvt_i32_f64_e32 v95, v[75:76]
	s_mov_b32 s35, 0x3fe62e42
	v_fma_f64 v[97:98], v[75:76], s[38:39], v[97:98]
	s_mov_b32 s39, 0x3c7abc9e
	s_wait_alu 0xfffe
	s_delay_alu instid0(VALU_DEP_1)
	v_fma_f64 v[99:100], v[97:98], s[42:43], s[0:1]
	s_mov_b32 s0, 0x623fde64
	s_mov_b32 s1, 0x3ec71dee
	;; [unrolled: 1-line block ×4, first 2 shown]
	s_wait_alu 0xfffe
	s_delay_alu instid0(VALU_DEP_1) | instskip(SKIP_3) | instid1(VALU_DEP_1)
	v_fma_f64 v[99:100], v[97:98], v[99:100], s[0:1]
	s_mov_b32 s0, 0x7c89e6b0
	s_mov_b32 s1, 0x3efa0199
	s_wait_alu 0xfffe
	v_fma_f64 v[99:100], v[97:98], v[99:100], s[0:1]
	s_mov_b32 s0, 0x14761f6e
	s_mov_b32 s1, 0x3f2a01a0
	s_wait_alu 0xfffe
	s_delay_alu instid0(VALU_DEP_1) | instskip(SKIP_3) | instid1(VALU_DEP_1)
	v_fma_f64 v[99:100], v[97:98], v[99:100], s[0:1]
	s_mov_b32 s0, 0x1852b7b0
	s_mov_b32 s1, 0x3f56c16c
	s_wait_alu 0xfffe
	v_fma_f64 v[99:100], v[97:98], v[99:100], s[0:1]
	s_mov_b32 s0, 0x11122322
	s_mov_b32 s1, 0x3f811111
	;; [unrolled: 9-line block ×3, first 2 shown]
	s_wait_alu 0xfffe
	s_delay_alu instid0(VALU_DEP_1) | instskip(SKIP_3) | instid1(VALU_DEP_1)
	v_fma_f64 v[99:100], v[97:98], v[99:100], s[0:1]
	s_mov_b32 s0, 11
	s_mov_b32 s1, 0x3fe00000
	s_wait_alu 0xfffe
	v_fma_f64 v[99:100], v[97:98], v[99:100], s[0:1]
	v_cmp_nlt_f64_e64 s0, 0x40900000, v[69:70]
	v_cmp_ngt_f64_e64 s1, 0xc090cc00, v[69:70]
	s_delay_alu instid0(VALU_DEP_3) | instskip(NEXT) | instid1(VALU_DEP_1)
	v_fma_f64 v[99:100], v[97:98], v[99:100], 1.0
	v_fma_f64 v[75:76], v[97:98], v[99:100], 1.0
	s_delay_alu instid0(VALU_DEP_1) | instskip(SKIP_1) | instid1(VALU_DEP_1)
	v_ldexp_f64 v[75:76], v[75:76], v95
	s_wait_alu 0xf1ff
	v_cndmask_b32_e64 v76, 0x7ff00000, v76, s0
	s_and_b32 s0, s1, s0
	s_wait_alu 0xfffe
	s_delay_alu instid0(VALU_DEP_2) | instskip(SKIP_3) | instid1(VALU_DEP_1)
	v_cndmask_b32_e64 v69, 0, v75, s0
	s_mov_b32 s0, 0x55555555
	v_cndmask_b32_e64 v70, 0, v76, s1
	s_mov_b32 s1, 0x3fe55555
	v_add_f64_e32 v[75:76], 1.0, v[69:70]
	s_delay_alu instid0(VALU_DEP_1) | instskip(SKIP_3) | instid1(VALU_DEP_3)
	v_frexp_mant_f64_e32 v[97:98], v[75:76]
	v_frexp_exp_i32_f64_e32 v95, v[75:76]
	v_add_f64_e32 v[99:100], -1.0, v[75:76]
	s_wait_alu 0xfffe
	v_cmp_gt_f64_e64 s0, s[0:1], v[97:98]
	s_delay_alu instid0(VALU_DEP_2) | instskip(SKIP_2) | instid1(VALU_DEP_3)
	v_add_f64_e64 v[97:98], v[99:100], -v[75:76]
	v_add_f64_e64 v[99:100], v[69:70], -v[99:100]
	s_wait_alu 0xf1ff
	v_subrev_co_ci_u32_e64 v95, null, 0, v95, s0
	s_delay_alu instid0(VALU_DEP_3) | instskip(SKIP_1) | instid1(VALU_DEP_2)
	v_add_f64_e32 v[97:98], 1.0, v[97:98]
	s_mov_b32 s0, 0x55555780
	v_sub_nc_u32_e32 v103, 0, v95
	s_delay_alu instid0(VALU_DEP_1) | instskip(NEXT) | instid1(VALU_DEP_3)
	v_ldexp_f64 v[75:76], v[75:76], v103
	v_add_f64_e32 v[97:98], v[99:100], v[97:98]
	s_delay_alu instid0(VALU_DEP_2) | instskip(SKIP_1) | instid1(VALU_DEP_3)
	v_add_f64_e32 v[101:102], 1.0, v[75:76]
	v_add_f64_e32 v[107:108], -1.0, v[75:76]
	v_ldexp_f64 v[97:98], v[97:98], v103
	s_delay_alu instid0(VALU_DEP_3) | instskip(NEXT) | instid1(VALU_DEP_3)
	v_add_f64_e32 v[99:100], -1.0, v[101:102]
	v_add_f64_e32 v[109:110], 1.0, v[107:108]
	s_delay_alu instid0(VALU_DEP_2) | instskip(NEXT) | instid1(VALU_DEP_2)
	v_add_f64_e64 v[99:100], v[75:76], -v[99:100]
	v_add_f64_e64 v[75:76], v[75:76], -v[109:110]
	s_delay_alu instid0(VALU_DEP_2) | instskip(NEXT) | instid1(VALU_DEP_2)
	v_add_f64_e32 v[99:100], v[97:98], v[99:100]
	v_add_f64_e32 v[75:76], v[97:98], v[75:76]
	s_delay_alu instid0(VALU_DEP_2) | instskip(NEXT) | instid1(VALU_DEP_2)
	v_add_f64_e32 v[103:104], v[101:102], v[99:100]
	v_add_f64_e32 v[109:110], v[107:108], v[75:76]
	s_delay_alu instid0(VALU_DEP_2) | instskip(SKIP_1) | instid1(VALU_DEP_2)
	v_rcp_f64_e32 v[105:106], v[103:104]
	v_add_f64_e64 v[101:102], v[103:104], -v[101:102]
	v_add_f64_e64 v[107:108], v[109:110], -v[107:108]
	s_delay_alu instid0(VALU_DEP_2) | instskip(NEXT) | instid1(TRANS32_DEP_1)
	v_add_f64_e64 v[99:100], v[99:100], -v[101:102]
	v_fma_f64 v[111:112], -v[103:104], v[105:106], 1.0
	s_delay_alu instid0(VALU_DEP_3) | instskip(NEXT) | instid1(VALU_DEP_2)
	v_add_f64_e64 v[75:76], v[75:76], -v[107:108]
	v_fma_f64 v[105:106], v[111:112], v[105:106], v[105:106]
	s_delay_alu instid0(VALU_DEP_1) | instskip(NEXT) | instid1(VALU_DEP_1)
	v_fma_f64 v[97:98], -v[103:104], v[105:106], 1.0
	v_fma_f64 v[97:98], v[97:98], v[105:106], v[105:106]
	s_delay_alu instid0(VALU_DEP_1) | instskip(NEXT) | instid1(VALU_DEP_1)
	v_mul_f64_e32 v[105:106], v[109:110], v[97:98]
	v_mul_f64_e32 v[111:112], v[103:104], v[105:106]
	s_delay_alu instid0(VALU_DEP_1) | instskip(NEXT) | instid1(VALU_DEP_1)
	v_fma_f64 v[101:102], v[105:106], v[103:104], -v[111:112]
	v_fma_f64 v[101:102], v[105:106], v[99:100], v[101:102]
	s_delay_alu instid0(VALU_DEP_1) | instskip(NEXT) | instid1(VALU_DEP_1)
	v_add_f64_e32 v[113:114], v[111:112], v[101:102]
	v_add_f64_e64 v[115:116], v[109:110], -v[113:114]
	v_add_f64_e64 v[107:108], v[113:114], -v[111:112]
	s_delay_alu instid0(VALU_DEP_2) | instskip(NEXT) | instid1(VALU_DEP_2)
	v_add_f64_e64 v[109:110], v[109:110], -v[115:116]
	v_add_f64_e64 v[101:102], v[107:108], -v[101:102]
	s_delay_alu instid0(VALU_DEP_2) | instskip(NEXT) | instid1(VALU_DEP_1)
	v_add_f64_e64 v[109:110], v[109:110], -v[113:114]
	v_add_f64_e32 v[75:76], v[75:76], v[109:110]
	s_delay_alu instid0(VALU_DEP_1) | instskip(NEXT) | instid1(VALU_DEP_1)
	v_add_f64_e32 v[75:76], v[101:102], v[75:76]
	v_add_f64_e32 v[101:102], v[115:116], v[75:76]
	s_delay_alu instid0(VALU_DEP_1) | instskip(SKIP_1) | instid1(VALU_DEP_2)
	v_mul_f64_e32 v[107:108], v[97:98], v[101:102]
	v_add_f64_e64 v[113:114], v[115:116], -v[101:102]
	v_mul_f64_e32 v[109:110], v[103:104], v[107:108]
	s_delay_alu instid0(VALU_DEP_2) | instskip(NEXT) | instid1(VALU_DEP_2)
	v_add_f64_e32 v[75:76], v[75:76], v[113:114]
	v_fma_f64 v[103:104], v[107:108], v[103:104], -v[109:110]
	s_delay_alu instid0(VALU_DEP_1) | instskip(NEXT) | instid1(VALU_DEP_1)
	v_fma_f64 v[99:100], v[107:108], v[99:100], v[103:104]
	v_add_f64_e32 v[103:104], v[109:110], v[99:100]
	s_delay_alu instid0(VALU_DEP_1) | instskip(SKIP_1) | instid1(VALU_DEP_2)
	v_add_f64_e64 v[111:112], v[101:102], -v[103:104]
	v_add_f64_e64 v[109:110], v[103:104], -v[109:110]
	;; [unrolled: 1-line block ×3, first 2 shown]
	s_delay_alu instid0(VALU_DEP_2) | instskip(NEXT) | instid1(VALU_DEP_2)
	v_add_f64_e64 v[99:100], v[109:110], -v[99:100]
	v_add_f64_e64 v[101:102], v[101:102], -v[103:104]
	s_delay_alu instid0(VALU_DEP_1) | instskip(SKIP_1) | instid1(VALU_DEP_2)
	v_add_f64_e32 v[75:76], v[75:76], v[101:102]
	v_add_f64_e32 v[101:102], v[105:106], v[107:108]
	;; [unrolled: 1-line block ×3, first 2 shown]
	s_delay_alu instid0(VALU_DEP_2) | instskip(NEXT) | instid1(VALU_DEP_2)
	v_add_f64_e64 v[99:100], v[101:102], -v[105:106]
	v_add_f64_e32 v[75:76], v[111:112], v[75:76]
	s_delay_alu instid0(VALU_DEP_2) | instskip(NEXT) | instid1(VALU_DEP_2)
	v_add_f64_e64 v[99:100], v[107:108], -v[99:100]
	v_mul_f64_e32 v[75:76], v[97:98], v[75:76]
	s_delay_alu instid0(VALU_DEP_1) | instskip(NEXT) | instid1(VALU_DEP_1)
	v_add_f64_e32 v[75:76], v[99:100], v[75:76]
	v_add_f64_e32 v[97:98], v[101:102], v[75:76]
	s_delay_alu instid0(VALU_DEP_1) | instskip(NEXT) | instid1(VALU_DEP_1)
	v_mul_f64_e32 v[99:100], v[97:98], v[97:98]
	v_fma_f64 v[103:104], v[99:100], s[44:45], s[42:43]
	s_mov_b32 s42, 0xd7f4df2e
	s_mov_b32 s43, 0x3fc7474d
	v_mul_f64_e32 v[105:106], v[97:98], v[99:100]
	s_wait_alu 0xfffe
	s_delay_alu instid0(VALU_DEP_2) | instskip(SKIP_3) | instid1(VALU_DEP_1)
	v_fma_f64 v[103:104], v[99:100], v[103:104], s[42:43]
	s_mov_b32 s42, 0x16291751
	s_mov_b32 s43, 0x3fcc71c0
	s_wait_alu 0xfffe
	v_fma_f64 v[103:104], v[99:100], v[103:104], s[42:43]
	s_mov_b32 s42, 0x9b27acf1
	s_mov_b32 s43, 0x3fd24924
	s_wait_alu 0xfffe
	s_delay_alu instid0(VALU_DEP_1) | instskip(SKIP_3) | instid1(VALU_DEP_1)
	v_fma_f64 v[103:104], v[99:100], v[103:104], s[42:43]
	s_mov_b32 s42, 0x998ef7b6
	s_mov_b32 s43, 0x3fd99999
	s_wait_alu 0xfffe
	v_fma_f64 v[103:104], v[99:100], v[103:104], s[42:43]
	s_delay_alu instid0(VALU_DEP_1)
	v_fma_f64 v[99:100], v[99:100], v[103:104], s[0:1]
	v_ldexp_f64 v[103:104], v[97:98], 1
	v_add_f64_e64 v[97:98], v[97:98], -v[101:102]
	v_cmp_nge_f64_e64 s0, -1.0, v[69:70]
	v_cmp_neq_f64_e64 s1, 0x7ff00000, v[69:70]
	v_mul_f64_e32 v[99:100], v[105:106], v[99:100]
	v_cvt_f64_i32_e32 v[105:106], v95
	v_add_f64_e64 v[75:76], v[75:76], -v[97:98]
	s_and_b32 s0, s0, s1
	s_delay_alu instid0(VALU_DEP_3) | instskip(NEXT) | instid1(VALU_DEP_3)
	v_add_f64_e32 v[101:102], v[103:104], v[99:100]
	v_mul_f64_e32 v[107:108], s[34:35], v[105:106]
	s_delay_alu instid0(VALU_DEP_3) | instskip(NEXT) | instid1(VALU_DEP_3)
	v_ldexp_f64 v[75:76], v[75:76], 1
	v_add_f64_e64 v[97:98], v[101:102], -v[103:104]
	s_delay_alu instid0(VALU_DEP_3) | instskip(SKIP_1) | instid1(VALU_DEP_3)
	v_fma_f64 v[103:104], v[105:106], s[34:35], -v[107:108]
	v_cmp_ngt_f64_e64 s34, -1.0, v[69:70]
	v_add_f64_e64 v[97:98], v[99:100], -v[97:98]
	s_delay_alu instid0(VALU_DEP_3) | instskip(NEXT) | instid1(VALU_DEP_2)
	v_fma_f64 v[99:100], v[105:106], s[38:39], v[103:104]
	v_add_f64_e32 v[75:76], v[75:76], v[97:98]
	s_delay_alu instid0(VALU_DEP_2) | instskip(NEXT) | instid1(VALU_DEP_2)
	v_add_f64_e32 v[97:98], v[107:108], v[99:100]
	v_add_f64_e32 v[103:104], v[101:102], v[75:76]
	s_delay_alu instid0(VALU_DEP_2) | instskip(NEXT) | instid1(VALU_DEP_2)
	v_add_f64_e64 v[107:108], v[97:98], -v[107:108]
	v_add_f64_e32 v[105:106], v[97:98], v[103:104]
	v_add_f64_e64 v[101:102], v[103:104], -v[101:102]
	s_delay_alu instid0(VALU_DEP_3) | instskip(NEXT) | instid1(VALU_DEP_3)
	v_add_f64_e64 v[99:100], v[99:100], -v[107:108]
	v_add_f64_e64 v[109:110], v[105:106], -v[97:98]
	s_delay_alu instid0(VALU_DEP_3) | instskip(NEXT) | instid1(VALU_DEP_2)
	v_add_f64_e64 v[75:76], v[75:76], -v[101:102]
	v_add_f64_e64 v[111:112], v[105:106], -v[109:110]
	v_add_f64_e64 v[101:102], v[103:104], -v[109:110]
	s_delay_alu instid0(VALU_DEP_3) | instskip(NEXT) | instid1(VALU_DEP_3)
	v_add_f64_e32 v[103:104], v[99:100], v[75:76]
	v_add_f64_e64 v[97:98], v[97:98], -v[111:112]
	s_delay_alu instid0(VALU_DEP_1) | instskip(NEXT) | instid1(VALU_DEP_3)
	v_add_f64_e32 v[97:98], v[101:102], v[97:98]
	v_add_f64_e64 v[101:102], v[103:104], -v[99:100]
	s_delay_alu instid0(VALU_DEP_2) | instskip(NEXT) | instid1(VALU_DEP_2)
	v_add_f64_e32 v[97:98], v[103:104], v[97:98]
	v_add_f64_e64 v[103:104], v[103:104], -v[101:102]
	v_add_f64_e64 v[75:76], v[75:76], -v[101:102]
	s_delay_alu instid0(VALU_DEP_3) | instskip(NEXT) | instid1(VALU_DEP_3)
	v_add_f64_e32 v[107:108], v[105:106], v[97:98]
	v_add_f64_e64 v[99:100], v[99:100], -v[103:104]
	s_delay_alu instid0(VALU_DEP_2) | instskip(NEXT) | instid1(VALU_DEP_2)
	v_add_f64_e64 v[101:102], v[107:108], -v[105:106]
	v_add_f64_e32 v[75:76], v[75:76], v[99:100]
	s_delay_alu instid0(VALU_DEP_2) | instskip(NEXT) | instid1(VALU_DEP_1)
	v_add_f64_e64 v[97:98], v[97:98], -v[101:102]
	v_add_f64_e32 v[75:76], v[75:76], v[97:98]
	s_delay_alu instid0(VALU_DEP_1) | instskip(SKIP_1) | instid1(VALU_DEP_1)
	v_add_f64_e32 v[75:76], v[107:108], v[75:76]
	s_wait_alu 0xfffe
	v_cndmask_b32_e64 v75, 0, v75, s0
	v_cmp_neq_f64_e64 s0, -1.0, v[69:70]
	s_delay_alu instid0(VALU_DEP_3) | instskip(SKIP_1) | instid1(VALU_DEP_1)
	v_cndmask_b32_e64 v76, 0x7ff00000, v76, s1
	s_wait_alu 0xf1ff
	v_cndmask_b32_e64 v76, 0x7ff80000, v76, s34
	s_delay_alu instid0(VALU_DEP_1) | instskip(NEXT) | instid1(VALU_DEP_1)
	v_cndmask_b32_e64 v76, 0xfff00000, v76, s0
	v_add_f64_e32 v[69:70], v[73:74], v[75:76]
.LBB80_101:
	s_wait_alu 0xfffe
	s_or_b32 exec_lo, exec_lo, s41
.LBB80_102:
	s_wait_alu 0xfffe
	s_or_b32 exec_lo, exec_lo, s40
	v_add_nc_u32_e32 v73, -1, v96
	s_mov_b32 s40, exec_lo
	s_delay_alu instid0(VALU_DEP_1) | instskip(SKIP_1) | instid1(VALU_DEP_1)
	v_cmp_gt_i32_e64 s0, 0, v73
	s_wait_alu 0xf1ff
	v_cndmask_b32_e64 v73, v73, v96, s0
	s_delay_alu instid0(VALU_DEP_1)
	v_lshlrev_b32_e32 v73, 2, v73
	ds_bpermute_b32 v69, v73, v69
	ds_bpermute_b32 v70, v73, v70
	v_cmpx_ne_u32_e32 0, v0
	s_cbranch_execz .LBB80_106
; %bb.103:
	v_cmp_eq_u32_e64 s0, 0, v96
	s_wait_dscnt 0x0
	s_wait_alu 0xf1ff
	s_delay_alu instid0(VALU_DEP_1) | instskip(SKIP_1) | instid1(VALU_DEP_1)
	v_cndmask_b32_e64 v70, v70, v72, s0
	v_cndmask_b32_e64 v69, v69, v71, s0
	v_max_num_f64_e32 v[65:66], v[69:70], v[69:70]
	v_cmp_u_f64_e64 s0, v[69:70], v[69:70]
	s_delay_alu instid0(VALU_DEP_2) | instskip(SKIP_2) | instid1(VALU_DEP_2)
	v_min_num_f64_e32 v[67:68], v[65:66], v[63:64]
	v_max_num_f64_e32 v[63:64], v[65:66], v[63:64]
	s_wait_alu 0xf1ff
	v_cndmask_b32_e64 v0, v68, v70, s0
	s_delay_alu instid0(VALU_DEP_3) | instskip(NEXT) | instid1(VALU_DEP_3)
	v_cndmask_b32_e64 v65, v67, v69, s0
	v_cndmask_b32_e64 v66, v64, v70, s0
	s_delay_alu instid0(VALU_DEP_4) | instskip(NEXT) | instid1(VALU_DEP_4)
	v_cndmask_b32_e64 v67, v63, v69, s0
	v_cndmask_b32_e64 v64, v0, v2, s33
	s_delay_alu instid0(VALU_DEP_4) | instskip(NEXT) | instid1(VALU_DEP_4)
	v_cndmask_b32_e64 v63, v65, v1, s33
	v_cndmask_b32_e64 v2, v66, v2, s33
	s_delay_alu instid0(VALU_DEP_4) | instskip(NEXT) | instid1(VALU_DEP_3)
	v_cndmask_b32_e64 v1, v67, v1, s33
	v_cmp_class_f64_e64 s1, v[63:64], 0x1f8
	s_delay_alu instid0(VALU_DEP_2)
	v_cmp_neq_f64_e64 s0, v[63:64], v[1:2]
	s_or_b32 s0, s0, s1
	s_wait_alu 0xfffe
	s_and_saveexec_b32 s41, s0
	s_cbranch_execz .LBB80_105
; %bb.104:
	v_add_f64_e64 v[63:64], v[63:64], -v[1:2]
	s_mov_b32 s0, 0x652b82fe
	s_mov_b32 s1, 0x3ff71547
	s_mov_b32 s35, 0xbfe62e42
	s_mov_b32 s34, 0xfefa39ef
	s_mov_b32 s39, 0xbc7abc9e
	s_mov_b32 s38, 0x3b39803f
	s_mov_b32 s42, 0x6a5dcb37
	s_mov_b32 s43, 0x3e5ade15
	s_mov_b32 s44, 0xbf559e2b
	s_mov_b32 s45, 0x3fc3ab76
	s_wait_alu 0xfffe
	s_delay_alu instid0(VALU_DEP_1) | instskip(SKIP_2) | instid1(VALU_DEP_1)
	v_mul_f64_e32 v[65:66], s[0:1], v[63:64]
	s_mov_b32 s0, 0xfca7ab0c
	s_mov_b32 s1, 0x3e928af3
	v_rndne_f64_e32 v[65:66], v[65:66]
	s_delay_alu instid0(VALU_DEP_1) | instskip(SKIP_2) | instid1(VALU_DEP_2)
	v_fma_f64 v[67:68], v[65:66], s[34:35], v[63:64]
	v_cvt_i32_f64_e32 v0, v[65:66]
	s_mov_b32 s35, 0x3fe62e42
	v_fma_f64 v[67:68], v[65:66], s[38:39], v[67:68]
	s_mov_b32 s39, 0x3c7abc9e
	s_wait_alu 0xfffe
	s_delay_alu instid0(VALU_DEP_1)
	v_fma_f64 v[69:70], v[67:68], s[42:43], s[0:1]
	s_mov_b32 s0, 0x623fde64
	s_mov_b32 s1, 0x3ec71dee
	;; [unrolled: 1-line block ×4, first 2 shown]
	s_wait_alu 0xfffe
	s_delay_alu instid0(VALU_DEP_1) | instskip(SKIP_3) | instid1(VALU_DEP_1)
	v_fma_f64 v[69:70], v[67:68], v[69:70], s[0:1]
	s_mov_b32 s0, 0x7c89e6b0
	s_mov_b32 s1, 0x3efa0199
	s_wait_alu 0xfffe
	v_fma_f64 v[69:70], v[67:68], v[69:70], s[0:1]
	s_mov_b32 s0, 0x14761f6e
	s_mov_b32 s1, 0x3f2a01a0
	s_wait_alu 0xfffe
	s_delay_alu instid0(VALU_DEP_1) | instskip(SKIP_3) | instid1(VALU_DEP_1)
	v_fma_f64 v[69:70], v[67:68], v[69:70], s[0:1]
	s_mov_b32 s0, 0x1852b7b0
	s_mov_b32 s1, 0x3f56c16c
	s_wait_alu 0xfffe
	v_fma_f64 v[69:70], v[67:68], v[69:70], s[0:1]
	s_mov_b32 s0, 0x11122322
	s_mov_b32 s1, 0x3f811111
	;; [unrolled: 9-line block ×3, first 2 shown]
	s_wait_alu 0xfffe
	s_delay_alu instid0(VALU_DEP_1) | instskip(SKIP_3) | instid1(VALU_DEP_1)
	v_fma_f64 v[69:70], v[67:68], v[69:70], s[0:1]
	s_mov_b32 s0, 11
	s_mov_b32 s1, 0x3fe00000
	s_wait_alu 0xfffe
	v_fma_f64 v[69:70], v[67:68], v[69:70], s[0:1]
	v_cmp_nlt_f64_e64 s0, 0x40900000, v[63:64]
	v_cmp_ngt_f64_e64 s1, 0xc090cc00, v[63:64]
	s_delay_alu instid0(VALU_DEP_3) | instskip(NEXT) | instid1(VALU_DEP_1)
	v_fma_f64 v[69:70], v[67:68], v[69:70], 1.0
	v_fma_f64 v[65:66], v[67:68], v[69:70], 1.0
	s_delay_alu instid0(VALU_DEP_1) | instskip(SKIP_1) | instid1(VALU_DEP_1)
	v_ldexp_f64 v[65:66], v[65:66], v0
	s_wait_alu 0xf1ff
	v_cndmask_b32_e64 v0, 0x7ff00000, v66, s0
	s_and_b32 s0, s1, s0
	s_wait_alu 0xfffe
	s_delay_alu instid0(VALU_DEP_2) | instskip(SKIP_3) | instid1(VALU_DEP_1)
	v_cndmask_b32_e64 v63, 0, v65, s0
	s_mov_b32 s0, 0x55555555
	v_cndmask_b32_e64 v64, 0, v0, s1
	s_mov_b32 s1, 0x3fe55555
	v_add_f64_e32 v[65:66], 1.0, v[63:64]
	v_cmp_ngt_f64_e64 s33, -1.0, v[63:64]
	s_delay_alu instid0(VALU_DEP_2) | instskip(SKIP_3) | instid1(VALU_DEP_3)
	v_frexp_mant_f64_e32 v[67:68], v[65:66]
	v_frexp_exp_i32_f64_e32 v0, v[65:66]
	v_add_f64_e32 v[69:70], -1.0, v[65:66]
	s_wait_alu 0xfffe
	v_cmp_gt_f64_e64 s0, s[0:1], v[67:68]
	s_delay_alu instid0(VALU_DEP_2) | instskip(SKIP_2) | instid1(VALU_DEP_3)
	v_add_f64_e64 v[67:68], v[69:70], -v[65:66]
	v_add_f64_e64 v[69:70], v[63:64], -v[69:70]
	s_wait_alu 0xf1ff
	v_subrev_co_ci_u32_e64 v0, null, 0, v0, s0
	s_delay_alu instid0(VALU_DEP_3) | instskip(SKIP_1) | instid1(VALU_DEP_2)
	v_add_f64_e32 v[67:68], 1.0, v[67:68]
	s_mov_b32 s0, 0x55555780
	v_sub_nc_u32_e32 v73, 0, v0
	s_delay_alu instid0(VALU_DEP_1) | instskip(NEXT) | instid1(VALU_DEP_3)
	v_ldexp_f64 v[65:66], v[65:66], v73
	v_add_f64_e32 v[67:68], v[69:70], v[67:68]
	s_delay_alu instid0(VALU_DEP_2) | instskip(SKIP_1) | instid1(VALU_DEP_3)
	v_add_f64_e32 v[71:72], 1.0, v[65:66]
	v_add_f64_e32 v[95:96], -1.0, v[65:66]
	v_ldexp_f64 v[67:68], v[67:68], v73
	s_delay_alu instid0(VALU_DEP_3) | instskip(NEXT) | instid1(VALU_DEP_3)
	v_add_f64_e32 v[69:70], -1.0, v[71:72]
	v_add_f64_e32 v[97:98], 1.0, v[95:96]
	s_delay_alu instid0(VALU_DEP_2) | instskip(NEXT) | instid1(VALU_DEP_2)
	v_add_f64_e64 v[69:70], v[65:66], -v[69:70]
	v_add_f64_e64 v[65:66], v[65:66], -v[97:98]
	s_delay_alu instid0(VALU_DEP_2) | instskip(NEXT) | instid1(VALU_DEP_2)
	v_add_f64_e32 v[69:70], v[67:68], v[69:70]
	v_add_f64_e32 v[65:66], v[67:68], v[65:66]
	s_delay_alu instid0(VALU_DEP_2) | instskip(NEXT) | instid1(VALU_DEP_2)
	v_add_f64_e32 v[73:74], v[71:72], v[69:70]
	v_add_f64_e32 v[97:98], v[95:96], v[65:66]
	s_delay_alu instid0(VALU_DEP_2) | instskip(SKIP_1) | instid1(VALU_DEP_2)
	v_rcp_f64_e32 v[75:76], v[73:74]
	v_add_f64_e64 v[71:72], v[73:74], -v[71:72]
	v_add_f64_e64 v[95:96], v[97:98], -v[95:96]
	s_delay_alu instid0(VALU_DEP_2) | instskip(NEXT) | instid1(TRANS32_DEP_1)
	v_add_f64_e64 v[69:70], v[69:70], -v[71:72]
	v_fma_f64 v[99:100], -v[73:74], v[75:76], 1.0
	s_delay_alu instid0(VALU_DEP_3) | instskip(NEXT) | instid1(VALU_DEP_2)
	v_add_f64_e64 v[65:66], v[65:66], -v[95:96]
	v_fma_f64 v[75:76], v[99:100], v[75:76], v[75:76]
	s_delay_alu instid0(VALU_DEP_1) | instskip(NEXT) | instid1(VALU_DEP_1)
	v_fma_f64 v[67:68], -v[73:74], v[75:76], 1.0
	v_fma_f64 v[67:68], v[67:68], v[75:76], v[75:76]
	s_delay_alu instid0(VALU_DEP_1) | instskip(NEXT) | instid1(VALU_DEP_1)
	v_mul_f64_e32 v[75:76], v[97:98], v[67:68]
	v_mul_f64_e32 v[99:100], v[73:74], v[75:76]
	s_delay_alu instid0(VALU_DEP_1) | instskip(NEXT) | instid1(VALU_DEP_1)
	v_fma_f64 v[71:72], v[75:76], v[73:74], -v[99:100]
	v_fma_f64 v[71:72], v[75:76], v[69:70], v[71:72]
	s_delay_alu instid0(VALU_DEP_1) | instskip(NEXT) | instid1(VALU_DEP_1)
	v_add_f64_e32 v[101:102], v[99:100], v[71:72]
	v_add_f64_e64 v[103:104], v[97:98], -v[101:102]
	v_add_f64_e64 v[95:96], v[101:102], -v[99:100]
	s_delay_alu instid0(VALU_DEP_2) | instskip(NEXT) | instid1(VALU_DEP_2)
	v_add_f64_e64 v[97:98], v[97:98], -v[103:104]
	v_add_f64_e64 v[71:72], v[95:96], -v[71:72]
	s_delay_alu instid0(VALU_DEP_2) | instskip(NEXT) | instid1(VALU_DEP_1)
	v_add_f64_e64 v[97:98], v[97:98], -v[101:102]
	v_add_f64_e32 v[65:66], v[65:66], v[97:98]
	s_delay_alu instid0(VALU_DEP_1) | instskip(NEXT) | instid1(VALU_DEP_1)
	v_add_f64_e32 v[65:66], v[71:72], v[65:66]
	v_add_f64_e32 v[71:72], v[103:104], v[65:66]
	s_delay_alu instid0(VALU_DEP_1) | instskip(SKIP_1) | instid1(VALU_DEP_2)
	v_mul_f64_e32 v[95:96], v[67:68], v[71:72]
	v_add_f64_e64 v[101:102], v[103:104], -v[71:72]
	v_mul_f64_e32 v[97:98], v[73:74], v[95:96]
	s_delay_alu instid0(VALU_DEP_2) | instskip(NEXT) | instid1(VALU_DEP_2)
	v_add_f64_e32 v[65:66], v[65:66], v[101:102]
	v_fma_f64 v[73:74], v[95:96], v[73:74], -v[97:98]
	s_delay_alu instid0(VALU_DEP_1) | instskip(NEXT) | instid1(VALU_DEP_1)
	v_fma_f64 v[69:70], v[95:96], v[69:70], v[73:74]
	v_add_f64_e32 v[73:74], v[97:98], v[69:70]
	s_delay_alu instid0(VALU_DEP_1) | instskip(SKIP_1) | instid1(VALU_DEP_2)
	v_add_f64_e64 v[99:100], v[71:72], -v[73:74]
	v_add_f64_e64 v[97:98], v[73:74], -v[97:98]
	v_add_f64_e64 v[71:72], v[71:72], -v[99:100]
	s_delay_alu instid0(VALU_DEP_2) | instskip(NEXT) | instid1(VALU_DEP_2)
	v_add_f64_e64 v[69:70], v[97:98], -v[69:70]
	v_add_f64_e64 v[71:72], v[71:72], -v[73:74]
	s_delay_alu instid0(VALU_DEP_1) | instskip(SKIP_1) | instid1(VALU_DEP_2)
	v_add_f64_e32 v[65:66], v[65:66], v[71:72]
	v_add_f64_e32 v[71:72], v[75:76], v[95:96]
	;; [unrolled: 1-line block ×3, first 2 shown]
	s_delay_alu instid0(VALU_DEP_2) | instskip(NEXT) | instid1(VALU_DEP_2)
	v_add_f64_e64 v[69:70], v[71:72], -v[75:76]
	v_add_f64_e32 v[65:66], v[99:100], v[65:66]
	s_delay_alu instid0(VALU_DEP_2) | instskip(NEXT) | instid1(VALU_DEP_2)
	v_add_f64_e64 v[69:70], v[95:96], -v[69:70]
	v_mul_f64_e32 v[65:66], v[67:68], v[65:66]
	s_delay_alu instid0(VALU_DEP_1) | instskip(NEXT) | instid1(VALU_DEP_1)
	v_add_f64_e32 v[65:66], v[69:70], v[65:66]
	v_add_f64_e32 v[67:68], v[71:72], v[65:66]
	s_delay_alu instid0(VALU_DEP_1) | instskip(NEXT) | instid1(VALU_DEP_1)
	v_mul_f64_e32 v[69:70], v[67:68], v[67:68]
	v_fma_f64 v[73:74], v[69:70], s[44:45], s[42:43]
	s_mov_b32 s42, 0xd7f4df2e
	s_mov_b32 s43, 0x3fc7474d
	v_mul_f64_e32 v[75:76], v[67:68], v[69:70]
	s_wait_alu 0xfffe
	s_delay_alu instid0(VALU_DEP_2) | instskip(SKIP_3) | instid1(VALU_DEP_1)
	v_fma_f64 v[73:74], v[69:70], v[73:74], s[42:43]
	s_mov_b32 s42, 0x16291751
	s_mov_b32 s43, 0x3fcc71c0
	s_wait_alu 0xfffe
	v_fma_f64 v[73:74], v[69:70], v[73:74], s[42:43]
	s_mov_b32 s42, 0x9b27acf1
	s_mov_b32 s43, 0x3fd24924
	s_wait_alu 0xfffe
	s_delay_alu instid0(VALU_DEP_1) | instskip(SKIP_3) | instid1(VALU_DEP_1)
	v_fma_f64 v[73:74], v[69:70], v[73:74], s[42:43]
	s_mov_b32 s42, 0x998ef7b6
	s_mov_b32 s43, 0x3fd99999
	s_wait_alu 0xfffe
	v_fma_f64 v[73:74], v[69:70], v[73:74], s[42:43]
	s_delay_alu instid0(VALU_DEP_1)
	v_fma_f64 v[69:70], v[69:70], v[73:74], s[0:1]
	v_ldexp_f64 v[73:74], v[67:68], 1
	v_add_f64_e64 v[67:68], v[67:68], -v[71:72]
	v_cmp_nge_f64_e64 s0, -1.0, v[63:64]
	v_cmp_neq_f64_e64 s1, 0x7ff00000, v[63:64]
	v_mul_f64_e32 v[69:70], v[75:76], v[69:70]
	v_cvt_f64_i32_e32 v[75:76], v0
	v_add_f64_e64 v[65:66], v[65:66], -v[67:68]
	s_and_b32 s0, s0, s1
	s_delay_alu instid0(VALU_DEP_3) | instskip(NEXT) | instid1(VALU_DEP_3)
	v_add_f64_e32 v[71:72], v[73:74], v[69:70]
	v_mul_f64_e32 v[95:96], s[34:35], v[75:76]
	s_delay_alu instid0(VALU_DEP_3) | instskip(NEXT) | instid1(VALU_DEP_3)
	v_ldexp_f64 v[65:66], v[65:66], 1
	v_add_f64_e64 v[67:68], v[71:72], -v[73:74]
	s_delay_alu instid0(VALU_DEP_3) | instskip(NEXT) | instid1(VALU_DEP_2)
	v_fma_f64 v[73:74], v[75:76], s[34:35], -v[95:96]
	v_add_f64_e64 v[67:68], v[69:70], -v[67:68]
	s_delay_alu instid0(VALU_DEP_2) | instskip(NEXT) | instid1(VALU_DEP_2)
	v_fma_f64 v[69:70], v[75:76], s[38:39], v[73:74]
	v_add_f64_e32 v[65:66], v[65:66], v[67:68]
	s_delay_alu instid0(VALU_DEP_2) | instskip(NEXT) | instid1(VALU_DEP_2)
	v_add_f64_e32 v[67:68], v[95:96], v[69:70]
	v_add_f64_e32 v[73:74], v[71:72], v[65:66]
	s_delay_alu instid0(VALU_DEP_2) | instskip(NEXT) | instid1(VALU_DEP_2)
	v_add_f64_e64 v[95:96], v[67:68], -v[95:96]
	v_add_f64_e32 v[75:76], v[67:68], v[73:74]
	v_add_f64_e64 v[71:72], v[73:74], -v[71:72]
	s_delay_alu instid0(VALU_DEP_3) | instskip(NEXT) | instid1(VALU_DEP_3)
	v_add_f64_e64 v[69:70], v[69:70], -v[95:96]
	v_add_f64_e64 v[97:98], v[75:76], -v[67:68]
	s_delay_alu instid0(VALU_DEP_3) | instskip(NEXT) | instid1(VALU_DEP_2)
	v_add_f64_e64 v[65:66], v[65:66], -v[71:72]
	v_add_f64_e64 v[99:100], v[75:76], -v[97:98]
	;; [unrolled: 1-line block ×3, first 2 shown]
	s_delay_alu instid0(VALU_DEP_3) | instskip(NEXT) | instid1(VALU_DEP_3)
	v_add_f64_e32 v[73:74], v[69:70], v[65:66]
	v_add_f64_e64 v[67:68], v[67:68], -v[99:100]
	s_delay_alu instid0(VALU_DEP_1) | instskip(NEXT) | instid1(VALU_DEP_3)
	v_add_f64_e32 v[67:68], v[71:72], v[67:68]
	v_add_f64_e64 v[71:72], v[73:74], -v[69:70]
	s_delay_alu instid0(VALU_DEP_2) | instskip(NEXT) | instid1(VALU_DEP_2)
	v_add_f64_e32 v[67:68], v[73:74], v[67:68]
	v_add_f64_e64 v[73:74], v[73:74], -v[71:72]
	v_add_f64_e64 v[65:66], v[65:66], -v[71:72]
	s_delay_alu instid0(VALU_DEP_3) | instskip(NEXT) | instid1(VALU_DEP_3)
	v_add_f64_e32 v[95:96], v[75:76], v[67:68]
	v_add_f64_e64 v[69:70], v[69:70], -v[73:74]
	s_delay_alu instid0(VALU_DEP_2) | instskip(NEXT) | instid1(VALU_DEP_2)
	v_add_f64_e64 v[71:72], v[95:96], -v[75:76]
	v_add_f64_e32 v[65:66], v[65:66], v[69:70]
	s_delay_alu instid0(VALU_DEP_2) | instskip(NEXT) | instid1(VALU_DEP_1)
	v_add_f64_e64 v[67:68], v[67:68], -v[71:72]
	v_add_f64_e32 v[65:66], v[65:66], v[67:68]
	s_delay_alu instid0(VALU_DEP_1) | instskip(SKIP_1) | instid1(VALU_DEP_1)
	v_add_f64_e32 v[65:66], v[95:96], v[65:66]
	s_wait_alu 0xfffe
	v_cndmask_b32_e64 v65, 0, v65, s0
	v_cmp_neq_f64_e64 s0, -1.0, v[63:64]
	s_delay_alu instid0(VALU_DEP_3) | instskip(NEXT) | instid1(VALU_DEP_1)
	v_cndmask_b32_e64 v0, 0x7ff00000, v66, s1
	v_cndmask_b32_e64 v0, 0x7ff80000, v0, s33
	s_wait_alu 0xf1ff
	s_delay_alu instid0(VALU_DEP_1) | instskip(NEXT) | instid1(VALU_DEP_1)
	v_cndmask_b32_e64 v66, 0xfff00000, v0, s0
	v_add_f64_e32 v[69:70], v[1:2], v[65:66]
.LBB80_105:
	s_wait_alu 0xfffe
	s_or_b32 exec_lo, exec_lo, s41
	s_delay_alu instid0(VALU_DEP_1) | instskip(SKIP_1) | instid1(VALU_DEP_1)
	v_max_num_f64_e32 v[0:1], v[69:70], v[69:70]
	;;#ASMSTART
	;;#ASMEND
	v_min_num_f64_e32 v[65:66], v[0:1], v[35:36]
	v_max_num_f64_e32 v[67:68], v[0:1], v[35:36]
	v_dual_mov_b32 v1, v69 :: v_dual_mov_b32 v2, v70
.LBB80_106:
	s_wait_alu 0xfffe
	s_or_b32 exec_lo, exec_lo, s40
	s_delay_alu instid0(VALU_DEP_1) | instskip(SKIP_1) | instid1(VALU_DEP_1)
	v_cmp_u_f64_e64 s0, v[1:2], v[1:2]
	s_wait_alu 0xf1ff
	v_cndmask_b32_e64 v0, v65, v1, s0
	v_cndmask_b32_e64 v35, v66, v2, s0
	;; [unrolled: 1-line block ×4, first 2 shown]
	s_delay_alu instid0(VALU_DEP_4) | instskip(NEXT) | instid1(VALU_DEP_4)
	v_cndmask_b32_e64 v63, v0, v3, s17
	v_cndmask_b32_e64 v64, v35, v4, s17
	s_delay_alu instid0(VALU_DEP_4) | instskip(NEXT) | instid1(VALU_DEP_4)
	v_cndmask_b32_e64 v36, v36, v4, s17
	v_cndmask_b32_e64 v35, v65, v3, s17
	v_dual_mov_b32 v4, v2 :: v_dual_mov_b32 v3, v1
	s_delay_alu instid0(VALU_DEP_4) | instskip(NEXT) | instid1(VALU_DEP_3)
	v_cmp_class_f64_e64 s1, v[63:64], 0x1f8
	v_cmp_neq_f64_e64 s0, v[63:64], v[35:36]
	s_or_b32 s0, s0, s1
	s_wait_alu 0xfffe
	s_and_saveexec_b32 s33, s0
	s_cbranch_execz .LBB80_108
; %bb.107:
	v_add_f64_e64 v[3:4], v[63:64], -v[35:36]
	s_mov_b32 s0, 0x652b82fe
	s_mov_b32 s1, 0x3ff71547
	;; [unrolled: 1-line block ×10, first 2 shown]
	s_wait_alu 0xfffe
	s_delay_alu instid0(VALU_DEP_1) | instskip(SKIP_2) | instid1(VALU_DEP_1)
	v_mul_f64_e32 v[63:64], s[0:1], v[3:4]
	s_mov_b32 s0, 0xfca7ab0c
	s_mov_b32 s1, 0x3e928af3
	v_rndne_f64_e32 v[63:64], v[63:64]
	s_delay_alu instid0(VALU_DEP_1) | instskip(SKIP_2) | instid1(VALU_DEP_2)
	v_fma_f64 v[65:66], v[63:64], s[34:35], v[3:4]
	v_cvt_i32_f64_e32 v0, v[63:64]
	s_mov_b32 s35, 0x3fe62e42
	v_fma_f64 v[65:66], v[63:64], s[38:39], v[65:66]
	s_mov_b32 s39, 0x3c7abc9e
	s_wait_alu 0xfffe
	s_delay_alu instid0(VALU_DEP_1)
	v_fma_f64 v[67:68], v[65:66], s[40:41], s[0:1]
	s_mov_b32 s0, 0x623fde64
	s_mov_b32 s1, 0x3ec71dee
	;; [unrolled: 1-line block ×4, first 2 shown]
	s_wait_alu 0xfffe
	s_delay_alu instid0(VALU_DEP_1) | instskip(SKIP_3) | instid1(VALU_DEP_1)
	v_fma_f64 v[67:68], v[65:66], v[67:68], s[0:1]
	s_mov_b32 s0, 0x7c89e6b0
	s_mov_b32 s1, 0x3efa0199
	s_wait_alu 0xfffe
	v_fma_f64 v[67:68], v[65:66], v[67:68], s[0:1]
	s_mov_b32 s0, 0x14761f6e
	s_mov_b32 s1, 0x3f2a01a0
	s_wait_alu 0xfffe
	s_delay_alu instid0(VALU_DEP_1) | instskip(SKIP_3) | instid1(VALU_DEP_1)
	v_fma_f64 v[67:68], v[65:66], v[67:68], s[0:1]
	s_mov_b32 s0, 0x1852b7b0
	s_mov_b32 s1, 0x3f56c16c
	s_wait_alu 0xfffe
	v_fma_f64 v[67:68], v[65:66], v[67:68], s[0:1]
	s_mov_b32 s0, 0x11122322
	s_mov_b32 s1, 0x3f811111
	;; [unrolled: 9-line block ×3, first 2 shown]
	s_wait_alu 0xfffe
	s_delay_alu instid0(VALU_DEP_1) | instskip(SKIP_3) | instid1(VALU_DEP_1)
	v_fma_f64 v[67:68], v[65:66], v[67:68], s[0:1]
	s_mov_b32 s0, 11
	s_mov_b32 s1, 0x3fe00000
	s_wait_alu 0xfffe
	v_fma_f64 v[67:68], v[65:66], v[67:68], s[0:1]
	v_cmp_nlt_f64_e64 s0, 0x40900000, v[3:4]
	v_cmp_ngt_f64_e64 s1, 0xc090cc00, v[3:4]
	s_delay_alu instid0(VALU_DEP_3) | instskip(NEXT) | instid1(VALU_DEP_1)
	v_fma_f64 v[67:68], v[65:66], v[67:68], 1.0
	v_fma_f64 v[63:64], v[65:66], v[67:68], 1.0
	s_delay_alu instid0(VALU_DEP_1) | instskip(SKIP_1) | instid1(VALU_DEP_1)
	v_ldexp_f64 v[63:64], v[63:64], v0
	s_wait_alu 0xf1ff
	v_cndmask_b32_e64 v0, 0x7ff00000, v64, s0
	s_and_b32 s0, s1, s0
	s_wait_alu 0xfffe
	s_delay_alu instid0(VALU_DEP_2) | instskip(SKIP_3) | instid1(VALU_DEP_1)
	v_cndmask_b32_e64 v3, 0, v63, s0
	s_mov_b32 s0, 0x55555555
	v_cndmask_b32_e64 v4, 0, v0, s1
	s_mov_b32 s1, 0x3fe55555
	v_add_f64_e32 v[63:64], 1.0, v[3:4]
	v_cmp_ngt_f64_e64 s17, -1.0, v[3:4]
	s_delay_alu instid0(VALU_DEP_2) | instskip(SKIP_3) | instid1(VALU_DEP_3)
	v_frexp_mant_f64_e32 v[65:66], v[63:64]
	v_frexp_exp_i32_f64_e32 v0, v[63:64]
	v_add_f64_e32 v[67:68], -1.0, v[63:64]
	s_wait_alu 0xfffe
	v_cmp_gt_f64_e64 s0, s[0:1], v[65:66]
	s_delay_alu instid0(VALU_DEP_2) | instskip(SKIP_2) | instid1(VALU_DEP_3)
	v_add_f64_e64 v[65:66], v[67:68], -v[63:64]
	v_add_f64_e64 v[67:68], v[3:4], -v[67:68]
	s_wait_alu 0xf1ff
	v_subrev_co_ci_u32_e64 v0, null, 0, v0, s0
	s_delay_alu instid0(VALU_DEP_3) | instskip(SKIP_1) | instid1(VALU_DEP_2)
	v_add_f64_e32 v[65:66], 1.0, v[65:66]
	s_mov_b32 s0, 0x55555780
	v_sub_nc_u32_e32 v71, 0, v0
	s_delay_alu instid0(VALU_DEP_1) | instskip(NEXT) | instid1(VALU_DEP_3)
	v_ldexp_f64 v[63:64], v[63:64], v71
	v_add_f64_e32 v[65:66], v[67:68], v[65:66]
	s_wait_dscnt 0x0
	s_delay_alu instid0(VALU_DEP_2) | instskip(SKIP_1) | instid1(VALU_DEP_3)
	v_add_f64_e32 v[69:70], 1.0, v[63:64]
	v_add_f64_e32 v[75:76], -1.0, v[63:64]
	v_ldexp_f64 v[65:66], v[65:66], v71
	s_delay_alu instid0(VALU_DEP_3) | instskip(NEXT) | instid1(VALU_DEP_3)
	v_add_f64_e32 v[67:68], -1.0, v[69:70]
	v_add_f64_e32 v[95:96], 1.0, v[75:76]
	s_delay_alu instid0(VALU_DEP_2) | instskip(NEXT) | instid1(VALU_DEP_2)
	v_add_f64_e64 v[67:68], v[63:64], -v[67:68]
	v_add_f64_e64 v[63:64], v[63:64], -v[95:96]
	s_delay_alu instid0(VALU_DEP_2) | instskip(NEXT) | instid1(VALU_DEP_2)
	v_add_f64_e32 v[67:68], v[65:66], v[67:68]
	v_add_f64_e32 v[63:64], v[65:66], v[63:64]
	s_delay_alu instid0(VALU_DEP_2) | instskip(NEXT) | instid1(VALU_DEP_2)
	v_add_f64_e32 v[71:72], v[69:70], v[67:68]
	v_add_f64_e32 v[95:96], v[75:76], v[63:64]
	s_delay_alu instid0(VALU_DEP_2) | instskip(SKIP_1) | instid1(VALU_DEP_2)
	v_rcp_f64_e32 v[73:74], v[71:72]
	v_add_f64_e64 v[69:70], v[71:72], -v[69:70]
	v_add_f64_e64 v[75:76], v[95:96], -v[75:76]
	s_delay_alu instid0(VALU_DEP_2) | instskip(NEXT) | instid1(TRANS32_DEP_1)
	v_add_f64_e64 v[67:68], v[67:68], -v[69:70]
	v_fma_f64 v[97:98], -v[71:72], v[73:74], 1.0
	s_delay_alu instid0(VALU_DEP_3) | instskip(NEXT) | instid1(VALU_DEP_2)
	v_add_f64_e64 v[63:64], v[63:64], -v[75:76]
	v_fma_f64 v[73:74], v[97:98], v[73:74], v[73:74]
	s_delay_alu instid0(VALU_DEP_1) | instskip(NEXT) | instid1(VALU_DEP_1)
	v_fma_f64 v[65:66], -v[71:72], v[73:74], 1.0
	v_fma_f64 v[65:66], v[65:66], v[73:74], v[73:74]
	s_delay_alu instid0(VALU_DEP_1) | instskip(NEXT) | instid1(VALU_DEP_1)
	v_mul_f64_e32 v[73:74], v[95:96], v[65:66]
	v_mul_f64_e32 v[97:98], v[71:72], v[73:74]
	s_delay_alu instid0(VALU_DEP_1) | instskip(NEXT) | instid1(VALU_DEP_1)
	v_fma_f64 v[69:70], v[73:74], v[71:72], -v[97:98]
	v_fma_f64 v[69:70], v[73:74], v[67:68], v[69:70]
	s_delay_alu instid0(VALU_DEP_1) | instskip(NEXT) | instid1(VALU_DEP_1)
	v_add_f64_e32 v[99:100], v[97:98], v[69:70]
	v_add_f64_e64 v[101:102], v[95:96], -v[99:100]
	v_add_f64_e64 v[75:76], v[99:100], -v[97:98]
	s_delay_alu instid0(VALU_DEP_2) | instskip(NEXT) | instid1(VALU_DEP_2)
	v_add_f64_e64 v[95:96], v[95:96], -v[101:102]
	v_add_f64_e64 v[69:70], v[75:76], -v[69:70]
	s_delay_alu instid0(VALU_DEP_2) | instskip(NEXT) | instid1(VALU_DEP_1)
	v_add_f64_e64 v[95:96], v[95:96], -v[99:100]
	v_add_f64_e32 v[63:64], v[63:64], v[95:96]
	s_delay_alu instid0(VALU_DEP_1) | instskip(NEXT) | instid1(VALU_DEP_1)
	v_add_f64_e32 v[63:64], v[69:70], v[63:64]
	v_add_f64_e32 v[69:70], v[101:102], v[63:64]
	s_delay_alu instid0(VALU_DEP_1) | instskip(SKIP_1) | instid1(VALU_DEP_2)
	v_mul_f64_e32 v[75:76], v[65:66], v[69:70]
	v_add_f64_e64 v[99:100], v[101:102], -v[69:70]
	v_mul_f64_e32 v[95:96], v[71:72], v[75:76]
	s_delay_alu instid0(VALU_DEP_2) | instskip(NEXT) | instid1(VALU_DEP_2)
	v_add_f64_e32 v[63:64], v[63:64], v[99:100]
	v_fma_f64 v[71:72], v[75:76], v[71:72], -v[95:96]
	s_delay_alu instid0(VALU_DEP_1) | instskip(NEXT) | instid1(VALU_DEP_1)
	v_fma_f64 v[67:68], v[75:76], v[67:68], v[71:72]
	v_add_f64_e32 v[71:72], v[95:96], v[67:68]
	s_delay_alu instid0(VALU_DEP_1) | instskip(SKIP_1) | instid1(VALU_DEP_2)
	v_add_f64_e64 v[97:98], v[69:70], -v[71:72]
	v_add_f64_e64 v[95:96], v[71:72], -v[95:96]
	;; [unrolled: 1-line block ×3, first 2 shown]
	s_delay_alu instid0(VALU_DEP_2) | instskip(NEXT) | instid1(VALU_DEP_2)
	v_add_f64_e64 v[67:68], v[95:96], -v[67:68]
	v_add_f64_e64 v[69:70], v[69:70], -v[71:72]
	s_delay_alu instid0(VALU_DEP_1) | instskip(SKIP_1) | instid1(VALU_DEP_2)
	v_add_f64_e32 v[63:64], v[63:64], v[69:70]
	v_add_f64_e32 v[69:70], v[73:74], v[75:76]
	;; [unrolled: 1-line block ×3, first 2 shown]
	s_delay_alu instid0(VALU_DEP_2) | instskip(NEXT) | instid1(VALU_DEP_2)
	v_add_f64_e64 v[67:68], v[69:70], -v[73:74]
	v_add_f64_e32 v[63:64], v[97:98], v[63:64]
	s_delay_alu instid0(VALU_DEP_2) | instskip(NEXT) | instid1(VALU_DEP_2)
	v_add_f64_e64 v[67:68], v[75:76], -v[67:68]
	v_mul_f64_e32 v[63:64], v[65:66], v[63:64]
	s_delay_alu instid0(VALU_DEP_1) | instskip(NEXT) | instid1(VALU_DEP_1)
	v_add_f64_e32 v[63:64], v[67:68], v[63:64]
	v_add_f64_e32 v[65:66], v[69:70], v[63:64]
	s_delay_alu instid0(VALU_DEP_1) | instskip(NEXT) | instid1(VALU_DEP_1)
	v_mul_f64_e32 v[67:68], v[65:66], v[65:66]
	v_fma_f64 v[71:72], v[67:68], s[42:43], s[40:41]
	s_mov_b32 s40, 0xd7f4df2e
	s_mov_b32 s41, 0x3fc7474d
	v_mul_f64_e32 v[73:74], v[65:66], v[67:68]
	s_wait_alu 0xfffe
	s_delay_alu instid0(VALU_DEP_2) | instskip(SKIP_3) | instid1(VALU_DEP_1)
	v_fma_f64 v[71:72], v[67:68], v[71:72], s[40:41]
	s_mov_b32 s40, 0x16291751
	s_mov_b32 s41, 0x3fcc71c0
	s_wait_alu 0xfffe
	v_fma_f64 v[71:72], v[67:68], v[71:72], s[40:41]
	s_mov_b32 s40, 0x9b27acf1
	s_mov_b32 s41, 0x3fd24924
	s_wait_alu 0xfffe
	s_delay_alu instid0(VALU_DEP_1) | instskip(SKIP_3) | instid1(VALU_DEP_1)
	v_fma_f64 v[71:72], v[67:68], v[71:72], s[40:41]
	s_mov_b32 s40, 0x998ef7b6
	s_mov_b32 s41, 0x3fd99999
	s_wait_alu 0xfffe
	v_fma_f64 v[71:72], v[67:68], v[71:72], s[40:41]
	s_delay_alu instid0(VALU_DEP_1)
	v_fma_f64 v[67:68], v[67:68], v[71:72], s[0:1]
	v_ldexp_f64 v[71:72], v[65:66], 1
	v_add_f64_e64 v[65:66], v[65:66], -v[69:70]
	v_cmp_nge_f64_e64 s0, -1.0, v[3:4]
	v_cmp_neq_f64_e64 s1, 0x7ff00000, v[3:4]
	v_mul_f64_e32 v[67:68], v[73:74], v[67:68]
	v_cvt_f64_i32_e32 v[73:74], v0
	v_add_f64_e64 v[63:64], v[63:64], -v[65:66]
	s_and_b32 s0, s0, s1
	s_delay_alu instid0(VALU_DEP_3) | instskip(NEXT) | instid1(VALU_DEP_3)
	v_add_f64_e32 v[69:70], v[71:72], v[67:68]
	v_mul_f64_e32 v[75:76], s[34:35], v[73:74]
	s_delay_alu instid0(VALU_DEP_3) | instskip(NEXT) | instid1(VALU_DEP_3)
	v_ldexp_f64 v[63:64], v[63:64], 1
	v_add_f64_e64 v[65:66], v[69:70], -v[71:72]
	s_delay_alu instid0(VALU_DEP_3) | instskip(NEXT) | instid1(VALU_DEP_2)
	v_fma_f64 v[71:72], v[73:74], s[34:35], -v[75:76]
	v_add_f64_e64 v[65:66], v[67:68], -v[65:66]
	s_delay_alu instid0(VALU_DEP_2) | instskip(NEXT) | instid1(VALU_DEP_2)
	v_fma_f64 v[67:68], v[73:74], s[38:39], v[71:72]
	v_add_f64_e32 v[63:64], v[63:64], v[65:66]
	s_delay_alu instid0(VALU_DEP_2) | instskip(NEXT) | instid1(VALU_DEP_2)
	v_add_f64_e32 v[65:66], v[75:76], v[67:68]
	v_add_f64_e32 v[71:72], v[69:70], v[63:64]
	s_delay_alu instid0(VALU_DEP_2) | instskip(NEXT) | instid1(VALU_DEP_2)
	v_add_f64_e64 v[75:76], v[65:66], -v[75:76]
	v_add_f64_e32 v[73:74], v[65:66], v[71:72]
	v_add_f64_e64 v[69:70], v[71:72], -v[69:70]
	s_delay_alu instid0(VALU_DEP_3) | instskip(NEXT) | instid1(VALU_DEP_3)
	v_add_f64_e64 v[67:68], v[67:68], -v[75:76]
	v_add_f64_e64 v[95:96], v[73:74], -v[65:66]
	s_delay_alu instid0(VALU_DEP_3) | instskip(NEXT) | instid1(VALU_DEP_2)
	v_add_f64_e64 v[63:64], v[63:64], -v[69:70]
	v_add_f64_e64 v[97:98], v[73:74], -v[95:96]
	;; [unrolled: 1-line block ×3, first 2 shown]
	s_delay_alu instid0(VALU_DEP_3) | instskip(NEXT) | instid1(VALU_DEP_3)
	v_add_f64_e32 v[71:72], v[67:68], v[63:64]
	v_add_f64_e64 v[65:66], v[65:66], -v[97:98]
	s_delay_alu instid0(VALU_DEP_1) | instskip(NEXT) | instid1(VALU_DEP_3)
	v_add_f64_e32 v[65:66], v[69:70], v[65:66]
	v_add_f64_e64 v[69:70], v[71:72], -v[67:68]
	s_delay_alu instid0(VALU_DEP_2) | instskip(NEXT) | instid1(VALU_DEP_2)
	v_add_f64_e32 v[65:66], v[71:72], v[65:66]
	v_add_f64_e64 v[71:72], v[71:72], -v[69:70]
	v_add_f64_e64 v[63:64], v[63:64], -v[69:70]
	s_delay_alu instid0(VALU_DEP_3) | instskip(NEXT) | instid1(VALU_DEP_3)
	v_add_f64_e32 v[75:76], v[73:74], v[65:66]
	v_add_f64_e64 v[67:68], v[67:68], -v[71:72]
	s_delay_alu instid0(VALU_DEP_2) | instskip(NEXT) | instid1(VALU_DEP_2)
	v_add_f64_e64 v[69:70], v[75:76], -v[73:74]
	v_add_f64_e32 v[63:64], v[63:64], v[67:68]
	s_delay_alu instid0(VALU_DEP_2) | instskip(NEXT) | instid1(VALU_DEP_1)
	v_add_f64_e64 v[65:66], v[65:66], -v[69:70]
	v_add_f64_e32 v[63:64], v[63:64], v[65:66]
	s_delay_alu instid0(VALU_DEP_1) | instskip(SKIP_1) | instid1(VALU_DEP_1)
	v_add_f64_e32 v[63:64], v[75:76], v[63:64]
	s_wait_alu 0xfffe
	v_cndmask_b32_e64 v63, 0, v63, s0
	v_cmp_neq_f64_e64 s0, -1.0, v[3:4]
	s_delay_alu instid0(VALU_DEP_3) | instskip(NEXT) | instid1(VALU_DEP_1)
	v_cndmask_b32_e64 v0, 0x7ff00000, v64, s1
	v_cndmask_b32_e64 v0, 0x7ff80000, v0, s17
	s_wait_alu 0xf1ff
	s_delay_alu instid0(VALU_DEP_1) | instskip(NEXT) | instid1(VALU_DEP_1)
	v_cndmask_b32_e64 v64, 0xfff00000, v0, s0
	v_add_f64_e32 v[3:4], v[35:36], v[63:64]
.LBB80_108:
	s_wait_alu 0xfffe
	s_or_b32 exec_lo, exec_lo, s33
	s_delay_alu instid0(VALU_DEP_1) | instskip(SKIP_1) | instid1(VALU_DEP_2)
	v_max_num_f64_e32 v[35:36], v[3:4], v[3:4]
	v_cmp_u_f64_e64 s0, v[3:4], v[3:4]
	v_min_num_f64_e32 v[63:64], v[35:36], v[33:34]
	v_max_num_f64_e32 v[33:34], v[35:36], v[33:34]
	s_wait_alu 0xf1ff
	s_delay_alu instid0(VALU_DEP_2) | instskip(NEXT) | instid1(VALU_DEP_3)
	v_cndmask_b32_e64 v0, v63, v3, s0
	v_cndmask_b32_e64 v35, v64, v4, s0
	s_delay_alu instid0(VALU_DEP_3) | instskip(NEXT) | instid1(VALU_DEP_4)
	v_cndmask_b32_e64 v34, v34, v4, s0
	v_cndmask_b32_e64 v33, v33, v3, s0
	s_delay_alu instid0(VALU_DEP_3) | instskip(SKIP_1) | instid1(VALU_DEP_4)
	v_cndmask_b32_e64 v36, v35, v30, s18
	v_cndmask_b32_e64 v35, v0, v29, s18
	;; [unrolled: 1-line block ×3, first 2 shown]
	s_delay_alu instid0(VALU_DEP_4) | instskip(SKIP_1) | instid1(VALU_DEP_4)
	v_cndmask_b32_e64 v33, v33, v29, s18
	v_dual_mov_b32 v30, v4 :: v_dual_mov_b32 v29, v3
	v_cmp_class_f64_e64 s1, v[35:36], 0x1f8
	s_delay_alu instid0(VALU_DEP_3)
	v_cmp_neq_f64_e64 s0, v[35:36], v[33:34]
	s_or_b32 s0, s0, s1
	s_wait_alu 0xfffe
	s_and_saveexec_b32 s18, s0
	s_cbranch_execz .LBB80_110
; %bb.109:
	v_add_f64_e64 v[29:30], v[35:36], -v[33:34]
	s_mov_b32 s0, 0x652b82fe
	s_mov_b32 s1, 0x3ff71547
	;; [unrolled: 1-line block ×10, first 2 shown]
	s_wait_alu 0xfffe
	s_delay_alu instid0(VALU_DEP_1) | instskip(SKIP_2) | instid1(VALU_DEP_1)
	v_mul_f64_e32 v[35:36], s[0:1], v[29:30]
	s_mov_b32 s0, 0xfca7ab0c
	s_mov_b32 s1, 0x3e928af3
	v_rndne_f64_e32 v[35:36], v[35:36]
	s_delay_alu instid0(VALU_DEP_1) | instskip(SKIP_2) | instid1(VALU_DEP_2)
	v_fma_f64 v[63:64], v[35:36], s[34:35], v[29:30]
	v_cvt_i32_f64_e32 v0, v[35:36]
	s_mov_b32 s35, 0x3fe62e42
	v_fma_f64 v[63:64], v[35:36], s[38:39], v[63:64]
	s_mov_b32 s39, 0x3c7abc9e
	s_wait_alu 0xfffe
	s_delay_alu instid0(VALU_DEP_1)
	v_fma_f64 v[65:66], v[63:64], s[40:41], s[0:1]
	s_mov_b32 s0, 0x623fde64
	s_mov_b32 s1, 0x3ec71dee
	;; [unrolled: 1-line block ×4, first 2 shown]
	s_wait_alu 0xfffe
	s_delay_alu instid0(VALU_DEP_1) | instskip(SKIP_3) | instid1(VALU_DEP_1)
	v_fma_f64 v[65:66], v[63:64], v[65:66], s[0:1]
	s_mov_b32 s0, 0x7c89e6b0
	s_mov_b32 s1, 0x3efa0199
	s_wait_alu 0xfffe
	v_fma_f64 v[65:66], v[63:64], v[65:66], s[0:1]
	s_mov_b32 s0, 0x14761f6e
	s_mov_b32 s1, 0x3f2a01a0
	s_wait_alu 0xfffe
	s_delay_alu instid0(VALU_DEP_1) | instskip(SKIP_3) | instid1(VALU_DEP_1)
	v_fma_f64 v[65:66], v[63:64], v[65:66], s[0:1]
	s_mov_b32 s0, 0x1852b7b0
	s_mov_b32 s1, 0x3f56c16c
	s_wait_alu 0xfffe
	v_fma_f64 v[65:66], v[63:64], v[65:66], s[0:1]
	s_mov_b32 s0, 0x11122322
	s_mov_b32 s1, 0x3f811111
	;; [unrolled: 9-line block ×3, first 2 shown]
	s_wait_alu 0xfffe
	s_delay_alu instid0(VALU_DEP_1) | instskip(SKIP_3) | instid1(VALU_DEP_1)
	v_fma_f64 v[65:66], v[63:64], v[65:66], s[0:1]
	s_mov_b32 s0, 11
	s_mov_b32 s1, 0x3fe00000
	s_wait_alu 0xfffe
	v_fma_f64 v[65:66], v[63:64], v[65:66], s[0:1]
	v_cmp_nlt_f64_e64 s0, 0x40900000, v[29:30]
	v_cmp_ngt_f64_e64 s1, 0xc090cc00, v[29:30]
	s_delay_alu instid0(VALU_DEP_3) | instskip(NEXT) | instid1(VALU_DEP_1)
	v_fma_f64 v[65:66], v[63:64], v[65:66], 1.0
	v_fma_f64 v[35:36], v[63:64], v[65:66], 1.0
	s_delay_alu instid0(VALU_DEP_1) | instskip(SKIP_1) | instid1(VALU_DEP_1)
	v_ldexp_f64 v[35:36], v[35:36], v0
	s_wait_alu 0xf1ff
	v_cndmask_b32_e64 v0, 0x7ff00000, v36, s0
	s_and_b32 s0, s1, s0
	s_wait_alu 0xfffe
	s_delay_alu instid0(VALU_DEP_2) | instskip(SKIP_3) | instid1(VALU_DEP_1)
	v_cndmask_b32_e64 v29, 0, v35, s0
	s_mov_b32 s0, 0x55555555
	v_cndmask_b32_e64 v30, 0, v0, s1
	s_mov_b32 s1, 0x3fe55555
	v_add_f64_e32 v[35:36], 1.0, v[29:30]
	v_cmp_ngt_f64_e64 s17, -1.0, v[29:30]
	s_delay_alu instid0(VALU_DEP_2) | instskip(SKIP_3) | instid1(VALU_DEP_3)
	v_frexp_mant_f64_e32 v[63:64], v[35:36]
	v_frexp_exp_i32_f64_e32 v0, v[35:36]
	v_add_f64_e32 v[65:66], -1.0, v[35:36]
	s_wait_alu 0xfffe
	v_cmp_gt_f64_e64 s0, s[0:1], v[63:64]
	s_delay_alu instid0(VALU_DEP_2) | instskip(SKIP_2) | instid1(VALU_DEP_3)
	v_add_f64_e64 v[63:64], v[65:66], -v[35:36]
	v_add_f64_e64 v[65:66], v[29:30], -v[65:66]
	s_wait_alu 0xf1ff
	v_subrev_co_ci_u32_e64 v0, null, 0, v0, s0
	s_delay_alu instid0(VALU_DEP_3) | instskip(SKIP_2) | instid1(VALU_DEP_2)
	v_add_f64_e32 v[63:64], 1.0, v[63:64]
	s_mov_b32 s0, 0x55555780
	s_wait_dscnt 0x1
	v_sub_nc_u32_e32 v69, 0, v0
	s_delay_alu instid0(VALU_DEP_1) | instskip(NEXT) | instid1(VALU_DEP_3)
	v_ldexp_f64 v[35:36], v[35:36], v69
	v_add_f64_e32 v[63:64], v[65:66], v[63:64]
	s_delay_alu instid0(VALU_DEP_2) | instskip(SKIP_1) | instid1(VALU_DEP_3)
	v_add_f64_e32 v[67:68], 1.0, v[35:36]
	v_add_f64_e32 v[73:74], -1.0, v[35:36]
	v_ldexp_f64 v[63:64], v[63:64], v69
	s_delay_alu instid0(VALU_DEP_3) | instskip(NEXT) | instid1(VALU_DEP_3)
	v_add_f64_e32 v[65:66], -1.0, v[67:68]
	v_add_f64_e32 v[75:76], 1.0, v[73:74]
	s_delay_alu instid0(VALU_DEP_2) | instskip(NEXT) | instid1(VALU_DEP_2)
	v_add_f64_e64 v[65:66], v[35:36], -v[65:66]
	v_add_f64_e64 v[35:36], v[35:36], -v[75:76]
	s_delay_alu instid0(VALU_DEP_2) | instskip(NEXT) | instid1(VALU_DEP_2)
	v_add_f64_e32 v[65:66], v[63:64], v[65:66]
	v_add_f64_e32 v[35:36], v[63:64], v[35:36]
	s_wait_dscnt 0x0
	s_delay_alu instid0(VALU_DEP_2) | instskip(NEXT) | instid1(VALU_DEP_2)
	v_add_f64_e32 v[69:70], v[67:68], v[65:66]
	v_add_f64_e32 v[75:76], v[73:74], v[35:36]
	s_delay_alu instid0(VALU_DEP_2) | instskip(SKIP_1) | instid1(VALU_DEP_2)
	v_rcp_f64_e32 v[71:72], v[69:70]
	v_add_f64_e64 v[67:68], v[69:70], -v[67:68]
	v_add_f64_e64 v[73:74], v[75:76], -v[73:74]
	s_delay_alu instid0(VALU_DEP_2) | instskip(NEXT) | instid1(TRANS32_DEP_1)
	v_add_f64_e64 v[65:66], v[65:66], -v[67:68]
	v_fma_f64 v[95:96], -v[69:70], v[71:72], 1.0
	s_delay_alu instid0(VALU_DEP_3) | instskip(NEXT) | instid1(VALU_DEP_2)
	v_add_f64_e64 v[35:36], v[35:36], -v[73:74]
	v_fma_f64 v[71:72], v[95:96], v[71:72], v[71:72]
	s_delay_alu instid0(VALU_DEP_1) | instskip(NEXT) | instid1(VALU_DEP_1)
	v_fma_f64 v[63:64], -v[69:70], v[71:72], 1.0
	v_fma_f64 v[63:64], v[63:64], v[71:72], v[71:72]
	s_delay_alu instid0(VALU_DEP_1) | instskip(NEXT) | instid1(VALU_DEP_1)
	v_mul_f64_e32 v[71:72], v[75:76], v[63:64]
	v_mul_f64_e32 v[95:96], v[69:70], v[71:72]
	s_delay_alu instid0(VALU_DEP_1) | instskip(NEXT) | instid1(VALU_DEP_1)
	v_fma_f64 v[67:68], v[71:72], v[69:70], -v[95:96]
	v_fma_f64 v[67:68], v[71:72], v[65:66], v[67:68]
	s_delay_alu instid0(VALU_DEP_1) | instskip(NEXT) | instid1(VALU_DEP_1)
	v_add_f64_e32 v[97:98], v[95:96], v[67:68]
	v_add_f64_e64 v[99:100], v[75:76], -v[97:98]
	v_add_f64_e64 v[73:74], v[97:98], -v[95:96]
	s_delay_alu instid0(VALU_DEP_2) | instskip(NEXT) | instid1(VALU_DEP_2)
	v_add_f64_e64 v[75:76], v[75:76], -v[99:100]
	v_add_f64_e64 v[67:68], v[73:74], -v[67:68]
	s_delay_alu instid0(VALU_DEP_2) | instskip(NEXT) | instid1(VALU_DEP_1)
	v_add_f64_e64 v[75:76], v[75:76], -v[97:98]
	v_add_f64_e32 v[35:36], v[35:36], v[75:76]
	s_delay_alu instid0(VALU_DEP_1) | instskip(NEXT) | instid1(VALU_DEP_1)
	v_add_f64_e32 v[35:36], v[67:68], v[35:36]
	v_add_f64_e32 v[67:68], v[99:100], v[35:36]
	s_delay_alu instid0(VALU_DEP_1) | instskip(SKIP_1) | instid1(VALU_DEP_2)
	v_mul_f64_e32 v[73:74], v[63:64], v[67:68]
	v_add_f64_e64 v[97:98], v[99:100], -v[67:68]
	v_mul_f64_e32 v[75:76], v[69:70], v[73:74]
	s_delay_alu instid0(VALU_DEP_2) | instskip(NEXT) | instid1(VALU_DEP_2)
	v_add_f64_e32 v[35:36], v[35:36], v[97:98]
	v_fma_f64 v[69:70], v[73:74], v[69:70], -v[75:76]
	s_delay_alu instid0(VALU_DEP_1) | instskip(NEXT) | instid1(VALU_DEP_1)
	v_fma_f64 v[65:66], v[73:74], v[65:66], v[69:70]
	v_add_f64_e32 v[69:70], v[75:76], v[65:66]
	s_delay_alu instid0(VALU_DEP_1) | instskip(SKIP_1) | instid1(VALU_DEP_2)
	v_add_f64_e64 v[95:96], v[67:68], -v[69:70]
	v_add_f64_e64 v[75:76], v[69:70], -v[75:76]
	;; [unrolled: 1-line block ×3, first 2 shown]
	s_delay_alu instid0(VALU_DEP_2) | instskip(NEXT) | instid1(VALU_DEP_2)
	v_add_f64_e64 v[65:66], v[75:76], -v[65:66]
	v_add_f64_e64 v[67:68], v[67:68], -v[69:70]
	s_delay_alu instid0(VALU_DEP_1) | instskip(SKIP_1) | instid1(VALU_DEP_2)
	v_add_f64_e32 v[35:36], v[35:36], v[67:68]
	v_add_f64_e32 v[67:68], v[71:72], v[73:74]
	;; [unrolled: 1-line block ×3, first 2 shown]
	s_delay_alu instid0(VALU_DEP_2) | instskip(NEXT) | instid1(VALU_DEP_2)
	v_add_f64_e64 v[65:66], v[67:68], -v[71:72]
	v_add_f64_e32 v[35:36], v[95:96], v[35:36]
	s_delay_alu instid0(VALU_DEP_2) | instskip(NEXT) | instid1(VALU_DEP_2)
	v_add_f64_e64 v[65:66], v[73:74], -v[65:66]
	v_mul_f64_e32 v[35:36], v[63:64], v[35:36]
	s_delay_alu instid0(VALU_DEP_1) | instskip(NEXT) | instid1(VALU_DEP_1)
	v_add_f64_e32 v[35:36], v[65:66], v[35:36]
	v_add_f64_e32 v[63:64], v[67:68], v[35:36]
	s_delay_alu instid0(VALU_DEP_1) | instskip(NEXT) | instid1(VALU_DEP_1)
	v_mul_f64_e32 v[65:66], v[63:64], v[63:64]
	v_fma_f64 v[69:70], v[65:66], s[42:43], s[40:41]
	s_mov_b32 s40, 0xd7f4df2e
	s_mov_b32 s41, 0x3fc7474d
	v_mul_f64_e32 v[71:72], v[63:64], v[65:66]
	s_wait_alu 0xfffe
	s_delay_alu instid0(VALU_DEP_2) | instskip(SKIP_3) | instid1(VALU_DEP_1)
	v_fma_f64 v[69:70], v[65:66], v[69:70], s[40:41]
	s_mov_b32 s40, 0x16291751
	s_mov_b32 s41, 0x3fcc71c0
	s_wait_alu 0xfffe
	v_fma_f64 v[69:70], v[65:66], v[69:70], s[40:41]
	s_mov_b32 s40, 0x9b27acf1
	s_mov_b32 s41, 0x3fd24924
	s_wait_alu 0xfffe
	s_delay_alu instid0(VALU_DEP_1) | instskip(SKIP_3) | instid1(VALU_DEP_1)
	v_fma_f64 v[69:70], v[65:66], v[69:70], s[40:41]
	s_mov_b32 s40, 0x998ef7b6
	s_mov_b32 s41, 0x3fd99999
	s_wait_alu 0xfffe
	v_fma_f64 v[69:70], v[65:66], v[69:70], s[40:41]
	s_delay_alu instid0(VALU_DEP_1)
	v_fma_f64 v[65:66], v[65:66], v[69:70], s[0:1]
	v_ldexp_f64 v[69:70], v[63:64], 1
	v_add_f64_e64 v[63:64], v[63:64], -v[67:68]
	v_cmp_nge_f64_e64 s0, -1.0, v[29:30]
	v_cmp_neq_f64_e64 s1, 0x7ff00000, v[29:30]
	v_mul_f64_e32 v[65:66], v[71:72], v[65:66]
	v_cvt_f64_i32_e32 v[71:72], v0
	v_add_f64_e64 v[35:36], v[35:36], -v[63:64]
	s_and_b32 s0, s0, s1
	s_delay_alu instid0(VALU_DEP_3) | instskip(NEXT) | instid1(VALU_DEP_3)
	v_add_f64_e32 v[67:68], v[69:70], v[65:66]
	v_mul_f64_e32 v[73:74], s[34:35], v[71:72]
	s_delay_alu instid0(VALU_DEP_3) | instskip(NEXT) | instid1(VALU_DEP_3)
	v_ldexp_f64 v[35:36], v[35:36], 1
	v_add_f64_e64 v[63:64], v[67:68], -v[69:70]
	s_delay_alu instid0(VALU_DEP_3) | instskip(NEXT) | instid1(VALU_DEP_2)
	v_fma_f64 v[69:70], v[71:72], s[34:35], -v[73:74]
	v_add_f64_e64 v[63:64], v[65:66], -v[63:64]
	s_delay_alu instid0(VALU_DEP_2) | instskip(NEXT) | instid1(VALU_DEP_2)
	v_fma_f64 v[65:66], v[71:72], s[38:39], v[69:70]
	v_add_f64_e32 v[35:36], v[35:36], v[63:64]
	s_delay_alu instid0(VALU_DEP_2) | instskip(NEXT) | instid1(VALU_DEP_2)
	v_add_f64_e32 v[63:64], v[73:74], v[65:66]
	v_add_f64_e32 v[69:70], v[67:68], v[35:36]
	s_delay_alu instid0(VALU_DEP_2) | instskip(NEXT) | instid1(VALU_DEP_2)
	v_add_f64_e64 v[73:74], v[63:64], -v[73:74]
	v_add_f64_e32 v[71:72], v[63:64], v[69:70]
	v_add_f64_e64 v[67:68], v[69:70], -v[67:68]
	s_delay_alu instid0(VALU_DEP_3) | instskip(NEXT) | instid1(VALU_DEP_3)
	v_add_f64_e64 v[65:66], v[65:66], -v[73:74]
	v_add_f64_e64 v[75:76], v[71:72], -v[63:64]
	s_delay_alu instid0(VALU_DEP_3) | instskip(NEXT) | instid1(VALU_DEP_2)
	v_add_f64_e64 v[35:36], v[35:36], -v[67:68]
	v_add_f64_e64 v[95:96], v[71:72], -v[75:76]
	;; [unrolled: 1-line block ×3, first 2 shown]
	s_delay_alu instid0(VALU_DEP_3) | instskip(NEXT) | instid1(VALU_DEP_3)
	v_add_f64_e32 v[69:70], v[65:66], v[35:36]
	v_add_f64_e64 v[63:64], v[63:64], -v[95:96]
	s_delay_alu instid0(VALU_DEP_1) | instskip(NEXT) | instid1(VALU_DEP_3)
	v_add_f64_e32 v[63:64], v[67:68], v[63:64]
	v_add_f64_e64 v[67:68], v[69:70], -v[65:66]
	s_delay_alu instid0(VALU_DEP_2) | instskip(NEXT) | instid1(VALU_DEP_2)
	v_add_f64_e32 v[63:64], v[69:70], v[63:64]
	v_add_f64_e64 v[69:70], v[69:70], -v[67:68]
	v_add_f64_e64 v[35:36], v[35:36], -v[67:68]
	s_delay_alu instid0(VALU_DEP_3) | instskip(NEXT) | instid1(VALU_DEP_3)
	v_add_f64_e32 v[73:74], v[71:72], v[63:64]
	v_add_f64_e64 v[65:66], v[65:66], -v[69:70]
	s_delay_alu instid0(VALU_DEP_2) | instskip(NEXT) | instid1(VALU_DEP_2)
	v_add_f64_e64 v[67:68], v[73:74], -v[71:72]
	v_add_f64_e32 v[35:36], v[35:36], v[65:66]
	s_delay_alu instid0(VALU_DEP_2) | instskip(NEXT) | instid1(VALU_DEP_1)
	v_add_f64_e64 v[63:64], v[63:64], -v[67:68]
	v_add_f64_e32 v[35:36], v[35:36], v[63:64]
	s_delay_alu instid0(VALU_DEP_1) | instskip(SKIP_1) | instid1(VALU_DEP_1)
	v_add_f64_e32 v[35:36], v[73:74], v[35:36]
	s_wait_alu 0xfffe
	v_cndmask_b32_e64 v35, 0, v35, s0
	v_cmp_neq_f64_e64 s0, -1.0, v[29:30]
	s_delay_alu instid0(VALU_DEP_3) | instskip(NEXT) | instid1(VALU_DEP_1)
	v_cndmask_b32_e64 v0, 0x7ff00000, v36, s1
	v_cndmask_b32_e64 v0, 0x7ff80000, v0, s17
	s_wait_alu 0xf1ff
	s_delay_alu instid0(VALU_DEP_1) | instskip(NEXT) | instid1(VALU_DEP_1)
	v_cndmask_b32_e64 v36, 0xfff00000, v0, s0
	v_add_f64_e32 v[29:30], v[33:34], v[35:36]
.LBB80_110:
	s_wait_alu 0xfffe
	s_or_b32 exec_lo, exec_lo, s18
	s_delay_alu instid0(VALU_DEP_1) | instskip(SKIP_1) | instid1(VALU_DEP_2)
	v_max_num_f64_e32 v[33:34], v[29:30], v[29:30]
	v_cmp_u_f64_e64 s0, v[29:30], v[29:30]
	v_min_num_f64_e32 v[35:36], v[33:34], v[37:38]
	v_max_num_f64_e32 v[33:34], v[33:34], v[37:38]
	s_wait_alu 0xf1ff
	s_delay_alu instid0(VALU_DEP_2) | instskip(NEXT) | instid1(VALU_DEP_3)
	v_cndmask_b32_e64 v0, v35, v29, s0
	v_cndmask_b32_e64 v35, v36, v30, s0
	s_delay_alu instid0(VALU_DEP_3) | instskip(NEXT) | instid1(VALU_DEP_4)
	v_cndmask_b32_e64 v34, v34, v30, s0
	v_cndmask_b32_e64 v33, v33, v29, s0
	s_delay_alu instid0(VALU_DEP_3) | instskip(SKIP_1) | instid1(VALU_DEP_4)
	v_cndmask_b32_e64 v36, v35, v32, s19
	v_cndmask_b32_e64 v35, v0, v31, s19
	;; [unrolled: 1-line block ×3, first 2 shown]
	s_delay_alu instid0(VALU_DEP_4) | instskip(SKIP_1) | instid1(VALU_DEP_4)
	v_cndmask_b32_e64 v33, v33, v31, s19
	v_dual_mov_b32 v32, v30 :: v_dual_mov_b32 v31, v29
	v_cmp_class_f64_e64 s1, v[35:36], 0x1f8
	s_delay_alu instid0(VALU_DEP_3)
	v_cmp_neq_f64_e64 s0, v[35:36], v[33:34]
	s_or_b32 s0, s0, s1
	s_wait_alu 0xfffe
	s_and_saveexec_b32 s33, s0
	s_cbranch_execz .LBB80_112
; %bb.111:
	v_add_f64_e64 v[31:32], v[35:36], -v[33:34]
	s_mov_b32 s0, 0x652b82fe
	s_mov_b32 s1, 0x3ff71547
	;; [unrolled: 1-line block ×10, first 2 shown]
	s_wait_alu 0xfffe
	s_delay_alu instid0(VALU_DEP_1) | instskip(SKIP_2) | instid1(VALU_DEP_1)
	v_mul_f64_e32 v[35:36], s[0:1], v[31:32]
	s_mov_b32 s0, 0xfca7ab0c
	s_mov_b32 s1, 0x3e928af3
	v_rndne_f64_e32 v[35:36], v[35:36]
	s_delay_alu instid0(VALU_DEP_1) | instskip(SKIP_2) | instid1(VALU_DEP_2)
	v_fma_f64 v[37:38], v[35:36], s[18:19], v[31:32]
	v_cvt_i32_f64_e32 v0, v[35:36]
	s_mov_b32 s19, 0x3fe62e42
	v_fma_f64 v[37:38], v[35:36], s[34:35], v[37:38]
	s_mov_b32 s35, 0x3c7abc9e
	s_wait_alu 0xfffe
	s_delay_alu instid0(VALU_DEP_1)
	v_fma_f64 v[63:64], v[37:38], s[38:39], s[0:1]
	s_mov_b32 s0, 0x623fde64
	s_mov_b32 s1, 0x3ec71dee
	;; [unrolled: 1-line block ×4, first 2 shown]
	s_wait_alu 0xfffe
	s_delay_alu instid0(VALU_DEP_1) | instskip(SKIP_3) | instid1(VALU_DEP_1)
	v_fma_f64 v[63:64], v[37:38], v[63:64], s[0:1]
	s_mov_b32 s0, 0x7c89e6b0
	s_mov_b32 s1, 0x3efa0199
	s_wait_alu 0xfffe
	v_fma_f64 v[63:64], v[37:38], v[63:64], s[0:1]
	s_mov_b32 s0, 0x14761f6e
	s_mov_b32 s1, 0x3f2a01a0
	s_wait_alu 0xfffe
	s_delay_alu instid0(VALU_DEP_1) | instskip(SKIP_3) | instid1(VALU_DEP_1)
	v_fma_f64 v[63:64], v[37:38], v[63:64], s[0:1]
	s_mov_b32 s0, 0x1852b7b0
	s_mov_b32 s1, 0x3f56c16c
	s_wait_alu 0xfffe
	v_fma_f64 v[63:64], v[37:38], v[63:64], s[0:1]
	s_mov_b32 s0, 0x11122322
	s_mov_b32 s1, 0x3f811111
	;; [unrolled: 9-line block ×3, first 2 shown]
	s_wait_alu 0xfffe
	s_delay_alu instid0(VALU_DEP_1) | instskip(SKIP_3) | instid1(VALU_DEP_1)
	v_fma_f64 v[63:64], v[37:38], v[63:64], s[0:1]
	s_mov_b32 s0, 11
	s_mov_b32 s1, 0x3fe00000
	s_wait_alu 0xfffe
	v_fma_f64 v[63:64], v[37:38], v[63:64], s[0:1]
	v_cmp_nlt_f64_e64 s0, 0x40900000, v[31:32]
	v_cmp_ngt_f64_e64 s1, 0xc090cc00, v[31:32]
	s_delay_alu instid0(VALU_DEP_3) | instskip(NEXT) | instid1(VALU_DEP_1)
	v_fma_f64 v[63:64], v[37:38], v[63:64], 1.0
	v_fma_f64 v[35:36], v[37:38], v[63:64], 1.0
	s_delay_alu instid0(VALU_DEP_1) | instskip(SKIP_1) | instid1(VALU_DEP_1)
	v_ldexp_f64 v[35:36], v[35:36], v0
	s_wait_alu 0xf1ff
	v_cndmask_b32_e64 v0, 0x7ff00000, v36, s0
	s_and_b32 s0, s1, s0
	s_wait_alu 0xfffe
	s_delay_alu instid0(VALU_DEP_2) | instskip(SKIP_3) | instid1(VALU_DEP_1)
	v_cndmask_b32_e64 v31, 0, v35, s0
	s_mov_b32 s0, 0x55555555
	v_cndmask_b32_e64 v32, 0, v0, s1
	s_mov_b32 s1, 0x3fe55555
	v_add_f64_e32 v[35:36], 1.0, v[31:32]
	v_cmp_ngt_f64_e64 s17, -1.0, v[31:32]
	s_delay_alu instid0(VALU_DEP_2) | instskip(SKIP_3) | instid1(VALU_DEP_3)
	v_frexp_mant_f64_e32 v[37:38], v[35:36]
	v_frexp_exp_i32_f64_e32 v0, v[35:36]
	v_add_f64_e32 v[63:64], -1.0, v[35:36]
	s_wait_alu 0xfffe
	v_cmp_gt_f64_e64 s0, s[0:1], v[37:38]
	s_delay_alu instid0(VALU_DEP_2) | instskip(SKIP_2) | instid1(VALU_DEP_3)
	v_add_f64_e64 v[37:38], v[63:64], -v[35:36]
	v_add_f64_e64 v[63:64], v[31:32], -v[63:64]
	s_wait_alu 0xf1ff
	v_subrev_co_ci_u32_e64 v0, null, 0, v0, s0
	s_delay_alu instid0(VALU_DEP_3) | instskip(SKIP_1) | instid1(VALU_DEP_2)
	v_add_f64_e32 v[37:38], 1.0, v[37:38]
	s_mov_b32 s0, 0x55555780
	v_sub_nc_u32_e32 v67, 0, v0
	s_delay_alu instid0(VALU_DEP_1) | instskip(NEXT) | instid1(VALU_DEP_3)
	v_ldexp_f64 v[35:36], v[35:36], v67
	v_add_f64_e32 v[37:38], v[63:64], v[37:38]
	s_delay_alu instid0(VALU_DEP_2) | instskip(SKIP_1) | instid1(VALU_DEP_3)
	v_add_f64_e32 v[65:66], 1.0, v[35:36]
	v_add_f64_e32 v[71:72], -1.0, v[35:36]
	v_ldexp_f64 v[37:38], v[37:38], v67
	s_delay_alu instid0(VALU_DEP_3) | instskip(NEXT) | instid1(VALU_DEP_3)
	v_add_f64_e32 v[63:64], -1.0, v[65:66]
	v_add_f64_e32 v[73:74], 1.0, v[71:72]
	s_delay_alu instid0(VALU_DEP_2) | instskip(NEXT) | instid1(VALU_DEP_2)
	v_add_f64_e64 v[63:64], v[35:36], -v[63:64]
	v_add_f64_e64 v[35:36], v[35:36], -v[73:74]
	s_delay_alu instid0(VALU_DEP_2) | instskip(NEXT) | instid1(VALU_DEP_2)
	v_add_f64_e32 v[63:64], v[37:38], v[63:64]
	v_add_f64_e32 v[35:36], v[37:38], v[35:36]
	s_delay_alu instid0(VALU_DEP_2) | instskip(NEXT) | instid1(VALU_DEP_2)
	v_add_f64_e32 v[67:68], v[65:66], v[63:64]
	v_add_f64_e32 v[73:74], v[71:72], v[35:36]
	s_wait_dscnt 0x0
	s_delay_alu instid0(VALU_DEP_2) | instskip(SKIP_1) | instid1(VALU_DEP_2)
	v_rcp_f64_e32 v[69:70], v[67:68]
	v_add_f64_e64 v[65:66], v[67:68], -v[65:66]
	v_add_f64_e64 v[71:72], v[73:74], -v[71:72]
	s_delay_alu instid0(VALU_DEP_2) | instskip(NEXT) | instid1(TRANS32_DEP_1)
	v_add_f64_e64 v[63:64], v[63:64], -v[65:66]
	v_fma_f64 v[75:76], -v[67:68], v[69:70], 1.0
	s_delay_alu instid0(VALU_DEP_3) | instskip(NEXT) | instid1(VALU_DEP_2)
	v_add_f64_e64 v[35:36], v[35:36], -v[71:72]
	v_fma_f64 v[69:70], v[75:76], v[69:70], v[69:70]
	s_delay_alu instid0(VALU_DEP_1) | instskip(NEXT) | instid1(VALU_DEP_1)
	v_fma_f64 v[37:38], -v[67:68], v[69:70], 1.0
	v_fma_f64 v[37:38], v[37:38], v[69:70], v[69:70]
	s_delay_alu instid0(VALU_DEP_1) | instskip(NEXT) | instid1(VALU_DEP_1)
	v_mul_f64_e32 v[69:70], v[73:74], v[37:38]
	v_mul_f64_e32 v[75:76], v[67:68], v[69:70]
	s_delay_alu instid0(VALU_DEP_1) | instskip(NEXT) | instid1(VALU_DEP_1)
	v_fma_f64 v[65:66], v[69:70], v[67:68], -v[75:76]
	v_fma_f64 v[65:66], v[69:70], v[63:64], v[65:66]
	s_delay_alu instid0(VALU_DEP_1) | instskip(NEXT) | instid1(VALU_DEP_1)
	v_add_f64_e32 v[95:96], v[75:76], v[65:66]
	v_add_f64_e64 v[97:98], v[73:74], -v[95:96]
	v_add_f64_e64 v[71:72], v[95:96], -v[75:76]
	s_delay_alu instid0(VALU_DEP_2) | instskip(NEXT) | instid1(VALU_DEP_2)
	v_add_f64_e64 v[73:74], v[73:74], -v[97:98]
	v_add_f64_e64 v[65:66], v[71:72], -v[65:66]
	s_delay_alu instid0(VALU_DEP_2) | instskip(NEXT) | instid1(VALU_DEP_1)
	v_add_f64_e64 v[73:74], v[73:74], -v[95:96]
	v_add_f64_e32 v[35:36], v[35:36], v[73:74]
	s_delay_alu instid0(VALU_DEP_1) | instskip(NEXT) | instid1(VALU_DEP_1)
	v_add_f64_e32 v[35:36], v[65:66], v[35:36]
	v_add_f64_e32 v[65:66], v[97:98], v[35:36]
	s_delay_alu instid0(VALU_DEP_1) | instskip(SKIP_1) | instid1(VALU_DEP_2)
	v_mul_f64_e32 v[71:72], v[37:38], v[65:66]
	v_add_f64_e64 v[95:96], v[97:98], -v[65:66]
	v_mul_f64_e32 v[73:74], v[67:68], v[71:72]
	s_delay_alu instid0(VALU_DEP_2) | instskip(NEXT) | instid1(VALU_DEP_2)
	v_add_f64_e32 v[35:36], v[35:36], v[95:96]
	v_fma_f64 v[67:68], v[71:72], v[67:68], -v[73:74]
	s_delay_alu instid0(VALU_DEP_1) | instskip(NEXT) | instid1(VALU_DEP_1)
	v_fma_f64 v[63:64], v[71:72], v[63:64], v[67:68]
	v_add_f64_e32 v[67:68], v[73:74], v[63:64]
	s_delay_alu instid0(VALU_DEP_1) | instskip(SKIP_1) | instid1(VALU_DEP_2)
	v_add_f64_e64 v[75:76], v[65:66], -v[67:68]
	v_add_f64_e64 v[73:74], v[67:68], -v[73:74]
	;; [unrolled: 1-line block ×3, first 2 shown]
	s_delay_alu instid0(VALU_DEP_2) | instskip(NEXT) | instid1(VALU_DEP_2)
	v_add_f64_e64 v[63:64], v[73:74], -v[63:64]
	v_add_f64_e64 v[65:66], v[65:66], -v[67:68]
	s_delay_alu instid0(VALU_DEP_1) | instskip(SKIP_1) | instid1(VALU_DEP_2)
	v_add_f64_e32 v[35:36], v[35:36], v[65:66]
	v_add_f64_e32 v[65:66], v[69:70], v[71:72]
	v_add_f64_e32 v[35:36], v[63:64], v[35:36]
	s_delay_alu instid0(VALU_DEP_2) | instskip(NEXT) | instid1(VALU_DEP_2)
	v_add_f64_e64 v[63:64], v[65:66], -v[69:70]
	v_add_f64_e32 v[35:36], v[75:76], v[35:36]
	s_delay_alu instid0(VALU_DEP_2) | instskip(NEXT) | instid1(VALU_DEP_2)
	v_add_f64_e64 v[63:64], v[71:72], -v[63:64]
	v_mul_f64_e32 v[35:36], v[37:38], v[35:36]
	s_delay_alu instid0(VALU_DEP_1) | instskip(NEXT) | instid1(VALU_DEP_1)
	v_add_f64_e32 v[35:36], v[63:64], v[35:36]
	v_add_f64_e32 v[37:38], v[65:66], v[35:36]
	s_delay_alu instid0(VALU_DEP_1) | instskip(NEXT) | instid1(VALU_DEP_1)
	v_mul_f64_e32 v[63:64], v[37:38], v[37:38]
	v_fma_f64 v[67:68], v[63:64], s[40:41], s[38:39]
	s_mov_b32 s38, 0xd7f4df2e
	s_mov_b32 s39, 0x3fc7474d
	v_mul_f64_e32 v[69:70], v[37:38], v[63:64]
	s_wait_alu 0xfffe
	s_delay_alu instid0(VALU_DEP_2) | instskip(SKIP_3) | instid1(VALU_DEP_1)
	v_fma_f64 v[67:68], v[63:64], v[67:68], s[38:39]
	s_mov_b32 s38, 0x16291751
	s_mov_b32 s39, 0x3fcc71c0
	s_wait_alu 0xfffe
	v_fma_f64 v[67:68], v[63:64], v[67:68], s[38:39]
	s_mov_b32 s38, 0x9b27acf1
	s_mov_b32 s39, 0x3fd24924
	s_wait_alu 0xfffe
	s_delay_alu instid0(VALU_DEP_1) | instskip(SKIP_3) | instid1(VALU_DEP_1)
	v_fma_f64 v[67:68], v[63:64], v[67:68], s[38:39]
	s_mov_b32 s38, 0x998ef7b6
	s_mov_b32 s39, 0x3fd99999
	s_wait_alu 0xfffe
	v_fma_f64 v[67:68], v[63:64], v[67:68], s[38:39]
	s_delay_alu instid0(VALU_DEP_1)
	v_fma_f64 v[63:64], v[63:64], v[67:68], s[0:1]
	v_ldexp_f64 v[67:68], v[37:38], 1
	v_add_f64_e64 v[37:38], v[37:38], -v[65:66]
	v_cmp_nge_f64_e64 s0, -1.0, v[31:32]
	v_cmp_neq_f64_e64 s1, 0x7ff00000, v[31:32]
	v_mul_f64_e32 v[63:64], v[69:70], v[63:64]
	v_cvt_f64_i32_e32 v[69:70], v0
	v_add_f64_e64 v[35:36], v[35:36], -v[37:38]
	s_and_b32 s0, s0, s1
	s_delay_alu instid0(VALU_DEP_3) | instskip(NEXT) | instid1(VALU_DEP_3)
	v_add_f64_e32 v[65:66], v[67:68], v[63:64]
	v_mul_f64_e32 v[71:72], s[18:19], v[69:70]
	s_delay_alu instid0(VALU_DEP_3) | instskip(NEXT) | instid1(VALU_DEP_3)
	v_ldexp_f64 v[35:36], v[35:36], 1
	v_add_f64_e64 v[37:38], v[65:66], -v[67:68]
	s_delay_alu instid0(VALU_DEP_3) | instskip(NEXT) | instid1(VALU_DEP_2)
	v_fma_f64 v[67:68], v[69:70], s[18:19], -v[71:72]
	v_add_f64_e64 v[37:38], v[63:64], -v[37:38]
	s_delay_alu instid0(VALU_DEP_2) | instskip(NEXT) | instid1(VALU_DEP_2)
	v_fma_f64 v[63:64], v[69:70], s[34:35], v[67:68]
	v_add_f64_e32 v[35:36], v[35:36], v[37:38]
	s_delay_alu instid0(VALU_DEP_2) | instskip(NEXT) | instid1(VALU_DEP_2)
	v_add_f64_e32 v[37:38], v[71:72], v[63:64]
	v_add_f64_e32 v[67:68], v[65:66], v[35:36]
	s_delay_alu instid0(VALU_DEP_2) | instskip(NEXT) | instid1(VALU_DEP_2)
	v_add_f64_e64 v[71:72], v[37:38], -v[71:72]
	v_add_f64_e32 v[69:70], v[37:38], v[67:68]
	v_add_f64_e64 v[65:66], v[67:68], -v[65:66]
	s_delay_alu instid0(VALU_DEP_3) | instskip(NEXT) | instid1(VALU_DEP_3)
	v_add_f64_e64 v[63:64], v[63:64], -v[71:72]
	v_add_f64_e64 v[73:74], v[69:70], -v[37:38]
	s_delay_alu instid0(VALU_DEP_3) | instskip(NEXT) | instid1(VALU_DEP_2)
	v_add_f64_e64 v[35:36], v[35:36], -v[65:66]
	v_add_f64_e64 v[75:76], v[69:70], -v[73:74]
	;; [unrolled: 1-line block ×3, first 2 shown]
	s_delay_alu instid0(VALU_DEP_3) | instskip(NEXT) | instid1(VALU_DEP_3)
	v_add_f64_e32 v[67:68], v[63:64], v[35:36]
	v_add_f64_e64 v[37:38], v[37:38], -v[75:76]
	s_delay_alu instid0(VALU_DEP_1) | instskip(NEXT) | instid1(VALU_DEP_3)
	v_add_f64_e32 v[37:38], v[65:66], v[37:38]
	v_add_f64_e64 v[65:66], v[67:68], -v[63:64]
	s_delay_alu instid0(VALU_DEP_2) | instskip(NEXT) | instid1(VALU_DEP_2)
	v_add_f64_e32 v[37:38], v[67:68], v[37:38]
	v_add_f64_e64 v[67:68], v[67:68], -v[65:66]
	v_add_f64_e64 v[35:36], v[35:36], -v[65:66]
	s_delay_alu instid0(VALU_DEP_3) | instskip(NEXT) | instid1(VALU_DEP_3)
	v_add_f64_e32 v[71:72], v[69:70], v[37:38]
	v_add_f64_e64 v[63:64], v[63:64], -v[67:68]
	s_delay_alu instid0(VALU_DEP_2) | instskip(NEXT) | instid1(VALU_DEP_2)
	v_add_f64_e64 v[65:66], v[71:72], -v[69:70]
	v_add_f64_e32 v[35:36], v[35:36], v[63:64]
	s_delay_alu instid0(VALU_DEP_2) | instskip(NEXT) | instid1(VALU_DEP_1)
	v_add_f64_e64 v[37:38], v[37:38], -v[65:66]
	v_add_f64_e32 v[35:36], v[35:36], v[37:38]
	s_delay_alu instid0(VALU_DEP_1) | instskip(SKIP_1) | instid1(VALU_DEP_1)
	v_add_f64_e32 v[35:36], v[71:72], v[35:36]
	s_wait_alu 0xfffe
	v_cndmask_b32_e64 v35, 0, v35, s0
	v_cmp_neq_f64_e64 s0, -1.0, v[31:32]
	s_delay_alu instid0(VALU_DEP_3) | instskip(NEXT) | instid1(VALU_DEP_1)
	v_cndmask_b32_e64 v0, 0x7ff00000, v36, s1
	v_cndmask_b32_e64 v0, 0x7ff80000, v0, s17
	s_wait_alu 0xf1ff
	s_delay_alu instid0(VALU_DEP_1) | instskip(NEXT) | instid1(VALU_DEP_1)
	v_cndmask_b32_e64 v36, 0xfff00000, v0, s0
	v_add_f64_e32 v[31:32], v[33:34], v[35:36]
.LBB80_112:
	s_wait_alu 0xfffe
	s_or_b32 exec_lo, exec_lo, s33
	s_delay_alu instid0(VALU_DEP_1) | instskip(SKIP_1) | instid1(VALU_DEP_2)
	v_max_num_f64_e32 v[33:34], v[31:32], v[31:32]
	v_cmp_u_f64_e64 s0, v[31:32], v[31:32]
	v_min_num_f64_e32 v[35:36], v[33:34], v[39:40]
	v_max_num_f64_e32 v[33:34], v[33:34], v[39:40]
	s_wait_alu 0xf1ff
	s_delay_alu instid0(VALU_DEP_2) | instskip(NEXT) | instid1(VALU_DEP_3)
	v_cndmask_b32_e64 v0, v35, v31, s0
	v_cndmask_b32_e64 v35, v36, v32, s0
	s_delay_alu instid0(VALU_DEP_3) | instskip(NEXT) | instid1(VALU_DEP_4)
	v_cndmask_b32_e64 v34, v34, v32, s0
	v_cndmask_b32_e64 v33, v33, v31, s0
	s_delay_alu instid0(VALU_DEP_3) | instskip(SKIP_1) | instid1(VALU_DEP_4)
	v_cndmask_b32_e64 v36, v35, v26, s20
	v_cndmask_b32_e64 v35, v0, v25, s20
	;; [unrolled: 1-line block ×3, first 2 shown]
	s_delay_alu instid0(VALU_DEP_4) | instskip(SKIP_1) | instid1(VALU_DEP_4)
	v_cndmask_b32_e64 v33, v33, v25, s20
	v_dual_mov_b32 v25, v31 :: v_dual_mov_b32 v26, v32
	v_cmp_class_f64_e64 s1, v[35:36], 0x1f8
	s_delay_alu instid0(VALU_DEP_3)
	v_cmp_neq_f64_e64 s0, v[35:36], v[33:34]
	s_or_b32 s0, s0, s1
	s_wait_alu 0xfffe
	s_and_saveexec_b32 s20, s0
	s_cbranch_execz .LBB80_114
; %bb.113:
	v_add_f64_e64 v[25:26], v[35:36], -v[33:34]
	s_mov_b32 s0, 0x652b82fe
	s_mov_b32 s1, 0x3ff71547
	;; [unrolled: 1-line block ×10, first 2 shown]
	s_wait_alu 0xfffe
	s_delay_alu instid0(VALU_DEP_1) | instskip(SKIP_2) | instid1(VALU_DEP_1)
	v_mul_f64_e32 v[35:36], s[0:1], v[25:26]
	s_mov_b32 s0, 0xfca7ab0c
	s_mov_b32 s1, 0x3e928af3
	v_rndne_f64_e32 v[35:36], v[35:36]
	s_delay_alu instid0(VALU_DEP_1) | instskip(SKIP_2) | instid1(VALU_DEP_2)
	v_fma_f64 v[37:38], v[35:36], s[18:19], v[25:26]
	v_cvt_i32_f64_e32 v0, v[35:36]
	s_mov_b32 s19, 0x3fe62e42
	v_fma_f64 v[37:38], v[35:36], s[34:35], v[37:38]
	s_mov_b32 s35, 0x3c7abc9e
	s_wait_alu 0xfffe
	s_delay_alu instid0(VALU_DEP_1)
	v_fma_f64 v[39:40], v[37:38], s[38:39], s[0:1]
	s_mov_b32 s0, 0x623fde64
	s_mov_b32 s1, 0x3ec71dee
	;; [unrolled: 1-line block ×4, first 2 shown]
	s_wait_alu 0xfffe
	s_delay_alu instid0(VALU_DEP_1) | instskip(SKIP_3) | instid1(VALU_DEP_1)
	v_fma_f64 v[39:40], v[37:38], v[39:40], s[0:1]
	s_mov_b32 s0, 0x7c89e6b0
	s_mov_b32 s1, 0x3efa0199
	s_wait_alu 0xfffe
	v_fma_f64 v[39:40], v[37:38], v[39:40], s[0:1]
	s_mov_b32 s0, 0x14761f6e
	s_mov_b32 s1, 0x3f2a01a0
	s_wait_alu 0xfffe
	s_delay_alu instid0(VALU_DEP_1) | instskip(SKIP_3) | instid1(VALU_DEP_1)
	v_fma_f64 v[39:40], v[37:38], v[39:40], s[0:1]
	s_mov_b32 s0, 0x1852b7b0
	s_mov_b32 s1, 0x3f56c16c
	s_wait_alu 0xfffe
	v_fma_f64 v[39:40], v[37:38], v[39:40], s[0:1]
	s_mov_b32 s0, 0x11122322
	s_mov_b32 s1, 0x3f811111
	;; [unrolled: 9-line block ×3, first 2 shown]
	s_wait_alu 0xfffe
	s_delay_alu instid0(VALU_DEP_1) | instskip(SKIP_3) | instid1(VALU_DEP_1)
	v_fma_f64 v[39:40], v[37:38], v[39:40], s[0:1]
	s_mov_b32 s0, 11
	s_mov_b32 s1, 0x3fe00000
	s_wait_alu 0xfffe
	v_fma_f64 v[39:40], v[37:38], v[39:40], s[0:1]
	v_cmp_nlt_f64_e64 s0, 0x40900000, v[25:26]
	v_cmp_ngt_f64_e64 s1, 0xc090cc00, v[25:26]
	s_delay_alu instid0(VALU_DEP_3) | instskip(NEXT) | instid1(VALU_DEP_1)
	v_fma_f64 v[39:40], v[37:38], v[39:40], 1.0
	v_fma_f64 v[35:36], v[37:38], v[39:40], 1.0
	s_delay_alu instid0(VALU_DEP_1) | instskip(SKIP_1) | instid1(VALU_DEP_1)
	v_ldexp_f64 v[35:36], v[35:36], v0
	s_wait_alu 0xf1ff
	v_cndmask_b32_e64 v0, 0x7ff00000, v36, s0
	s_and_b32 s0, s1, s0
	s_wait_alu 0xfffe
	s_delay_alu instid0(VALU_DEP_2) | instskip(SKIP_3) | instid1(VALU_DEP_1)
	v_cndmask_b32_e64 v25, 0, v35, s0
	s_mov_b32 s0, 0x55555555
	v_cndmask_b32_e64 v26, 0, v0, s1
	s_mov_b32 s1, 0x3fe55555
	v_add_f64_e32 v[35:36], 1.0, v[25:26]
	v_cmp_ngt_f64_e64 s17, -1.0, v[25:26]
	s_delay_alu instid0(VALU_DEP_2) | instskip(SKIP_3) | instid1(VALU_DEP_3)
	v_frexp_mant_f64_e32 v[37:38], v[35:36]
	v_frexp_exp_i32_f64_e32 v0, v[35:36]
	v_add_f64_e32 v[39:40], -1.0, v[35:36]
	s_wait_alu 0xfffe
	v_cmp_gt_f64_e64 s0, s[0:1], v[37:38]
	s_delay_alu instid0(VALU_DEP_2) | instskip(SKIP_2) | instid1(VALU_DEP_3)
	v_add_f64_e64 v[37:38], v[39:40], -v[35:36]
	v_add_f64_e64 v[39:40], v[25:26], -v[39:40]
	s_wait_alu 0xf1ff
	v_subrev_co_ci_u32_e64 v0, null, 0, v0, s0
	s_delay_alu instid0(VALU_DEP_3) | instskip(SKIP_1) | instid1(VALU_DEP_2)
	v_add_f64_e32 v[37:38], 1.0, v[37:38]
	s_mov_b32 s0, 0x55555780
	v_sub_nc_u32_e32 v65, 0, v0
	s_delay_alu instid0(VALU_DEP_1) | instskip(NEXT) | instid1(VALU_DEP_3)
	v_ldexp_f64 v[35:36], v[35:36], v65
	v_add_f64_e32 v[37:38], v[39:40], v[37:38]
	s_delay_alu instid0(VALU_DEP_2) | instskip(SKIP_2) | instid1(VALU_DEP_3)
	v_add_f64_e32 v[63:64], 1.0, v[35:36]
	s_wait_dscnt 0x0
	v_add_f64_e32 v[69:70], -1.0, v[35:36]
	v_ldexp_f64 v[37:38], v[37:38], v65
	s_delay_alu instid0(VALU_DEP_3) | instskip(NEXT) | instid1(VALU_DEP_3)
	v_add_f64_e32 v[39:40], -1.0, v[63:64]
	v_add_f64_e32 v[71:72], 1.0, v[69:70]
	s_delay_alu instid0(VALU_DEP_2) | instskip(NEXT) | instid1(VALU_DEP_2)
	v_add_f64_e64 v[39:40], v[35:36], -v[39:40]
	v_add_f64_e64 v[35:36], v[35:36], -v[71:72]
	s_delay_alu instid0(VALU_DEP_2) | instskip(NEXT) | instid1(VALU_DEP_2)
	v_add_f64_e32 v[39:40], v[37:38], v[39:40]
	v_add_f64_e32 v[35:36], v[37:38], v[35:36]
	s_delay_alu instid0(VALU_DEP_2) | instskip(NEXT) | instid1(VALU_DEP_2)
	v_add_f64_e32 v[65:66], v[63:64], v[39:40]
	v_add_f64_e32 v[71:72], v[69:70], v[35:36]
	s_delay_alu instid0(VALU_DEP_2) | instskip(SKIP_1) | instid1(VALU_DEP_2)
	v_rcp_f64_e32 v[67:68], v[65:66]
	v_add_f64_e64 v[63:64], v[65:66], -v[63:64]
	v_add_f64_e64 v[69:70], v[71:72], -v[69:70]
	s_delay_alu instid0(VALU_DEP_2) | instskip(NEXT) | instid1(TRANS32_DEP_1)
	v_add_f64_e64 v[39:40], v[39:40], -v[63:64]
	v_fma_f64 v[73:74], -v[65:66], v[67:68], 1.0
	s_delay_alu instid0(VALU_DEP_3) | instskip(NEXT) | instid1(VALU_DEP_2)
	v_add_f64_e64 v[35:36], v[35:36], -v[69:70]
	v_fma_f64 v[67:68], v[73:74], v[67:68], v[67:68]
	s_delay_alu instid0(VALU_DEP_1) | instskip(NEXT) | instid1(VALU_DEP_1)
	v_fma_f64 v[37:38], -v[65:66], v[67:68], 1.0
	v_fma_f64 v[37:38], v[37:38], v[67:68], v[67:68]
	s_delay_alu instid0(VALU_DEP_1) | instskip(NEXT) | instid1(VALU_DEP_1)
	v_mul_f64_e32 v[67:68], v[71:72], v[37:38]
	v_mul_f64_e32 v[73:74], v[65:66], v[67:68]
	s_delay_alu instid0(VALU_DEP_1) | instskip(NEXT) | instid1(VALU_DEP_1)
	v_fma_f64 v[63:64], v[67:68], v[65:66], -v[73:74]
	v_fma_f64 v[63:64], v[67:68], v[39:40], v[63:64]
	s_delay_alu instid0(VALU_DEP_1) | instskip(NEXT) | instid1(VALU_DEP_1)
	v_add_f64_e32 v[75:76], v[73:74], v[63:64]
	v_add_f64_e64 v[95:96], v[71:72], -v[75:76]
	v_add_f64_e64 v[69:70], v[75:76], -v[73:74]
	s_delay_alu instid0(VALU_DEP_2) | instskip(NEXT) | instid1(VALU_DEP_2)
	v_add_f64_e64 v[71:72], v[71:72], -v[95:96]
	v_add_f64_e64 v[63:64], v[69:70], -v[63:64]
	s_delay_alu instid0(VALU_DEP_2) | instskip(NEXT) | instid1(VALU_DEP_1)
	v_add_f64_e64 v[71:72], v[71:72], -v[75:76]
	v_add_f64_e32 v[35:36], v[35:36], v[71:72]
	s_delay_alu instid0(VALU_DEP_1) | instskip(NEXT) | instid1(VALU_DEP_1)
	v_add_f64_e32 v[35:36], v[63:64], v[35:36]
	v_add_f64_e32 v[63:64], v[95:96], v[35:36]
	s_delay_alu instid0(VALU_DEP_1) | instskip(SKIP_1) | instid1(VALU_DEP_2)
	v_mul_f64_e32 v[69:70], v[37:38], v[63:64]
	v_add_f64_e64 v[75:76], v[95:96], -v[63:64]
	v_mul_f64_e32 v[71:72], v[65:66], v[69:70]
	s_delay_alu instid0(VALU_DEP_2) | instskip(NEXT) | instid1(VALU_DEP_2)
	v_add_f64_e32 v[35:36], v[35:36], v[75:76]
	v_fma_f64 v[65:66], v[69:70], v[65:66], -v[71:72]
	s_delay_alu instid0(VALU_DEP_1) | instskip(NEXT) | instid1(VALU_DEP_1)
	v_fma_f64 v[39:40], v[69:70], v[39:40], v[65:66]
	v_add_f64_e32 v[65:66], v[71:72], v[39:40]
	s_delay_alu instid0(VALU_DEP_1) | instskip(SKIP_1) | instid1(VALU_DEP_2)
	v_add_f64_e64 v[73:74], v[63:64], -v[65:66]
	v_add_f64_e64 v[71:72], v[65:66], -v[71:72]
	;; [unrolled: 1-line block ×3, first 2 shown]
	s_delay_alu instid0(VALU_DEP_2) | instskip(NEXT) | instid1(VALU_DEP_2)
	v_add_f64_e64 v[39:40], v[71:72], -v[39:40]
	v_add_f64_e64 v[63:64], v[63:64], -v[65:66]
	s_delay_alu instid0(VALU_DEP_1) | instskip(SKIP_1) | instid1(VALU_DEP_2)
	v_add_f64_e32 v[35:36], v[35:36], v[63:64]
	v_add_f64_e32 v[63:64], v[67:68], v[69:70]
	;; [unrolled: 1-line block ×3, first 2 shown]
	s_delay_alu instid0(VALU_DEP_2) | instskip(NEXT) | instid1(VALU_DEP_2)
	v_add_f64_e64 v[39:40], v[63:64], -v[67:68]
	v_add_f64_e32 v[35:36], v[73:74], v[35:36]
	s_delay_alu instid0(VALU_DEP_2) | instskip(NEXT) | instid1(VALU_DEP_2)
	v_add_f64_e64 v[39:40], v[69:70], -v[39:40]
	v_mul_f64_e32 v[35:36], v[37:38], v[35:36]
	s_delay_alu instid0(VALU_DEP_1) | instskip(NEXT) | instid1(VALU_DEP_1)
	v_add_f64_e32 v[35:36], v[39:40], v[35:36]
	v_add_f64_e32 v[37:38], v[63:64], v[35:36]
	s_delay_alu instid0(VALU_DEP_1) | instskip(NEXT) | instid1(VALU_DEP_1)
	v_mul_f64_e32 v[39:40], v[37:38], v[37:38]
	v_fma_f64 v[65:66], v[39:40], s[40:41], s[38:39]
	s_mov_b32 s38, 0xd7f4df2e
	s_mov_b32 s39, 0x3fc7474d
	v_mul_f64_e32 v[67:68], v[37:38], v[39:40]
	s_wait_alu 0xfffe
	s_delay_alu instid0(VALU_DEP_2) | instskip(SKIP_3) | instid1(VALU_DEP_1)
	v_fma_f64 v[65:66], v[39:40], v[65:66], s[38:39]
	s_mov_b32 s38, 0x16291751
	s_mov_b32 s39, 0x3fcc71c0
	s_wait_alu 0xfffe
	v_fma_f64 v[65:66], v[39:40], v[65:66], s[38:39]
	s_mov_b32 s38, 0x9b27acf1
	s_mov_b32 s39, 0x3fd24924
	s_wait_alu 0xfffe
	s_delay_alu instid0(VALU_DEP_1) | instskip(SKIP_3) | instid1(VALU_DEP_1)
	v_fma_f64 v[65:66], v[39:40], v[65:66], s[38:39]
	s_mov_b32 s38, 0x998ef7b6
	s_mov_b32 s39, 0x3fd99999
	s_wait_alu 0xfffe
	v_fma_f64 v[65:66], v[39:40], v[65:66], s[38:39]
	s_delay_alu instid0(VALU_DEP_1)
	v_fma_f64 v[39:40], v[39:40], v[65:66], s[0:1]
	v_ldexp_f64 v[65:66], v[37:38], 1
	v_add_f64_e64 v[37:38], v[37:38], -v[63:64]
	v_cmp_nge_f64_e64 s0, -1.0, v[25:26]
	v_cmp_neq_f64_e64 s1, 0x7ff00000, v[25:26]
	v_mul_f64_e32 v[39:40], v[67:68], v[39:40]
	v_cvt_f64_i32_e32 v[67:68], v0
	v_add_f64_e64 v[35:36], v[35:36], -v[37:38]
	s_and_b32 s0, s0, s1
	s_delay_alu instid0(VALU_DEP_3) | instskip(NEXT) | instid1(VALU_DEP_3)
	v_add_f64_e32 v[63:64], v[65:66], v[39:40]
	v_mul_f64_e32 v[69:70], s[18:19], v[67:68]
	s_delay_alu instid0(VALU_DEP_3) | instskip(NEXT) | instid1(VALU_DEP_3)
	v_ldexp_f64 v[35:36], v[35:36], 1
	v_add_f64_e64 v[37:38], v[63:64], -v[65:66]
	s_delay_alu instid0(VALU_DEP_3) | instskip(NEXT) | instid1(VALU_DEP_2)
	v_fma_f64 v[65:66], v[67:68], s[18:19], -v[69:70]
	v_add_f64_e64 v[37:38], v[39:40], -v[37:38]
	s_delay_alu instid0(VALU_DEP_2) | instskip(NEXT) | instid1(VALU_DEP_2)
	v_fma_f64 v[39:40], v[67:68], s[34:35], v[65:66]
	v_add_f64_e32 v[35:36], v[35:36], v[37:38]
	s_delay_alu instid0(VALU_DEP_2) | instskip(NEXT) | instid1(VALU_DEP_2)
	v_add_f64_e32 v[37:38], v[69:70], v[39:40]
	v_add_f64_e32 v[65:66], v[63:64], v[35:36]
	s_delay_alu instid0(VALU_DEP_2) | instskip(NEXT) | instid1(VALU_DEP_2)
	v_add_f64_e64 v[69:70], v[37:38], -v[69:70]
	v_add_f64_e32 v[67:68], v[37:38], v[65:66]
	v_add_f64_e64 v[63:64], v[65:66], -v[63:64]
	s_delay_alu instid0(VALU_DEP_3) | instskip(NEXT) | instid1(VALU_DEP_3)
	v_add_f64_e64 v[39:40], v[39:40], -v[69:70]
	v_add_f64_e64 v[71:72], v[67:68], -v[37:38]
	s_delay_alu instid0(VALU_DEP_3) | instskip(NEXT) | instid1(VALU_DEP_2)
	v_add_f64_e64 v[35:36], v[35:36], -v[63:64]
	v_add_f64_e64 v[73:74], v[67:68], -v[71:72]
	;; [unrolled: 1-line block ×3, first 2 shown]
	s_delay_alu instid0(VALU_DEP_3) | instskip(NEXT) | instid1(VALU_DEP_3)
	v_add_f64_e32 v[65:66], v[39:40], v[35:36]
	v_add_f64_e64 v[37:38], v[37:38], -v[73:74]
	s_delay_alu instid0(VALU_DEP_1) | instskip(NEXT) | instid1(VALU_DEP_3)
	v_add_f64_e32 v[37:38], v[63:64], v[37:38]
	v_add_f64_e64 v[63:64], v[65:66], -v[39:40]
	s_delay_alu instid0(VALU_DEP_2) | instskip(NEXT) | instid1(VALU_DEP_2)
	v_add_f64_e32 v[37:38], v[65:66], v[37:38]
	v_add_f64_e64 v[65:66], v[65:66], -v[63:64]
	v_add_f64_e64 v[35:36], v[35:36], -v[63:64]
	s_delay_alu instid0(VALU_DEP_3) | instskip(NEXT) | instid1(VALU_DEP_3)
	v_add_f64_e32 v[69:70], v[67:68], v[37:38]
	v_add_f64_e64 v[39:40], v[39:40], -v[65:66]
	s_delay_alu instid0(VALU_DEP_2) | instskip(NEXT) | instid1(VALU_DEP_2)
	v_add_f64_e64 v[63:64], v[69:70], -v[67:68]
	v_add_f64_e32 v[35:36], v[35:36], v[39:40]
	s_delay_alu instid0(VALU_DEP_2) | instskip(NEXT) | instid1(VALU_DEP_1)
	v_add_f64_e64 v[37:38], v[37:38], -v[63:64]
	v_add_f64_e32 v[35:36], v[35:36], v[37:38]
	s_delay_alu instid0(VALU_DEP_1) | instskip(SKIP_1) | instid1(VALU_DEP_1)
	v_add_f64_e32 v[35:36], v[69:70], v[35:36]
	s_wait_alu 0xfffe
	v_cndmask_b32_e64 v35, 0, v35, s0
	v_cmp_neq_f64_e64 s0, -1.0, v[25:26]
	s_delay_alu instid0(VALU_DEP_3) | instskip(NEXT) | instid1(VALU_DEP_1)
	v_cndmask_b32_e64 v0, 0x7ff00000, v36, s1
	v_cndmask_b32_e64 v0, 0x7ff80000, v0, s17
	s_wait_alu 0xf1ff
	s_delay_alu instid0(VALU_DEP_1) | instskip(NEXT) | instid1(VALU_DEP_1)
	v_cndmask_b32_e64 v36, 0xfff00000, v0, s0
	v_add_f64_e32 v[25:26], v[33:34], v[35:36]
.LBB80_114:
	s_wait_alu 0xfffe
	s_or_b32 exec_lo, exec_lo, s20
	s_delay_alu instid0(VALU_DEP_1) | instskip(SKIP_1) | instid1(VALU_DEP_2)
	v_max_num_f64_e32 v[33:34], v[25:26], v[25:26]
	v_cmp_u_f64_e64 s0, v[25:26], v[25:26]
	v_min_num_f64_e32 v[35:36], v[33:34], v[41:42]
	v_max_num_f64_e32 v[33:34], v[33:34], v[41:42]
	s_wait_alu 0xf1ff
	s_delay_alu instid0(VALU_DEP_2) | instskip(NEXT) | instid1(VALU_DEP_3)
	v_cndmask_b32_e64 v0, v35, v25, s0
	v_cndmask_b32_e64 v35, v36, v26, s0
	s_delay_alu instid0(VALU_DEP_3) | instskip(NEXT) | instid1(VALU_DEP_4)
	v_cndmask_b32_e64 v34, v34, v26, s0
	v_cndmask_b32_e64 v33, v33, v25, s0
	s_delay_alu instid0(VALU_DEP_3) | instskip(SKIP_1) | instid1(VALU_DEP_4)
	v_cndmask_b32_e64 v36, v35, v28, s21
	v_cndmask_b32_e64 v35, v0, v27, s21
	;; [unrolled: 1-line block ×3, first 2 shown]
	s_delay_alu instid0(VALU_DEP_4) | instskip(SKIP_1) | instid1(VALU_DEP_4)
	v_cndmask_b32_e64 v33, v33, v27, s21
	v_dual_mov_b32 v28, v26 :: v_dual_mov_b32 v27, v25
	v_cmp_class_f64_e64 s1, v[35:36], 0x1f8
	s_delay_alu instid0(VALU_DEP_3)
	v_cmp_neq_f64_e64 s0, v[35:36], v[33:34]
	s_or_b32 s0, s0, s1
	s_wait_alu 0xfffe
	s_and_saveexec_b32 s33, s0
	s_cbranch_execz .LBB80_116
; %bb.115:
	v_add_f64_e64 v[27:28], v[35:36], -v[33:34]
	s_mov_b32 s0, 0x652b82fe
	s_mov_b32 s1, 0x3ff71547
	;; [unrolled: 1-line block ×10, first 2 shown]
	s_wait_alu 0xfffe
	s_delay_alu instid0(VALU_DEP_1) | instskip(SKIP_2) | instid1(VALU_DEP_1)
	v_mul_f64_e32 v[35:36], s[0:1], v[27:28]
	s_mov_b32 s0, 0xfca7ab0c
	s_mov_b32 s1, 0x3e928af3
	v_rndne_f64_e32 v[35:36], v[35:36]
	s_delay_alu instid0(VALU_DEP_1) | instskip(SKIP_2) | instid1(VALU_DEP_2)
	v_fma_f64 v[37:38], v[35:36], s[18:19], v[27:28]
	v_cvt_i32_f64_e32 v0, v[35:36]
	s_mov_b32 s19, 0x3fe62e42
	v_fma_f64 v[37:38], v[35:36], s[20:21], v[37:38]
	s_mov_b32 s21, 0x3c7abc9e
	s_wait_alu 0xfffe
	s_delay_alu instid0(VALU_DEP_1)
	v_fma_f64 v[39:40], v[37:38], s[34:35], s[0:1]
	s_mov_b32 s0, 0x623fde64
	s_mov_b32 s1, 0x3ec71dee
	;; [unrolled: 1-line block ×4, first 2 shown]
	s_wait_alu 0xfffe
	s_delay_alu instid0(VALU_DEP_1) | instskip(SKIP_3) | instid1(VALU_DEP_1)
	v_fma_f64 v[39:40], v[37:38], v[39:40], s[0:1]
	s_mov_b32 s0, 0x7c89e6b0
	s_mov_b32 s1, 0x3efa0199
	s_wait_alu 0xfffe
	v_fma_f64 v[39:40], v[37:38], v[39:40], s[0:1]
	s_mov_b32 s0, 0x14761f6e
	s_mov_b32 s1, 0x3f2a01a0
	s_wait_alu 0xfffe
	s_delay_alu instid0(VALU_DEP_1) | instskip(SKIP_3) | instid1(VALU_DEP_1)
	v_fma_f64 v[39:40], v[37:38], v[39:40], s[0:1]
	s_mov_b32 s0, 0x1852b7b0
	s_mov_b32 s1, 0x3f56c16c
	s_wait_alu 0xfffe
	v_fma_f64 v[39:40], v[37:38], v[39:40], s[0:1]
	s_mov_b32 s0, 0x11122322
	s_mov_b32 s1, 0x3f811111
	;; [unrolled: 9-line block ×3, first 2 shown]
	s_wait_alu 0xfffe
	s_delay_alu instid0(VALU_DEP_1) | instskip(SKIP_3) | instid1(VALU_DEP_1)
	v_fma_f64 v[39:40], v[37:38], v[39:40], s[0:1]
	s_mov_b32 s0, 11
	s_mov_b32 s1, 0x3fe00000
	s_wait_alu 0xfffe
	v_fma_f64 v[39:40], v[37:38], v[39:40], s[0:1]
	v_cmp_nlt_f64_e64 s0, 0x40900000, v[27:28]
	v_cmp_ngt_f64_e64 s1, 0xc090cc00, v[27:28]
	s_delay_alu instid0(VALU_DEP_3) | instskip(NEXT) | instid1(VALU_DEP_1)
	v_fma_f64 v[39:40], v[37:38], v[39:40], 1.0
	v_fma_f64 v[35:36], v[37:38], v[39:40], 1.0
	s_delay_alu instid0(VALU_DEP_1) | instskip(SKIP_1) | instid1(VALU_DEP_1)
	v_ldexp_f64 v[35:36], v[35:36], v0
	s_wait_alu 0xf1ff
	v_cndmask_b32_e64 v0, 0x7ff00000, v36, s0
	s_and_b32 s0, s1, s0
	s_wait_alu 0xfffe
	s_delay_alu instid0(VALU_DEP_2) | instskip(SKIP_3) | instid1(VALU_DEP_1)
	v_cndmask_b32_e64 v27, 0, v35, s0
	s_mov_b32 s0, 0x55555555
	v_cndmask_b32_e64 v28, 0, v0, s1
	s_mov_b32 s1, 0x3fe55555
	v_add_f64_e32 v[35:36], 1.0, v[27:28]
	v_cmp_ngt_f64_e64 s17, -1.0, v[27:28]
	s_delay_alu instid0(VALU_DEP_2) | instskip(SKIP_3) | instid1(VALU_DEP_3)
	v_frexp_mant_f64_e32 v[37:38], v[35:36]
	v_frexp_exp_i32_f64_e32 v0, v[35:36]
	v_add_f64_e32 v[39:40], -1.0, v[35:36]
	s_wait_alu 0xfffe
	v_cmp_gt_f64_e64 s0, s[0:1], v[37:38]
	s_delay_alu instid0(VALU_DEP_2) | instskip(SKIP_2) | instid1(VALU_DEP_3)
	v_add_f64_e64 v[37:38], v[39:40], -v[35:36]
	v_add_f64_e64 v[39:40], v[27:28], -v[39:40]
	s_wait_alu 0xf1ff
	v_subrev_co_ci_u32_e64 v0, null, 0, v0, s0
	s_delay_alu instid0(VALU_DEP_3) | instskip(SKIP_1) | instid1(VALU_DEP_2)
	v_add_f64_e32 v[37:38], 1.0, v[37:38]
	s_mov_b32 s0, 0x55555780
	v_sub_nc_u32_e32 v63, 0, v0
	s_delay_alu instid0(VALU_DEP_1) | instskip(NEXT) | instid1(VALU_DEP_3)
	v_ldexp_f64 v[35:36], v[35:36], v63
	v_add_f64_e32 v[37:38], v[39:40], v[37:38]
	s_delay_alu instid0(VALU_DEP_2) | instskip(SKIP_1) | instid1(VALU_DEP_3)
	v_add_f64_e32 v[41:42], 1.0, v[35:36]
	v_add_f64_e32 v[67:68], -1.0, v[35:36]
	v_ldexp_f64 v[37:38], v[37:38], v63
	s_delay_alu instid0(VALU_DEP_3) | instskip(SKIP_1) | instid1(VALU_DEP_3)
	v_add_f64_e32 v[39:40], -1.0, v[41:42]
	s_wait_dscnt 0x0
	v_add_f64_e32 v[69:70], 1.0, v[67:68]
	s_delay_alu instid0(VALU_DEP_2) | instskip(NEXT) | instid1(VALU_DEP_2)
	v_add_f64_e64 v[39:40], v[35:36], -v[39:40]
	v_add_f64_e64 v[35:36], v[35:36], -v[69:70]
	s_delay_alu instid0(VALU_DEP_2) | instskip(NEXT) | instid1(VALU_DEP_2)
	v_add_f64_e32 v[39:40], v[37:38], v[39:40]
	v_add_f64_e32 v[35:36], v[37:38], v[35:36]
	s_delay_alu instid0(VALU_DEP_2) | instskip(NEXT) | instid1(VALU_DEP_2)
	v_add_f64_e32 v[63:64], v[41:42], v[39:40]
	v_add_f64_e32 v[69:70], v[67:68], v[35:36]
	s_delay_alu instid0(VALU_DEP_2) | instskip(SKIP_1) | instid1(VALU_DEP_2)
	v_rcp_f64_e32 v[65:66], v[63:64]
	v_add_f64_e64 v[41:42], v[63:64], -v[41:42]
	v_add_f64_e64 v[67:68], v[69:70], -v[67:68]
	s_delay_alu instid0(VALU_DEP_2) | instskip(NEXT) | instid1(TRANS32_DEP_1)
	v_add_f64_e64 v[39:40], v[39:40], -v[41:42]
	v_fma_f64 v[71:72], -v[63:64], v[65:66], 1.0
	s_delay_alu instid0(VALU_DEP_3) | instskip(NEXT) | instid1(VALU_DEP_2)
	v_add_f64_e64 v[35:36], v[35:36], -v[67:68]
	v_fma_f64 v[65:66], v[71:72], v[65:66], v[65:66]
	s_delay_alu instid0(VALU_DEP_1) | instskip(NEXT) | instid1(VALU_DEP_1)
	v_fma_f64 v[37:38], -v[63:64], v[65:66], 1.0
	v_fma_f64 v[37:38], v[37:38], v[65:66], v[65:66]
	s_delay_alu instid0(VALU_DEP_1) | instskip(NEXT) | instid1(VALU_DEP_1)
	v_mul_f64_e32 v[65:66], v[69:70], v[37:38]
	v_mul_f64_e32 v[71:72], v[63:64], v[65:66]
	s_delay_alu instid0(VALU_DEP_1) | instskip(NEXT) | instid1(VALU_DEP_1)
	v_fma_f64 v[41:42], v[65:66], v[63:64], -v[71:72]
	v_fma_f64 v[41:42], v[65:66], v[39:40], v[41:42]
	s_delay_alu instid0(VALU_DEP_1) | instskip(NEXT) | instid1(VALU_DEP_1)
	v_add_f64_e32 v[73:74], v[71:72], v[41:42]
	v_add_f64_e64 v[75:76], v[69:70], -v[73:74]
	v_add_f64_e64 v[67:68], v[73:74], -v[71:72]
	s_delay_alu instid0(VALU_DEP_2) | instskip(NEXT) | instid1(VALU_DEP_2)
	v_add_f64_e64 v[69:70], v[69:70], -v[75:76]
	v_add_f64_e64 v[41:42], v[67:68], -v[41:42]
	s_delay_alu instid0(VALU_DEP_2) | instskip(NEXT) | instid1(VALU_DEP_1)
	v_add_f64_e64 v[69:70], v[69:70], -v[73:74]
	v_add_f64_e32 v[35:36], v[35:36], v[69:70]
	s_delay_alu instid0(VALU_DEP_1) | instskip(NEXT) | instid1(VALU_DEP_1)
	v_add_f64_e32 v[35:36], v[41:42], v[35:36]
	v_add_f64_e32 v[41:42], v[75:76], v[35:36]
	s_delay_alu instid0(VALU_DEP_1) | instskip(SKIP_1) | instid1(VALU_DEP_2)
	v_mul_f64_e32 v[67:68], v[37:38], v[41:42]
	v_add_f64_e64 v[73:74], v[75:76], -v[41:42]
	v_mul_f64_e32 v[69:70], v[63:64], v[67:68]
	s_delay_alu instid0(VALU_DEP_2) | instskip(NEXT) | instid1(VALU_DEP_2)
	v_add_f64_e32 v[35:36], v[35:36], v[73:74]
	v_fma_f64 v[63:64], v[67:68], v[63:64], -v[69:70]
	s_delay_alu instid0(VALU_DEP_1) | instskip(NEXT) | instid1(VALU_DEP_1)
	v_fma_f64 v[39:40], v[67:68], v[39:40], v[63:64]
	v_add_f64_e32 v[63:64], v[69:70], v[39:40]
	s_delay_alu instid0(VALU_DEP_1) | instskip(SKIP_1) | instid1(VALU_DEP_2)
	v_add_f64_e64 v[71:72], v[41:42], -v[63:64]
	v_add_f64_e64 v[69:70], v[63:64], -v[69:70]
	;; [unrolled: 1-line block ×3, first 2 shown]
	s_delay_alu instid0(VALU_DEP_2) | instskip(NEXT) | instid1(VALU_DEP_2)
	v_add_f64_e64 v[39:40], v[69:70], -v[39:40]
	v_add_f64_e64 v[41:42], v[41:42], -v[63:64]
	s_delay_alu instid0(VALU_DEP_1) | instskip(SKIP_1) | instid1(VALU_DEP_2)
	v_add_f64_e32 v[35:36], v[35:36], v[41:42]
	v_add_f64_e32 v[41:42], v[65:66], v[67:68]
	;; [unrolled: 1-line block ×3, first 2 shown]
	s_delay_alu instid0(VALU_DEP_2) | instskip(NEXT) | instid1(VALU_DEP_2)
	v_add_f64_e64 v[39:40], v[41:42], -v[65:66]
	v_add_f64_e32 v[35:36], v[71:72], v[35:36]
	s_delay_alu instid0(VALU_DEP_2) | instskip(NEXT) | instid1(VALU_DEP_2)
	v_add_f64_e64 v[39:40], v[67:68], -v[39:40]
	v_mul_f64_e32 v[35:36], v[37:38], v[35:36]
	s_delay_alu instid0(VALU_DEP_1) | instskip(NEXT) | instid1(VALU_DEP_1)
	v_add_f64_e32 v[35:36], v[39:40], v[35:36]
	v_add_f64_e32 v[37:38], v[41:42], v[35:36]
	s_delay_alu instid0(VALU_DEP_1) | instskip(NEXT) | instid1(VALU_DEP_1)
	v_mul_f64_e32 v[39:40], v[37:38], v[37:38]
	v_fma_f64 v[63:64], v[39:40], s[38:39], s[34:35]
	s_mov_b32 s34, 0xd7f4df2e
	s_mov_b32 s35, 0x3fc7474d
	v_mul_f64_e32 v[65:66], v[37:38], v[39:40]
	s_wait_alu 0xfffe
	s_delay_alu instid0(VALU_DEP_2) | instskip(SKIP_3) | instid1(VALU_DEP_1)
	v_fma_f64 v[63:64], v[39:40], v[63:64], s[34:35]
	s_mov_b32 s34, 0x16291751
	s_mov_b32 s35, 0x3fcc71c0
	s_wait_alu 0xfffe
	v_fma_f64 v[63:64], v[39:40], v[63:64], s[34:35]
	s_mov_b32 s34, 0x9b27acf1
	s_mov_b32 s35, 0x3fd24924
	s_wait_alu 0xfffe
	s_delay_alu instid0(VALU_DEP_1) | instskip(SKIP_3) | instid1(VALU_DEP_1)
	v_fma_f64 v[63:64], v[39:40], v[63:64], s[34:35]
	s_mov_b32 s34, 0x998ef7b6
	s_mov_b32 s35, 0x3fd99999
	s_wait_alu 0xfffe
	v_fma_f64 v[63:64], v[39:40], v[63:64], s[34:35]
	s_delay_alu instid0(VALU_DEP_1)
	v_fma_f64 v[39:40], v[39:40], v[63:64], s[0:1]
	v_ldexp_f64 v[63:64], v[37:38], 1
	v_add_f64_e64 v[37:38], v[37:38], -v[41:42]
	v_cmp_nge_f64_e64 s0, -1.0, v[27:28]
	v_cmp_neq_f64_e64 s1, 0x7ff00000, v[27:28]
	v_mul_f64_e32 v[39:40], v[65:66], v[39:40]
	v_cvt_f64_i32_e32 v[65:66], v0
	v_add_f64_e64 v[35:36], v[35:36], -v[37:38]
	s_and_b32 s0, s0, s1
	s_delay_alu instid0(VALU_DEP_3) | instskip(NEXT) | instid1(VALU_DEP_3)
	v_add_f64_e32 v[41:42], v[63:64], v[39:40]
	v_mul_f64_e32 v[67:68], s[18:19], v[65:66]
	s_delay_alu instid0(VALU_DEP_3) | instskip(NEXT) | instid1(VALU_DEP_3)
	v_ldexp_f64 v[35:36], v[35:36], 1
	v_add_f64_e64 v[37:38], v[41:42], -v[63:64]
	s_delay_alu instid0(VALU_DEP_3) | instskip(NEXT) | instid1(VALU_DEP_2)
	v_fma_f64 v[63:64], v[65:66], s[18:19], -v[67:68]
	v_add_f64_e64 v[37:38], v[39:40], -v[37:38]
	s_delay_alu instid0(VALU_DEP_2) | instskip(NEXT) | instid1(VALU_DEP_2)
	v_fma_f64 v[39:40], v[65:66], s[20:21], v[63:64]
	v_add_f64_e32 v[35:36], v[35:36], v[37:38]
	s_delay_alu instid0(VALU_DEP_2) | instskip(NEXT) | instid1(VALU_DEP_2)
	v_add_f64_e32 v[37:38], v[67:68], v[39:40]
	v_add_f64_e32 v[63:64], v[41:42], v[35:36]
	s_delay_alu instid0(VALU_DEP_2) | instskip(NEXT) | instid1(VALU_DEP_2)
	v_add_f64_e64 v[67:68], v[37:38], -v[67:68]
	v_add_f64_e32 v[65:66], v[37:38], v[63:64]
	v_add_f64_e64 v[41:42], v[63:64], -v[41:42]
	s_delay_alu instid0(VALU_DEP_3) | instskip(NEXT) | instid1(VALU_DEP_3)
	v_add_f64_e64 v[39:40], v[39:40], -v[67:68]
	v_add_f64_e64 v[69:70], v[65:66], -v[37:38]
	s_delay_alu instid0(VALU_DEP_3) | instskip(NEXT) | instid1(VALU_DEP_2)
	v_add_f64_e64 v[35:36], v[35:36], -v[41:42]
	v_add_f64_e64 v[71:72], v[65:66], -v[69:70]
	;; [unrolled: 1-line block ×3, first 2 shown]
	s_delay_alu instid0(VALU_DEP_3) | instskip(NEXT) | instid1(VALU_DEP_3)
	v_add_f64_e32 v[63:64], v[39:40], v[35:36]
	v_add_f64_e64 v[37:38], v[37:38], -v[71:72]
	s_delay_alu instid0(VALU_DEP_1) | instskip(NEXT) | instid1(VALU_DEP_3)
	v_add_f64_e32 v[37:38], v[41:42], v[37:38]
	v_add_f64_e64 v[41:42], v[63:64], -v[39:40]
	s_delay_alu instid0(VALU_DEP_2) | instskip(NEXT) | instid1(VALU_DEP_2)
	v_add_f64_e32 v[37:38], v[63:64], v[37:38]
	v_add_f64_e64 v[63:64], v[63:64], -v[41:42]
	v_add_f64_e64 v[35:36], v[35:36], -v[41:42]
	s_delay_alu instid0(VALU_DEP_3) | instskip(NEXT) | instid1(VALU_DEP_3)
	v_add_f64_e32 v[67:68], v[65:66], v[37:38]
	v_add_f64_e64 v[39:40], v[39:40], -v[63:64]
	s_delay_alu instid0(VALU_DEP_2) | instskip(NEXT) | instid1(VALU_DEP_2)
	v_add_f64_e64 v[41:42], v[67:68], -v[65:66]
	v_add_f64_e32 v[35:36], v[35:36], v[39:40]
	s_delay_alu instid0(VALU_DEP_2) | instskip(NEXT) | instid1(VALU_DEP_1)
	v_add_f64_e64 v[37:38], v[37:38], -v[41:42]
	v_add_f64_e32 v[35:36], v[35:36], v[37:38]
	s_delay_alu instid0(VALU_DEP_1) | instskip(SKIP_1) | instid1(VALU_DEP_1)
	v_add_f64_e32 v[35:36], v[67:68], v[35:36]
	s_wait_alu 0xfffe
	v_cndmask_b32_e64 v35, 0, v35, s0
	v_cmp_neq_f64_e64 s0, -1.0, v[27:28]
	s_delay_alu instid0(VALU_DEP_3) | instskip(NEXT) | instid1(VALU_DEP_1)
	v_cndmask_b32_e64 v0, 0x7ff00000, v36, s1
	v_cndmask_b32_e64 v0, 0x7ff80000, v0, s17
	s_wait_alu 0xf1ff
	s_delay_alu instid0(VALU_DEP_1) | instskip(NEXT) | instid1(VALU_DEP_1)
	v_cndmask_b32_e64 v36, 0xfff00000, v0, s0
	v_add_f64_e32 v[27:28], v[33:34], v[35:36]
.LBB80_116:
	s_wait_alu 0xfffe
	s_or_b32 exec_lo, exec_lo, s33
	s_delay_alu instid0(VALU_DEP_1) | instskip(SKIP_1) | instid1(VALU_DEP_2)
	v_max_num_f64_e32 v[33:34], v[27:28], v[27:28]
	v_cmp_u_f64_e64 s0, v[27:28], v[27:28]
	v_min_num_f64_e32 v[35:36], v[33:34], v[43:44]
	v_max_num_f64_e32 v[33:34], v[33:34], v[43:44]
	s_wait_alu 0xf1ff
	s_delay_alu instid0(VALU_DEP_2) | instskip(NEXT) | instid1(VALU_DEP_3)
	v_cndmask_b32_e64 v0, v35, v27, s0
	v_cndmask_b32_e64 v35, v36, v28, s0
	s_delay_alu instid0(VALU_DEP_3) | instskip(NEXT) | instid1(VALU_DEP_4)
	v_cndmask_b32_e64 v34, v34, v28, s0
	v_cndmask_b32_e64 v33, v33, v27, s0
	s_delay_alu instid0(VALU_DEP_3) | instskip(SKIP_1) | instid1(VALU_DEP_4)
	v_cndmask_b32_e64 v36, v35, v22, s22
	v_cndmask_b32_e64 v35, v0, v21, s22
	;; [unrolled: 1-line block ×3, first 2 shown]
	s_delay_alu instid0(VALU_DEP_4) | instskip(SKIP_1) | instid1(VALU_DEP_4)
	v_cndmask_b32_e64 v33, v33, v21, s22
	v_dual_mov_b32 v21, v27 :: v_dual_mov_b32 v22, v28
	v_cmp_class_f64_e64 s1, v[35:36], 0x1f8
	s_delay_alu instid0(VALU_DEP_3)
	v_cmp_neq_f64_e64 s0, v[35:36], v[33:34]
	s_or_b32 s0, s0, s1
	s_wait_alu 0xfffe
	s_and_saveexec_b32 s22, s0
	s_cbranch_execz .LBB80_118
; %bb.117:
	v_add_f64_e64 v[21:22], v[35:36], -v[33:34]
	s_mov_b32 s0, 0x652b82fe
	s_mov_b32 s1, 0x3ff71547
	;; [unrolled: 1-line block ×10, first 2 shown]
	s_wait_alu 0xfffe
	s_delay_alu instid0(VALU_DEP_1) | instskip(SKIP_2) | instid1(VALU_DEP_1)
	v_mul_f64_e32 v[35:36], s[0:1], v[21:22]
	s_mov_b32 s0, 0xfca7ab0c
	s_mov_b32 s1, 0x3e928af3
	v_rndne_f64_e32 v[35:36], v[35:36]
	s_delay_alu instid0(VALU_DEP_1) | instskip(SKIP_2) | instid1(VALU_DEP_2)
	v_fma_f64 v[37:38], v[35:36], s[18:19], v[21:22]
	v_cvt_i32_f64_e32 v0, v[35:36]
	s_mov_b32 s19, 0x3fe62e42
	v_fma_f64 v[37:38], v[35:36], s[20:21], v[37:38]
	s_mov_b32 s21, 0x3c7abc9e
	s_wait_alu 0xfffe
	s_delay_alu instid0(VALU_DEP_1)
	v_fma_f64 v[39:40], v[37:38], s[34:35], s[0:1]
	s_mov_b32 s0, 0x623fde64
	s_mov_b32 s1, 0x3ec71dee
	;; [unrolled: 1-line block ×4, first 2 shown]
	s_wait_alu 0xfffe
	s_delay_alu instid0(VALU_DEP_1) | instskip(SKIP_3) | instid1(VALU_DEP_1)
	v_fma_f64 v[39:40], v[37:38], v[39:40], s[0:1]
	s_mov_b32 s0, 0x7c89e6b0
	s_mov_b32 s1, 0x3efa0199
	s_wait_alu 0xfffe
	v_fma_f64 v[39:40], v[37:38], v[39:40], s[0:1]
	s_mov_b32 s0, 0x14761f6e
	s_mov_b32 s1, 0x3f2a01a0
	s_wait_alu 0xfffe
	s_delay_alu instid0(VALU_DEP_1) | instskip(SKIP_3) | instid1(VALU_DEP_1)
	v_fma_f64 v[39:40], v[37:38], v[39:40], s[0:1]
	s_mov_b32 s0, 0x1852b7b0
	s_mov_b32 s1, 0x3f56c16c
	s_wait_alu 0xfffe
	v_fma_f64 v[39:40], v[37:38], v[39:40], s[0:1]
	s_mov_b32 s0, 0x11122322
	s_mov_b32 s1, 0x3f811111
	;; [unrolled: 9-line block ×3, first 2 shown]
	s_wait_alu 0xfffe
	s_delay_alu instid0(VALU_DEP_1) | instskip(SKIP_3) | instid1(VALU_DEP_1)
	v_fma_f64 v[39:40], v[37:38], v[39:40], s[0:1]
	s_mov_b32 s0, 11
	s_mov_b32 s1, 0x3fe00000
	s_wait_alu 0xfffe
	v_fma_f64 v[39:40], v[37:38], v[39:40], s[0:1]
	v_cmp_nlt_f64_e64 s0, 0x40900000, v[21:22]
	v_cmp_ngt_f64_e64 s1, 0xc090cc00, v[21:22]
	s_delay_alu instid0(VALU_DEP_3) | instskip(NEXT) | instid1(VALU_DEP_1)
	v_fma_f64 v[39:40], v[37:38], v[39:40], 1.0
	v_fma_f64 v[35:36], v[37:38], v[39:40], 1.0
	s_delay_alu instid0(VALU_DEP_1) | instskip(SKIP_1) | instid1(VALU_DEP_1)
	v_ldexp_f64 v[35:36], v[35:36], v0
	s_wait_alu 0xf1ff
	v_cndmask_b32_e64 v0, 0x7ff00000, v36, s0
	s_and_b32 s0, s1, s0
	s_wait_alu 0xfffe
	s_delay_alu instid0(VALU_DEP_2) | instskip(SKIP_3) | instid1(VALU_DEP_1)
	v_cndmask_b32_e64 v21, 0, v35, s0
	s_mov_b32 s0, 0x55555555
	v_cndmask_b32_e64 v22, 0, v0, s1
	s_mov_b32 s1, 0x3fe55555
	v_add_f64_e32 v[35:36], 1.0, v[21:22]
	v_cmp_ngt_f64_e64 s17, -1.0, v[21:22]
	s_delay_alu instid0(VALU_DEP_2) | instskip(SKIP_3) | instid1(VALU_DEP_3)
	v_frexp_mant_f64_e32 v[37:38], v[35:36]
	v_frexp_exp_i32_f64_e32 v0, v[35:36]
	v_add_f64_e32 v[39:40], -1.0, v[35:36]
	s_wait_alu 0xfffe
	v_cmp_gt_f64_e64 s0, s[0:1], v[37:38]
	s_delay_alu instid0(VALU_DEP_2) | instskip(SKIP_2) | instid1(VALU_DEP_3)
	v_add_f64_e64 v[37:38], v[39:40], -v[35:36]
	v_add_f64_e64 v[39:40], v[21:22], -v[39:40]
	s_wait_alu 0xf1ff
	v_subrev_co_ci_u32_e64 v0, null, 0, v0, s0
	s_delay_alu instid0(VALU_DEP_3) | instskip(SKIP_1) | instid1(VALU_DEP_2)
	v_add_f64_e32 v[37:38], 1.0, v[37:38]
	s_mov_b32 s0, 0x55555780
	v_sub_nc_u32_e32 v43, 0, v0
	s_delay_alu instid0(VALU_DEP_1) | instskip(NEXT) | instid1(VALU_DEP_3)
	v_ldexp_f64 v[35:36], v[35:36], v43
	v_add_f64_e32 v[37:38], v[39:40], v[37:38]
	s_delay_alu instid0(VALU_DEP_2) | instskip(SKIP_1) | instid1(VALU_DEP_3)
	v_add_f64_e32 v[41:42], 1.0, v[35:36]
	v_add_f64_e32 v[65:66], -1.0, v[35:36]
	v_ldexp_f64 v[37:38], v[37:38], v43
	s_delay_alu instid0(VALU_DEP_3) | instskip(NEXT) | instid1(VALU_DEP_3)
	v_add_f64_e32 v[39:40], -1.0, v[41:42]
	v_add_f64_e32 v[67:68], 1.0, v[65:66]
	s_delay_alu instid0(VALU_DEP_2) | instskip(NEXT) | instid1(VALU_DEP_2)
	v_add_f64_e64 v[39:40], v[35:36], -v[39:40]
	v_add_f64_e64 v[35:36], v[35:36], -v[67:68]
	s_delay_alu instid0(VALU_DEP_2) | instskip(NEXT) | instid1(VALU_DEP_2)
	v_add_f64_e32 v[39:40], v[37:38], v[39:40]
	v_add_f64_e32 v[35:36], v[37:38], v[35:36]
	s_delay_alu instid0(VALU_DEP_2) | instskip(NEXT) | instid1(VALU_DEP_2)
	v_add_f64_e32 v[43:44], v[41:42], v[39:40]
	v_add_f64_e32 v[67:68], v[65:66], v[35:36]
	s_delay_alu instid0(VALU_DEP_2) | instskip(SKIP_1) | instid1(VALU_DEP_2)
	v_rcp_f64_e32 v[63:64], v[43:44]
	v_add_f64_e64 v[41:42], v[43:44], -v[41:42]
	v_add_f64_e64 v[65:66], v[67:68], -v[65:66]
	s_delay_alu instid0(VALU_DEP_2) | instskip(SKIP_1) | instid1(TRANS32_DEP_1)
	v_add_f64_e64 v[39:40], v[39:40], -v[41:42]
	s_wait_dscnt 0x0
	v_fma_f64 v[69:70], -v[43:44], v[63:64], 1.0
	s_delay_alu instid0(VALU_DEP_3) | instskip(NEXT) | instid1(VALU_DEP_2)
	v_add_f64_e64 v[35:36], v[35:36], -v[65:66]
	v_fma_f64 v[63:64], v[69:70], v[63:64], v[63:64]
	s_delay_alu instid0(VALU_DEP_1) | instskip(NEXT) | instid1(VALU_DEP_1)
	v_fma_f64 v[37:38], -v[43:44], v[63:64], 1.0
	v_fma_f64 v[37:38], v[37:38], v[63:64], v[63:64]
	s_delay_alu instid0(VALU_DEP_1) | instskip(NEXT) | instid1(VALU_DEP_1)
	v_mul_f64_e32 v[63:64], v[67:68], v[37:38]
	v_mul_f64_e32 v[69:70], v[43:44], v[63:64]
	s_delay_alu instid0(VALU_DEP_1) | instskip(NEXT) | instid1(VALU_DEP_1)
	v_fma_f64 v[41:42], v[63:64], v[43:44], -v[69:70]
	v_fma_f64 v[41:42], v[63:64], v[39:40], v[41:42]
	s_delay_alu instid0(VALU_DEP_1) | instskip(NEXT) | instid1(VALU_DEP_1)
	v_add_f64_e32 v[71:72], v[69:70], v[41:42]
	v_add_f64_e64 v[73:74], v[67:68], -v[71:72]
	v_add_f64_e64 v[65:66], v[71:72], -v[69:70]
	s_delay_alu instid0(VALU_DEP_2) | instskip(NEXT) | instid1(VALU_DEP_2)
	v_add_f64_e64 v[67:68], v[67:68], -v[73:74]
	v_add_f64_e64 v[41:42], v[65:66], -v[41:42]
	s_delay_alu instid0(VALU_DEP_2) | instskip(NEXT) | instid1(VALU_DEP_1)
	v_add_f64_e64 v[67:68], v[67:68], -v[71:72]
	v_add_f64_e32 v[35:36], v[35:36], v[67:68]
	s_delay_alu instid0(VALU_DEP_1) | instskip(NEXT) | instid1(VALU_DEP_1)
	v_add_f64_e32 v[35:36], v[41:42], v[35:36]
	v_add_f64_e32 v[41:42], v[73:74], v[35:36]
	s_delay_alu instid0(VALU_DEP_1) | instskip(SKIP_1) | instid1(VALU_DEP_2)
	v_mul_f64_e32 v[65:66], v[37:38], v[41:42]
	v_add_f64_e64 v[71:72], v[73:74], -v[41:42]
	v_mul_f64_e32 v[67:68], v[43:44], v[65:66]
	s_delay_alu instid0(VALU_DEP_2) | instskip(NEXT) | instid1(VALU_DEP_2)
	v_add_f64_e32 v[35:36], v[35:36], v[71:72]
	v_fma_f64 v[43:44], v[65:66], v[43:44], -v[67:68]
	s_delay_alu instid0(VALU_DEP_1) | instskip(NEXT) | instid1(VALU_DEP_1)
	v_fma_f64 v[39:40], v[65:66], v[39:40], v[43:44]
	v_add_f64_e32 v[43:44], v[67:68], v[39:40]
	s_delay_alu instid0(VALU_DEP_1) | instskip(SKIP_1) | instid1(VALU_DEP_2)
	v_add_f64_e64 v[69:70], v[41:42], -v[43:44]
	v_add_f64_e64 v[67:68], v[43:44], -v[67:68]
	;; [unrolled: 1-line block ×3, first 2 shown]
	s_delay_alu instid0(VALU_DEP_2) | instskip(NEXT) | instid1(VALU_DEP_2)
	v_add_f64_e64 v[39:40], v[67:68], -v[39:40]
	v_add_f64_e64 v[41:42], v[41:42], -v[43:44]
	s_delay_alu instid0(VALU_DEP_1) | instskip(SKIP_1) | instid1(VALU_DEP_2)
	v_add_f64_e32 v[35:36], v[35:36], v[41:42]
	v_add_f64_e32 v[41:42], v[63:64], v[65:66]
	;; [unrolled: 1-line block ×3, first 2 shown]
	s_delay_alu instid0(VALU_DEP_2) | instskip(NEXT) | instid1(VALU_DEP_2)
	v_add_f64_e64 v[39:40], v[41:42], -v[63:64]
	v_add_f64_e32 v[35:36], v[69:70], v[35:36]
	s_delay_alu instid0(VALU_DEP_2) | instskip(NEXT) | instid1(VALU_DEP_2)
	v_add_f64_e64 v[39:40], v[65:66], -v[39:40]
	v_mul_f64_e32 v[35:36], v[37:38], v[35:36]
	s_delay_alu instid0(VALU_DEP_1) | instskip(NEXT) | instid1(VALU_DEP_1)
	v_add_f64_e32 v[35:36], v[39:40], v[35:36]
	v_add_f64_e32 v[37:38], v[41:42], v[35:36]
	s_delay_alu instid0(VALU_DEP_1) | instskip(NEXT) | instid1(VALU_DEP_1)
	v_mul_f64_e32 v[39:40], v[37:38], v[37:38]
	v_fma_f64 v[43:44], v[39:40], s[38:39], s[34:35]
	s_mov_b32 s34, 0xd7f4df2e
	s_mov_b32 s35, 0x3fc7474d
	v_mul_f64_e32 v[63:64], v[37:38], v[39:40]
	s_wait_alu 0xfffe
	s_delay_alu instid0(VALU_DEP_2) | instskip(SKIP_3) | instid1(VALU_DEP_1)
	v_fma_f64 v[43:44], v[39:40], v[43:44], s[34:35]
	s_mov_b32 s34, 0x16291751
	s_mov_b32 s35, 0x3fcc71c0
	s_wait_alu 0xfffe
	v_fma_f64 v[43:44], v[39:40], v[43:44], s[34:35]
	s_mov_b32 s34, 0x9b27acf1
	s_mov_b32 s35, 0x3fd24924
	s_wait_alu 0xfffe
	s_delay_alu instid0(VALU_DEP_1) | instskip(SKIP_3) | instid1(VALU_DEP_1)
	v_fma_f64 v[43:44], v[39:40], v[43:44], s[34:35]
	s_mov_b32 s34, 0x998ef7b6
	s_mov_b32 s35, 0x3fd99999
	s_wait_alu 0xfffe
	v_fma_f64 v[43:44], v[39:40], v[43:44], s[34:35]
	s_delay_alu instid0(VALU_DEP_1)
	v_fma_f64 v[39:40], v[39:40], v[43:44], s[0:1]
	v_ldexp_f64 v[43:44], v[37:38], 1
	v_add_f64_e64 v[37:38], v[37:38], -v[41:42]
	v_cmp_nge_f64_e64 s0, -1.0, v[21:22]
	v_cmp_neq_f64_e64 s1, 0x7ff00000, v[21:22]
	v_mul_f64_e32 v[39:40], v[63:64], v[39:40]
	v_cvt_f64_i32_e32 v[63:64], v0
	v_add_f64_e64 v[35:36], v[35:36], -v[37:38]
	s_and_b32 s0, s0, s1
	s_delay_alu instid0(VALU_DEP_3) | instskip(NEXT) | instid1(VALU_DEP_3)
	v_add_f64_e32 v[41:42], v[43:44], v[39:40]
	v_mul_f64_e32 v[65:66], s[18:19], v[63:64]
	s_delay_alu instid0(VALU_DEP_3) | instskip(NEXT) | instid1(VALU_DEP_3)
	v_ldexp_f64 v[35:36], v[35:36], 1
	v_add_f64_e64 v[37:38], v[41:42], -v[43:44]
	s_delay_alu instid0(VALU_DEP_3) | instskip(NEXT) | instid1(VALU_DEP_2)
	v_fma_f64 v[43:44], v[63:64], s[18:19], -v[65:66]
	v_add_f64_e64 v[37:38], v[39:40], -v[37:38]
	s_delay_alu instid0(VALU_DEP_2) | instskip(NEXT) | instid1(VALU_DEP_2)
	v_fma_f64 v[39:40], v[63:64], s[20:21], v[43:44]
	v_add_f64_e32 v[35:36], v[35:36], v[37:38]
	s_delay_alu instid0(VALU_DEP_2) | instskip(NEXT) | instid1(VALU_DEP_2)
	v_add_f64_e32 v[37:38], v[65:66], v[39:40]
	v_add_f64_e32 v[43:44], v[41:42], v[35:36]
	s_delay_alu instid0(VALU_DEP_2) | instskip(NEXT) | instid1(VALU_DEP_2)
	v_add_f64_e64 v[65:66], v[37:38], -v[65:66]
	v_add_f64_e32 v[63:64], v[37:38], v[43:44]
	v_add_f64_e64 v[41:42], v[43:44], -v[41:42]
	s_delay_alu instid0(VALU_DEP_3) | instskip(NEXT) | instid1(VALU_DEP_3)
	v_add_f64_e64 v[39:40], v[39:40], -v[65:66]
	v_add_f64_e64 v[67:68], v[63:64], -v[37:38]
	s_delay_alu instid0(VALU_DEP_3) | instskip(NEXT) | instid1(VALU_DEP_2)
	v_add_f64_e64 v[35:36], v[35:36], -v[41:42]
	v_add_f64_e64 v[69:70], v[63:64], -v[67:68]
	;; [unrolled: 1-line block ×3, first 2 shown]
	s_delay_alu instid0(VALU_DEP_3) | instskip(NEXT) | instid1(VALU_DEP_3)
	v_add_f64_e32 v[43:44], v[39:40], v[35:36]
	v_add_f64_e64 v[37:38], v[37:38], -v[69:70]
	s_delay_alu instid0(VALU_DEP_1) | instskip(NEXT) | instid1(VALU_DEP_3)
	v_add_f64_e32 v[37:38], v[41:42], v[37:38]
	v_add_f64_e64 v[41:42], v[43:44], -v[39:40]
	s_delay_alu instid0(VALU_DEP_2) | instskip(NEXT) | instid1(VALU_DEP_2)
	v_add_f64_e32 v[37:38], v[43:44], v[37:38]
	v_add_f64_e64 v[43:44], v[43:44], -v[41:42]
	v_add_f64_e64 v[35:36], v[35:36], -v[41:42]
	s_delay_alu instid0(VALU_DEP_3) | instskip(NEXT) | instid1(VALU_DEP_3)
	v_add_f64_e32 v[65:66], v[63:64], v[37:38]
	v_add_f64_e64 v[39:40], v[39:40], -v[43:44]
	s_delay_alu instid0(VALU_DEP_2) | instskip(NEXT) | instid1(VALU_DEP_2)
	v_add_f64_e64 v[41:42], v[65:66], -v[63:64]
	v_add_f64_e32 v[35:36], v[35:36], v[39:40]
	s_delay_alu instid0(VALU_DEP_2) | instskip(NEXT) | instid1(VALU_DEP_1)
	v_add_f64_e64 v[37:38], v[37:38], -v[41:42]
	v_add_f64_e32 v[35:36], v[35:36], v[37:38]
	s_delay_alu instid0(VALU_DEP_1) | instskip(SKIP_1) | instid1(VALU_DEP_1)
	v_add_f64_e32 v[35:36], v[65:66], v[35:36]
	s_wait_alu 0xfffe
	v_cndmask_b32_e64 v35, 0, v35, s0
	v_cmp_neq_f64_e64 s0, -1.0, v[21:22]
	s_delay_alu instid0(VALU_DEP_3) | instskip(NEXT) | instid1(VALU_DEP_1)
	v_cndmask_b32_e64 v0, 0x7ff00000, v36, s1
	v_cndmask_b32_e64 v0, 0x7ff80000, v0, s17
	s_wait_alu 0xf1ff
	s_delay_alu instid0(VALU_DEP_1) | instskip(NEXT) | instid1(VALU_DEP_1)
	v_cndmask_b32_e64 v36, 0xfff00000, v0, s0
	v_add_f64_e32 v[21:22], v[33:34], v[35:36]
.LBB80_118:
	s_wait_alu 0xfffe
	s_or_b32 exec_lo, exec_lo, s22
	s_delay_alu instid0(VALU_DEP_1) | instskip(SKIP_1) | instid1(VALU_DEP_2)
	v_max_num_f64_e32 v[33:34], v[21:22], v[21:22]
	v_cmp_u_f64_e64 s0, v[21:22], v[21:22]
	v_min_num_f64_e32 v[35:36], v[33:34], v[45:46]
	v_max_num_f64_e32 v[33:34], v[33:34], v[45:46]
	s_wait_alu 0xf1ff
	s_delay_alu instid0(VALU_DEP_2) | instskip(NEXT) | instid1(VALU_DEP_3)
	v_cndmask_b32_e64 v0, v35, v21, s0
	v_cndmask_b32_e64 v35, v36, v22, s0
	s_delay_alu instid0(VALU_DEP_3) | instskip(NEXT) | instid1(VALU_DEP_4)
	v_cndmask_b32_e64 v34, v34, v22, s0
	v_cndmask_b32_e64 v33, v33, v21, s0
	s_delay_alu instid0(VALU_DEP_3) | instskip(SKIP_1) | instid1(VALU_DEP_4)
	v_cndmask_b32_e64 v36, v35, v24, s23
	v_cndmask_b32_e64 v35, v0, v23, s23
	v_cndmask_b32_e64 v34, v34, v24, s23
	s_delay_alu instid0(VALU_DEP_4) | instskip(SKIP_1) | instid1(VALU_DEP_4)
	v_cndmask_b32_e64 v33, v33, v23, s23
	v_dual_mov_b32 v24, v22 :: v_dual_mov_b32 v23, v21
	v_cmp_class_f64_e64 s1, v[35:36], 0x1f8
	s_delay_alu instid0(VALU_DEP_3)
	v_cmp_neq_f64_e64 s0, v[35:36], v[33:34]
	s_or_b32 s0, s0, s1
	s_wait_alu 0xfffe
	s_and_saveexec_b32 s22, s0
	s_cbranch_execz .LBB80_120
; %bb.119:
	v_add_f64_e64 v[23:24], v[35:36], -v[33:34]
	s_mov_b32 s0, 0x652b82fe
	s_mov_b32 s1, 0x3ff71547
	;; [unrolled: 1-line block ×10, first 2 shown]
	s_wait_alu 0xfffe
	s_delay_alu instid0(VALU_DEP_1) | instskip(SKIP_2) | instid1(VALU_DEP_1)
	v_mul_f64_e32 v[35:36], s[0:1], v[23:24]
	s_mov_b32 s0, 0xfca7ab0c
	s_mov_b32 s1, 0x3e928af3
	v_rndne_f64_e32 v[35:36], v[35:36]
	s_delay_alu instid0(VALU_DEP_1) | instskip(SKIP_2) | instid1(VALU_DEP_2)
	v_fma_f64 v[37:38], v[35:36], s[18:19], v[23:24]
	v_cvt_i32_f64_e32 v0, v[35:36]
	s_mov_b32 s19, 0x3fe62e42
	v_fma_f64 v[37:38], v[35:36], s[20:21], v[37:38]
	s_mov_b32 s21, 0x3c7abc9e
	s_wait_alu 0xfffe
	s_delay_alu instid0(VALU_DEP_1)
	v_fma_f64 v[39:40], v[37:38], s[34:35], s[0:1]
	s_mov_b32 s0, 0x623fde64
	s_mov_b32 s1, 0x3ec71dee
	;; [unrolled: 1-line block ×4, first 2 shown]
	s_wait_alu 0xfffe
	s_delay_alu instid0(VALU_DEP_1) | instskip(SKIP_3) | instid1(VALU_DEP_1)
	v_fma_f64 v[39:40], v[37:38], v[39:40], s[0:1]
	s_mov_b32 s0, 0x7c89e6b0
	s_mov_b32 s1, 0x3efa0199
	s_wait_alu 0xfffe
	v_fma_f64 v[39:40], v[37:38], v[39:40], s[0:1]
	s_mov_b32 s0, 0x14761f6e
	s_mov_b32 s1, 0x3f2a01a0
	s_wait_alu 0xfffe
	s_delay_alu instid0(VALU_DEP_1) | instskip(SKIP_3) | instid1(VALU_DEP_1)
	v_fma_f64 v[39:40], v[37:38], v[39:40], s[0:1]
	s_mov_b32 s0, 0x1852b7b0
	s_mov_b32 s1, 0x3f56c16c
	s_wait_alu 0xfffe
	v_fma_f64 v[39:40], v[37:38], v[39:40], s[0:1]
	s_mov_b32 s0, 0x11122322
	s_mov_b32 s1, 0x3f811111
	;; [unrolled: 9-line block ×3, first 2 shown]
	s_wait_alu 0xfffe
	s_delay_alu instid0(VALU_DEP_1) | instskip(SKIP_3) | instid1(VALU_DEP_1)
	v_fma_f64 v[39:40], v[37:38], v[39:40], s[0:1]
	s_mov_b32 s0, 11
	s_mov_b32 s1, 0x3fe00000
	s_wait_alu 0xfffe
	v_fma_f64 v[39:40], v[37:38], v[39:40], s[0:1]
	v_cmp_nlt_f64_e64 s0, 0x40900000, v[23:24]
	v_cmp_ngt_f64_e64 s1, 0xc090cc00, v[23:24]
	s_delay_alu instid0(VALU_DEP_3) | instskip(NEXT) | instid1(VALU_DEP_1)
	v_fma_f64 v[39:40], v[37:38], v[39:40], 1.0
	v_fma_f64 v[35:36], v[37:38], v[39:40], 1.0
	s_delay_alu instid0(VALU_DEP_1) | instskip(SKIP_1) | instid1(VALU_DEP_1)
	v_ldexp_f64 v[35:36], v[35:36], v0
	s_wait_alu 0xf1ff
	v_cndmask_b32_e64 v0, 0x7ff00000, v36, s0
	s_and_b32 s0, s1, s0
	s_wait_alu 0xfffe
	s_delay_alu instid0(VALU_DEP_2) | instskip(SKIP_3) | instid1(VALU_DEP_1)
	v_cndmask_b32_e64 v23, 0, v35, s0
	s_mov_b32 s0, 0x55555555
	v_cndmask_b32_e64 v24, 0, v0, s1
	s_mov_b32 s1, 0x3fe55555
	v_add_f64_e32 v[35:36], 1.0, v[23:24]
	v_cmp_ngt_f64_e64 s17, -1.0, v[23:24]
	s_delay_alu instid0(VALU_DEP_2) | instskip(SKIP_3) | instid1(VALU_DEP_3)
	v_frexp_mant_f64_e32 v[37:38], v[35:36]
	v_frexp_exp_i32_f64_e32 v0, v[35:36]
	v_add_f64_e32 v[39:40], -1.0, v[35:36]
	s_wait_alu 0xfffe
	v_cmp_gt_f64_e64 s0, s[0:1], v[37:38]
	s_delay_alu instid0(VALU_DEP_2) | instskip(SKIP_2) | instid1(VALU_DEP_3)
	v_add_f64_e64 v[37:38], v[39:40], -v[35:36]
	v_add_f64_e64 v[39:40], v[23:24], -v[39:40]
	s_wait_alu 0xf1ff
	v_subrev_co_ci_u32_e64 v0, null, 0, v0, s0
	s_delay_alu instid0(VALU_DEP_3) | instskip(SKIP_1) | instid1(VALU_DEP_2)
	v_add_f64_e32 v[37:38], 1.0, v[37:38]
	s_mov_b32 s0, 0x55555780
	v_sub_nc_u32_e32 v43, 0, v0
	s_delay_alu instid0(VALU_DEP_1) | instskip(NEXT) | instid1(VALU_DEP_3)
	v_ldexp_f64 v[35:36], v[35:36], v43
	v_add_f64_e32 v[37:38], v[39:40], v[37:38]
	s_delay_alu instid0(VALU_DEP_2) | instskip(SKIP_1) | instid1(VALU_DEP_3)
	v_add_f64_e32 v[41:42], 1.0, v[35:36]
	v_add_f64_e32 v[63:64], -1.0, v[35:36]
	v_ldexp_f64 v[37:38], v[37:38], v43
	s_delay_alu instid0(VALU_DEP_3) | instskip(NEXT) | instid1(VALU_DEP_3)
	v_add_f64_e32 v[39:40], -1.0, v[41:42]
	v_add_f64_e32 v[65:66], 1.0, v[63:64]
	s_delay_alu instid0(VALU_DEP_2) | instskip(NEXT) | instid1(VALU_DEP_2)
	v_add_f64_e64 v[39:40], v[35:36], -v[39:40]
	v_add_f64_e64 v[35:36], v[35:36], -v[65:66]
	s_delay_alu instid0(VALU_DEP_2) | instskip(NEXT) | instid1(VALU_DEP_2)
	v_add_f64_e32 v[39:40], v[37:38], v[39:40]
	v_add_f64_e32 v[35:36], v[37:38], v[35:36]
	s_delay_alu instid0(VALU_DEP_2) | instskip(NEXT) | instid1(VALU_DEP_2)
	v_add_f64_e32 v[43:44], v[41:42], v[39:40]
	v_add_f64_e32 v[65:66], v[63:64], v[35:36]
	s_delay_alu instid0(VALU_DEP_2) | instskip(SKIP_1) | instid1(VALU_DEP_2)
	v_rcp_f64_e32 v[45:46], v[43:44]
	v_add_f64_e64 v[41:42], v[43:44], -v[41:42]
	v_add_f64_e64 v[63:64], v[65:66], -v[63:64]
	s_delay_alu instid0(VALU_DEP_2) | instskip(NEXT) | instid1(TRANS32_DEP_1)
	v_add_f64_e64 v[39:40], v[39:40], -v[41:42]
	v_fma_f64 v[67:68], -v[43:44], v[45:46], 1.0
	s_delay_alu instid0(VALU_DEP_3) | instskip(NEXT) | instid1(VALU_DEP_2)
	v_add_f64_e64 v[35:36], v[35:36], -v[63:64]
	v_fma_f64 v[45:46], v[67:68], v[45:46], v[45:46]
	s_delay_alu instid0(VALU_DEP_1) | instskip(NEXT) | instid1(VALU_DEP_1)
	v_fma_f64 v[37:38], -v[43:44], v[45:46], 1.0
	v_fma_f64 v[37:38], v[37:38], v[45:46], v[45:46]
	s_delay_alu instid0(VALU_DEP_1) | instskip(NEXT) | instid1(VALU_DEP_1)
	v_mul_f64_e32 v[45:46], v[65:66], v[37:38]
	v_mul_f64_e32 v[67:68], v[43:44], v[45:46]
	s_delay_alu instid0(VALU_DEP_1) | instskip(NEXT) | instid1(VALU_DEP_1)
	v_fma_f64 v[41:42], v[45:46], v[43:44], -v[67:68]
	v_fma_f64 v[41:42], v[45:46], v[39:40], v[41:42]
	s_wait_dscnt 0x0
	s_delay_alu instid0(VALU_DEP_1) | instskip(NEXT) | instid1(VALU_DEP_1)
	v_add_f64_e32 v[69:70], v[67:68], v[41:42]
	v_add_f64_e64 v[71:72], v[65:66], -v[69:70]
	v_add_f64_e64 v[63:64], v[69:70], -v[67:68]
	s_delay_alu instid0(VALU_DEP_2) | instskip(NEXT) | instid1(VALU_DEP_2)
	v_add_f64_e64 v[65:66], v[65:66], -v[71:72]
	v_add_f64_e64 v[41:42], v[63:64], -v[41:42]
	s_delay_alu instid0(VALU_DEP_2) | instskip(NEXT) | instid1(VALU_DEP_1)
	v_add_f64_e64 v[65:66], v[65:66], -v[69:70]
	v_add_f64_e32 v[35:36], v[35:36], v[65:66]
	s_delay_alu instid0(VALU_DEP_1) | instskip(NEXT) | instid1(VALU_DEP_1)
	v_add_f64_e32 v[35:36], v[41:42], v[35:36]
	v_add_f64_e32 v[41:42], v[71:72], v[35:36]
	s_delay_alu instid0(VALU_DEP_1) | instskip(SKIP_1) | instid1(VALU_DEP_2)
	v_mul_f64_e32 v[63:64], v[37:38], v[41:42]
	v_add_f64_e64 v[69:70], v[71:72], -v[41:42]
	v_mul_f64_e32 v[65:66], v[43:44], v[63:64]
	s_delay_alu instid0(VALU_DEP_2) | instskip(NEXT) | instid1(VALU_DEP_2)
	v_add_f64_e32 v[35:36], v[35:36], v[69:70]
	v_fma_f64 v[43:44], v[63:64], v[43:44], -v[65:66]
	s_delay_alu instid0(VALU_DEP_1) | instskip(NEXT) | instid1(VALU_DEP_1)
	v_fma_f64 v[39:40], v[63:64], v[39:40], v[43:44]
	v_add_f64_e32 v[43:44], v[65:66], v[39:40]
	s_delay_alu instid0(VALU_DEP_1) | instskip(SKIP_1) | instid1(VALU_DEP_2)
	v_add_f64_e64 v[67:68], v[41:42], -v[43:44]
	v_add_f64_e64 v[65:66], v[43:44], -v[65:66]
	;; [unrolled: 1-line block ×3, first 2 shown]
	s_delay_alu instid0(VALU_DEP_2) | instskip(NEXT) | instid1(VALU_DEP_2)
	v_add_f64_e64 v[39:40], v[65:66], -v[39:40]
	v_add_f64_e64 v[41:42], v[41:42], -v[43:44]
	s_delay_alu instid0(VALU_DEP_1) | instskip(SKIP_1) | instid1(VALU_DEP_2)
	v_add_f64_e32 v[35:36], v[35:36], v[41:42]
	v_add_f64_e32 v[41:42], v[45:46], v[63:64]
	v_add_f64_e32 v[35:36], v[39:40], v[35:36]
	s_delay_alu instid0(VALU_DEP_2) | instskip(NEXT) | instid1(VALU_DEP_2)
	v_add_f64_e64 v[39:40], v[41:42], -v[45:46]
	v_add_f64_e32 v[35:36], v[67:68], v[35:36]
	s_delay_alu instid0(VALU_DEP_2) | instskip(NEXT) | instid1(VALU_DEP_2)
	v_add_f64_e64 v[39:40], v[63:64], -v[39:40]
	v_mul_f64_e32 v[35:36], v[37:38], v[35:36]
	s_delay_alu instid0(VALU_DEP_1) | instskip(NEXT) | instid1(VALU_DEP_1)
	v_add_f64_e32 v[35:36], v[39:40], v[35:36]
	v_add_f64_e32 v[37:38], v[41:42], v[35:36]
	s_delay_alu instid0(VALU_DEP_1) | instskip(NEXT) | instid1(VALU_DEP_1)
	v_mul_f64_e32 v[39:40], v[37:38], v[37:38]
	v_fma_f64 v[43:44], v[39:40], s[38:39], s[34:35]
	s_mov_b32 s34, 0xd7f4df2e
	s_mov_b32 s35, 0x3fc7474d
	v_mul_f64_e32 v[45:46], v[37:38], v[39:40]
	s_wait_alu 0xfffe
	s_delay_alu instid0(VALU_DEP_2) | instskip(SKIP_3) | instid1(VALU_DEP_1)
	v_fma_f64 v[43:44], v[39:40], v[43:44], s[34:35]
	s_mov_b32 s34, 0x16291751
	s_mov_b32 s35, 0x3fcc71c0
	s_wait_alu 0xfffe
	v_fma_f64 v[43:44], v[39:40], v[43:44], s[34:35]
	s_mov_b32 s34, 0x9b27acf1
	s_mov_b32 s35, 0x3fd24924
	s_wait_alu 0xfffe
	s_delay_alu instid0(VALU_DEP_1) | instskip(SKIP_3) | instid1(VALU_DEP_1)
	v_fma_f64 v[43:44], v[39:40], v[43:44], s[34:35]
	s_mov_b32 s34, 0x998ef7b6
	s_mov_b32 s35, 0x3fd99999
	s_wait_alu 0xfffe
	v_fma_f64 v[43:44], v[39:40], v[43:44], s[34:35]
	s_delay_alu instid0(VALU_DEP_1)
	v_fma_f64 v[39:40], v[39:40], v[43:44], s[0:1]
	v_ldexp_f64 v[43:44], v[37:38], 1
	v_add_f64_e64 v[37:38], v[37:38], -v[41:42]
	v_cmp_nge_f64_e64 s0, -1.0, v[23:24]
	v_cmp_neq_f64_e64 s1, 0x7ff00000, v[23:24]
	v_mul_f64_e32 v[39:40], v[45:46], v[39:40]
	v_cvt_f64_i32_e32 v[45:46], v0
	v_add_f64_e64 v[35:36], v[35:36], -v[37:38]
	s_and_b32 s0, s0, s1
	s_delay_alu instid0(VALU_DEP_3) | instskip(NEXT) | instid1(VALU_DEP_3)
	v_add_f64_e32 v[41:42], v[43:44], v[39:40]
	v_mul_f64_e32 v[63:64], s[18:19], v[45:46]
	s_delay_alu instid0(VALU_DEP_3) | instskip(NEXT) | instid1(VALU_DEP_3)
	v_ldexp_f64 v[35:36], v[35:36], 1
	v_add_f64_e64 v[37:38], v[41:42], -v[43:44]
	s_delay_alu instid0(VALU_DEP_3) | instskip(NEXT) | instid1(VALU_DEP_2)
	v_fma_f64 v[43:44], v[45:46], s[18:19], -v[63:64]
	v_add_f64_e64 v[37:38], v[39:40], -v[37:38]
	s_delay_alu instid0(VALU_DEP_2) | instskip(NEXT) | instid1(VALU_DEP_2)
	v_fma_f64 v[39:40], v[45:46], s[20:21], v[43:44]
	v_add_f64_e32 v[35:36], v[35:36], v[37:38]
	s_delay_alu instid0(VALU_DEP_2) | instskip(NEXT) | instid1(VALU_DEP_2)
	v_add_f64_e32 v[37:38], v[63:64], v[39:40]
	v_add_f64_e32 v[43:44], v[41:42], v[35:36]
	s_delay_alu instid0(VALU_DEP_2) | instskip(NEXT) | instid1(VALU_DEP_2)
	v_add_f64_e64 v[63:64], v[37:38], -v[63:64]
	v_add_f64_e32 v[45:46], v[37:38], v[43:44]
	v_add_f64_e64 v[41:42], v[43:44], -v[41:42]
	s_delay_alu instid0(VALU_DEP_3) | instskip(NEXT) | instid1(VALU_DEP_3)
	v_add_f64_e64 v[39:40], v[39:40], -v[63:64]
	v_add_f64_e64 v[65:66], v[45:46], -v[37:38]
	s_delay_alu instid0(VALU_DEP_3) | instskip(NEXT) | instid1(VALU_DEP_2)
	v_add_f64_e64 v[35:36], v[35:36], -v[41:42]
	v_add_f64_e64 v[67:68], v[45:46], -v[65:66]
	;; [unrolled: 1-line block ×3, first 2 shown]
	s_delay_alu instid0(VALU_DEP_3) | instskip(NEXT) | instid1(VALU_DEP_3)
	v_add_f64_e32 v[43:44], v[39:40], v[35:36]
	v_add_f64_e64 v[37:38], v[37:38], -v[67:68]
	s_delay_alu instid0(VALU_DEP_1) | instskip(NEXT) | instid1(VALU_DEP_3)
	v_add_f64_e32 v[37:38], v[41:42], v[37:38]
	v_add_f64_e64 v[41:42], v[43:44], -v[39:40]
	s_delay_alu instid0(VALU_DEP_2) | instskip(NEXT) | instid1(VALU_DEP_2)
	v_add_f64_e32 v[37:38], v[43:44], v[37:38]
	v_add_f64_e64 v[43:44], v[43:44], -v[41:42]
	v_add_f64_e64 v[35:36], v[35:36], -v[41:42]
	s_delay_alu instid0(VALU_DEP_3) | instskip(NEXT) | instid1(VALU_DEP_3)
	v_add_f64_e32 v[63:64], v[45:46], v[37:38]
	v_add_f64_e64 v[39:40], v[39:40], -v[43:44]
	s_delay_alu instid0(VALU_DEP_2) | instskip(NEXT) | instid1(VALU_DEP_2)
	v_add_f64_e64 v[41:42], v[63:64], -v[45:46]
	v_add_f64_e32 v[35:36], v[35:36], v[39:40]
	s_delay_alu instid0(VALU_DEP_2) | instskip(NEXT) | instid1(VALU_DEP_1)
	v_add_f64_e64 v[37:38], v[37:38], -v[41:42]
	v_add_f64_e32 v[35:36], v[35:36], v[37:38]
	s_delay_alu instid0(VALU_DEP_1) | instskip(SKIP_1) | instid1(VALU_DEP_1)
	v_add_f64_e32 v[35:36], v[63:64], v[35:36]
	s_wait_alu 0xfffe
	v_cndmask_b32_e64 v35, 0, v35, s0
	v_cmp_neq_f64_e64 s0, -1.0, v[23:24]
	s_delay_alu instid0(VALU_DEP_3) | instskip(NEXT) | instid1(VALU_DEP_1)
	v_cndmask_b32_e64 v0, 0x7ff00000, v36, s1
	v_cndmask_b32_e64 v0, 0x7ff80000, v0, s17
	s_wait_alu 0xf1ff
	s_delay_alu instid0(VALU_DEP_1) | instskip(NEXT) | instid1(VALU_DEP_1)
	v_cndmask_b32_e64 v36, 0xfff00000, v0, s0
	v_add_f64_e32 v[23:24], v[33:34], v[35:36]
.LBB80_120:
	s_wait_alu 0xfffe
	s_or_b32 exec_lo, exec_lo, s22
	s_delay_alu instid0(VALU_DEP_1) | instskip(SKIP_1) | instid1(VALU_DEP_2)
	v_max_num_f64_e32 v[33:34], v[23:24], v[23:24]
	v_cmp_u_f64_e64 s0, v[23:24], v[23:24]
	v_min_num_f64_e32 v[35:36], v[33:34], v[47:48]
	v_max_num_f64_e32 v[33:34], v[33:34], v[47:48]
	s_wait_alu 0xf1ff
	s_delay_alu instid0(VALU_DEP_2) | instskip(NEXT) | instid1(VALU_DEP_3)
	v_cndmask_b32_e64 v0, v35, v23, s0
	v_cndmask_b32_e64 v35, v36, v24, s0
	s_delay_alu instid0(VALU_DEP_3) | instskip(NEXT) | instid1(VALU_DEP_4)
	v_cndmask_b32_e64 v34, v34, v24, s0
	v_cndmask_b32_e64 v33, v33, v23, s0
	s_delay_alu instid0(VALU_DEP_3) | instskip(SKIP_1) | instid1(VALU_DEP_4)
	v_cndmask_b32_e64 v36, v35, v18, s24
	v_cndmask_b32_e64 v35, v0, v17, s24
	;; [unrolled: 1-line block ×3, first 2 shown]
	s_delay_alu instid0(VALU_DEP_4) | instskip(SKIP_1) | instid1(VALU_DEP_4)
	v_cndmask_b32_e64 v33, v33, v17, s24
	v_dual_mov_b32 v17, v23 :: v_dual_mov_b32 v18, v24
	v_cmp_class_f64_e64 s1, v[35:36], 0x1f8
	s_delay_alu instid0(VALU_DEP_3)
	v_cmp_neq_f64_e64 s0, v[35:36], v[33:34]
	s_or_b32 s0, s0, s1
	s_wait_alu 0xfffe
	s_and_saveexec_b32 s22, s0
	s_cbranch_execz .LBB80_122
; %bb.121:
	v_add_f64_e64 v[17:18], v[35:36], -v[33:34]
	s_mov_b32 s0, 0x652b82fe
	s_mov_b32 s1, 0x3ff71547
	;; [unrolled: 1-line block ×10, first 2 shown]
	s_wait_alu 0xfffe
	s_delay_alu instid0(VALU_DEP_1) | instskip(SKIP_2) | instid1(VALU_DEP_1)
	v_mul_f64_e32 v[35:36], s[0:1], v[17:18]
	s_mov_b32 s0, 0xfca7ab0c
	s_mov_b32 s1, 0x3e928af3
	v_rndne_f64_e32 v[35:36], v[35:36]
	s_delay_alu instid0(VALU_DEP_1) | instskip(SKIP_2) | instid1(VALU_DEP_2)
	v_fma_f64 v[37:38], v[35:36], s[18:19], v[17:18]
	v_cvt_i32_f64_e32 v0, v[35:36]
	s_mov_b32 s19, 0x3fe62e42
	v_fma_f64 v[37:38], v[35:36], s[20:21], v[37:38]
	s_mov_b32 s21, 0x3c7abc9e
	s_wait_alu 0xfffe
	s_delay_alu instid0(VALU_DEP_1)
	v_fma_f64 v[39:40], v[37:38], s[34:35], s[0:1]
	s_mov_b32 s0, 0x623fde64
	s_mov_b32 s1, 0x3ec71dee
	;; [unrolled: 1-line block ×4, first 2 shown]
	s_wait_alu 0xfffe
	s_delay_alu instid0(VALU_DEP_1) | instskip(SKIP_3) | instid1(VALU_DEP_1)
	v_fma_f64 v[39:40], v[37:38], v[39:40], s[0:1]
	s_mov_b32 s0, 0x7c89e6b0
	s_mov_b32 s1, 0x3efa0199
	s_wait_alu 0xfffe
	v_fma_f64 v[39:40], v[37:38], v[39:40], s[0:1]
	s_mov_b32 s0, 0x14761f6e
	s_mov_b32 s1, 0x3f2a01a0
	s_wait_alu 0xfffe
	s_delay_alu instid0(VALU_DEP_1) | instskip(SKIP_3) | instid1(VALU_DEP_1)
	v_fma_f64 v[39:40], v[37:38], v[39:40], s[0:1]
	s_mov_b32 s0, 0x1852b7b0
	s_mov_b32 s1, 0x3f56c16c
	s_wait_alu 0xfffe
	v_fma_f64 v[39:40], v[37:38], v[39:40], s[0:1]
	s_mov_b32 s0, 0x11122322
	s_mov_b32 s1, 0x3f811111
	;; [unrolled: 9-line block ×3, first 2 shown]
	s_wait_alu 0xfffe
	s_delay_alu instid0(VALU_DEP_1) | instskip(SKIP_3) | instid1(VALU_DEP_1)
	v_fma_f64 v[39:40], v[37:38], v[39:40], s[0:1]
	s_mov_b32 s0, 11
	s_mov_b32 s1, 0x3fe00000
	s_wait_alu 0xfffe
	v_fma_f64 v[39:40], v[37:38], v[39:40], s[0:1]
	v_cmp_nlt_f64_e64 s0, 0x40900000, v[17:18]
	v_cmp_ngt_f64_e64 s1, 0xc090cc00, v[17:18]
	s_delay_alu instid0(VALU_DEP_3) | instskip(NEXT) | instid1(VALU_DEP_1)
	v_fma_f64 v[39:40], v[37:38], v[39:40], 1.0
	v_fma_f64 v[35:36], v[37:38], v[39:40], 1.0
	s_delay_alu instid0(VALU_DEP_1) | instskip(SKIP_1) | instid1(VALU_DEP_1)
	v_ldexp_f64 v[35:36], v[35:36], v0
	s_wait_alu 0xf1ff
	v_cndmask_b32_e64 v0, 0x7ff00000, v36, s0
	s_and_b32 s0, s1, s0
	s_wait_alu 0xfffe
	s_delay_alu instid0(VALU_DEP_2) | instskip(SKIP_3) | instid1(VALU_DEP_1)
	v_cndmask_b32_e64 v17, 0, v35, s0
	s_mov_b32 s0, 0x55555555
	v_cndmask_b32_e64 v18, 0, v0, s1
	s_mov_b32 s1, 0x3fe55555
	v_add_f64_e32 v[35:36], 1.0, v[17:18]
	v_cmp_ngt_f64_e64 s17, -1.0, v[17:18]
	s_delay_alu instid0(VALU_DEP_2) | instskip(SKIP_3) | instid1(VALU_DEP_3)
	v_frexp_mant_f64_e32 v[37:38], v[35:36]
	v_frexp_exp_i32_f64_e32 v0, v[35:36]
	v_add_f64_e32 v[39:40], -1.0, v[35:36]
	s_wait_alu 0xfffe
	v_cmp_gt_f64_e64 s0, s[0:1], v[37:38]
	s_delay_alu instid0(VALU_DEP_2) | instskip(SKIP_2) | instid1(VALU_DEP_3)
	v_add_f64_e64 v[37:38], v[39:40], -v[35:36]
	v_add_f64_e64 v[39:40], v[17:18], -v[39:40]
	s_wait_alu 0xf1ff
	v_subrev_co_ci_u32_e64 v0, null, 0, v0, s0
	s_delay_alu instid0(VALU_DEP_3) | instskip(SKIP_1) | instid1(VALU_DEP_2)
	v_add_f64_e32 v[37:38], 1.0, v[37:38]
	s_mov_b32 s0, 0x55555780
	v_sub_nc_u32_e32 v43, 0, v0
	s_delay_alu instid0(VALU_DEP_1) | instskip(NEXT) | instid1(VALU_DEP_3)
	v_ldexp_f64 v[35:36], v[35:36], v43
	v_add_f64_e32 v[37:38], v[39:40], v[37:38]
	s_delay_alu instid0(VALU_DEP_2) | instskip(SKIP_1) | instid1(VALU_DEP_3)
	v_add_f64_e32 v[41:42], 1.0, v[35:36]
	v_add_f64_e32 v[47:48], -1.0, v[35:36]
	v_ldexp_f64 v[37:38], v[37:38], v43
	s_delay_alu instid0(VALU_DEP_3) | instskip(NEXT) | instid1(VALU_DEP_3)
	v_add_f64_e32 v[39:40], -1.0, v[41:42]
	v_add_f64_e32 v[63:64], 1.0, v[47:48]
	s_delay_alu instid0(VALU_DEP_2) | instskip(NEXT) | instid1(VALU_DEP_2)
	v_add_f64_e64 v[39:40], v[35:36], -v[39:40]
	v_add_f64_e64 v[35:36], v[35:36], -v[63:64]
	s_delay_alu instid0(VALU_DEP_2) | instskip(NEXT) | instid1(VALU_DEP_2)
	v_add_f64_e32 v[39:40], v[37:38], v[39:40]
	v_add_f64_e32 v[35:36], v[37:38], v[35:36]
	s_delay_alu instid0(VALU_DEP_2) | instskip(NEXT) | instid1(VALU_DEP_2)
	v_add_f64_e32 v[43:44], v[41:42], v[39:40]
	v_add_f64_e32 v[63:64], v[47:48], v[35:36]
	s_delay_alu instid0(VALU_DEP_2) | instskip(SKIP_1) | instid1(VALU_DEP_2)
	v_rcp_f64_e32 v[45:46], v[43:44]
	v_add_f64_e64 v[41:42], v[43:44], -v[41:42]
	v_add_f64_e64 v[47:48], v[63:64], -v[47:48]
	s_delay_alu instid0(VALU_DEP_2) | instskip(NEXT) | instid1(TRANS32_DEP_1)
	v_add_f64_e64 v[39:40], v[39:40], -v[41:42]
	v_fma_f64 v[65:66], -v[43:44], v[45:46], 1.0
	s_delay_alu instid0(VALU_DEP_3) | instskip(NEXT) | instid1(VALU_DEP_2)
	v_add_f64_e64 v[35:36], v[35:36], -v[47:48]
	v_fma_f64 v[45:46], v[65:66], v[45:46], v[45:46]
	s_delay_alu instid0(VALU_DEP_1) | instskip(NEXT) | instid1(VALU_DEP_1)
	v_fma_f64 v[37:38], -v[43:44], v[45:46], 1.0
	v_fma_f64 v[37:38], v[37:38], v[45:46], v[45:46]
	s_delay_alu instid0(VALU_DEP_1) | instskip(NEXT) | instid1(VALU_DEP_1)
	v_mul_f64_e32 v[45:46], v[63:64], v[37:38]
	v_mul_f64_e32 v[65:66], v[43:44], v[45:46]
	s_delay_alu instid0(VALU_DEP_1) | instskip(NEXT) | instid1(VALU_DEP_1)
	v_fma_f64 v[41:42], v[45:46], v[43:44], -v[65:66]
	v_fma_f64 v[41:42], v[45:46], v[39:40], v[41:42]
	s_delay_alu instid0(VALU_DEP_1) | instskip(SKIP_1) | instid1(VALU_DEP_1)
	v_add_f64_e32 v[67:68], v[65:66], v[41:42]
	s_wait_dscnt 0x0
	v_add_f64_e64 v[69:70], v[63:64], -v[67:68]
	v_add_f64_e64 v[47:48], v[67:68], -v[65:66]
	s_delay_alu instid0(VALU_DEP_2) | instskip(NEXT) | instid1(VALU_DEP_2)
	v_add_f64_e64 v[63:64], v[63:64], -v[69:70]
	v_add_f64_e64 v[41:42], v[47:48], -v[41:42]
	s_delay_alu instid0(VALU_DEP_2) | instskip(NEXT) | instid1(VALU_DEP_1)
	v_add_f64_e64 v[63:64], v[63:64], -v[67:68]
	v_add_f64_e32 v[35:36], v[35:36], v[63:64]
	s_delay_alu instid0(VALU_DEP_1) | instskip(NEXT) | instid1(VALU_DEP_1)
	v_add_f64_e32 v[35:36], v[41:42], v[35:36]
	v_add_f64_e32 v[41:42], v[69:70], v[35:36]
	s_delay_alu instid0(VALU_DEP_1) | instskip(SKIP_1) | instid1(VALU_DEP_2)
	v_mul_f64_e32 v[47:48], v[37:38], v[41:42]
	v_add_f64_e64 v[67:68], v[69:70], -v[41:42]
	v_mul_f64_e32 v[63:64], v[43:44], v[47:48]
	s_delay_alu instid0(VALU_DEP_2) | instskip(NEXT) | instid1(VALU_DEP_2)
	v_add_f64_e32 v[35:36], v[35:36], v[67:68]
	v_fma_f64 v[43:44], v[47:48], v[43:44], -v[63:64]
	s_delay_alu instid0(VALU_DEP_1) | instskip(NEXT) | instid1(VALU_DEP_1)
	v_fma_f64 v[39:40], v[47:48], v[39:40], v[43:44]
	v_add_f64_e32 v[43:44], v[63:64], v[39:40]
	s_delay_alu instid0(VALU_DEP_1) | instskip(SKIP_1) | instid1(VALU_DEP_2)
	v_add_f64_e64 v[65:66], v[41:42], -v[43:44]
	v_add_f64_e64 v[63:64], v[43:44], -v[63:64]
	;; [unrolled: 1-line block ×3, first 2 shown]
	s_delay_alu instid0(VALU_DEP_2) | instskip(NEXT) | instid1(VALU_DEP_2)
	v_add_f64_e64 v[39:40], v[63:64], -v[39:40]
	v_add_f64_e64 v[41:42], v[41:42], -v[43:44]
	s_delay_alu instid0(VALU_DEP_1) | instskip(SKIP_1) | instid1(VALU_DEP_2)
	v_add_f64_e32 v[35:36], v[35:36], v[41:42]
	v_add_f64_e32 v[41:42], v[45:46], v[47:48]
	;; [unrolled: 1-line block ×3, first 2 shown]
	s_delay_alu instid0(VALU_DEP_2) | instskip(NEXT) | instid1(VALU_DEP_2)
	v_add_f64_e64 v[39:40], v[41:42], -v[45:46]
	v_add_f64_e32 v[35:36], v[65:66], v[35:36]
	s_delay_alu instid0(VALU_DEP_2) | instskip(NEXT) | instid1(VALU_DEP_2)
	v_add_f64_e64 v[39:40], v[47:48], -v[39:40]
	v_mul_f64_e32 v[35:36], v[37:38], v[35:36]
	s_delay_alu instid0(VALU_DEP_1) | instskip(NEXT) | instid1(VALU_DEP_1)
	v_add_f64_e32 v[35:36], v[39:40], v[35:36]
	v_add_f64_e32 v[37:38], v[41:42], v[35:36]
	s_delay_alu instid0(VALU_DEP_1) | instskip(NEXT) | instid1(VALU_DEP_1)
	v_mul_f64_e32 v[39:40], v[37:38], v[37:38]
	v_fma_f64 v[43:44], v[39:40], s[38:39], s[34:35]
	s_mov_b32 s34, 0xd7f4df2e
	s_mov_b32 s35, 0x3fc7474d
	v_mul_f64_e32 v[45:46], v[37:38], v[39:40]
	s_wait_alu 0xfffe
	s_delay_alu instid0(VALU_DEP_2) | instskip(SKIP_3) | instid1(VALU_DEP_1)
	v_fma_f64 v[43:44], v[39:40], v[43:44], s[34:35]
	s_mov_b32 s34, 0x16291751
	s_mov_b32 s35, 0x3fcc71c0
	s_wait_alu 0xfffe
	v_fma_f64 v[43:44], v[39:40], v[43:44], s[34:35]
	s_mov_b32 s34, 0x9b27acf1
	s_mov_b32 s35, 0x3fd24924
	s_wait_alu 0xfffe
	s_delay_alu instid0(VALU_DEP_1) | instskip(SKIP_3) | instid1(VALU_DEP_1)
	v_fma_f64 v[43:44], v[39:40], v[43:44], s[34:35]
	s_mov_b32 s34, 0x998ef7b6
	s_mov_b32 s35, 0x3fd99999
	s_wait_alu 0xfffe
	v_fma_f64 v[43:44], v[39:40], v[43:44], s[34:35]
	s_delay_alu instid0(VALU_DEP_1)
	v_fma_f64 v[39:40], v[39:40], v[43:44], s[0:1]
	v_ldexp_f64 v[43:44], v[37:38], 1
	v_add_f64_e64 v[37:38], v[37:38], -v[41:42]
	v_cmp_nge_f64_e64 s0, -1.0, v[17:18]
	v_cmp_neq_f64_e64 s1, 0x7ff00000, v[17:18]
	v_mul_f64_e32 v[39:40], v[45:46], v[39:40]
	v_cvt_f64_i32_e32 v[45:46], v0
	v_add_f64_e64 v[35:36], v[35:36], -v[37:38]
	s_and_b32 s0, s0, s1
	s_delay_alu instid0(VALU_DEP_3) | instskip(NEXT) | instid1(VALU_DEP_3)
	v_add_f64_e32 v[41:42], v[43:44], v[39:40]
	v_mul_f64_e32 v[47:48], s[18:19], v[45:46]
	s_delay_alu instid0(VALU_DEP_3) | instskip(NEXT) | instid1(VALU_DEP_3)
	v_ldexp_f64 v[35:36], v[35:36], 1
	v_add_f64_e64 v[37:38], v[41:42], -v[43:44]
	s_delay_alu instid0(VALU_DEP_3) | instskip(NEXT) | instid1(VALU_DEP_2)
	v_fma_f64 v[43:44], v[45:46], s[18:19], -v[47:48]
	v_add_f64_e64 v[37:38], v[39:40], -v[37:38]
	s_delay_alu instid0(VALU_DEP_2) | instskip(NEXT) | instid1(VALU_DEP_2)
	v_fma_f64 v[39:40], v[45:46], s[20:21], v[43:44]
	v_add_f64_e32 v[35:36], v[35:36], v[37:38]
	s_delay_alu instid0(VALU_DEP_2) | instskip(NEXT) | instid1(VALU_DEP_2)
	v_add_f64_e32 v[37:38], v[47:48], v[39:40]
	v_add_f64_e32 v[43:44], v[41:42], v[35:36]
	s_delay_alu instid0(VALU_DEP_2) | instskip(NEXT) | instid1(VALU_DEP_2)
	v_add_f64_e64 v[47:48], v[37:38], -v[47:48]
	v_add_f64_e32 v[45:46], v[37:38], v[43:44]
	v_add_f64_e64 v[41:42], v[43:44], -v[41:42]
	s_delay_alu instid0(VALU_DEP_3) | instskip(NEXT) | instid1(VALU_DEP_3)
	v_add_f64_e64 v[39:40], v[39:40], -v[47:48]
	v_add_f64_e64 v[63:64], v[45:46], -v[37:38]
	s_delay_alu instid0(VALU_DEP_3) | instskip(NEXT) | instid1(VALU_DEP_2)
	v_add_f64_e64 v[35:36], v[35:36], -v[41:42]
	v_add_f64_e64 v[65:66], v[45:46], -v[63:64]
	v_add_f64_e64 v[41:42], v[43:44], -v[63:64]
	s_delay_alu instid0(VALU_DEP_3) | instskip(NEXT) | instid1(VALU_DEP_3)
	v_add_f64_e32 v[43:44], v[39:40], v[35:36]
	v_add_f64_e64 v[37:38], v[37:38], -v[65:66]
	s_delay_alu instid0(VALU_DEP_1) | instskip(NEXT) | instid1(VALU_DEP_3)
	v_add_f64_e32 v[37:38], v[41:42], v[37:38]
	v_add_f64_e64 v[41:42], v[43:44], -v[39:40]
	s_delay_alu instid0(VALU_DEP_2) | instskip(NEXT) | instid1(VALU_DEP_2)
	v_add_f64_e32 v[37:38], v[43:44], v[37:38]
	v_add_f64_e64 v[43:44], v[43:44], -v[41:42]
	v_add_f64_e64 v[35:36], v[35:36], -v[41:42]
	s_delay_alu instid0(VALU_DEP_3) | instskip(NEXT) | instid1(VALU_DEP_3)
	v_add_f64_e32 v[47:48], v[45:46], v[37:38]
	v_add_f64_e64 v[39:40], v[39:40], -v[43:44]
	s_delay_alu instid0(VALU_DEP_2) | instskip(NEXT) | instid1(VALU_DEP_2)
	v_add_f64_e64 v[41:42], v[47:48], -v[45:46]
	v_add_f64_e32 v[35:36], v[35:36], v[39:40]
	s_delay_alu instid0(VALU_DEP_2) | instskip(NEXT) | instid1(VALU_DEP_1)
	v_add_f64_e64 v[37:38], v[37:38], -v[41:42]
	v_add_f64_e32 v[35:36], v[35:36], v[37:38]
	s_delay_alu instid0(VALU_DEP_1) | instskip(SKIP_1) | instid1(VALU_DEP_1)
	v_add_f64_e32 v[35:36], v[47:48], v[35:36]
	s_wait_alu 0xfffe
	v_cndmask_b32_e64 v35, 0, v35, s0
	v_cmp_neq_f64_e64 s0, -1.0, v[17:18]
	s_delay_alu instid0(VALU_DEP_3) | instskip(NEXT) | instid1(VALU_DEP_1)
	v_cndmask_b32_e64 v0, 0x7ff00000, v36, s1
	v_cndmask_b32_e64 v0, 0x7ff80000, v0, s17
	s_wait_alu 0xf1ff
	s_delay_alu instid0(VALU_DEP_1) | instskip(NEXT) | instid1(VALU_DEP_1)
	v_cndmask_b32_e64 v36, 0xfff00000, v0, s0
	v_add_f64_e32 v[17:18], v[33:34], v[35:36]
.LBB80_122:
	s_wait_alu 0xfffe
	s_or_b32 exec_lo, exec_lo, s22
	s_delay_alu instid0(VALU_DEP_1) | instskip(SKIP_1) | instid1(VALU_DEP_2)
	v_max_num_f64_e32 v[33:34], v[17:18], v[17:18]
	v_cmp_u_f64_e64 s0, v[17:18], v[17:18]
	v_min_num_f64_e32 v[35:36], v[33:34], v[49:50]
	v_max_num_f64_e32 v[33:34], v[33:34], v[49:50]
	s_wait_alu 0xf1ff
	s_delay_alu instid0(VALU_DEP_2) | instskip(NEXT) | instid1(VALU_DEP_3)
	v_cndmask_b32_e64 v0, v35, v17, s0
	v_cndmask_b32_e64 v35, v36, v18, s0
	s_delay_alu instid0(VALU_DEP_3) | instskip(NEXT) | instid1(VALU_DEP_4)
	v_cndmask_b32_e64 v34, v34, v18, s0
	v_cndmask_b32_e64 v33, v33, v17, s0
	s_delay_alu instid0(VALU_DEP_3) | instskip(SKIP_1) | instid1(VALU_DEP_4)
	v_cndmask_b32_e64 v36, v35, v20, s25
	v_cndmask_b32_e64 v35, v0, v19, s25
	;; [unrolled: 1-line block ×3, first 2 shown]
	s_delay_alu instid0(VALU_DEP_4) | instskip(SKIP_1) | instid1(VALU_DEP_4)
	v_cndmask_b32_e64 v33, v33, v19, s25
	v_dual_mov_b32 v20, v18 :: v_dual_mov_b32 v19, v17
	v_cmp_class_f64_e64 s1, v[35:36], 0x1f8
	s_delay_alu instid0(VALU_DEP_3)
	v_cmp_neq_f64_e64 s0, v[35:36], v[33:34]
	s_or_b32 s0, s0, s1
	s_wait_alu 0xfffe
	s_and_saveexec_b32 s22, s0
	s_cbranch_execz .LBB80_124
; %bb.123:
	v_add_f64_e64 v[19:20], v[35:36], -v[33:34]
	s_mov_b32 s0, 0x652b82fe
	s_mov_b32 s1, 0x3ff71547
	;; [unrolled: 1-line block ×10, first 2 shown]
	s_wait_alu 0xfffe
	s_delay_alu instid0(VALU_DEP_1) | instskip(SKIP_2) | instid1(VALU_DEP_1)
	v_mul_f64_e32 v[35:36], s[0:1], v[19:20]
	s_mov_b32 s0, 0xfca7ab0c
	s_mov_b32 s1, 0x3e928af3
	v_rndne_f64_e32 v[35:36], v[35:36]
	s_delay_alu instid0(VALU_DEP_1) | instskip(SKIP_2) | instid1(VALU_DEP_2)
	v_fma_f64 v[37:38], v[35:36], s[18:19], v[19:20]
	v_cvt_i32_f64_e32 v0, v[35:36]
	s_mov_b32 s19, 0x3fe62e42
	v_fma_f64 v[37:38], v[35:36], s[20:21], v[37:38]
	s_mov_b32 s21, 0x3c7abc9e
	s_wait_alu 0xfffe
	s_delay_alu instid0(VALU_DEP_1)
	v_fma_f64 v[39:40], v[37:38], s[24:25], s[0:1]
	s_mov_b32 s0, 0x623fde64
	s_mov_b32 s1, 0x3ec71dee
	;; [unrolled: 1-line block ×4, first 2 shown]
	s_wait_alu 0xfffe
	s_delay_alu instid0(VALU_DEP_1) | instskip(SKIP_3) | instid1(VALU_DEP_1)
	v_fma_f64 v[39:40], v[37:38], v[39:40], s[0:1]
	s_mov_b32 s0, 0x7c89e6b0
	s_mov_b32 s1, 0x3efa0199
	s_wait_alu 0xfffe
	v_fma_f64 v[39:40], v[37:38], v[39:40], s[0:1]
	s_mov_b32 s0, 0x14761f6e
	s_mov_b32 s1, 0x3f2a01a0
	s_wait_alu 0xfffe
	s_delay_alu instid0(VALU_DEP_1) | instskip(SKIP_3) | instid1(VALU_DEP_1)
	v_fma_f64 v[39:40], v[37:38], v[39:40], s[0:1]
	s_mov_b32 s0, 0x1852b7b0
	s_mov_b32 s1, 0x3f56c16c
	s_wait_alu 0xfffe
	v_fma_f64 v[39:40], v[37:38], v[39:40], s[0:1]
	s_mov_b32 s0, 0x11122322
	s_mov_b32 s1, 0x3f811111
	;; [unrolled: 9-line block ×3, first 2 shown]
	s_wait_alu 0xfffe
	s_delay_alu instid0(VALU_DEP_1) | instskip(SKIP_3) | instid1(VALU_DEP_1)
	v_fma_f64 v[39:40], v[37:38], v[39:40], s[0:1]
	s_mov_b32 s0, 11
	s_mov_b32 s1, 0x3fe00000
	s_wait_alu 0xfffe
	v_fma_f64 v[39:40], v[37:38], v[39:40], s[0:1]
	v_cmp_nlt_f64_e64 s0, 0x40900000, v[19:20]
	v_cmp_ngt_f64_e64 s1, 0xc090cc00, v[19:20]
	s_delay_alu instid0(VALU_DEP_3) | instskip(NEXT) | instid1(VALU_DEP_1)
	v_fma_f64 v[39:40], v[37:38], v[39:40], 1.0
	v_fma_f64 v[35:36], v[37:38], v[39:40], 1.0
	s_delay_alu instid0(VALU_DEP_1) | instskip(SKIP_1) | instid1(VALU_DEP_1)
	v_ldexp_f64 v[35:36], v[35:36], v0
	s_wait_alu 0xf1ff
	v_cndmask_b32_e64 v0, 0x7ff00000, v36, s0
	s_and_b32 s0, s1, s0
	s_wait_alu 0xfffe
	s_delay_alu instid0(VALU_DEP_2) | instskip(SKIP_3) | instid1(VALU_DEP_1)
	v_cndmask_b32_e64 v19, 0, v35, s0
	s_mov_b32 s0, 0x55555555
	v_cndmask_b32_e64 v20, 0, v0, s1
	s_mov_b32 s1, 0x3fe55555
	v_add_f64_e32 v[35:36], 1.0, v[19:20]
	v_cmp_ngt_f64_e64 s17, -1.0, v[19:20]
	s_delay_alu instid0(VALU_DEP_2) | instskip(SKIP_3) | instid1(VALU_DEP_3)
	v_frexp_mant_f64_e32 v[37:38], v[35:36]
	v_frexp_exp_i32_f64_e32 v0, v[35:36]
	v_add_f64_e32 v[39:40], -1.0, v[35:36]
	s_wait_alu 0xfffe
	v_cmp_gt_f64_e64 s0, s[0:1], v[37:38]
	s_delay_alu instid0(VALU_DEP_2) | instskip(SKIP_2) | instid1(VALU_DEP_3)
	v_add_f64_e64 v[37:38], v[39:40], -v[35:36]
	v_add_f64_e64 v[39:40], v[19:20], -v[39:40]
	s_wait_alu 0xf1ff
	v_subrev_co_ci_u32_e64 v0, null, 0, v0, s0
	s_delay_alu instid0(VALU_DEP_3) | instskip(SKIP_1) | instid1(VALU_DEP_2)
	v_add_f64_e32 v[37:38], 1.0, v[37:38]
	s_mov_b32 s0, 0x55555780
	v_sub_nc_u32_e32 v43, 0, v0
	s_delay_alu instid0(VALU_DEP_1) | instskip(NEXT) | instid1(VALU_DEP_3)
	v_ldexp_f64 v[35:36], v[35:36], v43
	v_add_f64_e32 v[37:38], v[39:40], v[37:38]
	s_delay_alu instid0(VALU_DEP_2) | instskip(SKIP_1) | instid1(VALU_DEP_3)
	v_add_f64_e32 v[41:42], 1.0, v[35:36]
	v_add_f64_e32 v[47:48], -1.0, v[35:36]
	v_ldexp_f64 v[37:38], v[37:38], v43
	s_delay_alu instid0(VALU_DEP_3) | instskip(NEXT) | instid1(VALU_DEP_3)
	v_add_f64_e32 v[39:40], -1.0, v[41:42]
	v_add_f64_e32 v[49:50], 1.0, v[47:48]
	s_delay_alu instid0(VALU_DEP_2) | instskip(NEXT) | instid1(VALU_DEP_2)
	v_add_f64_e64 v[39:40], v[35:36], -v[39:40]
	v_add_f64_e64 v[35:36], v[35:36], -v[49:50]
	s_delay_alu instid0(VALU_DEP_2) | instskip(NEXT) | instid1(VALU_DEP_2)
	v_add_f64_e32 v[39:40], v[37:38], v[39:40]
	v_add_f64_e32 v[35:36], v[37:38], v[35:36]
	s_delay_alu instid0(VALU_DEP_2) | instskip(NEXT) | instid1(VALU_DEP_2)
	v_add_f64_e32 v[43:44], v[41:42], v[39:40]
	v_add_f64_e32 v[49:50], v[47:48], v[35:36]
	s_delay_alu instid0(VALU_DEP_2) | instskip(SKIP_1) | instid1(VALU_DEP_2)
	v_rcp_f64_e32 v[45:46], v[43:44]
	v_add_f64_e64 v[41:42], v[43:44], -v[41:42]
	v_add_f64_e64 v[47:48], v[49:50], -v[47:48]
	s_delay_alu instid0(VALU_DEP_2) | instskip(NEXT) | instid1(TRANS32_DEP_1)
	v_add_f64_e64 v[39:40], v[39:40], -v[41:42]
	v_fma_f64 v[63:64], -v[43:44], v[45:46], 1.0
	s_delay_alu instid0(VALU_DEP_3) | instskip(NEXT) | instid1(VALU_DEP_2)
	v_add_f64_e64 v[35:36], v[35:36], -v[47:48]
	v_fma_f64 v[45:46], v[63:64], v[45:46], v[45:46]
	s_delay_alu instid0(VALU_DEP_1) | instskip(NEXT) | instid1(VALU_DEP_1)
	v_fma_f64 v[37:38], -v[43:44], v[45:46], 1.0
	v_fma_f64 v[37:38], v[37:38], v[45:46], v[45:46]
	s_delay_alu instid0(VALU_DEP_1) | instskip(NEXT) | instid1(VALU_DEP_1)
	v_mul_f64_e32 v[45:46], v[49:50], v[37:38]
	v_mul_f64_e32 v[63:64], v[43:44], v[45:46]
	s_delay_alu instid0(VALU_DEP_1) | instskip(NEXT) | instid1(VALU_DEP_1)
	v_fma_f64 v[41:42], v[45:46], v[43:44], -v[63:64]
	v_fma_f64 v[41:42], v[45:46], v[39:40], v[41:42]
	s_delay_alu instid0(VALU_DEP_1) | instskip(NEXT) | instid1(VALU_DEP_1)
	v_add_f64_e32 v[65:66], v[63:64], v[41:42]
	v_add_f64_e64 v[67:68], v[49:50], -v[65:66]
	v_add_f64_e64 v[47:48], v[65:66], -v[63:64]
	s_delay_alu instid0(VALU_DEP_2) | instskip(NEXT) | instid1(VALU_DEP_2)
	v_add_f64_e64 v[49:50], v[49:50], -v[67:68]
	v_add_f64_e64 v[41:42], v[47:48], -v[41:42]
	s_delay_alu instid0(VALU_DEP_2) | instskip(NEXT) | instid1(VALU_DEP_1)
	v_add_f64_e64 v[49:50], v[49:50], -v[65:66]
	v_add_f64_e32 v[35:36], v[35:36], v[49:50]
	s_delay_alu instid0(VALU_DEP_1) | instskip(NEXT) | instid1(VALU_DEP_1)
	v_add_f64_e32 v[35:36], v[41:42], v[35:36]
	v_add_f64_e32 v[41:42], v[67:68], v[35:36]
	s_delay_alu instid0(VALU_DEP_1) | instskip(SKIP_1) | instid1(VALU_DEP_2)
	v_mul_f64_e32 v[47:48], v[37:38], v[41:42]
	v_add_f64_e64 v[65:66], v[67:68], -v[41:42]
	v_mul_f64_e32 v[49:50], v[43:44], v[47:48]
	s_delay_alu instid0(VALU_DEP_2) | instskip(NEXT) | instid1(VALU_DEP_2)
	v_add_f64_e32 v[35:36], v[35:36], v[65:66]
	v_fma_f64 v[43:44], v[47:48], v[43:44], -v[49:50]
	s_delay_alu instid0(VALU_DEP_1) | instskip(NEXT) | instid1(VALU_DEP_1)
	v_fma_f64 v[39:40], v[47:48], v[39:40], v[43:44]
	v_add_f64_e32 v[43:44], v[49:50], v[39:40]
	s_delay_alu instid0(VALU_DEP_1) | instskip(SKIP_1) | instid1(VALU_DEP_2)
	v_add_f64_e64 v[63:64], v[41:42], -v[43:44]
	v_add_f64_e64 v[49:50], v[43:44], -v[49:50]
	;; [unrolled: 1-line block ×3, first 2 shown]
	s_delay_alu instid0(VALU_DEP_2) | instskip(NEXT) | instid1(VALU_DEP_2)
	v_add_f64_e64 v[39:40], v[49:50], -v[39:40]
	v_add_f64_e64 v[41:42], v[41:42], -v[43:44]
	s_delay_alu instid0(VALU_DEP_1) | instskip(SKIP_1) | instid1(VALU_DEP_2)
	v_add_f64_e32 v[35:36], v[35:36], v[41:42]
	v_add_f64_e32 v[41:42], v[45:46], v[47:48]
	;; [unrolled: 1-line block ×3, first 2 shown]
	s_delay_alu instid0(VALU_DEP_2) | instskip(NEXT) | instid1(VALU_DEP_2)
	v_add_f64_e64 v[39:40], v[41:42], -v[45:46]
	v_add_f64_e32 v[35:36], v[63:64], v[35:36]
	s_delay_alu instid0(VALU_DEP_2) | instskip(NEXT) | instid1(VALU_DEP_2)
	v_add_f64_e64 v[39:40], v[47:48], -v[39:40]
	v_mul_f64_e32 v[35:36], v[37:38], v[35:36]
	s_delay_alu instid0(VALU_DEP_1) | instskip(NEXT) | instid1(VALU_DEP_1)
	v_add_f64_e32 v[35:36], v[39:40], v[35:36]
	v_add_f64_e32 v[37:38], v[41:42], v[35:36]
	s_delay_alu instid0(VALU_DEP_1) | instskip(NEXT) | instid1(VALU_DEP_1)
	v_mul_f64_e32 v[39:40], v[37:38], v[37:38]
	v_fma_f64 v[43:44], v[39:40], s[34:35], s[24:25]
	s_mov_b32 s24, 0xd7f4df2e
	s_mov_b32 s25, 0x3fc7474d
	v_mul_f64_e32 v[45:46], v[37:38], v[39:40]
	s_wait_alu 0xfffe
	s_delay_alu instid0(VALU_DEP_2) | instskip(SKIP_3) | instid1(VALU_DEP_1)
	v_fma_f64 v[43:44], v[39:40], v[43:44], s[24:25]
	s_mov_b32 s24, 0x16291751
	s_mov_b32 s25, 0x3fcc71c0
	s_wait_alu 0xfffe
	v_fma_f64 v[43:44], v[39:40], v[43:44], s[24:25]
	s_mov_b32 s24, 0x9b27acf1
	s_mov_b32 s25, 0x3fd24924
	s_wait_alu 0xfffe
	s_delay_alu instid0(VALU_DEP_1) | instskip(SKIP_3) | instid1(VALU_DEP_1)
	v_fma_f64 v[43:44], v[39:40], v[43:44], s[24:25]
	s_mov_b32 s24, 0x998ef7b6
	s_mov_b32 s25, 0x3fd99999
	s_wait_alu 0xfffe
	v_fma_f64 v[43:44], v[39:40], v[43:44], s[24:25]
	s_delay_alu instid0(VALU_DEP_1)
	v_fma_f64 v[39:40], v[39:40], v[43:44], s[0:1]
	v_ldexp_f64 v[43:44], v[37:38], 1
	v_add_f64_e64 v[37:38], v[37:38], -v[41:42]
	v_cmp_nge_f64_e64 s0, -1.0, v[19:20]
	v_cmp_neq_f64_e64 s1, 0x7ff00000, v[19:20]
	v_mul_f64_e32 v[39:40], v[45:46], v[39:40]
	v_cvt_f64_i32_e32 v[45:46], v0
	v_add_f64_e64 v[35:36], v[35:36], -v[37:38]
	s_and_b32 s0, s0, s1
	s_delay_alu instid0(VALU_DEP_3) | instskip(NEXT) | instid1(VALU_DEP_3)
	v_add_f64_e32 v[41:42], v[43:44], v[39:40]
	v_mul_f64_e32 v[47:48], s[18:19], v[45:46]
	s_delay_alu instid0(VALU_DEP_3) | instskip(NEXT) | instid1(VALU_DEP_3)
	v_ldexp_f64 v[35:36], v[35:36], 1
	v_add_f64_e64 v[37:38], v[41:42], -v[43:44]
	s_delay_alu instid0(VALU_DEP_3) | instskip(NEXT) | instid1(VALU_DEP_2)
	v_fma_f64 v[43:44], v[45:46], s[18:19], -v[47:48]
	v_add_f64_e64 v[37:38], v[39:40], -v[37:38]
	s_delay_alu instid0(VALU_DEP_2) | instskip(NEXT) | instid1(VALU_DEP_2)
	v_fma_f64 v[39:40], v[45:46], s[20:21], v[43:44]
	v_add_f64_e32 v[35:36], v[35:36], v[37:38]
	s_delay_alu instid0(VALU_DEP_2) | instskip(NEXT) | instid1(VALU_DEP_2)
	v_add_f64_e32 v[37:38], v[47:48], v[39:40]
	v_add_f64_e32 v[43:44], v[41:42], v[35:36]
	s_delay_alu instid0(VALU_DEP_2) | instskip(NEXT) | instid1(VALU_DEP_2)
	v_add_f64_e64 v[47:48], v[37:38], -v[47:48]
	v_add_f64_e32 v[45:46], v[37:38], v[43:44]
	v_add_f64_e64 v[41:42], v[43:44], -v[41:42]
	s_delay_alu instid0(VALU_DEP_3) | instskip(NEXT) | instid1(VALU_DEP_3)
	v_add_f64_e64 v[39:40], v[39:40], -v[47:48]
	v_add_f64_e64 v[49:50], v[45:46], -v[37:38]
	s_delay_alu instid0(VALU_DEP_3) | instskip(NEXT) | instid1(VALU_DEP_2)
	v_add_f64_e64 v[35:36], v[35:36], -v[41:42]
	v_add_f64_e64 v[63:64], v[45:46], -v[49:50]
	v_add_f64_e64 v[41:42], v[43:44], -v[49:50]
	s_delay_alu instid0(VALU_DEP_3) | instskip(NEXT) | instid1(VALU_DEP_3)
	v_add_f64_e32 v[43:44], v[39:40], v[35:36]
	v_add_f64_e64 v[37:38], v[37:38], -v[63:64]
	s_delay_alu instid0(VALU_DEP_1) | instskip(NEXT) | instid1(VALU_DEP_3)
	v_add_f64_e32 v[37:38], v[41:42], v[37:38]
	v_add_f64_e64 v[41:42], v[43:44], -v[39:40]
	s_delay_alu instid0(VALU_DEP_2) | instskip(NEXT) | instid1(VALU_DEP_2)
	v_add_f64_e32 v[37:38], v[43:44], v[37:38]
	v_add_f64_e64 v[43:44], v[43:44], -v[41:42]
	v_add_f64_e64 v[35:36], v[35:36], -v[41:42]
	s_delay_alu instid0(VALU_DEP_3) | instskip(NEXT) | instid1(VALU_DEP_3)
	v_add_f64_e32 v[47:48], v[45:46], v[37:38]
	v_add_f64_e64 v[39:40], v[39:40], -v[43:44]
	s_delay_alu instid0(VALU_DEP_2) | instskip(NEXT) | instid1(VALU_DEP_2)
	v_add_f64_e64 v[41:42], v[47:48], -v[45:46]
	v_add_f64_e32 v[35:36], v[35:36], v[39:40]
	s_delay_alu instid0(VALU_DEP_2) | instskip(NEXT) | instid1(VALU_DEP_1)
	v_add_f64_e64 v[37:38], v[37:38], -v[41:42]
	v_add_f64_e32 v[35:36], v[35:36], v[37:38]
	s_delay_alu instid0(VALU_DEP_1) | instskip(SKIP_1) | instid1(VALU_DEP_1)
	v_add_f64_e32 v[35:36], v[47:48], v[35:36]
	s_wait_alu 0xfffe
	v_cndmask_b32_e64 v35, 0, v35, s0
	v_cmp_neq_f64_e64 s0, -1.0, v[19:20]
	s_delay_alu instid0(VALU_DEP_3) | instskip(NEXT) | instid1(VALU_DEP_1)
	v_cndmask_b32_e64 v0, 0x7ff00000, v36, s1
	v_cndmask_b32_e64 v0, 0x7ff80000, v0, s17
	s_wait_alu 0xf1ff
	s_delay_alu instid0(VALU_DEP_1) | instskip(NEXT) | instid1(VALU_DEP_1)
	v_cndmask_b32_e64 v36, 0xfff00000, v0, s0
	v_add_f64_e32 v[19:20], v[33:34], v[35:36]
.LBB80_124:
	s_wait_alu 0xfffe
	s_or_b32 exec_lo, exec_lo, s22
	s_delay_alu instid0(VALU_DEP_1) | instskip(SKIP_1) | instid1(VALU_DEP_2)
	v_max_num_f64_e32 v[33:34], v[19:20], v[19:20]
	v_cmp_u_f64_e64 s0, v[19:20], v[19:20]
	v_min_num_f64_e32 v[35:36], v[33:34], v[51:52]
	v_max_num_f64_e32 v[33:34], v[33:34], v[51:52]
	s_wait_alu 0xf1ff
	s_delay_alu instid0(VALU_DEP_2) | instskip(NEXT) | instid1(VALU_DEP_3)
	v_cndmask_b32_e64 v0, v35, v19, s0
	v_cndmask_b32_e64 v35, v36, v20, s0
	s_delay_alu instid0(VALU_DEP_3) | instskip(NEXT) | instid1(VALU_DEP_4)
	v_cndmask_b32_e64 v34, v34, v20, s0
	v_cndmask_b32_e64 v33, v33, v19, s0
	s_delay_alu instid0(VALU_DEP_3) | instskip(SKIP_1) | instid1(VALU_DEP_4)
	v_cndmask_b32_e64 v36, v35, v14, s26
	v_cndmask_b32_e64 v35, v0, v13, s26
	;; [unrolled: 1-line block ×3, first 2 shown]
	s_delay_alu instid0(VALU_DEP_4) | instskip(SKIP_1) | instid1(VALU_DEP_4)
	v_cndmask_b32_e64 v33, v33, v13, s26
	v_dual_mov_b32 v13, v19 :: v_dual_mov_b32 v14, v20
	v_cmp_class_f64_e64 s1, v[35:36], 0x1f8
	s_delay_alu instid0(VALU_DEP_3)
	v_cmp_neq_f64_e64 s0, v[35:36], v[33:34]
	s_or_b32 s0, s0, s1
	s_wait_alu 0xfffe
	s_and_saveexec_b32 s22, s0
	s_cbranch_execz .LBB80_126
; %bb.125:
	v_add_f64_e64 v[13:14], v[35:36], -v[33:34]
	s_mov_b32 s0, 0x652b82fe
	s_mov_b32 s1, 0x3ff71547
	s_mov_b32 s19, 0xbfe62e42
	s_mov_b32 s18, 0xfefa39ef
	s_mov_b32 s21, 0xbc7abc9e
	s_mov_b32 s20, 0x3b39803f
	s_mov_b32 s24, 0x6a5dcb37
	s_mov_b32 s25, 0x3e5ade15
	s_mov_b32 s34, 0xbf559e2b
	s_mov_b32 s35, 0x3fc3ab76
	s_wait_alu 0xfffe
	s_delay_alu instid0(VALU_DEP_1) | instskip(SKIP_2) | instid1(VALU_DEP_1)
	v_mul_f64_e32 v[35:36], s[0:1], v[13:14]
	s_mov_b32 s0, 0xfca7ab0c
	s_mov_b32 s1, 0x3e928af3
	v_rndne_f64_e32 v[35:36], v[35:36]
	s_delay_alu instid0(VALU_DEP_1) | instskip(SKIP_2) | instid1(VALU_DEP_2)
	v_fma_f64 v[37:38], v[35:36], s[18:19], v[13:14]
	v_cvt_i32_f64_e32 v0, v[35:36]
	s_mov_b32 s19, 0x3fe62e42
	v_fma_f64 v[37:38], v[35:36], s[20:21], v[37:38]
	s_mov_b32 s21, 0x3c7abc9e
	s_wait_alu 0xfffe
	s_delay_alu instid0(VALU_DEP_1)
	v_fma_f64 v[39:40], v[37:38], s[24:25], s[0:1]
	s_mov_b32 s0, 0x623fde64
	s_mov_b32 s1, 0x3ec71dee
	;; [unrolled: 1-line block ×4, first 2 shown]
	s_wait_alu 0xfffe
	s_delay_alu instid0(VALU_DEP_1) | instskip(SKIP_3) | instid1(VALU_DEP_1)
	v_fma_f64 v[39:40], v[37:38], v[39:40], s[0:1]
	s_mov_b32 s0, 0x7c89e6b0
	s_mov_b32 s1, 0x3efa0199
	s_wait_alu 0xfffe
	v_fma_f64 v[39:40], v[37:38], v[39:40], s[0:1]
	s_mov_b32 s0, 0x14761f6e
	s_mov_b32 s1, 0x3f2a01a0
	s_wait_alu 0xfffe
	s_delay_alu instid0(VALU_DEP_1) | instskip(SKIP_3) | instid1(VALU_DEP_1)
	v_fma_f64 v[39:40], v[37:38], v[39:40], s[0:1]
	s_mov_b32 s0, 0x1852b7b0
	s_mov_b32 s1, 0x3f56c16c
	s_wait_alu 0xfffe
	v_fma_f64 v[39:40], v[37:38], v[39:40], s[0:1]
	s_mov_b32 s0, 0x11122322
	s_mov_b32 s1, 0x3f811111
	;; [unrolled: 9-line block ×3, first 2 shown]
	s_wait_alu 0xfffe
	s_delay_alu instid0(VALU_DEP_1) | instskip(SKIP_3) | instid1(VALU_DEP_1)
	v_fma_f64 v[39:40], v[37:38], v[39:40], s[0:1]
	s_mov_b32 s0, 11
	s_mov_b32 s1, 0x3fe00000
	s_wait_alu 0xfffe
	v_fma_f64 v[39:40], v[37:38], v[39:40], s[0:1]
	v_cmp_nlt_f64_e64 s0, 0x40900000, v[13:14]
	v_cmp_ngt_f64_e64 s1, 0xc090cc00, v[13:14]
	s_delay_alu instid0(VALU_DEP_3) | instskip(NEXT) | instid1(VALU_DEP_1)
	v_fma_f64 v[39:40], v[37:38], v[39:40], 1.0
	v_fma_f64 v[35:36], v[37:38], v[39:40], 1.0
	s_delay_alu instid0(VALU_DEP_1) | instskip(SKIP_1) | instid1(VALU_DEP_1)
	v_ldexp_f64 v[35:36], v[35:36], v0
	s_wait_alu 0xf1ff
	v_cndmask_b32_e64 v0, 0x7ff00000, v36, s0
	s_and_b32 s0, s1, s0
	s_wait_alu 0xfffe
	s_delay_alu instid0(VALU_DEP_2) | instskip(SKIP_3) | instid1(VALU_DEP_1)
	v_cndmask_b32_e64 v13, 0, v35, s0
	s_mov_b32 s0, 0x55555555
	v_cndmask_b32_e64 v14, 0, v0, s1
	s_mov_b32 s1, 0x3fe55555
	v_add_f64_e32 v[35:36], 1.0, v[13:14]
	v_cmp_ngt_f64_e64 s17, -1.0, v[13:14]
	s_delay_alu instid0(VALU_DEP_2) | instskip(SKIP_3) | instid1(VALU_DEP_3)
	v_frexp_mant_f64_e32 v[37:38], v[35:36]
	v_frexp_exp_i32_f64_e32 v0, v[35:36]
	v_add_f64_e32 v[39:40], -1.0, v[35:36]
	s_wait_alu 0xfffe
	v_cmp_gt_f64_e64 s0, s[0:1], v[37:38]
	s_delay_alu instid0(VALU_DEP_2) | instskip(SKIP_2) | instid1(VALU_DEP_3)
	v_add_f64_e64 v[37:38], v[39:40], -v[35:36]
	v_add_f64_e64 v[39:40], v[13:14], -v[39:40]
	s_wait_alu 0xf1ff
	v_subrev_co_ci_u32_e64 v0, null, 0, v0, s0
	s_delay_alu instid0(VALU_DEP_3) | instskip(SKIP_1) | instid1(VALU_DEP_2)
	v_add_f64_e32 v[37:38], 1.0, v[37:38]
	s_mov_b32 s0, 0x55555780
	v_sub_nc_u32_e32 v43, 0, v0
	s_delay_alu instid0(VALU_DEP_1) | instskip(NEXT) | instid1(VALU_DEP_3)
	v_ldexp_f64 v[35:36], v[35:36], v43
	v_add_f64_e32 v[37:38], v[39:40], v[37:38]
	s_delay_alu instid0(VALU_DEP_2) | instskip(SKIP_1) | instid1(VALU_DEP_3)
	v_add_f64_e32 v[41:42], 1.0, v[35:36]
	v_add_f64_e32 v[47:48], -1.0, v[35:36]
	v_ldexp_f64 v[37:38], v[37:38], v43
	s_delay_alu instid0(VALU_DEP_3) | instskip(NEXT) | instid1(VALU_DEP_3)
	v_add_f64_e32 v[39:40], -1.0, v[41:42]
	v_add_f64_e32 v[49:50], 1.0, v[47:48]
	s_delay_alu instid0(VALU_DEP_2) | instskip(NEXT) | instid1(VALU_DEP_2)
	v_add_f64_e64 v[39:40], v[35:36], -v[39:40]
	v_add_f64_e64 v[35:36], v[35:36], -v[49:50]
	s_delay_alu instid0(VALU_DEP_2) | instskip(NEXT) | instid1(VALU_DEP_2)
	v_add_f64_e32 v[39:40], v[37:38], v[39:40]
	v_add_f64_e32 v[35:36], v[37:38], v[35:36]
	s_delay_alu instid0(VALU_DEP_2) | instskip(NEXT) | instid1(VALU_DEP_2)
	v_add_f64_e32 v[43:44], v[41:42], v[39:40]
	v_add_f64_e32 v[49:50], v[47:48], v[35:36]
	s_delay_alu instid0(VALU_DEP_2) | instskip(SKIP_1) | instid1(VALU_DEP_2)
	v_rcp_f64_e32 v[45:46], v[43:44]
	v_add_f64_e64 v[41:42], v[43:44], -v[41:42]
	v_add_f64_e64 v[47:48], v[49:50], -v[47:48]
	s_delay_alu instid0(VALU_DEP_2) | instskip(NEXT) | instid1(TRANS32_DEP_1)
	v_add_f64_e64 v[39:40], v[39:40], -v[41:42]
	v_fma_f64 v[51:52], -v[43:44], v[45:46], 1.0
	s_delay_alu instid0(VALU_DEP_3) | instskip(NEXT) | instid1(VALU_DEP_2)
	v_add_f64_e64 v[35:36], v[35:36], -v[47:48]
	v_fma_f64 v[45:46], v[51:52], v[45:46], v[45:46]
	s_delay_alu instid0(VALU_DEP_1) | instskip(NEXT) | instid1(VALU_DEP_1)
	v_fma_f64 v[37:38], -v[43:44], v[45:46], 1.0
	v_fma_f64 v[37:38], v[37:38], v[45:46], v[45:46]
	s_delay_alu instid0(VALU_DEP_1) | instskip(NEXT) | instid1(VALU_DEP_1)
	v_mul_f64_e32 v[45:46], v[49:50], v[37:38]
	v_mul_f64_e32 v[51:52], v[43:44], v[45:46]
	s_delay_alu instid0(VALU_DEP_1) | instskip(NEXT) | instid1(VALU_DEP_1)
	v_fma_f64 v[41:42], v[45:46], v[43:44], -v[51:52]
	v_fma_f64 v[41:42], v[45:46], v[39:40], v[41:42]
	s_delay_alu instid0(VALU_DEP_1) | instskip(NEXT) | instid1(VALU_DEP_1)
	v_add_f64_e32 v[63:64], v[51:52], v[41:42]
	v_add_f64_e64 v[65:66], v[49:50], -v[63:64]
	v_add_f64_e64 v[47:48], v[63:64], -v[51:52]
	s_delay_alu instid0(VALU_DEP_2) | instskip(NEXT) | instid1(VALU_DEP_2)
	v_add_f64_e64 v[49:50], v[49:50], -v[65:66]
	v_add_f64_e64 v[41:42], v[47:48], -v[41:42]
	s_delay_alu instid0(VALU_DEP_2) | instskip(NEXT) | instid1(VALU_DEP_1)
	v_add_f64_e64 v[49:50], v[49:50], -v[63:64]
	v_add_f64_e32 v[35:36], v[35:36], v[49:50]
	s_delay_alu instid0(VALU_DEP_1) | instskip(NEXT) | instid1(VALU_DEP_1)
	v_add_f64_e32 v[35:36], v[41:42], v[35:36]
	v_add_f64_e32 v[41:42], v[65:66], v[35:36]
	s_delay_alu instid0(VALU_DEP_1) | instskip(SKIP_1) | instid1(VALU_DEP_2)
	v_mul_f64_e32 v[47:48], v[37:38], v[41:42]
	v_add_f64_e64 v[63:64], v[65:66], -v[41:42]
	v_mul_f64_e32 v[49:50], v[43:44], v[47:48]
	s_delay_alu instid0(VALU_DEP_2) | instskip(NEXT) | instid1(VALU_DEP_2)
	v_add_f64_e32 v[35:36], v[35:36], v[63:64]
	v_fma_f64 v[43:44], v[47:48], v[43:44], -v[49:50]
	s_delay_alu instid0(VALU_DEP_1) | instskip(NEXT) | instid1(VALU_DEP_1)
	v_fma_f64 v[39:40], v[47:48], v[39:40], v[43:44]
	v_add_f64_e32 v[43:44], v[49:50], v[39:40]
	s_delay_alu instid0(VALU_DEP_1) | instskip(SKIP_1) | instid1(VALU_DEP_2)
	v_add_f64_e64 v[51:52], v[41:42], -v[43:44]
	v_add_f64_e64 v[49:50], v[43:44], -v[49:50]
	;; [unrolled: 1-line block ×3, first 2 shown]
	s_delay_alu instid0(VALU_DEP_2) | instskip(NEXT) | instid1(VALU_DEP_2)
	v_add_f64_e64 v[39:40], v[49:50], -v[39:40]
	v_add_f64_e64 v[41:42], v[41:42], -v[43:44]
	s_delay_alu instid0(VALU_DEP_1) | instskip(SKIP_1) | instid1(VALU_DEP_2)
	v_add_f64_e32 v[35:36], v[35:36], v[41:42]
	v_add_f64_e32 v[41:42], v[45:46], v[47:48]
	;; [unrolled: 1-line block ×3, first 2 shown]
	s_delay_alu instid0(VALU_DEP_2) | instskip(NEXT) | instid1(VALU_DEP_2)
	v_add_f64_e64 v[39:40], v[41:42], -v[45:46]
	v_add_f64_e32 v[35:36], v[51:52], v[35:36]
	s_delay_alu instid0(VALU_DEP_2) | instskip(NEXT) | instid1(VALU_DEP_2)
	v_add_f64_e64 v[39:40], v[47:48], -v[39:40]
	v_mul_f64_e32 v[35:36], v[37:38], v[35:36]
	s_delay_alu instid0(VALU_DEP_1) | instskip(NEXT) | instid1(VALU_DEP_1)
	v_add_f64_e32 v[35:36], v[39:40], v[35:36]
	v_add_f64_e32 v[37:38], v[41:42], v[35:36]
	s_delay_alu instid0(VALU_DEP_1) | instskip(NEXT) | instid1(VALU_DEP_1)
	v_mul_f64_e32 v[39:40], v[37:38], v[37:38]
	v_fma_f64 v[43:44], v[39:40], s[34:35], s[24:25]
	s_mov_b32 s24, 0xd7f4df2e
	s_mov_b32 s25, 0x3fc7474d
	v_mul_f64_e32 v[45:46], v[37:38], v[39:40]
	s_wait_alu 0xfffe
	s_delay_alu instid0(VALU_DEP_2) | instskip(SKIP_3) | instid1(VALU_DEP_1)
	v_fma_f64 v[43:44], v[39:40], v[43:44], s[24:25]
	s_mov_b32 s24, 0x16291751
	s_mov_b32 s25, 0x3fcc71c0
	s_wait_alu 0xfffe
	v_fma_f64 v[43:44], v[39:40], v[43:44], s[24:25]
	s_mov_b32 s24, 0x9b27acf1
	s_mov_b32 s25, 0x3fd24924
	s_wait_alu 0xfffe
	s_delay_alu instid0(VALU_DEP_1) | instskip(SKIP_3) | instid1(VALU_DEP_1)
	v_fma_f64 v[43:44], v[39:40], v[43:44], s[24:25]
	s_mov_b32 s24, 0x998ef7b6
	s_mov_b32 s25, 0x3fd99999
	s_wait_alu 0xfffe
	v_fma_f64 v[43:44], v[39:40], v[43:44], s[24:25]
	s_delay_alu instid0(VALU_DEP_1)
	v_fma_f64 v[39:40], v[39:40], v[43:44], s[0:1]
	v_ldexp_f64 v[43:44], v[37:38], 1
	v_add_f64_e64 v[37:38], v[37:38], -v[41:42]
	v_cmp_nge_f64_e64 s0, -1.0, v[13:14]
	v_cmp_neq_f64_e64 s1, 0x7ff00000, v[13:14]
	v_mul_f64_e32 v[39:40], v[45:46], v[39:40]
	v_cvt_f64_i32_e32 v[45:46], v0
	v_add_f64_e64 v[35:36], v[35:36], -v[37:38]
	s_and_b32 s0, s0, s1
	s_delay_alu instid0(VALU_DEP_3) | instskip(NEXT) | instid1(VALU_DEP_3)
	v_add_f64_e32 v[41:42], v[43:44], v[39:40]
	v_mul_f64_e32 v[47:48], s[18:19], v[45:46]
	s_delay_alu instid0(VALU_DEP_3) | instskip(NEXT) | instid1(VALU_DEP_3)
	v_ldexp_f64 v[35:36], v[35:36], 1
	v_add_f64_e64 v[37:38], v[41:42], -v[43:44]
	s_delay_alu instid0(VALU_DEP_3) | instskip(NEXT) | instid1(VALU_DEP_2)
	v_fma_f64 v[43:44], v[45:46], s[18:19], -v[47:48]
	v_add_f64_e64 v[37:38], v[39:40], -v[37:38]
	s_delay_alu instid0(VALU_DEP_2) | instskip(NEXT) | instid1(VALU_DEP_2)
	v_fma_f64 v[39:40], v[45:46], s[20:21], v[43:44]
	v_add_f64_e32 v[35:36], v[35:36], v[37:38]
	s_delay_alu instid0(VALU_DEP_2) | instskip(NEXT) | instid1(VALU_DEP_2)
	v_add_f64_e32 v[37:38], v[47:48], v[39:40]
	v_add_f64_e32 v[43:44], v[41:42], v[35:36]
	s_delay_alu instid0(VALU_DEP_2) | instskip(NEXT) | instid1(VALU_DEP_2)
	v_add_f64_e64 v[47:48], v[37:38], -v[47:48]
	v_add_f64_e32 v[45:46], v[37:38], v[43:44]
	v_add_f64_e64 v[41:42], v[43:44], -v[41:42]
	s_delay_alu instid0(VALU_DEP_3) | instskip(NEXT) | instid1(VALU_DEP_3)
	v_add_f64_e64 v[39:40], v[39:40], -v[47:48]
	v_add_f64_e64 v[49:50], v[45:46], -v[37:38]
	s_delay_alu instid0(VALU_DEP_3) | instskip(NEXT) | instid1(VALU_DEP_2)
	v_add_f64_e64 v[35:36], v[35:36], -v[41:42]
	v_add_f64_e64 v[51:52], v[45:46], -v[49:50]
	;; [unrolled: 1-line block ×3, first 2 shown]
	s_delay_alu instid0(VALU_DEP_3) | instskip(NEXT) | instid1(VALU_DEP_3)
	v_add_f64_e32 v[43:44], v[39:40], v[35:36]
	v_add_f64_e64 v[37:38], v[37:38], -v[51:52]
	s_delay_alu instid0(VALU_DEP_1) | instskip(NEXT) | instid1(VALU_DEP_3)
	v_add_f64_e32 v[37:38], v[41:42], v[37:38]
	v_add_f64_e64 v[41:42], v[43:44], -v[39:40]
	s_delay_alu instid0(VALU_DEP_2) | instskip(NEXT) | instid1(VALU_DEP_2)
	v_add_f64_e32 v[37:38], v[43:44], v[37:38]
	v_add_f64_e64 v[43:44], v[43:44], -v[41:42]
	v_add_f64_e64 v[35:36], v[35:36], -v[41:42]
	s_delay_alu instid0(VALU_DEP_3) | instskip(NEXT) | instid1(VALU_DEP_3)
	v_add_f64_e32 v[47:48], v[45:46], v[37:38]
	v_add_f64_e64 v[39:40], v[39:40], -v[43:44]
	s_delay_alu instid0(VALU_DEP_2) | instskip(NEXT) | instid1(VALU_DEP_2)
	v_add_f64_e64 v[41:42], v[47:48], -v[45:46]
	v_add_f64_e32 v[35:36], v[35:36], v[39:40]
	s_delay_alu instid0(VALU_DEP_2) | instskip(NEXT) | instid1(VALU_DEP_1)
	v_add_f64_e64 v[37:38], v[37:38], -v[41:42]
	v_add_f64_e32 v[35:36], v[35:36], v[37:38]
	s_delay_alu instid0(VALU_DEP_1) | instskip(SKIP_1) | instid1(VALU_DEP_1)
	v_add_f64_e32 v[35:36], v[47:48], v[35:36]
	s_wait_alu 0xfffe
	v_cndmask_b32_e64 v35, 0, v35, s0
	v_cmp_neq_f64_e64 s0, -1.0, v[13:14]
	s_delay_alu instid0(VALU_DEP_3) | instskip(NEXT) | instid1(VALU_DEP_1)
	v_cndmask_b32_e64 v0, 0x7ff00000, v36, s1
	v_cndmask_b32_e64 v0, 0x7ff80000, v0, s17
	s_wait_alu 0xf1ff
	s_delay_alu instid0(VALU_DEP_1) | instskip(NEXT) | instid1(VALU_DEP_1)
	v_cndmask_b32_e64 v36, 0xfff00000, v0, s0
	v_add_f64_e32 v[13:14], v[33:34], v[35:36]
.LBB80_126:
	s_wait_alu 0xfffe
	s_or_b32 exec_lo, exec_lo, s22
	s_delay_alu instid0(VALU_DEP_1) | instskip(SKIP_1) | instid1(VALU_DEP_2)
	v_max_num_f64_e32 v[33:34], v[13:14], v[13:14]
	v_cmp_u_f64_e64 s0, v[13:14], v[13:14]
	v_min_num_f64_e32 v[35:36], v[33:34], v[53:54]
	v_max_num_f64_e32 v[33:34], v[33:34], v[53:54]
	s_wait_alu 0xf1ff
	s_delay_alu instid0(VALU_DEP_2) | instskip(NEXT) | instid1(VALU_DEP_3)
	v_cndmask_b32_e64 v0, v35, v13, s0
	v_cndmask_b32_e64 v35, v36, v14, s0
	s_delay_alu instid0(VALU_DEP_3) | instskip(NEXT) | instid1(VALU_DEP_4)
	v_cndmask_b32_e64 v34, v34, v14, s0
	v_cndmask_b32_e64 v33, v33, v13, s0
	s_delay_alu instid0(VALU_DEP_3) | instskip(SKIP_1) | instid1(VALU_DEP_4)
	v_cndmask_b32_e64 v36, v35, v16, s27
	v_cndmask_b32_e64 v35, v0, v15, s27
	;; [unrolled: 1-line block ×3, first 2 shown]
	s_delay_alu instid0(VALU_DEP_4) | instskip(SKIP_1) | instid1(VALU_DEP_4)
	v_cndmask_b32_e64 v33, v33, v15, s27
	v_dual_mov_b32 v16, v14 :: v_dual_mov_b32 v15, v13
	v_cmp_class_f64_e64 s1, v[35:36], 0x1f8
	s_delay_alu instid0(VALU_DEP_3)
	v_cmp_neq_f64_e64 s0, v[35:36], v[33:34]
	s_or_b32 s0, s0, s1
	s_wait_alu 0xfffe
	s_and_saveexec_b32 s22, s0
	s_cbranch_execz .LBB80_128
; %bb.127:
	v_add_f64_e64 v[15:16], v[35:36], -v[33:34]
	s_mov_b32 s0, 0x652b82fe
	s_mov_b32 s1, 0x3ff71547
	;; [unrolled: 1-line block ×10, first 2 shown]
	s_wait_alu 0xfffe
	s_delay_alu instid0(VALU_DEP_1) | instskip(SKIP_2) | instid1(VALU_DEP_1)
	v_mul_f64_e32 v[35:36], s[0:1], v[15:16]
	s_mov_b32 s0, 0xfca7ab0c
	s_mov_b32 s1, 0x3e928af3
	v_rndne_f64_e32 v[35:36], v[35:36]
	s_delay_alu instid0(VALU_DEP_1) | instskip(SKIP_2) | instid1(VALU_DEP_2)
	v_fma_f64 v[37:38], v[35:36], s[18:19], v[15:16]
	v_cvt_i32_f64_e32 v0, v[35:36]
	s_mov_b32 s19, 0x3fe62e42
	v_fma_f64 v[37:38], v[35:36], s[20:21], v[37:38]
	s_mov_b32 s21, 0x3c7abc9e
	s_wait_alu 0xfffe
	s_delay_alu instid0(VALU_DEP_1)
	v_fma_f64 v[39:40], v[37:38], s[24:25], s[0:1]
	s_mov_b32 s0, 0x623fde64
	s_mov_b32 s1, 0x3ec71dee
	;; [unrolled: 1-line block ×4, first 2 shown]
	s_wait_alu 0xfffe
	s_delay_alu instid0(VALU_DEP_1) | instskip(SKIP_3) | instid1(VALU_DEP_1)
	v_fma_f64 v[39:40], v[37:38], v[39:40], s[0:1]
	s_mov_b32 s0, 0x7c89e6b0
	s_mov_b32 s1, 0x3efa0199
	s_wait_alu 0xfffe
	v_fma_f64 v[39:40], v[37:38], v[39:40], s[0:1]
	s_mov_b32 s0, 0x14761f6e
	s_mov_b32 s1, 0x3f2a01a0
	s_wait_alu 0xfffe
	s_delay_alu instid0(VALU_DEP_1) | instskip(SKIP_3) | instid1(VALU_DEP_1)
	v_fma_f64 v[39:40], v[37:38], v[39:40], s[0:1]
	s_mov_b32 s0, 0x1852b7b0
	s_mov_b32 s1, 0x3f56c16c
	s_wait_alu 0xfffe
	v_fma_f64 v[39:40], v[37:38], v[39:40], s[0:1]
	s_mov_b32 s0, 0x11122322
	s_mov_b32 s1, 0x3f811111
	;; [unrolled: 9-line block ×3, first 2 shown]
	s_wait_alu 0xfffe
	s_delay_alu instid0(VALU_DEP_1) | instskip(SKIP_3) | instid1(VALU_DEP_1)
	v_fma_f64 v[39:40], v[37:38], v[39:40], s[0:1]
	s_mov_b32 s0, 11
	s_mov_b32 s1, 0x3fe00000
	s_wait_alu 0xfffe
	v_fma_f64 v[39:40], v[37:38], v[39:40], s[0:1]
	v_cmp_nlt_f64_e64 s0, 0x40900000, v[15:16]
	v_cmp_ngt_f64_e64 s1, 0xc090cc00, v[15:16]
	s_delay_alu instid0(VALU_DEP_3) | instskip(NEXT) | instid1(VALU_DEP_1)
	v_fma_f64 v[39:40], v[37:38], v[39:40], 1.0
	v_fma_f64 v[35:36], v[37:38], v[39:40], 1.0
	s_delay_alu instid0(VALU_DEP_1) | instskip(SKIP_1) | instid1(VALU_DEP_1)
	v_ldexp_f64 v[35:36], v[35:36], v0
	s_wait_alu 0xf1ff
	v_cndmask_b32_e64 v0, 0x7ff00000, v36, s0
	s_and_b32 s0, s1, s0
	s_wait_alu 0xfffe
	s_delay_alu instid0(VALU_DEP_2) | instskip(SKIP_3) | instid1(VALU_DEP_1)
	v_cndmask_b32_e64 v15, 0, v35, s0
	s_mov_b32 s0, 0x55555555
	v_cndmask_b32_e64 v16, 0, v0, s1
	s_mov_b32 s1, 0x3fe55555
	v_add_f64_e32 v[35:36], 1.0, v[15:16]
	v_cmp_ngt_f64_e64 s17, -1.0, v[15:16]
	s_delay_alu instid0(VALU_DEP_2) | instskip(SKIP_3) | instid1(VALU_DEP_3)
	v_frexp_mant_f64_e32 v[37:38], v[35:36]
	v_frexp_exp_i32_f64_e32 v0, v[35:36]
	v_add_f64_e32 v[39:40], -1.0, v[35:36]
	s_wait_alu 0xfffe
	v_cmp_gt_f64_e64 s0, s[0:1], v[37:38]
	s_delay_alu instid0(VALU_DEP_2) | instskip(SKIP_2) | instid1(VALU_DEP_3)
	v_add_f64_e64 v[37:38], v[39:40], -v[35:36]
	v_add_f64_e64 v[39:40], v[15:16], -v[39:40]
	s_wait_alu 0xf1ff
	v_subrev_co_ci_u32_e64 v0, null, 0, v0, s0
	s_delay_alu instid0(VALU_DEP_3) | instskip(SKIP_1) | instid1(VALU_DEP_2)
	v_add_f64_e32 v[37:38], 1.0, v[37:38]
	s_mov_b32 s0, 0x55555780
	v_sub_nc_u32_e32 v43, 0, v0
	s_delay_alu instid0(VALU_DEP_1) | instskip(NEXT) | instid1(VALU_DEP_3)
	v_ldexp_f64 v[35:36], v[35:36], v43
	v_add_f64_e32 v[37:38], v[39:40], v[37:38]
	s_delay_alu instid0(VALU_DEP_2) | instskip(SKIP_1) | instid1(VALU_DEP_3)
	v_add_f64_e32 v[41:42], 1.0, v[35:36]
	v_add_f64_e32 v[47:48], -1.0, v[35:36]
	v_ldexp_f64 v[37:38], v[37:38], v43
	s_delay_alu instid0(VALU_DEP_3) | instskip(NEXT) | instid1(VALU_DEP_3)
	v_add_f64_e32 v[39:40], -1.0, v[41:42]
	v_add_f64_e32 v[49:50], 1.0, v[47:48]
	s_delay_alu instid0(VALU_DEP_2) | instskip(NEXT) | instid1(VALU_DEP_2)
	v_add_f64_e64 v[39:40], v[35:36], -v[39:40]
	v_add_f64_e64 v[35:36], v[35:36], -v[49:50]
	s_delay_alu instid0(VALU_DEP_2) | instskip(NEXT) | instid1(VALU_DEP_2)
	v_add_f64_e32 v[39:40], v[37:38], v[39:40]
	v_add_f64_e32 v[35:36], v[37:38], v[35:36]
	s_delay_alu instid0(VALU_DEP_2) | instskip(NEXT) | instid1(VALU_DEP_2)
	v_add_f64_e32 v[43:44], v[41:42], v[39:40]
	v_add_f64_e32 v[49:50], v[47:48], v[35:36]
	s_delay_alu instid0(VALU_DEP_2) | instskip(SKIP_1) | instid1(VALU_DEP_2)
	v_rcp_f64_e32 v[45:46], v[43:44]
	v_add_f64_e64 v[41:42], v[43:44], -v[41:42]
	v_add_f64_e64 v[47:48], v[49:50], -v[47:48]
	s_delay_alu instid0(VALU_DEP_2) | instskip(NEXT) | instid1(TRANS32_DEP_1)
	v_add_f64_e64 v[39:40], v[39:40], -v[41:42]
	v_fma_f64 v[51:52], -v[43:44], v[45:46], 1.0
	s_delay_alu instid0(VALU_DEP_3) | instskip(NEXT) | instid1(VALU_DEP_2)
	v_add_f64_e64 v[35:36], v[35:36], -v[47:48]
	v_fma_f64 v[45:46], v[51:52], v[45:46], v[45:46]
	s_delay_alu instid0(VALU_DEP_1) | instskip(NEXT) | instid1(VALU_DEP_1)
	v_fma_f64 v[37:38], -v[43:44], v[45:46], 1.0
	v_fma_f64 v[37:38], v[37:38], v[45:46], v[45:46]
	s_delay_alu instid0(VALU_DEP_1) | instskip(NEXT) | instid1(VALU_DEP_1)
	v_mul_f64_e32 v[45:46], v[49:50], v[37:38]
	v_mul_f64_e32 v[51:52], v[43:44], v[45:46]
	s_delay_alu instid0(VALU_DEP_1) | instskip(NEXT) | instid1(VALU_DEP_1)
	v_fma_f64 v[41:42], v[45:46], v[43:44], -v[51:52]
	v_fma_f64 v[41:42], v[45:46], v[39:40], v[41:42]
	s_delay_alu instid0(VALU_DEP_1) | instskip(NEXT) | instid1(VALU_DEP_1)
	v_add_f64_e32 v[53:54], v[51:52], v[41:42]
	v_add_f64_e64 v[63:64], v[49:50], -v[53:54]
	v_add_f64_e64 v[47:48], v[53:54], -v[51:52]
	s_delay_alu instid0(VALU_DEP_2) | instskip(NEXT) | instid1(VALU_DEP_2)
	v_add_f64_e64 v[49:50], v[49:50], -v[63:64]
	v_add_f64_e64 v[41:42], v[47:48], -v[41:42]
	s_delay_alu instid0(VALU_DEP_2) | instskip(NEXT) | instid1(VALU_DEP_1)
	v_add_f64_e64 v[49:50], v[49:50], -v[53:54]
	v_add_f64_e32 v[35:36], v[35:36], v[49:50]
	s_delay_alu instid0(VALU_DEP_1) | instskip(NEXT) | instid1(VALU_DEP_1)
	v_add_f64_e32 v[35:36], v[41:42], v[35:36]
	v_add_f64_e32 v[41:42], v[63:64], v[35:36]
	s_delay_alu instid0(VALU_DEP_1) | instskip(SKIP_1) | instid1(VALU_DEP_2)
	v_mul_f64_e32 v[47:48], v[37:38], v[41:42]
	v_add_f64_e64 v[53:54], v[63:64], -v[41:42]
	v_mul_f64_e32 v[49:50], v[43:44], v[47:48]
	s_delay_alu instid0(VALU_DEP_2) | instskip(NEXT) | instid1(VALU_DEP_2)
	v_add_f64_e32 v[35:36], v[35:36], v[53:54]
	v_fma_f64 v[43:44], v[47:48], v[43:44], -v[49:50]
	s_delay_alu instid0(VALU_DEP_1) | instskip(NEXT) | instid1(VALU_DEP_1)
	v_fma_f64 v[39:40], v[47:48], v[39:40], v[43:44]
	v_add_f64_e32 v[43:44], v[49:50], v[39:40]
	s_delay_alu instid0(VALU_DEP_1) | instskip(SKIP_1) | instid1(VALU_DEP_2)
	v_add_f64_e64 v[51:52], v[41:42], -v[43:44]
	v_add_f64_e64 v[49:50], v[43:44], -v[49:50]
	;; [unrolled: 1-line block ×3, first 2 shown]
	s_delay_alu instid0(VALU_DEP_2) | instskip(NEXT) | instid1(VALU_DEP_2)
	v_add_f64_e64 v[39:40], v[49:50], -v[39:40]
	v_add_f64_e64 v[41:42], v[41:42], -v[43:44]
	s_delay_alu instid0(VALU_DEP_1) | instskip(SKIP_1) | instid1(VALU_DEP_2)
	v_add_f64_e32 v[35:36], v[35:36], v[41:42]
	v_add_f64_e32 v[41:42], v[45:46], v[47:48]
	;; [unrolled: 1-line block ×3, first 2 shown]
	s_delay_alu instid0(VALU_DEP_2) | instskip(NEXT) | instid1(VALU_DEP_2)
	v_add_f64_e64 v[39:40], v[41:42], -v[45:46]
	v_add_f64_e32 v[35:36], v[51:52], v[35:36]
	s_delay_alu instid0(VALU_DEP_2) | instskip(NEXT) | instid1(VALU_DEP_2)
	v_add_f64_e64 v[39:40], v[47:48], -v[39:40]
	v_mul_f64_e32 v[35:36], v[37:38], v[35:36]
	s_delay_alu instid0(VALU_DEP_1) | instskip(NEXT) | instid1(VALU_DEP_1)
	v_add_f64_e32 v[35:36], v[39:40], v[35:36]
	v_add_f64_e32 v[37:38], v[41:42], v[35:36]
	s_delay_alu instid0(VALU_DEP_1) | instskip(NEXT) | instid1(VALU_DEP_1)
	v_mul_f64_e32 v[39:40], v[37:38], v[37:38]
	v_fma_f64 v[43:44], v[39:40], s[26:27], s[24:25]
	s_mov_b32 s24, 0xd7f4df2e
	s_mov_b32 s25, 0x3fc7474d
	v_mul_f64_e32 v[45:46], v[37:38], v[39:40]
	s_wait_alu 0xfffe
	s_delay_alu instid0(VALU_DEP_2) | instskip(SKIP_3) | instid1(VALU_DEP_1)
	v_fma_f64 v[43:44], v[39:40], v[43:44], s[24:25]
	s_mov_b32 s24, 0x16291751
	s_mov_b32 s25, 0x3fcc71c0
	s_wait_alu 0xfffe
	v_fma_f64 v[43:44], v[39:40], v[43:44], s[24:25]
	s_mov_b32 s24, 0x9b27acf1
	s_mov_b32 s25, 0x3fd24924
	s_wait_alu 0xfffe
	s_delay_alu instid0(VALU_DEP_1) | instskip(SKIP_3) | instid1(VALU_DEP_1)
	v_fma_f64 v[43:44], v[39:40], v[43:44], s[24:25]
	s_mov_b32 s24, 0x998ef7b6
	s_mov_b32 s25, 0x3fd99999
	s_wait_alu 0xfffe
	v_fma_f64 v[43:44], v[39:40], v[43:44], s[24:25]
	s_delay_alu instid0(VALU_DEP_1)
	v_fma_f64 v[39:40], v[39:40], v[43:44], s[0:1]
	v_ldexp_f64 v[43:44], v[37:38], 1
	v_add_f64_e64 v[37:38], v[37:38], -v[41:42]
	v_cmp_nge_f64_e64 s0, -1.0, v[15:16]
	v_cmp_neq_f64_e64 s1, 0x7ff00000, v[15:16]
	v_mul_f64_e32 v[39:40], v[45:46], v[39:40]
	v_cvt_f64_i32_e32 v[45:46], v0
	v_add_f64_e64 v[35:36], v[35:36], -v[37:38]
	s_and_b32 s0, s0, s1
	s_delay_alu instid0(VALU_DEP_3) | instskip(NEXT) | instid1(VALU_DEP_3)
	v_add_f64_e32 v[41:42], v[43:44], v[39:40]
	v_mul_f64_e32 v[47:48], s[18:19], v[45:46]
	s_delay_alu instid0(VALU_DEP_3) | instskip(NEXT) | instid1(VALU_DEP_3)
	v_ldexp_f64 v[35:36], v[35:36], 1
	v_add_f64_e64 v[37:38], v[41:42], -v[43:44]
	s_delay_alu instid0(VALU_DEP_3) | instskip(NEXT) | instid1(VALU_DEP_2)
	v_fma_f64 v[43:44], v[45:46], s[18:19], -v[47:48]
	v_add_f64_e64 v[37:38], v[39:40], -v[37:38]
	s_delay_alu instid0(VALU_DEP_2) | instskip(NEXT) | instid1(VALU_DEP_2)
	v_fma_f64 v[39:40], v[45:46], s[20:21], v[43:44]
	v_add_f64_e32 v[35:36], v[35:36], v[37:38]
	s_delay_alu instid0(VALU_DEP_2) | instskip(NEXT) | instid1(VALU_DEP_2)
	v_add_f64_e32 v[37:38], v[47:48], v[39:40]
	v_add_f64_e32 v[43:44], v[41:42], v[35:36]
	s_delay_alu instid0(VALU_DEP_2) | instskip(NEXT) | instid1(VALU_DEP_2)
	v_add_f64_e64 v[47:48], v[37:38], -v[47:48]
	v_add_f64_e32 v[45:46], v[37:38], v[43:44]
	v_add_f64_e64 v[41:42], v[43:44], -v[41:42]
	s_delay_alu instid0(VALU_DEP_3) | instskip(NEXT) | instid1(VALU_DEP_3)
	v_add_f64_e64 v[39:40], v[39:40], -v[47:48]
	v_add_f64_e64 v[49:50], v[45:46], -v[37:38]
	s_delay_alu instid0(VALU_DEP_3) | instskip(NEXT) | instid1(VALU_DEP_2)
	v_add_f64_e64 v[35:36], v[35:36], -v[41:42]
	v_add_f64_e64 v[51:52], v[45:46], -v[49:50]
	;; [unrolled: 1-line block ×3, first 2 shown]
	s_delay_alu instid0(VALU_DEP_3) | instskip(NEXT) | instid1(VALU_DEP_3)
	v_add_f64_e32 v[43:44], v[39:40], v[35:36]
	v_add_f64_e64 v[37:38], v[37:38], -v[51:52]
	s_delay_alu instid0(VALU_DEP_1) | instskip(NEXT) | instid1(VALU_DEP_3)
	v_add_f64_e32 v[37:38], v[41:42], v[37:38]
	v_add_f64_e64 v[41:42], v[43:44], -v[39:40]
	s_delay_alu instid0(VALU_DEP_2) | instskip(NEXT) | instid1(VALU_DEP_2)
	v_add_f64_e32 v[37:38], v[43:44], v[37:38]
	v_add_f64_e64 v[43:44], v[43:44], -v[41:42]
	v_add_f64_e64 v[35:36], v[35:36], -v[41:42]
	s_delay_alu instid0(VALU_DEP_3) | instskip(NEXT) | instid1(VALU_DEP_3)
	v_add_f64_e32 v[47:48], v[45:46], v[37:38]
	v_add_f64_e64 v[39:40], v[39:40], -v[43:44]
	s_delay_alu instid0(VALU_DEP_2) | instskip(NEXT) | instid1(VALU_DEP_2)
	v_add_f64_e64 v[41:42], v[47:48], -v[45:46]
	v_add_f64_e32 v[35:36], v[35:36], v[39:40]
	s_delay_alu instid0(VALU_DEP_2) | instskip(NEXT) | instid1(VALU_DEP_1)
	v_add_f64_e64 v[37:38], v[37:38], -v[41:42]
	v_add_f64_e32 v[35:36], v[35:36], v[37:38]
	s_delay_alu instid0(VALU_DEP_1) | instskip(SKIP_1) | instid1(VALU_DEP_1)
	v_add_f64_e32 v[35:36], v[47:48], v[35:36]
	s_wait_alu 0xfffe
	v_cndmask_b32_e64 v35, 0, v35, s0
	v_cmp_neq_f64_e64 s0, -1.0, v[15:16]
	s_delay_alu instid0(VALU_DEP_3) | instskip(NEXT) | instid1(VALU_DEP_1)
	v_cndmask_b32_e64 v0, 0x7ff00000, v36, s1
	v_cndmask_b32_e64 v0, 0x7ff80000, v0, s17
	s_wait_alu 0xf1ff
	s_delay_alu instid0(VALU_DEP_1) | instskip(NEXT) | instid1(VALU_DEP_1)
	v_cndmask_b32_e64 v36, 0xfff00000, v0, s0
	v_add_f64_e32 v[15:16], v[33:34], v[35:36]
.LBB80_128:
	s_wait_alu 0xfffe
	s_or_b32 exec_lo, exec_lo, s22
	s_delay_alu instid0(VALU_DEP_1) | instskip(SKIP_1) | instid1(VALU_DEP_2)
	v_max_num_f64_e32 v[33:34], v[15:16], v[15:16]
	v_cmp_u_f64_e64 s0, v[15:16], v[15:16]
	v_min_num_f64_e32 v[35:36], v[33:34], v[55:56]
	v_max_num_f64_e32 v[33:34], v[33:34], v[55:56]
	s_wait_alu 0xf1ff
	s_delay_alu instid0(VALU_DEP_2) | instskip(NEXT) | instid1(VALU_DEP_3)
	v_cndmask_b32_e64 v0, v35, v15, s0
	v_cndmask_b32_e64 v35, v36, v16, s0
	s_delay_alu instid0(VALU_DEP_3) | instskip(NEXT) | instid1(VALU_DEP_4)
	v_cndmask_b32_e64 v34, v34, v16, s0
	v_cndmask_b32_e64 v33, v33, v15, s0
	s_delay_alu instid0(VALU_DEP_3) | instskip(SKIP_1) | instid1(VALU_DEP_4)
	v_cndmask_b32_e64 v36, v35, v10, s28
	v_cndmask_b32_e64 v35, v0, v9, s28
	;; [unrolled: 1-line block ×3, first 2 shown]
	s_delay_alu instid0(VALU_DEP_4) | instskip(SKIP_1) | instid1(VALU_DEP_4)
	v_cndmask_b32_e64 v33, v33, v9, s28
	v_dual_mov_b32 v9, v15 :: v_dual_mov_b32 v10, v16
	v_cmp_class_f64_e64 s1, v[35:36], 0x1f8
	s_delay_alu instid0(VALU_DEP_3)
	v_cmp_neq_f64_e64 s0, v[35:36], v[33:34]
	s_or_b32 s0, s0, s1
	s_wait_alu 0xfffe
	s_and_saveexec_b32 s22, s0
	s_cbranch_execz .LBB80_130
; %bb.129:
	v_add_f64_e64 v[9:10], v[35:36], -v[33:34]
	s_mov_b32 s0, 0x652b82fe
	s_mov_b32 s1, 0x3ff71547
	s_mov_b32 s19, 0xbfe62e42
	s_mov_b32 s18, 0xfefa39ef
	s_mov_b32 s21, 0xbc7abc9e
	s_mov_b32 s20, 0x3b39803f
	s_mov_b32 s24, 0x6a5dcb37
	s_mov_b32 s25, 0x3e5ade15
	s_mov_b32 s26, 0xbf559e2b
	s_mov_b32 s27, 0x3fc3ab76
	s_wait_alu 0xfffe
	s_delay_alu instid0(VALU_DEP_1) | instskip(SKIP_2) | instid1(VALU_DEP_1)
	v_mul_f64_e32 v[35:36], s[0:1], v[9:10]
	s_mov_b32 s0, 0xfca7ab0c
	s_mov_b32 s1, 0x3e928af3
	v_rndne_f64_e32 v[35:36], v[35:36]
	s_delay_alu instid0(VALU_DEP_1) | instskip(SKIP_2) | instid1(VALU_DEP_2)
	v_fma_f64 v[37:38], v[35:36], s[18:19], v[9:10]
	v_cvt_i32_f64_e32 v0, v[35:36]
	s_mov_b32 s19, 0x3fe62e42
	v_fma_f64 v[37:38], v[35:36], s[20:21], v[37:38]
	s_mov_b32 s21, 0x3c7abc9e
	s_wait_alu 0xfffe
	s_delay_alu instid0(VALU_DEP_1)
	v_fma_f64 v[39:40], v[37:38], s[24:25], s[0:1]
	s_mov_b32 s0, 0x623fde64
	s_mov_b32 s1, 0x3ec71dee
	;; [unrolled: 1-line block ×4, first 2 shown]
	s_wait_alu 0xfffe
	s_delay_alu instid0(VALU_DEP_1) | instskip(SKIP_3) | instid1(VALU_DEP_1)
	v_fma_f64 v[39:40], v[37:38], v[39:40], s[0:1]
	s_mov_b32 s0, 0x7c89e6b0
	s_mov_b32 s1, 0x3efa0199
	s_wait_alu 0xfffe
	v_fma_f64 v[39:40], v[37:38], v[39:40], s[0:1]
	s_mov_b32 s0, 0x14761f6e
	s_mov_b32 s1, 0x3f2a01a0
	s_wait_alu 0xfffe
	s_delay_alu instid0(VALU_DEP_1) | instskip(SKIP_3) | instid1(VALU_DEP_1)
	v_fma_f64 v[39:40], v[37:38], v[39:40], s[0:1]
	s_mov_b32 s0, 0x1852b7b0
	s_mov_b32 s1, 0x3f56c16c
	s_wait_alu 0xfffe
	v_fma_f64 v[39:40], v[37:38], v[39:40], s[0:1]
	s_mov_b32 s0, 0x11122322
	s_mov_b32 s1, 0x3f811111
	;; [unrolled: 9-line block ×3, first 2 shown]
	s_wait_alu 0xfffe
	s_delay_alu instid0(VALU_DEP_1) | instskip(SKIP_3) | instid1(VALU_DEP_1)
	v_fma_f64 v[39:40], v[37:38], v[39:40], s[0:1]
	s_mov_b32 s0, 11
	s_mov_b32 s1, 0x3fe00000
	s_wait_alu 0xfffe
	v_fma_f64 v[39:40], v[37:38], v[39:40], s[0:1]
	v_cmp_nlt_f64_e64 s0, 0x40900000, v[9:10]
	v_cmp_ngt_f64_e64 s1, 0xc090cc00, v[9:10]
	s_delay_alu instid0(VALU_DEP_3) | instskip(NEXT) | instid1(VALU_DEP_1)
	v_fma_f64 v[39:40], v[37:38], v[39:40], 1.0
	v_fma_f64 v[35:36], v[37:38], v[39:40], 1.0
	s_delay_alu instid0(VALU_DEP_1) | instskip(SKIP_1) | instid1(VALU_DEP_1)
	v_ldexp_f64 v[35:36], v[35:36], v0
	s_wait_alu 0xf1ff
	v_cndmask_b32_e64 v0, 0x7ff00000, v36, s0
	s_and_b32 s0, s1, s0
	s_wait_alu 0xfffe
	s_delay_alu instid0(VALU_DEP_2) | instskip(SKIP_3) | instid1(VALU_DEP_1)
	v_cndmask_b32_e64 v9, 0, v35, s0
	s_mov_b32 s0, 0x55555555
	v_cndmask_b32_e64 v10, 0, v0, s1
	s_mov_b32 s1, 0x3fe55555
	v_add_f64_e32 v[35:36], 1.0, v[9:10]
	v_cmp_ngt_f64_e64 s17, -1.0, v[9:10]
	s_delay_alu instid0(VALU_DEP_2) | instskip(SKIP_3) | instid1(VALU_DEP_3)
	v_frexp_mant_f64_e32 v[37:38], v[35:36]
	v_frexp_exp_i32_f64_e32 v0, v[35:36]
	v_add_f64_e32 v[39:40], -1.0, v[35:36]
	s_wait_alu 0xfffe
	v_cmp_gt_f64_e64 s0, s[0:1], v[37:38]
	s_delay_alu instid0(VALU_DEP_2) | instskip(SKIP_2) | instid1(VALU_DEP_3)
	v_add_f64_e64 v[37:38], v[39:40], -v[35:36]
	v_add_f64_e64 v[39:40], v[9:10], -v[39:40]
	s_wait_alu 0xf1ff
	v_subrev_co_ci_u32_e64 v0, null, 0, v0, s0
	s_delay_alu instid0(VALU_DEP_3) | instskip(SKIP_1) | instid1(VALU_DEP_2)
	v_add_f64_e32 v[37:38], 1.0, v[37:38]
	s_mov_b32 s0, 0x55555780
	v_sub_nc_u32_e32 v43, 0, v0
	s_delay_alu instid0(VALU_DEP_1) | instskip(NEXT) | instid1(VALU_DEP_3)
	v_ldexp_f64 v[35:36], v[35:36], v43
	v_add_f64_e32 v[37:38], v[39:40], v[37:38]
	s_delay_alu instid0(VALU_DEP_2) | instskip(SKIP_1) | instid1(VALU_DEP_3)
	v_add_f64_e32 v[41:42], 1.0, v[35:36]
	v_add_f64_e32 v[47:48], -1.0, v[35:36]
	v_ldexp_f64 v[37:38], v[37:38], v43
	s_delay_alu instid0(VALU_DEP_3) | instskip(NEXT) | instid1(VALU_DEP_3)
	v_add_f64_e32 v[39:40], -1.0, v[41:42]
	v_add_f64_e32 v[49:50], 1.0, v[47:48]
	s_delay_alu instid0(VALU_DEP_2) | instskip(NEXT) | instid1(VALU_DEP_2)
	v_add_f64_e64 v[39:40], v[35:36], -v[39:40]
	v_add_f64_e64 v[35:36], v[35:36], -v[49:50]
	s_delay_alu instid0(VALU_DEP_2) | instskip(NEXT) | instid1(VALU_DEP_2)
	v_add_f64_e32 v[39:40], v[37:38], v[39:40]
	v_add_f64_e32 v[35:36], v[37:38], v[35:36]
	s_delay_alu instid0(VALU_DEP_2) | instskip(NEXT) | instid1(VALU_DEP_2)
	v_add_f64_e32 v[43:44], v[41:42], v[39:40]
	v_add_f64_e32 v[49:50], v[47:48], v[35:36]
	s_delay_alu instid0(VALU_DEP_2) | instskip(SKIP_1) | instid1(VALU_DEP_2)
	v_rcp_f64_e32 v[45:46], v[43:44]
	v_add_f64_e64 v[41:42], v[43:44], -v[41:42]
	v_add_f64_e64 v[47:48], v[49:50], -v[47:48]
	s_delay_alu instid0(VALU_DEP_2) | instskip(NEXT) | instid1(TRANS32_DEP_1)
	v_add_f64_e64 v[39:40], v[39:40], -v[41:42]
	v_fma_f64 v[51:52], -v[43:44], v[45:46], 1.0
	s_delay_alu instid0(VALU_DEP_3) | instskip(NEXT) | instid1(VALU_DEP_2)
	v_add_f64_e64 v[35:36], v[35:36], -v[47:48]
	v_fma_f64 v[45:46], v[51:52], v[45:46], v[45:46]
	s_delay_alu instid0(VALU_DEP_1) | instskip(NEXT) | instid1(VALU_DEP_1)
	v_fma_f64 v[37:38], -v[43:44], v[45:46], 1.0
	v_fma_f64 v[37:38], v[37:38], v[45:46], v[45:46]
	s_delay_alu instid0(VALU_DEP_1) | instskip(NEXT) | instid1(VALU_DEP_1)
	v_mul_f64_e32 v[45:46], v[49:50], v[37:38]
	v_mul_f64_e32 v[51:52], v[43:44], v[45:46]
	s_delay_alu instid0(VALU_DEP_1) | instskip(NEXT) | instid1(VALU_DEP_1)
	v_fma_f64 v[41:42], v[45:46], v[43:44], -v[51:52]
	v_fma_f64 v[41:42], v[45:46], v[39:40], v[41:42]
	s_delay_alu instid0(VALU_DEP_1) | instskip(NEXT) | instid1(VALU_DEP_1)
	v_add_f64_e32 v[53:54], v[51:52], v[41:42]
	v_add_f64_e64 v[55:56], v[49:50], -v[53:54]
	v_add_f64_e64 v[47:48], v[53:54], -v[51:52]
	s_delay_alu instid0(VALU_DEP_2) | instskip(NEXT) | instid1(VALU_DEP_2)
	v_add_f64_e64 v[49:50], v[49:50], -v[55:56]
	v_add_f64_e64 v[41:42], v[47:48], -v[41:42]
	s_delay_alu instid0(VALU_DEP_2) | instskip(NEXT) | instid1(VALU_DEP_1)
	v_add_f64_e64 v[49:50], v[49:50], -v[53:54]
	v_add_f64_e32 v[35:36], v[35:36], v[49:50]
	s_delay_alu instid0(VALU_DEP_1) | instskip(NEXT) | instid1(VALU_DEP_1)
	v_add_f64_e32 v[35:36], v[41:42], v[35:36]
	v_add_f64_e32 v[41:42], v[55:56], v[35:36]
	s_delay_alu instid0(VALU_DEP_1) | instskip(SKIP_1) | instid1(VALU_DEP_2)
	v_mul_f64_e32 v[47:48], v[37:38], v[41:42]
	v_add_f64_e64 v[53:54], v[55:56], -v[41:42]
	v_mul_f64_e32 v[49:50], v[43:44], v[47:48]
	s_delay_alu instid0(VALU_DEP_2) | instskip(NEXT) | instid1(VALU_DEP_2)
	v_add_f64_e32 v[35:36], v[35:36], v[53:54]
	v_fma_f64 v[43:44], v[47:48], v[43:44], -v[49:50]
	s_delay_alu instid0(VALU_DEP_1) | instskip(NEXT) | instid1(VALU_DEP_1)
	v_fma_f64 v[39:40], v[47:48], v[39:40], v[43:44]
	v_add_f64_e32 v[43:44], v[49:50], v[39:40]
	s_delay_alu instid0(VALU_DEP_1) | instskip(SKIP_1) | instid1(VALU_DEP_2)
	v_add_f64_e64 v[51:52], v[41:42], -v[43:44]
	v_add_f64_e64 v[49:50], v[43:44], -v[49:50]
	;; [unrolled: 1-line block ×3, first 2 shown]
	s_delay_alu instid0(VALU_DEP_2) | instskip(NEXT) | instid1(VALU_DEP_2)
	v_add_f64_e64 v[39:40], v[49:50], -v[39:40]
	v_add_f64_e64 v[41:42], v[41:42], -v[43:44]
	s_delay_alu instid0(VALU_DEP_1) | instskip(SKIP_1) | instid1(VALU_DEP_2)
	v_add_f64_e32 v[35:36], v[35:36], v[41:42]
	v_add_f64_e32 v[41:42], v[45:46], v[47:48]
	;; [unrolled: 1-line block ×3, first 2 shown]
	s_delay_alu instid0(VALU_DEP_2) | instskip(NEXT) | instid1(VALU_DEP_2)
	v_add_f64_e64 v[39:40], v[41:42], -v[45:46]
	v_add_f64_e32 v[35:36], v[51:52], v[35:36]
	s_delay_alu instid0(VALU_DEP_2) | instskip(NEXT) | instid1(VALU_DEP_2)
	v_add_f64_e64 v[39:40], v[47:48], -v[39:40]
	v_mul_f64_e32 v[35:36], v[37:38], v[35:36]
	s_delay_alu instid0(VALU_DEP_1) | instskip(NEXT) | instid1(VALU_DEP_1)
	v_add_f64_e32 v[35:36], v[39:40], v[35:36]
	v_add_f64_e32 v[37:38], v[41:42], v[35:36]
	s_delay_alu instid0(VALU_DEP_1) | instskip(NEXT) | instid1(VALU_DEP_1)
	v_mul_f64_e32 v[39:40], v[37:38], v[37:38]
	v_fma_f64 v[43:44], v[39:40], s[26:27], s[24:25]
	s_mov_b32 s24, 0xd7f4df2e
	s_mov_b32 s25, 0x3fc7474d
	v_mul_f64_e32 v[45:46], v[37:38], v[39:40]
	s_wait_alu 0xfffe
	s_delay_alu instid0(VALU_DEP_2) | instskip(SKIP_3) | instid1(VALU_DEP_1)
	v_fma_f64 v[43:44], v[39:40], v[43:44], s[24:25]
	s_mov_b32 s24, 0x16291751
	s_mov_b32 s25, 0x3fcc71c0
	s_wait_alu 0xfffe
	v_fma_f64 v[43:44], v[39:40], v[43:44], s[24:25]
	s_mov_b32 s24, 0x9b27acf1
	s_mov_b32 s25, 0x3fd24924
	s_wait_alu 0xfffe
	s_delay_alu instid0(VALU_DEP_1) | instskip(SKIP_3) | instid1(VALU_DEP_1)
	v_fma_f64 v[43:44], v[39:40], v[43:44], s[24:25]
	s_mov_b32 s24, 0x998ef7b6
	s_mov_b32 s25, 0x3fd99999
	s_wait_alu 0xfffe
	v_fma_f64 v[43:44], v[39:40], v[43:44], s[24:25]
	s_delay_alu instid0(VALU_DEP_1)
	v_fma_f64 v[39:40], v[39:40], v[43:44], s[0:1]
	v_ldexp_f64 v[43:44], v[37:38], 1
	v_add_f64_e64 v[37:38], v[37:38], -v[41:42]
	v_cmp_nge_f64_e64 s0, -1.0, v[9:10]
	v_cmp_neq_f64_e64 s1, 0x7ff00000, v[9:10]
	v_mul_f64_e32 v[39:40], v[45:46], v[39:40]
	v_cvt_f64_i32_e32 v[45:46], v0
	v_add_f64_e64 v[35:36], v[35:36], -v[37:38]
	s_and_b32 s0, s0, s1
	s_delay_alu instid0(VALU_DEP_3) | instskip(NEXT) | instid1(VALU_DEP_3)
	v_add_f64_e32 v[41:42], v[43:44], v[39:40]
	v_mul_f64_e32 v[47:48], s[18:19], v[45:46]
	s_delay_alu instid0(VALU_DEP_3) | instskip(NEXT) | instid1(VALU_DEP_3)
	v_ldexp_f64 v[35:36], v[35:36], 1
	v_add_f64_e64 v[37:38], v[41:42], -v[43:44]
	s_delay_alu instid0(VALU_DEP_3) | instskip(NEXT) | instid1(VALU_DEP_2)
	v_fma_f64 v[43:44], v[45:46], s[18:19], -v[47:48]
	v_add_f64_e64 v[37:38], v[39:40], -v[37:38]
	s_delay_alu instid0(VALU_DEP_2) | instskip(NEXT) | instid1(VALU_DEP_2)
	v_fma_f64 v[39:40], v[45:46], s[20:21], v[43:44]
	v_add_f64_e32 v[35:36], v[35:36], v[37:38]
	s_delay_alu instid0(VALU_DEP_2) | instskip(NEXT) | instid1(VALU_DEP_2)
	v_add_f64_e32 v[37:38], v[47:48], v[39:40]
	v_add_f64_e32 v[43:44], v[41:42], v[35:36]
	s_delay_alu instid0(VALU_DEP_2) | instskip(NEXT) | instid1(VALU_DEP_2)
	v_add_f64_e64 v[47:48], v[37:38], -v[47:48]
	v_add_f64_e32 v[45:46], v[37:38], v[43:44]
	v_add_f64_e64 v[41:42], v[43:44], -v[41:42]
	s_delay_alu instid0(VALU_DEP_3) | instskip(NEXT) | instid1(VALU_DEP_3)
	v_add_f64_e64 v[39:40], v[39:40], -v[47:48]
	v_add_f64_e64 v[49:50], v[45:46], -v[37:38]
	s_delay_alu instid0(VALU_DEP_3) | instskip(NEXT) | instid1(VALU_DEP_2)
	v_add_f64_e64 v[35:36], v[35:36], -v[41:42]
	v_add_f64_e64 v[51:52], v[45:46], -v[49:50]
	;; [unrolled: 1-line block ×3, first 2 shown]
	s_delay_alu instid0(VALU_DEP_3) | instskip(NEXT) | instid1(VALU_DEP_3)
	v_add_f64_e32 v[43:44], v[39:40], v[35:36]
	v_add_f64_e64 v[37:38], v[37:38], -v[51:52]
	s_delay_alu instid0(VALU_DEP_1) | instskip(NEXT) | instid1(VALU_DEP_3)
	v_add_f64_e32 v[37:38], v[41:42], v[37:38]
	v_add_f64_e64 v[41:42], v[43:44], -v[39:40]
	s_delay_alu instid0(VALU_DEP_2) | instskip(NEXT) | instid1(VALU_DEP_2)
	v_add_f64_e32 v[37:38], v[43:44], v[37:38]
	v_add_f64_e64 v[43:44], v[43:44], -v[41:42]
	v_add_f64_e64 v[35:36], v[35:36], -v[41:42]
	s_delay_alu instid0(VALU_DEP_3) | instskip(NEXT) | instid1(VALU_DEP_3)
	v_add_f64_e32 v[47:48], v[45:46], v[37:38]
	v_add_f64_e64 v[39:40], v[39:40], -v[43:44]
	s_delay_alu instid0(VALU_DEP_2) | instskip(NEXT) | instid1(VALU_DEP_2)
	v_add_f64_e64 v[41:42], v[47:48], -v[45:46]
	v_add_f64_e32 v[35:36], v[35:36], v[39:40]
	s_delay_alu instid0(VALU_DEP_2) | instskip(NEXT) | instid1(VALU_DEP_1)
	v_add_f64_e64 v[37:38], v[37:38], -v[41:42]
	v_add_f64_e32 v[35:36], v[35:36], v[37:38]
	s_delay_alu instid0(VALU_DEP_1) | instskip(SKIP_1) | instid1(VALU_DEP_1)
	v_add_f64_e32 v[35:36], v[47:48], v[35:36]
	s_wait_alu 0xfffe
	v_cndmask_b32_e64 v35, 0, v35, s0
	v_cmp_neq_f64_e64 s0, -1.0, v[9:10]
	s_delay_alu instid0(VALU_DEP_3) | instskip(NEXT) | instid1(VALU_DEP_1)
	v_cndmask_b32_e64 v0, 0x7ff00000, v36, s1
	v_cndmask_b32_e64 v0, 0x7ff80000, v0, s17
	s_wait_alu 0xf1ff
	s_delay_alu instid0(VALU_DEP_1) | instskip(NEXT) | instid1(VALU_DEP_1)
	v_cndmask_b32_e64 v36, 0xfff00000, v0, s0
	v_add_f64_e32 v[9:10], v[33:34], v[35:36]
.LBB80_130:
	s_wait_alu 0xfffe
	s_or_b32 exec_lo, exec_lo, s22
	s_delay_alu instid0(VALU_DEP_1) | instskip(SKIP_1) | instid1(VALU_DEP_2)
	v_max_num_f64_e32 v[33:34], v[9:10], v[9:10]
	v_cmp_u_f64_e64 s0, v[9:10], v[9:10]
	v_min_num_f64_e32 v[35:36], v[33:34], v[57:58]
	v_max_num_f64_e32 v[33:34], v[33:34], v[57:58]
	s_wait_alu 0xf1ff
	s_delay_alu instid0(VALU_DEP_2) | instskip(NEXT) | instid1(VALU_DEP_3)
	v_cndmask_b32_e64 v0, v35, v9, s0
	v_cndmask_b32_e64 v35, v36, v10, s0
	s_delay_alu instid0(VALU_DEP_3) | instskip(NEXT) | instid1(VALU_DEP_4)
	v_cndmask_b32_e64 v34, v34, v10, s0
	v_cndmask_b32_e64 v33, v33, v9, s0
	s_delay_alu instid0(VALU_DEP_3) | instskip(SKIP_1) | instid1(VALU_DEP_4)
	v_cndmask_b32_e64 v36, v35, v12, s29
	v_cndmask_b32_e64 v35, v0, v11, s29
	;; [unrolled: 1-line block ×3, first 2 shown]
	s_delay_alu instid0(VALU_DEP_4) | instskip(SKIP_1) | instid1(VALU_DEP_4)
	v_cndmask_b32_e64 v33, v33, v11, s29
	v_dual_mov_b32 v12, v10 :: v_dual_mov_b32 v11, v9
	v_cmp_class_f64_e64 s1, v[35:36], 0x1f8
	s_delay_alu instid0(VALU_DEP_3)
	v_cmp_neq_f64_e64 s0, v[35:36], v[33:34]
	s_or_b32 s0, s0, s1
	s_wait_alu 0xfffe
	s_and_saveexec_b32 s22, s0
	s_cbranch_execz .LBB80_132
; %bb.131:
	v_add_f64_e64 v[11:12], v[35:36], -v[33:34]
	s_mov_b32 s0, 0x652b82fe
	s_mov_b32 s1, 0x3ff71547
	;; [unrolled: 1-line block ×10, first 2 shown]
	s_wait_alu 0xfffe
	s_delay_alu instid0(VALU_DEP_1) | instskip(SKIP_2) | instid1(VALU_DEP_1)
	v_mul_f64_e32 v[35:36], s[0:1], v[11:12]
	s_mov_b32 s0, 0xfca7ab0c
	s_mov_b32 s1, 0x3e928af3
	v_rndne_f64_e32 v[35:36], v[35:36]
	s_delay_alu instid0(VALU_DEP_1) | instskip(SKIP_2) | instid1(VALU_DEP_2)
	v_fma_f64 v[37:38], v[35:36], s[18:19], v[11:12]
	v_cvt_i32_f64_e32 v0, v[35:36]
	s_mov_b32 s19, 0x3fe62e42
	v_fma_f64 v[37:38], v[35:36], s[20:21], v[37:38]
	s_mov_b32 s21, 0x3c7abc9e
	s_wait_alu 0xfffe
	s_delay_alu instid0(VALU_DEP_1)
	v_fma_f64 v[39:40], v[37:38], s[24:25], s[0:1]
	s_mov_b32 s0, 0x623fde64
	s_mov_b32 s1, 0x3ec71dee
	;; [unrolled: 1-line block ×4, first 2 shown]
	s_wait_alu 0xfffe
	s_delay_alu instid0(VALU_DEP_1) | instskip(SKIP_3) | instid1(VALU_DEP_1)
	v_fma_f64 v[39:40], v[37:38], v[39:40], s[0:1]
	s_mov_b32 s0, 0x7c89e6b0
	s_mov_b32 s1, 0x3efa0199
	s_wait_alu 0xfffe
	v_fma_f64 v[39:40], v[37:38], v[39:40], s[0:1]
	s_mov_b32 s0, 0x14761f6e
	s_mov_b32 s1, 0x3f2a01a0
	s_wait_alu 0xfffe
	s_delay_alu instid0(VALU_DEP_1) | instskip(SKIP_3) | instid1(VALU_DEP_1)
	v_fma_f64 v[39:40], v[37:38], v[39:40], s[0:1]
	s_mov_b32 s0, 0x1852b7b0
	s_mov_b32 s1, 0x3f56c16c
	s_wait_alu 0xfffe
	v_fma_f64 v[39:40], v[37:38], v[39:40], s[0:1]
	s_mov_b32 s0, 0x11122322
	s_mov_b32 s1, 0x3f811111
	;; [unrolled: 9-line block ×3, first 2 shown]
	s_wait_alu 0xfffe
	s_delay_alu instid0(VALU_DEP_1) | instskip(SKIP_3) | instid1(VALU_DEP_1)
	v_fma_f64 v[39:40], v[37:38], v[39:40], s[0:1]
	s_mov_b32 s0, 11
	s_mov_b32 s1, 0x3fe00000
	s_wait_alu 0xfffe
	v_fma_f64 v[39:40], v[37:38], v[39:40], s[0:1]
	v_cmp_nlt_f64_e64 s0, 0x40900000, v[11:12]
	v_cmp_ngt_f64_e64 s1, 0xc090cc00, v[11:12]
	s_delay_alu instid0(VALU_DEP_3) | instskip(NEXT) | instid1(VALU_DEP_1)
	v_fma_f64 v[39:40], v[37:38], v[39:40], 1.0
	v_fma_f64 v[35:36], v[37:38], v[39:40], 1.0
	s_delay_alu instid0(VALU_DEP_1) | instskip(SKIP_1) | instid1(VALU_DEP_1)
	v_ldexp_f64 v[35:36], v[35:36], v0
	s_wait_alu 0xf1ff
	v_cndmask_b32_e64 v0, 0x7ff00000, v36, s0
	s_and_b32 s0, s1, s0
	s_wait_alu 0xfffe
	s_delay_alu instid0(VALU_DEP_2) | instskip(SKIP_3) | instid1(VALU_DEP_1)
	v_cndmask_b32_e64 v11, 0, v35, s0
	s_mov_b32 s0, 0x55555555
	v_cndmask_b32_e64 v12, 0, v0, s1
	s_mov_b32 s1, 0x3fe55555
	v_add_f64_e32 v[35:36], 1.0, v[11:12]
	v_cmp_ngt_f64_e64 s17, -1.0, v[11:12]
	s_delay_alu instid0(VALU_DEP_2) | instskip(SKIP_3) | instid1(VALU_DEP_3)
	v_frexp_mant_f64_e32 v[37:38], v[35:36]
	v_frexp_exp_i32_f64_e32 v0, v[35:36]
	v_add_f64_e32 v[39:40], -1.0, v[35:36]
	s_wait_alu 0xfffe
	v_cmp_gt_f64_e64 s0, s[0:1], v[37:38]
	s_delay_alu instid0(VALU_DEP_2) | instskip(SKIP_2) | instid1(VALU_DEP_3)
	v_add_f64_e64 v[37:38], v[39:40], -v[35:36]
	v_add_f64_e64 v[39:40], v[11:12], -v[39:40]
	s_wait_alu 0xf1ff
	v_subrev_co_ci_u32_e64 v0, null, 0, v0, s0
	s_delay_alu instid0(VALU_DEP_3) | instskip(SKIP_1) | instid1(VALU_DEP_2)
	v_add_f64_e32 v[37:38], 1.0, v[37:38]
	s_mov_b32 s0, 0x55555780
	v_sub_nc_u32_e32 v43, 0, v0
	s_delay_alu instid0(VALU_DEP_1) | instskip(NEXT) | instid1(VALU_DEP_3)
	v_ldexp_f64 v[35:36], v[35:36], v43
	v_add_f64_e32 v[37:38], v[39:40], v[37:38]
	s_delay_alu instid0(VALU_DEP_2) | instskip(SKIP_1) | instid1(VALU_DEP_3)
	v_add_f64_e32 v[41:42], 1.0, v[35:36]
	v_add_f64_e32 v[47:48], -1.0, v[35:36]
	v_ldexp_f64 v[37:38], v[37:38], v43
	s_delay_alu instid0(VALU_DEP_3) | instskip(NEXT) | instid1(VALU_DEP_3)
	v_add_f64_e32 v[39:40], -1.0, v[41:42]
	v_add_f64_e32 v[49:50], 1.0, v[47:48]
	s_delay_alu instid0(VALU_DEP_2) | instskip(NEXT) | instid1(VALU_DEP_2)
	v_add_f64_e64 v[39:40], v[35:36], -v[39:40]
	v_add_f64_e64 v[35:36], v[35:36], -v[49:50]
	s_delay_alu instid0(VALU_DEP_2) | instskip(NEXT) | instid1(VALU_DEP_2)
	v_add_f64_e32 v[39:40], v[37:38], v[39:40]
	v_add_f64_e32 v[35:36], v[37:38], v[35:36]
	s_delay_alu instid0(VALU_DEP_2) | instskip(NEXT) | instid1(VALU_DEP_2)
	v_add_f64_e32 v[43:44], v[41:42], v[39:40]
	v_add_f64_e32 v[49:50], v[47:48], v[35:36]
	s_delay_alu instid0(VALU_DEP_2) | instskip(SKIP_1) | instid1(VALU_DEP_2)
	v_rcp_f64_e32 v[45:46], v[43:44]
	v_add_f64_e64 v[41:42], v[43:44], -v[41:42]
	v_add_f64_e64 v[47:48], v[49:50], -v[47:48]
	s_delay_alu instid0(VALU_DEP_2) | instskip(NEXT) | instid1(TRANS32_DEP_1)
	v_add_f64_e64 v[39:40], v[39:40], -v[41:42]
	v_fma_f64 v[51:52], -v[43:44], v[45:46], 1.0
	s_delay_alu instid0(VALU_DEP_3) | instskip(NEXT) | instid1(VALU_DEP_2)
	v_add_f64_e64 v[35:36], v[35:36], -v[47:48]
	v_fma_f64 v[45:46], v[51:52], v[45:46], v[45:46]
	s_delay_alu instid0(VALU_DEP_1) | instskip(NEXT) | instid1(VALU_DEP_1)
	v_fma_f64 v[37:38], -v[43:44], v[45:46], 1.0
	v_fma_f64 v[37:38], v[37:38], v[45:46], v[45:46]
	s_delay_alu instid0(VALU_DEP_1) | instskip(NEXT) | instid1(VALU_DEP_1)
	v_mul_f64_e32 v[45:46], v[49:50], v[37:38]
	v_mul_f64_e32 v[51:52], v[43:44], v[45:46]
	s_delay_alu instid0(VALU_DEP_1) | instskip(NEXT) | instid1(VALU_DEP_1)
	v_fma_f64 v[41:42], v[45:46], v[43:44], -v[51:52]
	v_fma_f64 v[41:42], v[45:46], v[39:40], v[41:42]
	s_delay_alu instid0(VALU_DEP_1) | instskip(NEXT) | instid1(VALU_DEP_1)
	v_add_f64_e32 v[53:54], v[51:52], v[41:42]
	v_add_f64_e64 v[55:56], v[49:50], -v[53:54]
	v_add_f64_e64 v[47:48], v[53:54], -v[51:52]
	s_delay_alu instid0(VALU_DEP_2) | instskip(NEXT) | instid1(VALU_DEP_2)
	v_add_f64_e64 v[49:50], v[49:50], -v[55:56]
	v_add_f64_e64 v[41:42], v[47:48], -v[41:42]
	s_delay_alu instid0(VALU_DEP_2) | instskip(NEXT) | instid1(VALU_DEP_1)
	v_add_f64_e64 v[49:50], v[49:50], -v[53:54]
	v_add_f64_e32 v[35:36], v[35:36], v[49:50]
	s_delay_alu instid0(VALU_DEP_1) | instskip(NEXT) | instid1(VALU_DEP_1)
	v_add_f64_e32 v[35:36], v[41:42], v[35:36]
	v_add_f64_e32 v[41:42], v[55:56], v[35:36]
	s_delay_alu instid0(VALU_DEP_1) | instskip(SKIP_1) | instid1(VALU_DEP_2)
	v_mul_f64_e32 v[47:48], v[37:38], v[41:42]
	v_add_f64_e64 v[53:54], v[55:56], -v[41:42]
	v_mul_f64_e32 v[49:50], v[43:44], v[47:48]
	s_delay_alu instid0(VALU_DEP_2) | instskip(NEXT) | instid1(VALU_DEP_2)
	v_add_f64_e32 v[35:36], v[35:36], v[53:54]
	v_fma_f64 v[43:44], v[47:48], v[43:44], -v[49:50]
	s_delay_alu instid0(VALU_DEP_1) | instskip(NEXT) | instid1(VALU_DEP_1)
	v_fma_f64 v[39:40], v[47:48], v[39:40], v[43:44]
	v_add_f64_e32 v[43:44], v[49:50], v[39:40]
	s_delay_alu instid0(VALU_DEP_1) | instskip(SKIP_1) | instid1(VALU_DEP_2)
	v_add_f64_e64 v[51:52], v[41:42], -v[43:44]
	v_add_f64_e64 v[49:50], v[43:44], -v[49:50]
	;; [unrolled: 1-line block ×3, first 2 shown]
	s_delay_alu instid0(VALU_DEP_2) | instskip(NEXT) | instid1(VALU_DEP_2)
	v_add_f64_e64 v[39:40], v[49:50], -v[39:40]
	v_add_f64_e64 v[41:42], v[41:42], -v[43:44]
	s_delay_alu instid0(VALU_DEP_1) | instskip(SKIP_1) | instid1(VALU_DEP_2)
	v_add_f64_e32 v[35:36], v[35:36], v[41:42]
	v_add_f64_e32 v[41:42], v[45:46], v[47:48]
	;; [unrolled: 1-line block ×3, first 2 shown]
	s_delay_alu instid0(VALU_DEP_2) | instskip(NEXT) | instid1(VALU_DEP_2)
	v_add_f64_e64 v[39:40], v[41:42], -v[45:46]
	v_add_f64_e32 v[35:36], v[51:52], v[35:36]
	s_delay_alu instid0(VALU_DEP_2) | instskip(NEXT) | instid1(VALU_DEP_2)
	v_add_f64_e64 v[39:40], v[47:48], -v[39:40]
	v_mul_f64_e32 v[35:36], v[37:38], v[35:36]
	s_delay_alu instid0(VALU_DEP_1) | instskip(NEXT) | instid1(VALU_DEP_1)
	v_add_f64_e32 v[35:36], v[39:40], v[35:36]
	v_add_f64_e32 v[37:38], v[41:42], v[35:36]
	s_delay_alu instid0(VALU_DEP_1) | instskip(NEXT) | instid1(VALU_DEP_1)
	v_mul_f64_e32 v[39:40], v[37:38], v[37:38]
	v_fma_f64 v[43:44], v[39:40], s[26:27], s[24:25]
	s_mov_b32 s24, 0xd7f4df2e
	s_mov_b32 s25, 0x3fc7474d
	v_mul_f64_e32 v[45:46], v[37:38], v[39:40]
	s_wait_alu 0xfffe
	s_delay_alu instid0(VALU_DEP_2) | instskip(SKIP_3) | instid1(VALU_DEP_1)
	v_fma_f64 v[43:44], v[39:40], v[43:44], s[24:25]
	s_mov_b32 s24, 0x16291751
	s_mov_b32 s25, 0x3fcc71c0
	s_wait_alu 0xfffe
	v_fma_f64 v[43:44], v[39:40], v[43:44], s[24:25]
	s_mov_b32 s24, 0x9b27acf1
	s_mov_b32 s25, 0x3fd24924
	s_wait_alu 0xfffe
	s_delay_alu instid0(VALU_DEP_1) | instskip(SKIP_3) | instid1(VALU_DEP_1)
	v_fma_f64 v[43:44], v[39:40], v[43:44], s[24:25]
	s_mov_b32 s24, 0x998ef7b6
	s_mov_b32 s25, 0x3fd99999
	s_wait_alu 0xfffe
	v_fma_f64 v[43:44], v[39:40], v[43:44], s[24:25]
	s_delay_alu instid0(VALU_DEP_1)
	v_fma_f64 v[39:40], v[39:40], v[43:44], s[0:1]
	v_ldexp_f64 v[43:44], v[37:38], 1
	v_add_f64_e64 v[37:38], v[37:38], -v[41:42]
	v_cmp_nge_f64_e64 s0, -1.0, v[11:12]
	v_cmp_neq_f64_e64 s1, 0x7ff00000, v[11:12]
	v_mul_f64_e32 v[39:40], v[45:46], v[39:40]
	v_cvt_f64_i32_e32 v[45:46], v0
	v_add_f64_e64 v[35:36], v[35:36], -v[37:38]
	s_and_b32 s0, s0, s1
	s_delay_alu instid0(VALU_DEP_3) | instskip(NEXT) | instid1(VALU_DEP_3)
	v_add_f64_e32 v[41:42], v[43:44], v[39:40]
	v_mul_f64_e32 v[47:48], s[18:19], v[45:46]
	s_delay_alu instid0(VALU_DEP_3) | instskip(NEXT) | instid1(VALU_DEP_3)
	v_ldexp_f64 v[35:36], v[35:36], 1
	v_add_f64_e64 v[37:38], v[41:42], -v[43:44]
	s_delay_alu instid0(VALU_DEP_3) | instskip(NEXT) | instid1(VALU_DEP_2)
	v_fma_f64 v[43:44], v[45:46], s[18:19], -v[47:48]
	v_add_f64_e64 v[37:38], v[39:40], -v[37:38]
	s_delay_alu instid0(VALU_DEP_2) | instskip(NEXT) | instid1(VALU_DEP_2)
	v_fma_f64 v[39:40], v[45:46], s[20:21], v[43:44]
	v_add_f64_e32 v[35:36], v[35:36], v[37:38]
	s_delay_alu instid0(VALU_DEP_2) | instskip(NEXT) | instid1(VALU_DEP_2)
	v_add_f64_e32 v[37:38], v[47:48], v[39:40]
	v_add_f64_e32 v[43:44], v[41:42], v[35:36]
	s_delay_alu instid0(VALU_DEP_2) | instskip(NEXT) | instid1(VALU_DEP_2)
	v_add_f64_e64 v[47:48], v[37:38], -v[47:48]
	v_add_f64_e32 v[45:46], v[37:38], v[43:44]
	v_add_f64_e64 v[41:42], v[43:44], -v[41:42]
	s_delay_alu instid0(VALU_DEP_3) | instskip(NEXT) | instid1(VALU_DEP_3)
	v_add_f64_e64 v[39:40], v[39:40], -v[47:48]
	v_add_f64_e64 v[49:50], v[45:46], -v[37:38]
	s_delay_alu instid0(VALU_DEP_3) | instskip(NEXT) | instid1(VALU_DEP_2)
	v_add_f64_e64 v[35:36], v[35:36], -v[41:42]
	v_add_f64_e64 v[51:52], v[45:46], -v[49:50]
	;; [unrolled: 1-line block ×3, first 2 shown]
	s_delay_alu instid0(VALU_DEP_3) | instskip(NEXT) | instid1(VALU_DEP_3)
	v_add_f64_e32 v[43:44], v[39:40], v[35:36]
	v_add_f64_e64 v[37:38], v[37:38], -v[51:52]
	s_delay_alu instid0(VALU_DEP_1) | instskip(NEXT) | instid1(VALU_DEP_3)
	v_add_f64_e32 v[37:38], v[41:42], v[37:38]
	v_add_f64_e64 v[41:42], v[43:44], -v[39:40]
	s_delay_alu instid0(VALU_DEP_2) | instskip(NEXT) | instid1(VALU_DEP_2)
	v_add_f64_e32 v[37:38], v[43:44], v[37:38]
	v_add_f64_e64 v[43:44], v[43:44], -v[41:42]
	v_add_f64_e64 v[35:36], v[35:36], -v[41:42]
	s_delay_alu instid0(VALU_DEP_3) | instskip(NEXT) | instid1(VALU_DEP_3)
	v_add_f64_e32 v[47:48], v[45:46], v[37:38]
	v_add_f64_e64 v[39:40], v[39:40], -v[43:44]
	s_delay_alu instid0(VALU_DEP_2) | instskip(NEXT) | instid1(VALU_DEP_2)
	v_add_f64_e64 v[41:42], v[47:48], -v[45:46]
	v_add_f64_e32 v[35:36], v[35:36], v[39:40]
	s_delay_alu instid0(VALU_DEP_2) | instskip(NEXT) | instid1(VALU_DEP_1)
	v_add_f64_e64 v[37:38], v[37:38], -v[41:42]
	v_add_f64_e32 v[35:36], v[35:36], v[37:38]
	s_delay_alu instid0(VALU_DEP_1) | instskip(SKIP_1) | instid1(VALU_DEP_1)
	v_add_f64_e32 v[35:36], v[47:48], v[35:36]
	s_wait_alu 0xfffe
	v_cndmask_b32_e64 v35, 0, v35, s0
	v_cmp_neq_f64_e64 s0, -1.0, v[11:12]
	s_delay_alu instid0(VALU_DEP_3) | instskip(NEXT) | instid1(VALU_DEP_1)
	v_cndmask_b32_e64 v0, 0x7ff00000, v36, s1
	v_cndmask_b32_e64 v0, 0x7ff80000, v0, s17
	s_wait_alu 0xf1ff
	s_delay_alu instid0(VALU_DEP_1) | instskip(NEXT) | instid1(VALU_DEP_1)
	v_cndmask_b32_e64 v36, 0xfff00000, v0, s0
	v_add_f64_e32 v[11:12], v[33:34], v[35:36]
.LBB80_132:
	s_wait_alu 0xfffe
	s_or_b32 exec_lo, exec_lo, s22
	s_delay_alu instid0(VALU_DEP_1) | instskip(SKIP_1) | instid1(VALU_DEP_2)
	v_max_num_f64_e32 v[33:34], v[11:12], v[11:12]
	v_cmp_u_f64_e64 s0, v[11:12], v[11:12]
	v_min_num_f64_e32 v[35:36], v[33:34], v[59:60]
	v_max_num_f64_e32 v[33:34], v[33:34], v[59:60]
	s_wait_alu 0xf1ff
	s_delay_alu instid0(VALU_DEP_2) | instskip(NEXT) | instid1(VALU_DEP_3)
	v_cndmask_b32_e64 v0, v35, v11, s0
	v_cndmask_b32_e64 v35, v36, v12, s0
	s_delay_alu instid0(VALU_DEP_3) | instskip(NEXT) | instid1(VALU_DEP_4)
	v_cndmask_b32_e64 v34, v34, v12, s0
	v_cndmask_b32_e64 v33, v33, v11, s0
	s_delay_alu instid0(VALU_DEP_3) | instskip(SKIP_1) | instid1(VALU_DEP_4)
	v_cndmask_b32_e64 v36, v35, v6, s30
	v_cndmask_b32_e64 v35, v0, v5, s30
	;; [unrolled: 1-line block ×3, first 2 shown]
	s_delay_alu instid0(VALU_DEP_4) | instskip(SKIP_1) | instid1(VALU_DEP_4)
	v_cndmask_b32_e64 v33, v33, v5, s30
	v_dual_mov_b32 v5, v11 :: v_dual_mov_b32 v6, v12
	v_cmp_class_f64_e64 s1, v[35:36], 0x1f8
	s_delay_alu instid0(VALU_DEP_3)
	v_cmp_neq_f64_e64 s0, v[35:36], v[33:34]
	s_or_b32 s0, s0, s1
	s_wait_alu 0xfffe
	s_and_saveexec_b32 s22, s0
	s_cbranch_execz .LBB80_134
; %bb.133:
	v_add_f64_e64 v[5:6], v[35:36], -v[33:34]
	s_mov_b32 s0, 0x652b82fe
	s_mov_b32 s1, 0x3ff71547
	;; [unrolled: 1-line block ×10, first 2 shown]
	s_wait_alu 0xfffe
	s_delay_alu instid0(VALU_DEP_1) | instskip(SKIP_2) | instid1(VALU_DEP_1)
	v_mul_f64_e32 v[35:36], s[0:1], v[5:6]
	s_mov_b32 s0, 0xfca7ab0c
	s_mov_b32 s1, 0x3e928af3
	v_rndne_f64_e32 v[35:36], v[35:36]
	s_delay_alu instid0(VALU_DEP_1) | instskip(SKIP_2) | instid1(VALU_DEP_2)
	v_fma_f64 v[37:38], v[35:36], s[18:19], v[5:6]
	v_cvt_i32_f64_e32 v0, v[35:36]
	s_mov_b32 s19, 0x3fe62e42
	v_fma_f64 v[37:38], v[35:36], s[20:21], v[37:38]
	s_mov_b32 s21, 0x3c7abc9e
	s_wait_alu 0xfffe
	s_delay_alu instid0(VALU_DEP_1)
	v_fma_f64 v[39:40], v[37:38], s[24:25], s[0:1]
	s_mov_b32 s0, 0x623fde64
	s_mov_b32 s1, 0x3ec71dee
	;; [unrolled: 1-line block ×4, first 2 shown]
	s_wait_alu 0xfffe
	s_delay_alu instid0(VALU_DEP_1) | instskip(SKIP_3) | instid1(VALU_DEP_1)
	v_fma_f64 v[39:40], v[37:38], v[39:40], s[0:1]
	s_mov_b32 s0, 0x7c89e6b0
	s_mov_b32 s1, 0x3efa0199
	s_wait_alu 0xfffe
	v_fma_f64 v[39:40], v[37:38], v[39:40], s[0:1]
	s_mov_b32 s0, 0x14761f6e
	s_mov_b32 s1, 0x3f2a01a0
	s_wait_alu 0xfffe
	s_delay_alu instid0(VALU_DEP_1) | instskip(SKIP_3) | instid1(VALU_DEP_1)
	v_fma_f64 v[39:40], v[37:38], v[39:40], s[0:1]
	s_mov_b32 s0, 0x1852b7b0
	s_mov_b32 s1, 0x3f56c16c
	s_wait_alu 0xfffe
	v_fma_f64 v[39:40], v[37:38], v[39:40], s[0:1]
	s_mov_b32 s0, 0x11122322
	s_mov_b32 s1, 0x3f811111
	;; [unrolled: 9-line block ×3, first 2 shown]
	s_wait_alu 0xfffe
	s_delay_alu instid0(VALU_DEP_1) | instskip(SKIP_3) | instid1(VALU_DEP_1)
	v_fma_f64 v[39:40], v[37:38], v[39:40], s[0:1]
	s_mov_b32 s0, 11
	s_mov_b32 s1, 0x3fe00000
	s_wait_alu 0xfffe
	v_fma_f64 v[39:40], v[37:38], v[39:40], s[0:1]
	v_cmp_nlt_f64_e64 s0, 0x40900000, v[5:6]
	v_cmp_ngt_f64_e64 s1, 0xc090cc00, v[5:6]
	s_delay_alu instid0(VALU_DEP_3) | instskip(NEXT) | instid1(VALU_DEP_1)
	v_fma_f64 v[39:40], v[37:38], v[39:40], 1.0
	v_fma_f64 v[35:36], v[37:38], v[39:40], 1.0
	s_delay_alu instid0(VALU_DEP_1) | instskip(SKIP_1) | instid1(VALU_DEP_1)
	v_ldexp_f64 v[35:36], v[35:36], v0
	s_wait_alu 0xf1ff
	v_cndmask_b32_e64 v0, 0x7ff00000, v36, s0
	s_and_b32 s0, s1, s0
	s_wait_alu 0xfffe
	s_delay_alu instid0(VALU_DEP_2) | instskip(SKIP_3) | instid1(VALU_DEP_1)
	v_cndmask_b32_e64 v5, 0, v35, s0
	s_mov_b32 s0, 0x55555555
	v_cndmask_b32_e64 v6, 0, v0, s1
	s_mov_b32 s1, 0x3fe55555
	v_add_f64_e32 v[35:36], 1.0, v[5:6]
	v_cmp_ngt_f64_e64 s17, -1.0, v[5:6]
	s_delay_alu instid0(VALU_DEP_2) | instskip(SKIP_3) | instid1(VALU_DEP_3)
	v_frexp_mant_f64_e32 v[37:38], v[35:36]
	v_frexp_exp_i32_f64_e32 v0, v[35:36]
	v_add_f64_e32 v[39:40], -1.0, v[35:36]
	s_wait_alu 0xfffe
	v_cmp_gt_f64_e64 s0, s[0:1], v[37:38]
	s_delay_alu instid0(VALU_DEP_2) | instskip(SKIP_2) | instid1(VALU_DEP_3)
	v_add_f64_e64 v[37:38], v[39:40], -v[35:36]
	v_add_f64_e64 v[39:40], v[5:6], -v[39:40]
	s_wait_alu 0xf1ff
	v_subrev_co_ci_u32_e64 v0, null, 0, v0, s0
	s_delay_alu instid0(VALU_DEP_3) | instskip(SKIP_1) | instid1(VALU_DEP_2)
	v_add_f64_e32 v[37:38], 1.0, v[37:38]
	s_mov_b32 s0, 0x55555780
	v_sub_nc_u32_e32 v43, 0, v0
	s_delay_alu instid0(VALU_DEP_1) | instskip(NEXT) | instid1(VALU_DEP_3)
	v_ldexp_f64 v[35:36], v[35:36], v43
	v_add_f64_e32 v[37:38], v[39:40], v[37:38]
	s_delay_alu instid0(VALU_DEP_2) | instskip(SKIP_1) | instid1(VALU_DEP_3)
	v_add_f64_e32 v[41:42], 1.0, v[35:36]
	v_add_f64_e32 v[47:48], -1.0, v[35:36]
	v_ldexp_f64 v[37:38], v[37:38], v43
	s_delay_alu instid0(VALU_DEP_3) | instskip(NEXT) | instid1(VALU_DEP_3)
	v_add_f64_e32 v[39:40], -1.0, v[41:42]
	v_add_f64_e32 v[49:50], 1.0, v[47:48]
	s_delay_alu instid0(VALU_DEP_2) | instskip(NEXT) | instid1(VALU_DEP_2)
	v_add_f64_e64 v[39:40], v[35:36], -v[39:40]
	v_add_f64_e64 v[35:36], v[35:36], -v[49:50]
	s_delay_alu instid0(VALU_DEP_2) | instskip(NEXT) | instid1(VALU_DEP_2)
	v_add_f64_e32 v[39:40], v[37:38], v[39:40]
	v_add_f64_e32 v[35:36], v[37:38], v[35:36]
	s_delay_alu instid0(VALU_DEP_2) | instskip(NEXT) | instid1(VALU_DEP_2)
	v_add_f64_e32 v[43:44], v[41:42], v[39:40]
	v_add_f64_e32 v[49:50], v[47:48], v[35:36]
	s_delay_alu instid0(VALU_DEP_2) | instskip(SKIP_1) | instid1(VALU_DEP_2)
	v_rcp_f64_e32 v[45:46], v[43:44]
	v_add_f64_e64 v[41:42], v[43:44], -v[41:42]
	v_add_f64_e64 v[47:48], v[49:50], -v[47:48]
	s_delay_alu instid0(VALU_DEP_2) | instskip(NEXT) | instid1(TRANS32_DEP_1)
	v_add_f64_e64 v[39:40], v[39:40], -v[41:42]
	v_fma_f64 v[51:52], -v[43:44], v[45:46], 1.0
	s_delay_alu instid0(VALU_DEP_3) | instskip(NEXT) | instid1(VALU_DEP_2)
	v_add_f64_e64 v[35:36], v[35:36], -v[47:48]
	v_fma_f64 v[45:46], v[51:52], v[45:46], v[45:46]
	s_delay_alu instid0(VALU_DEP_1) | instskip(NEXT) | instid1(VALU_DEP_1)
	v_fma_f64 v[37:38], -v[43:44], v[45:46], 1.0
	v_fma_f64 v[37:38], v[37:38], v[45:46], v[45:46]
	s_delay_alu instid0(VALU_DEP_1) | instskip(NEXT) | instid1(VALU_DEP_1)
	v_mul_f64_e32 v[45:46], v[49:50], v[37:38]
	v_mul_f64_e32 v[51:52], v[43:44], v[45:46]
	s_delay_alu instid0(VALU_DEP_1) | instskip(NEXT) | instid1(VALU_DEP_1)
	v_fma_f64 v[41:42], v[45:46], v[43:44], -v[51:52]
	v_fma_f64 v[41:42], v[45:46], v[39:40], v[41:42]
	s_delay_alu instid0(VALU_DEP_1) | instskip(NEXT) | instid1(VALU_DEP_1)
	v_add_f64_e32 v[53:54], v[51:52], v[41:42]
	v_add_f64_e64 v[55:56], v[49:50], -v[53:54]
	v_add_f64_e64 v[47:48], v[53:54], -v[51:52]
	s_delay_alu instid0(VALU_DEP_2) | instskip(NEXT) | instid1(VALU_DEP_2)
	v_add_f64_e64 v[49:50], v[49:50], -v[55:56]
	v_add_f64_e64 v[41:42], v[47:48], -v[41:42]
	s_delay_alu instid0(VALU_DEP_2) | instskip(NEXT) | instid1(VALU_DEP_1)
	v_add_f64_e64 v[49:50], v[49:50], -v[53:54]
	v_add_f64_e32 v[35:36], v[35:36], v[49:50]
	s_delay_alu instid0(VALU_DEP_1) | instskip(NEXT) | instid1(VALU_DEP_1)
	v_add_f64_e32 v[35:36], v[41:42], v[35:36]
	v_add_f64_e32 v[41:42], v[55:56], v[35:36]
	s_delay_alu instid0(VALU_DEP_1) | instskip(SKIP_1) | instid1(VALU_DEP_2)
	v_mul_f64_e32 v[47:48], v[37:38], v[41:42]
	v_add_f64_e64 v[53:54], v[55:56], -v[41:42]
	v_mul_f64_e32 v[49:50], v[43:44], v[47:48]
	s_delay_alu instid0(VALU_DEP_2) | instskip(NEXT) | instid1(VALU_DEP_2)
	v_add_f64_e32 v[35:36], v[35:36], v[53:54]
	v_fma_f64 v[43:44], v[47:48], v[43:44], -v[49:50]
	s_delay_alu instid0(VALU_DEP_1) | instskip(NEXT) | instid1(VALU_DEP_1)
	v_fma_f64 v[39:40], v[47:48], v[39:40], v[43:44]
	v_add_f64_e32 v[43:44], v[49:50], v[39:40]
	s_delay_alu instid0(VALU_DEP_1) | instskip(SKIP_1) | instid1(VALU_DEP_2)
	v_add_f64_e64 v[51:52], v[41:42], -v[43:44]
	v_add_f64_e64 v[49:50], v[43:44], -v[49:50]
	v_add_f64_e64 v[41:42], v[41:42], -v[51:52]
	s_delay_alu instid0(VALU_DEP_2) | instskip(NEXT) | instid1(VALU_DEP_2)
	v_add_f64_e64 v[39:40], v[49:50], -v[39:40]
	v_add_f64_e64 v[41:42], v[41:42], -v[43:44]
	s_delay_alu instid0(VALU_DEP_1) | instskip(SKIP_1) | instid1(VALU_DEP_2)
	v_add_f64_e32 v[35:36], v[35:36], v[41:42]
	v_add_f64_e32 v[41:42], v[45:46], v[47:48]
	v_add_f64_e32 v[35:36], v[39:40], v[35:36]
	s_delay_alu instid0(VALU_DEP_2) | instskip(NEXT) | instid1(VALU_DEP_2)
	v_add_f64_e64 v[39:40], v[41:42], -v[45:46]
	v_add_f64_e32 v[35:36], v[51:52], v[35:36]
	s_delay_alu instid0(VALU_DEP_2) | instskip(NEXT) | instid1(VALU_DEP_2)
	v_add_f64_e64 v[39:40], v[47:48], -v[39:40]
	v_mul_f64_e32 v[35:36], v[37:38], v[35:36]
	s_delay_alu instid0(VALU_DEP_1) | instskip(NEXT) | instid1(VALU_DEP_1)
	v_add_f64_e32 v[35:36], v[39:40], v[35:36]
	v_add_f64_e32 v[37:38], v[41:42], v[35:36]
	s_delay_alu instid0(VALU_DEP_1) | instskip(NEXT) | instid1(VALU_DEP_1)
	v_mul_f64_e32 v[39:40], v[37:38], v[37:38]
	v_fma_f64 v[43:44], v[39:40], s[26:27], s[24:25]
	s_mov_b32 s24, 0xd7f4df2e
	s_mov_b32 s25, 0x3fc7474d
	v_mul_f64_e32 v[45:46], v[37:38], v[39:40]
	s_wait_alu 0xfffe
	s_delay_alu instid0(VALU_DEP_2) | instskip(SKIP_3) | instid1(VALU_DEP_1)
	v_fma_f64 v[43:44], v[39:40], v[43:44], s[24:25]
	s_mov_b32 s24, 0x16291751
	s_mov_b32 s25, 0x3fcc71c0
	s_wait_alu 0xfffe
	v_fma_f64 v[43:44], v[39:40], v[43:44], s[24:25]
	s_mov_b32 s24, 0x9b27acf1
	s_mov_b32 s25, 0x3fd24924
	s_wait_alu 0xfffe
	s_delay_alu instid0(VALU_DEP_1) | instskip(SKIP_3) | instid1(VALU_DEP_1)
	v_fma_f64 v[43:44], v[39:40], v[43:44], s[24:25]
	s_mov_b32 s24, 0x998ef7b6
	s_mov_b32 s25, 0x3fd99999
	s_wait_alu 0xfffe
	v_fma_f64 v[43:44], v[39:40], v[43:44], s[24:25]
	s_delay_alu instid0(VALU_DEP_1)
	v_fma_f64 v[39:40], v[39:40], v[43:44], s[0:1]
	v_ldexp_f64 v[43:44], v[37:38], 1
	v_add_f64_e64 v[37:38], v[37:38], -v[41:42]
	v_cmp_nge_f64_e64 s0, -1.0, v[5:6]
	v_cmp_neq_f64_e64 s1, 0x7ff00000, v[5:6]
	v_mul_f64_e32 v[39:40], v[45:46], v[39:40]
	v_cvt_f64_i32_e32 v[45:46], v0
	v_add_f64_e64 v[35:36], v[35:36], -v[37:38]
	s_and_b32 s0, s0, s1
	s_delay_alu instid0(VALU_DEP_3) | instskip(NEXT) | instid1(VALU_DEP_3)
	v_add_f64_e32 v[41:42], v[43:44], v[39:40]
	v_mul_f64_e32 v[47:48], s[18:19], v[45:46]
	s_delay_alu instid0(VALU_DEP_3) | instskip(NEXT) | instid1(VALU_DEP_3)
	v_ldexp_f64 v[35:36], v[35:36], 1
	v_add_f64_e64 v[37:38], v[41:42], -v[43:44]
	s_delay_alu instid0(VALU_DEP_3) | instskip(NEXT) | instid1(VALU_DEP_2)
	v_fma_f64 v[43:44], v[45:46], s[18:19], -v[47:48]
	v_add_f64_e64 v[37:38], v[39:40], -v[37:38]
	s_delay_alu instid0(VALU_DEP_2) | instskip(NEXT) | instid1(VALU_DEP_2)
	v_fma_f64 v[39:40], v[45:46], s[20:21], v[43:44]
	v_add_f64_e32 v[35:36], v[35:36], v[37:38]
	s_delay_alu instid0(VALU_DEP_2) | instskip(NEXT) | instid1(VALU_DEP_2)
	v_add_f64_e32 v[37:38], v[47:48], v[39:40]
	v_add_f64_e32 v[43:44], v[41:42], v[35:36]
	s_delay_alu instid0(VALU_DEP_2) | instskip(NEXT) | instid1(VALU_DEP_2)
	v_add_f64_e64 v[47:48], v[37:38], -v[47:48]
	v_add_f64_e32 v[45:46], v[37:38], v[43:44]
	v_add_f64_e64 v[41:42], v[43:44], -v[41:42]
	s_delay_alu instid0(VALU_DEP_3) | instskip(NEXT) | instid1(VALU_DEP_3)
	v_add_f64_e64 v[39:40], v[39:40], -v[47:48]
	v_add_f64_e64 v[49:50], v[45:46], -v[37:38]
	s_delay_alu instid0(VALU_DEP_3) | instskip(NEXT) | instid1(VALU_DEP_2)
	v_add_f64_e64 v[35:36], v[35:36], -v[41:42]
	v_add_f64_e64 v[51:52], v[45:46], -v[49:50]
	;; [unrolled: 1-line block ×3, first 2 shown]
	s_delay_alu instid0(VALU_DEP_3) | instskip(NEXT) | instid1(VALU_DEP_3)
	v_add_f64_e32 v[43:44], v[39:40], v[35:36]
	v_add_f64_e64 v[37:38], v[37:38], -v[51:52]
	s_delay_alu instid0(VALU_DEP_1) | instskip(NEXT) | instid1(VALU_DEP_3)
	v_add_f64_e32 v[37:38], v[41:42], v[37:38]
	v_add_f64_e64 v[41:42], v[43:44], -v[39:40]
	s_delay_alu instid0(VALU_DEP_2) | instskip(NEXT) | instid1(VALU_DEP_2)
	v_add_f64_e32 v[37:38], v[43:44], v[37:38]
	v_add_f64_e64 v[43:44], v[43:44], -v[41:42]
	v_add_f64_e64 v[35:36], v[35:36], -v[41:42]
	s_delay_alu instid0(VALU_DEP_3) | instskip(NEXT) | instid1(VALU_DEP_3)
	v_add_f64_e32 v[47:48], v[45:46], v[37:38]
	v_add_f64_e64 v[39:40], v[39:40], -v[43:44]
	s_delay_alu instid0(VALU_DEP_2) | instskip(NEXT) | instid1(VALU_DEP_2)
	v_add_f64_e64 v[41:42], v[47:48], -v[45:46]
	v_add_f64_e32 v[35:36], v[35:36], v[39:40]
	s_delay_alu instid0(VALU_DEP_2) | instskip(NEXT) | instid1(VALU_DEP_1)
	v_add_f64_e64 v[37:38], v[37:38], -v[41:42]
	v_add_f64_e32 v[35:36], v[35:36], v[37:38]
	s_delay_alu instid0(VALU_DEP_1) | instskip(SKIP_1) | instid1(VALU_DEP_1)
	v_add_f64_e32 v[35:36], v[47:48], v[35:36]
	s_wait_alu 0xfffe
	v_cndmask_b32_e64 v35, 0, v35, s0
	v_cmp_neq_f64_e64 s0, -1.0, v[5:6]
	s_delay_alu instid0(VALU_DEP_3) | instskip(NEXT) | instid1(VALU_DEP_1)
	v_cndmask_b32_e64 v0, 0x7ff00000, v36, s1
	v_cndmask_b32_e64 v0, 0x7ff80000, v0, s17
	s_wait_alu 0xf1ff
	s_delay_alu instid0(VALU_DEP_1) | instskip(NEXT) | instid1(VALU_DEP_1)
	v_cndmask_b32_e64 v36, 0xfff00000, v0, s0
	v_add_f64_e32 v[5:6], v[33:34], v[35:36]
.LBB80_134:
	s_wait_alu 0xfffe
	s_or_b32 exec_lo, exec_lo, s22
	s_delay_alu instid0(VALU_DEP_1) | instskip(SKIP_1) | instid1(VALU_DEP_2)
	v_max_num_f64_e32 v[33:34], v[5:6], v[5:6]
	v_cmp_u_f64_e64 s0, v[5:6], v[5:6]
	v_min_num_f64_e32 v[35:36], v[33:34], v[61:62]
	v_max_num_f64_e32 v[33:34], v[33:34], v[61:62]
	s_wait_alu 0xf1ff
	s_delay_alu instid0(VALU_DEP_2) | instskip(NEXT) | instid1(VALU_DEP_3)
	v_cndmask_b32_e64 v0, v35, v5, s0
	v_cndmask_b32_e64 v35, v36, v6, s0
	s_delay_alu instid0(VALU_DEP_3) | instskip(NEXT) | instid1(VALU_DEP_4)
	v_cndmask_b32_e64 v34, v34, v6, s0
	v_cndmask_b32_e64 v33, v33, v5, s0
	s_delay_alu instid0(VALU_DEP_3) | instskip(SKIP_1) | instid1(VALU_DEP_4)
	v_cndmask_b32_e64 v36, v35, v8, s31
	v_cndmask_b32_e64 v35, v0, v7, s31
	;; [unrolled: 1-line block ×3, first 2 shown]
	s_delay_alu instid0(VALU_DEP_4) | instskip(SKIP_1) | instid1(VALU_DEP_4)
	v_cndmask_b32_e64 v7, v33, v7, s31
	v_dual_mov_b32 v34, v6 :: v_dual_mov_b32 v33, v5
	v_cmp_class_f64_e64 s1, v[35:36], 0x1f8
	s_delay_alu instid0(VALU_DEP_3)
	v_cmp_neq_f64_e64 s0, v[35:36], v[7:8]
	s_or_b32 s0, s0, s1
	s_wait_alu 0xfffe
	s_and_saveexec_b32 s22, s0
	s_cbranch_execz .LBB80_136
; %bb.135:
	v_add_f64_e64 v[33:34], v[35:36], -v[7:8]
	s_mov_b32 s0, 0x652b82fe
	s_mov_b32 s1, 0x3ff71547
	s_mov_b32 s19, 0xbfe62e42
	s_mov_b32 s18, 0xfefa39ef
	s_mov_b32 s21, 0xbc7abc9e
	s_mov_b32 s20, 0x3b39803f
	s_mov_b32 s24, 0x6a5dcb37
	s_mov_b32 s25, 0x3e5ade15
	s_mov_b32 s26, 0xbf559e2b
	s_mov_b32 s27, 0x3fc3ab76
	s_wait_alu 0xfffe
	s_delay_alu instid0(VALU_DEP_1) | instskip(SKIP_2) | instid1(VALU_DEP_1)
	v_mul_f64_e32 v[35:36], s[0:1], v[33:34]
	s_mov_b32 s0, 0xfca7ab0c
	s_mov_b32 s1, 0x3e928af3
	v_rndne_f64_e32 v[35:36], v[35:36]
	s_delay_alu instid0(VALU_DEP_1) | instskip(SKIP_2) | instid1(VALU_DEP_2)
	v_fma_f64 v[37:38], v[35:36], s[18:19], v[33:34]
	v_cvt_i32_f64_e32 v0, v[35:36]
	s_mov_b32 s19, 0x3fe62e42
	v_fma_f64 v[37:38], v[35:36], s[20:21], v[37:38]
	s_mov_b32 s21, 0x3c7abc9e
	s_wait_alu 0xfffe
	s_delay_alu instid0(VALU_DEP_1)
	v_fma_f64 v[39:40], v[37:38], s[24:25], s[0:1]
	s_mov_b32 s0, 0x623fde64
	s_mov_b32 s1, 0x3ec71dee
	;; [unrolled: 1-line block ×4, first 2 shown]
	s_wait_alu 0xfffe
	s_delay_alu instid0(VALU_DEP_1) | instskip(SKIP_3) | instid1(VALU_DEP_1)
	v_fma_f64 v[39:40], v[37:38], v[39:40], s[0:1]
	s_mov_b32 s0, 0x7c89e6b0
	s_mov_b32 s1, 0x3efa0199
	s_wait_alu 0xfffe
	v_fma_f64 v[39:40], v[37:38], v[39:40], s[0:1]
	s_mov_b32 s0, 0x14761f6e
	s_mov_b32 s1, 0x3f2a01a0
	s_wait_alu 0xfffe
	s_delay_alu instid0(VALU_DEP_1) | instskip(SKIP_3) | instid1(VALU_DEP_1)
	v_fma_f64 v[39:40], v[37:38], v[39:40], s[0:1]
	s_mov_b32 s0, 0x1852b7b0
	s_mov_b32 s1, 0x3f56c16c
	s_wait_alu 0xfffe
	v_fma_f64 v[39:40], v[37:38], v[39:40], s[0:1]
	s_mov_b32 s0, 0x11122322
	s_mov_b32 s1, 0x3f811111
	;; [unrolled: 9-line block ×3, first 2 shown]
	s_wait_alu 0xfffe
	s_delay_alu instid0(VALU_DEP_1) | instskip(SKIP_3) | instid1(VALU_DEP_1)
	v_fma_f64 v[39:40], v[37:38], v[39:40], s[0:1]
	s_mov_b32 s0, 11
	s_mov_b32 s1, 0x3fe00000
	s_wait_alu 0xfffe
	v_fma_f64 v[39:40], v[37:38], v[39:40], s[0:1]
	v_cmp_nlt_f64_e64 s0, 0x40900000, v[33:34]
	v_cmp_ngt_f64_e64 s1, 0xc090cc00, v[33:34]
	s_delay_alu instid0(VALU_DEP_3) | instskip(NEXT) | instid1(VALU_DEP_1)
	v_fma_f64 v[39:40], v[37:38], v[39:40], 1.0
	v_fma_f64 v[35:36], v[37:38], v[39:40], 1.0
	s_delay_alu instid0(VALU_DEP_1) | instskip(SKIP_1) | instid1(VALU_DEP_1)
	v_ldexp_f64 v[35:36], v[35:36], v0
	s_wait_alu 0xf1ff
	v_cndmask_b32_e64 v0, 0x7ff00000, v36, s0
	s_and_b32 s0, s1, s0
	s_wait_alu 0xfffe
	s_delay_alu instid0(VALU_DEP_2) | instskip(SKIP_3) | instid1(VALU_DEP_1)
	v_cndmask_b32_e64 v33, 0, v35, s0
	s_mov_b32 s0, 0x55555555
	v_cndmask_b32_e64 v34, 0, v0, s1
	s_mov_b32 s1, 0x3fe55555
	v_add_f64_e32 v[35:36], 1.0, v[33:34]
	v_cmp_ngt_f64_e64 s17, -1.0, v[33:34]
	s_delay_alu instid0(VALU_DEP_2) | instskip(SKIP_3) | instid1(VALU_DEP_3)
	v_frexp_mant_f64_e32 v[37:38], v[35:36]
	v_frexp_exp_i32_f64_e32 v0, v[35:36]
	v_add_f64_e32 v[39:40], -1.0, v[35:36]
	s_wait_alu 0xfffe
	v_cmp_gt_f64_e64 s0, s[0:1], v[37:38]
	s_delay_alu instid0(VALU_DEP_2) | instskip(SKIP_2) | instid1(VALU_DEP_3)
	v_add_f64_e64 v[37:38], v[39:40], -v[35:36]
	v_add_f64_e64 v[39:40], v[33:34], -v[39:40]
	s_wait_alu 0xf1ff
	v_subrev_co_ci_u32_e64 v0, null, 0, v0, s0
	s_delay_alu instid0(VALU_DEP_3) | instskip(SKIP_1) | instid1(VALU_DEP_2)
	v_add_f64_e32 v[37:38], 1.0, v[37:38]
	s_mov_b32 s0, 0x55555780
	v_sub_nc_u32_e32 v43, 0, v0
	s_delay_alu instid0(VALU_DEP_1) | instskip(NEXT) | instid1(VALU_DEP_3)
	v_ldexp_f64 v[35:36], v[35:36], v43
	v_add_f64_e32 v[37:38], v[39:40], v[37:38]
	s_delay_alu instid0(VALU_DEP_2) | instskip(SKIP_1) | instid1(VALU_DEP_3)
	v_add_f64_e32 v[41:42], 1.0, v[35:36]
	v_add_f64_e32 v[47:48], -1.0, v[35:36]
	v_ldexp_f64 v[37:38], v[37:38], v43
	s_delay_alu instid0(VALU_DEP_3) | instskip(NEXT) | instid1(VALU_DEP_3)
	v_add_f64_e32 v[39:40], -1.0, v[41:42]
	v_add_f64_e32 v[49:50], 1.0, v[47:48]
	s_delay_alu instid0(VALU_DEP_2) | instskip(NEXT) | instid1(VALU_DEP_2)
	v_add_f64_e64 v[39:40], v[35:36], -v[39:40]
	v_add_f64_e64 v[35:36], v[35:36], -v[49:50]
	s_delay_alu instid0(VALU_DEP_2) | instskip(NEXT) | instid1(VALU_DEP_2)
	v_add_f64_e32 v[39:40], v[37:38], v[39:40]
	v_add_f64_e32 v[35:36], v[37:38], v[35:36]
	s_delay_alu instid0(VALU_DEP_2) | instskip(NEXT) | instid1(VALU_DEP_2)
	v_add_f64_e32 v[43:44], v[41:42], v[39:40]
	v_add_f64_e32 v[49:50], v[47:48], v[35:36]
	s_delay_alu instid0(VALU_DEP_2) | instskip(SKIP_1) | instid1(VALU_DEP_2)
	v_rcp_f64_e32 v[45:46], v[43:44]
	v_add_f64_e64 v[41:42], v[43:44], -v[41:42]
	v_add_f64_e64 v[47:48], v[49:50], -v[47:48]
	s_delay_alu instid0(VALU_DEP_2) | instskip(NEXT) | instid1(TRANS32_DEP_1)
	v_add_f64_e64 v[39:40], v[39:40], -v[41:42]
	v_fma_f64 v[51:52], -v[43:44], v[45:46], 1.0
	s_delay_alu instid0(VALU_DEP_3) | instskip(NEXT) | instid1(VALU_DEP_2)
	v_add_f64_e64 v[35:36], v[35:36], -v[47:48]
	v_fma_f64 v[45:46], v[51:52], v[45:46], v[45:46]
	s_delay_alu instid0(VALU_DEP_1) | instskip(NEXT) | instid1(VALU_DEP_1)
	v_fma_f64 v[37:38], -v[43:44], v[45:46], 1.0
	v_fma_f64 v[37:38], v[37:38], v[45:46], v[45:46]
	s_delay_alu instid0(VALU_DEP_1) | instskip(NEXT) | instid1(VALU_DEP_1)
	v_mul_f64_e32 v[45:46], v[49:50], v[37:38]
	v_mul_f64_e32 v[51:52], v[43:44], v[45:46]
	s_delay_alu instid0(VALU_DEP_1) | instskip(NEXT) | instid1(VALU_DEP_1)
	v_fma_f64 v[41:42], v[45:46], v[43:44], -v[51:52]
	v_fma_f64 v[41:42], v[45:46], v[39:40], v[41:42]
	s_delay_alu instid0(VALU_DEP_1) | instskip(NEXT) | instid1(VALU_DEP_1)
	v_add_f64_e32 v[53:54], v[51:52], v[41:42]
	v_add_f64_e64 v[55:56], v[49:50], -v[53:54]
	v_add_f64_e64 v[47:48], v[53:54], -v[51:52]
	s_delay_alu instid0(VALU_DEP_2) | instskip(NEXT) | instid1(VALU_DEP_2)
	v_add_f64_e64 v[49:50], v[49:50], -v[55:56]
	v_add_f64_e64 v[41:42], v[47:48], -v[41:42]
	s_delay_alu instid0(VALU_DEP_2) | instskip(NEXT) | instid1(VALU_DEP_1)
	v_add_f64_e64 v[49:50], v[49:50], -v[53:54]
	v_add_f64_e32 v[35:36], v[35:36], v[49:50]
	s_delay_alu instid0(VALU_DEP_1) | instskip(NEXT) | instid1(VALU_DEP_1)
	v_add_f64_e32 v[35:36], v[41:42], v[35:36]
	v_add_f64_e32 v[41:42], v[55:56], v[35:36]
	s_delay_alu instid0(VALU_DEP_1) | instskip(SKIP_1) | instid1(VALU_DEP_2)
	v_mul_f64_e32 v[47:48], v[37:38], v[41:42]
	v_add_f64_e64 v[53:54], v[55:56], -v[41:42]
	v_mul_f64_e32 v[49:50], v[43:44], v[47:48]
	s_delay_alu instid0(VALU_DEP_2) | instskip(NEXT) | instid1(VALU_DEP_2)
	v_add_f64_e32 v[35:36], v[35:36], v[53:54]
	v_fma_f64 v[43:44], v[47:48], v[43:44], -v[49:50]
	s_delay_alu instid0(VALU_DEP_1) | instskip(NEXT) | instid1(VALU_DEP_1)
	v_fma_f64 v[39:40], v[47:48], v[39:40], v[43:44]
	v_add_f64_e32 v[43:44], v[49:50], v[39:40]
	s_delay_alu instid0(VALU_DEP_1) | instskip(SKIP_1) | instid1(VALU_DEP_2)
	v_add_f64_e64 v[51:52], v[41:42], -v[43:44]
	v_add_f64_e64 v[49:50], v[43:44], -v[49:50]
	;; [unrolled: 1-line block ×3, first 2 shown]
	s_delay_alu instid0(VALU_DEP_2) | instskip(NEXT) | instid1(VALU_DEP_2)
	v_add_f64_e64 v[39:40], v[49:50], -v[39:40]
	v_add_f64_e64 v[41:42], v[41:42], -v[43:44]
	s_delay_alu instid0(VALU_DEP_1) | instskip(SKIP_1) | instid1(VALU_DEP_2)
	v_add_f64_e32 v[35:36], v[35:36], v[41:42]
	v_add_f64_e32 v[41:42], v[45:46], v[47:48]
	;; [unrolled: 1-line block ×3, first 2 shown]
	s_delay_alu instid0(VALU_DEP_2) | instskip(NEXT) | instid1(VALU_DEP_2)
	v_add_f64_e64 v[39:40], v[41:42], -v[45:46]
	v_add_f64_e32 v[35:36], v[51:52], v[35:36]
	s_delay_alu instid0(VALU_DEP_2) | instskip(NEXT) | instid1(VALU_DEP_2)
	v_add_f64_e64 v[39:40], v[47:48], -v[39:40]
	v_mul_f64_e32 v[35:36], v[37:38], v[35:36]
	s_delay_alu instid0(VALU_DEP_1) | instskip(NEXT) | instid1(VALU_DEP_1)
	v_add_f64_e32 v[35:36], v[39:40], v[35:36]
	v_add_f64_e32 v[37:38], v[41:42], v[35:36]
	s_delay_alu instid0(VALU_DEP_1) | instskip(NEXT) | instid1(VALU_DEP_1)
	v_mul_f64_e32 v[39:40], v[37:38], v[37:38]
	v_fma_f64 v[43:44], v[39:40], s[26:27], s[24:25]
	s_mov_b32 s24, 0xd7f4df2e
	s_mov_b32 s25, 0x3fc7474d
	v_mul_f64_e32 v[45:46], v[37:38], v[39:40]
	s_wait_alu 0xfffe
	s_delay_alu instid0(VALU_DEP_2) | instskip(SKIP_3) | instid1(VALU_DEP_1)
	v_fma_f64 v[43:44], v[39:40], v[43:44], s[24:25]
	s_mov_b32 s24, 0x16291751
	s_mov_b32 s25, 0x3fcc71c0
	s_wait_alu 0xfffe
	v_fma_f64 v[43:44], v[39:40], v[43:44], s[24:25]
	s_mov_b32 s24, 0x9b27acf1
	s_mov_b32 s25, 0x3fd24924
	s_wait_alu 0xfffe
	s_delay_alu instid0(VALU_DEP_1) | instskip(SKIP_3) | instid1(VALU_DEP_1)
	v_fma_f64 v[43:44], v[39:40], v[43:44], s[24:25]
	s_mov_b32 s24, 0x998ef7b6
	s_mov_b32 s25, 0x3fd99999
	s_wait_alu 0xfffe
	v_fma_f64 v[43:44], v[39:40], v[43:44], s[24:25]
	s_delay_alu instid0(VALU_DEP_1)
	v_fma_f64 v[39:40], v[39:40], v[43:44], s[0:1]
	v_ldexp_f64 v[43:44], v[37:38], 1
	v_add_f64_e64 v[37:38], v[37:38], -v[41:42]
	v_cmp_nge_f64_e64 s0, -1.0, v[33:34]
	v_cmp_neq_f64_e64 s1, 0x7ff00000, v[33:34]
	v_mul_f64_e32 v[39:40], v[45:46], v[39:40]
	v_cvt_f64_i32_e32 v[45:46], v0
	v_add_f64_e64 v[35:36], v[35:36], -v[37:38]
	s_and_b32 s0, s0, s1
	s_delay_alu instid0(VALU_DEP_3) | instskip(NEXT) | instid1(VALU_DEP_3)
	v_add_f64_e32 v[41:42], v[43:44], v[39:40]
	v_mul_f64_e32 v[47:48], s[18:19], v[45:46]
	s_delay_alu instid0(VALU_DEP_3) | instskip(NEXT) | instid1(VALU_DEP_3)
	v_ldexp_f64 v[35:36], v[35:36], 1
	v_add_f64_e64 v[37:38], v[41:42], -v[43:44]
	s_delay_alu instid0(VALU_DEP_3) | instskip(NEXT) | instid1(VALU_DEP_2)
	v_fma_f64 v[43:44], v[45:46], s[18:19], -v[47:48]
	v_add_f64_e64 v[37:38], v[39:40], -v[37:38]
	s_delay_alu instid0(VALU_DEP_2) | instskip(NEXT) | instid1(VALU_DEP_2)
	v_fma_f64 v[39:40], v[45:46], s[20:21], v[43:44]
	v_add_f64_e32 v[35:36], v[35:36], v[37:38]
	s_delay_alu instid0(VALU_DEP_2) | instskip(NEXT) | instid1(VALU_DEP_2)
	v_add_f64_e32 v[37:38], v[47:48], v[39:40]
	v_add_f64_e32 v[43:44], v[41:42], v[35:36]
	s_delay_alu instid0(VALU_DEP_2) | instskip(NEXT) | instid1(VALU_DEP_2)
	v_add_f64_e64 v[47:48], v[37:38], -v[47:48]
	v_add_f64_e32 v[45:46], v[37:38], v[43:44]
	v_add_f64_e64 v[41:42], v[43:44], -v[41:42]
	s_delay_alu instid0(VALU_DEP_3) | instskip(NEXT) | instid1(VALU_DEP_3)
	v_add_f64_e64 v[39:40], v[39:40], -v[47:48]
	v_add_f64_e64 v[49:50], v[45:46], -v[37:38]
	s_delay_alu instid0(VALU_DEP_3) | instskip(NEXT) | instid1(VALU_DEP_2)
	v_add_f64_e64 v[35:36], v[35:36], -v[41:42]
	v_add_f64_e64 v[51:52], v[45:46], -v[49:50]
	;; [unrolled: 1-line block ×3, first 2 shown]
	s_delay_alu instid0(VALU_DEP_3) | instskip(NEXT) | instid1(VALU_DEP_3)
	v_add_f64_e32 v[43:44], v[39:40], v[35:36]
	v_add_f64_e64 v[37:38], v[37:38], -v[51:52]
	s_delay_alu instid0(VALU_DEP_1) | instskip(NEXT) | instid1(VALU_DEP_3)
	v_add_f64_e32 v[37:38], v[41:42], v[37:38]
	v_add_f64_e64 v[41:42], v[43:44], -v[39:40]
	s_delay_alu instid0(VALU_DEP_2) | instskip(NEXT) | instid1(VALU_DEP_2)
	v_add_f64_e32 v[37:38], v[43:44], v[37:38]
	v_add_f64_e64 v[43:44], v[43:44], -v[41:42]
	v_add_f64_e64 v[35:36], v[35:36], -v[41:42]
	s_delay_alu instid0(VALU_DEP_3) | instskip(NEXT) | instid1(VALU_DEP_3)
	v_add_f64_e32 v[47:48], v[45:46], v[37:38]
	v_add_f64_e64 v[39:40], v[39:40], -v[43:44]
	s_delay_alu instid0(VALU_DEP_2) | instskip(NEXT) | instid1(VALU_DEP_2)
	v_add_f64_e64 v[41:42], v[47:48], -v[45:46]
	v_add_f64_e32 v[35:36], v[35:36], v[39:40]
	s_delay_alu instid0(VALU_DEP_2) | instskip(NEXT) | instid1(VALU_DEP_1)
	v_add_f64_e64 v[37:38], v[37:38], -v[41:42]
	v_add_f64_e32 v[35:36], v[35:36], v[37:38]
	s_delay_alu instid0(VALU_DEP_1) | instskip(SKIP_1) | instid1(VALU_DEP_1)
	v_add_f64_e32 v[35:36], v[47:48], v[35:36]
	s_wait_alu 0xfffe
	v_cndmask_b32_e64 v35, 0, v35, s0
	v_cmp_neq_f64_e64 s0, -1.0, v[33:34]
	s_delay_alu instid0(VALU_DEP_3) | instskip(NEXT) | instid1(VALU_DEP_1)
	v_cndmask_b32_e64 v0, 0x7ff00000, v36, s1
	v_cndmask_b32_e64 v0, 0x7ff80000, v0, s17
	s_wait_alu 0xf1ff
	s_delay_alu instid0(VALU_DEP_1) | instskip(NEXT) | instid1(VALU_DEP_1)
	v_cndmask_b32_e64 v36, 0xfff00000, v0, s0
	v_add_f64_e32 v[33:34], v[7:8], v[35:36]
.LBB80_136:
	s_wait_alu 0xfffe
	s_or_b32 exec_lo, exec_lo, s22
	s_wait_loadcnt_dscnt 0x0
	s_barrier_signal -1
	s_barrier_wait -1
	global_inv scope:SCOPE_SE
	ds_store_2addr_b64 v94, v[1:2], v[3:4] offset1:1
	ds_store_2addr_b64 v94, v[29:30], v[31:32] offset0:2 offset1:3
	ds_store_2addr_b64 v94, v[25:26], v[27:28] offset0:4 offset1:5
	;; [unrolled: 1-line block ×7, first 2 shown]
	s_wait_loadcnt_dscnt 0x0
	s_barrier_signal -1
	s_barrier_wait -1
	global_inv scope:SCOPE_SE
	ds_load_b64 v[30:31], v79 offset:2048
	ds_load_b64 v[28:29], v80 offset:4096
	;; [unrolled: 1-line block ×15, first 2 shown]
	s_wait_kmcnt 0x0
	v_add_co_u32 v2, s0, s36, v77
	s_wait_alu 0xf1ff
	v_add_co_ci_u32_e64 v3, null, s37, 0, s0
	s_and_saveexec_b32 s0, vcc_lo
	s_cbranch_execnz .LBB80_153
; %bb.137:
	s_wait_alu 0xfffe
	s_or_b32 exec_lo, exec_lo, s0
	s_and_saveexec_b32 s0, s2
	s_cbranch_execnz .LBB80_154
.LBB80_138:
	s_wait_alu 0xfffe
	s_or_b32 exec_lo, exec_lo, s0
	s_and_saveexec_b32 s0, s3
	s_cbranch_execnz .LBB80_155
.LBB80_139:
	s_wait_alu 0xfffe
	s_or_b32 exec_lo, exec_lo, s0
	s_and_saveexec_b32 s0, s4
	s_cbranch_execnz .LBB80_156
.LBB80_140:
	s_wait_alu 0xfffe
	s_or_b32 exec_lo, exec_lo, s0
	s_and_saveexec_b32 s0, s5
	s_cbranch_execnz .LBB80_157
.LBB80_141:
	s_wait_alu 0xfffe
	s_or_b32 exec_lo, exec_lo, s0
	s_and_saveexec_b32 s0, s6
	s_cbranch_execnz .LBB80_158
.LBB80_142:
	s_wait_alu 0xfffe
	s_or_b32 exec_lo, exec_lo, s0
	s_and_saveexec_b32 s0, s7
	s_cbranch_execnz .LBB80_159
.LBB80_143:
	s_wait_alu 0xfffe
	s_or_b32 exec_lo, exec_lo, s0
	s_and_saveexec_b32 s0, s8
	s_cbranch_execnz .LBB80_160
.LBB80_144:
	s_wait_alu 0xfffe
	s_or_b32 exec_lo, exec_lo, s0
	s_and_saveexec_b32 s0, s9
	s_cbranch_execnz .LBB80_161
.LBB80_145:
	s_wait_alu 0xfffe
	s_or_b32 exec_lo, exec_lo, s0
	s_and_saveexec_b32 s0, s10
	s_cbranch_execnz .LBB80_162
.LBB80_146:
	s_wait_alu 0xfffe
	s_or_b32 exec_lo, exec_lo, s0
	s_and_saveexec_b32 s0, s11
	s_cbranch_execnz .LBB80_163
.LBB80_147:
	s_wait_alu 0xfffe
	s_or_b32 exec_lo, exec_lo, s0
	s_and_saveexec_b32 s0, s12
	s_cbranch_execnz .LBB80_164
.LBB80_148:
	s_wait_alu 0xfffe
	s_or_b32 exec_lo, exec_lo, s0
	s_and_saveexec_b32 s0, s13
	s_cbranch_execnz .LBB80_165
.LBB80_149:
	s_wait_alu 0xfffe
	s_or_b32 exec_lo, exec_lo, s0
	s_and_saveexec_b32 s0, s14
	s_cbranch_execnz .LBB80_166
.LBB80_150:
	s_wait_alu 0xfffe
	s_or_b32 exec_lo, exec_lo, s0
	s_and_saveexec_b32 s0, s15
	s_cbranch_execnz .LBB80_167
.LBB80_151:
	s_wait_alu 0xfffe
	s_or_b32 exec_lo, exec_lo, s0
	s_and_saveexec_b32 s0, s16
	s_cbranch_execnz .LBB80_168
.LBB80_152:
	s_nop 0
	s_sendmsg sendmsg(MSG_DEALLOC_VGPRS)
	s_endpgm
.LBB80_153:
	ds_load_b64 v[32:33], v78
	s_wait_dscnt 0x0
	global_store_b64 v[2:3], v[32:33], off
	s_wait_alu 0xfffe
	s_or_b32 exec_lo, exec_lo, s0
	s_and_saveexec_b32 s0, s2
	s_cbranch_execz .LBB80_138
.LBB80_154:
	s_wait_dscnt 0xe
	global_store_b64 v[2:3], v[30:31], off offset:2048
	s_wait_alu 0xfffe
	s_or_b32 exec_lo, exec_lo, s0
	s_and_saveexec_b32 s0, s3
	s_cbranch_execz .LBB80_139
.LBB80_155:
	s_wait_dscnt 0xd
	global_store_b64 v[2:3], v[28:29], off offset:4096
	s_wait_alu 0xfffe
	s_or_b32 exec_lo, exec_lo, s0
	s_and_saveexec_b32 s0, s4
	s_cbranch_execz .LBB80_140
.LBB80_156:
	s_wait_dscnt 0xc
	global_store_b64 v[2:3], v[26:27], off offset:6144
	s_wait_alu 0xfffe
	s_or_b32 exec_lo, exec_lo, s0
	s_and_saveexec_b32 s0, s5
	s_cbranch_execz .LBB80_141
.LBB80_157:
	s_wait_dscnt 0xb
	global_store_b64 v[2:3], v[24:25], off offset:8192
	s_wait_alu 0xfffe
	s_or_b32 exec_lo, exec_lo, s0
	s_and_saveexec_b32 s0, s6
	s_cbranch_execz .LBB80_142
.LBB80_158:
	s_wait_dscnt 0xa
	global_store_b64 v[2:3], v[22:23], off offset:10240
	s_wait_alu 0xfffe
	s_or_b32 exec_lo, exec_lo, s0
	s_and_saveexec_b32 s0, s7
	s_cbranch_execz .LBB80_143
.LBB80_159:
	s_wait_dscnt 0x9
	global_store_b64 v[2:3], v[20:21], off offset:12288
	s_wait_alu 0xfffe
	s_or_b32 exec_lo, exec_lo, s0
	s_and_saveexec_b32 s0, s8
	s_cbranch_execz .LBB80_144
.LBB80_160:
	s_wait_dscnt 0x8
	global_store_b64 v[2:3], v[18:19], off offset:14336
	s_wait_alu 0xfffe
	s_or_b32 exec_lo, exec_lo, s0
	s_and_saveexec_b32 s0, s9
	s_cbranch_execz .LBB80_145
.LBB80_161:
	s_wait_dscnt 0x7
	global_store_b64 v[2:3], v[16:17], off offset:16384
	s_wait_alu 0xfffe
	s_or_b32 exec_lo, exec_lo, s0
	s_and_saveexec_b32 s0, s10
	s_cbranch_execz .LBB80_146
.LBB80_162:
	s_wait_dscnt 0x6
	global_store_b64 v[2:3], v[14:15], off offset:18432
	s_wait_alu 0xfffe
	s_or_b32 exec_lo, exec_lo, s0
	s_and_saveexec_b32 s0, s11
	s_cbranch_execz .LBB80_147
.LBB80_163:
	s_wait_dscnt 0x5
	global_store_b64 v[2:3], v[12:13], off offset:20480
	s_wait_alu 0xfffe
	s_or_b32 exec_lo, exec_lo, s0
	s_and_saveexec_b32 s0, s12
	s_cbranch_execz .LBB80_148
.LBB80_164:
	s_wait_dscnt 0x4
	global_store_b64 v[2:3], v[10:11], off offset:22528
	s_wait_alu 0xfffe
	s_or_b32 exec_lo, exec_lo, s0
	s_and_saveexec_b32 s0, s13
	s_cbranch_execz .LBB80_149
.LBB80_165:
	s_wait_dscnt 0x3
	global_store_b64 v[2:3], v[8:9], off offset:24576
	s_wait_alu 0xfffe
	s_or_b32 exec_lo, exec_lo, s0
	s_and_saveexec_b32 s0, s14
	s_cbranch_execz .LBB80_150
.LBB80_166:
	s_wait_dscnt 0x2
	global_store_b64 v[2:3], v[6:7], off offset:26624
	s_wait_alu 0xfffe
	s_or_b32 exec_lo, exec_lo, s0
	s_and_saveexec_b32 s0, s15
	s_cbranch_execz .LBB80_151
.LBB80_167:
	s_wait_dscnt 0x1
	global_store_b64 v[2:3], v[4:5], off offset:28672
	s_wait_alu 0xfffe
	s_or_b32 exec_lo, exec_lo, s0
	s_and_saveexec_b32 s0, s16
	s_cbranch_execz .LBB80_152
.LBB80_168:
	s_wait_dscnt 0x0
	global_store_b64 v[2:3], v[0:1], off offset:30720
	s_nop 0
	s_sendmsg sendmsg(MSG_DEALLOC_VGPRS)
	s_endpgm
	.section	.rodata,"a",@progbits
	.p2align	6, 0x0
	.amdhsa_kernel _ZN7rocprim17ROCPRIM_400000_NS6detail17trampoline_kernelINS0_14default_configENS1_20scan_config_selectorIdEEZZNS1_9scan_implILNS1_25lookback_scan_determinismE0ELb0ELb0ES3_PKdPddZZZN2at6native31launch_logcumsumexp_cuda_kernelERKNSB_10TensorBaseESF_lENKUlvE_clEvENKUlvE_clEvEUlddE_dEEDaPvRmT3_T4_T5_mT6_P12ihipStream_tbENKUlT_T0_E_clISt17integral_constantIbLb0EESV_IbLb1EEEEDaSR_SS_EUlSR_E0_NS1_11comp_targetILNS1_3genE10ELNS1_11target_archE1201ELNS1_3gpuE5ELNS1_3repE0EEENS1_30default_config_static_selectorELNS0_4arch9wavefront6targetE0EEEvT1_
		.amdhsa_group_segment_fixed_size 33792
		.amdhsa_private_segment_fixed_size 0
		.amdhsa_kernarg_size 40
		.amdhsa_user_sgpr_count 2
		.amdhsa_user_sgpr_dispatch_ptr 0
		.amdhsa_user_sgpr_queue_ptr 0
		.amdhsa_user_sgpr_kernarg_segment_ptr 1
		.amdhsa_user_sgpr_dispatch_id 0
		.amdhsa_user_sgpr_private_segment_size 0
		.amdhsa_wavefront_size32 1
		.amdhsa_uses_dynamic_stack 0
		.amdhsa_enable_private_segment 0
		.amdhsa_system_sgpr_workgroup_id_x 1
		.amdhsa_system_sgpr_workgroup_id_y 0
		.amdhsa_system_sgpr_workgroup_id_z 0
		.amdhsa_system_sgpr_workgroup_info 0
		.amdhsa_system_vgpr_workitem_id 0
		.amdhsa_next_free_vgpr 217
		.amdhsa_next_free_sgpr 48
		.amdhsa_reserve_vcc 1
		.amdhsa_float_round_mode_32 0
		.amdhsa_float_round_mode_16_64 0
		.amdhsa_float_denorm_mode_32 3
		.amdhsa_float_denorm_mode_16_64 3
		.amdhsa_fp16_overflow 0
		.amdhsa_workgroup_processor_mode 1
		.amdhsa_memory_ordered 1
		.amdhsa_forward_progress 1
		.amdhsa_inst_pref_size 255
		.amdhsa_round_robin_scheduling 0
		.amdhsa_exception_fp_ieee_invalid_op 0
		.amdhsa_exception_fp_denorm_src 0
		.amdhsa_exception_fp_ieee_div_zero 0
		.amdhsa_exception_fp_ieee_overflow 0
		.amdhsa_exception_fp_ieee_underflow 0
		.amdhsa_exception_fp_ieee_inexact 0
		.amdhsa_exception_int_div_zero 0
	.end_amdhsa_kernel
	.section	.text._ZN7rocprim17ROCPRIM_400000_NS6detail17trampoline_kernelINS0_14default_configENS1_20scan_config_selectorIdEEZZNS1_9scan_implILNS1_25lookback_scan_determinismE0ELb0ELb0ES3_PKdPddZZZN2at6native31launch_logcumsumexp_cuda_kernelERKNSB_10TensorBaseESF_lENKUlvE_clEvENKUlvE_clEvEUlddE_dEEDaPvRmT3_T4_T5_mT6_P12ihipStream_tbENKUlT_T0_E_clISt17integral_constantIbLb0EESV_IbLb1EEEEDaSR_SS_EUlSR_E0_NS1_11comp_targetILNS1_3genE10ELNS1_11target_archE1201ELNS1_3gpuE5ELNS1_3repE0EEENS1_30default_config_static_selectorELNS0_4arch9wavefront6targetE0EEEvT1_,"axG",@progbits,_ZN7rocprim17ROCPRIM_400000_NS6detail17trampoline_kernelINS0_14default_configENS1_20scan_config_selectorIdEEZZNS1_9scan_implILNS1_25lookback_scan_determinismE0ELb0ELb0ES3_PKdPddZZZN2at6native31launch_logcumsumexp_cuda_kernelERKNSB_10TensorBaseESF_lENKUlvE_clEvENKUlvE_clEvEUlddE_dEEDaPvRmT3_T4_T5_mT6_P12ihipStream_tbENKUlT_T0_E_clISt17integral_constantIbLb0EESV_IbLb1EEEEDaSR_SS_EUlSR_E0_NS1_11comp_targetILNS1_3genE10ELNS1_11target_archE1201ELNS1_3gpuE5ELNS1_3repE0EEENS1_30default_config_static_selectorELNS0_4arch9wavefront6targetE0EEEvT1_,comdat
.Lfunc_end80:
	.size	_ZN7rocprim17ROCPRIM_400000_NS6detail17trampoline_kernelINS0_14default_configENS1_20scan_config_selectorIdEEZZNS1_9scan_implILNS1_25lookback_scan_determinismE0ELb0ELb0ES3_PKdPddZZZN2at6native31launch_logcumsumexp_cuda_kernelERKNSB_10TensorBaseESF_lENKUlvE_clEvENKUlvE_clEvEUlddE_dEEDaPvRmT3_T4_T5_mT6_P12ihipStream_tbENKUlT_T0_E_clISt17integral_constantIbLb0EESV_IbLb1EEEEDaSR_SS_EUlSR_E0_NS1_11comp_targetILNS1_3genE10ELNS1_11target_archE1201ELNS1_3gpuE5ELNS1_3repE0EEENS1_30default_config_static_selectorELNS0_4arch9wavefront6targetE0EEEvT1_, .Lfunc_end80-_ZN7rocprim17ROCPRIM_400000_NS6detail17trampoline_kernelINS0_14default_configENS1_20scan_config_selectorIdEEZZNS1_9scan_implILNS1_25lookback_scan_determinismE0ELb0ELb0ES3_PKdPddZZZN2at6native31launch_logcumsumexp_cuda_kernelERKNSB_10TensorBaseESF_lENKUlvE_clEvENKUlvE_clEvEUlddE_dEEDaPvRmT3_T4_T5_mT6_P12ihipStream_tbENKUlT_T0_E_clISt17integral_constantIbLb0EESV_IbLb1EEEEDaSR_SS_EUlSR_E0_NS1_11comp_targetILNS1_3genE10ELNS1_11target_archE1201ELNS1_3gpuE5ELNS1_3repE0EEENS1_30default_config_static_selectorELNS0_4arch9wavefront6targetE0EEEvT1_
                                        ; -- End function
	.set _ZN7rocprim17ROCPRIM_400000_NS6detail17trampoline_kernelINS0_14default_configENS1_20scan_config_selectorIdEEZZNS1_9scan_implILNS1_25lookback_scan_determinismE0ELb0ELb0ES3_PKdPddZZZN2at6native31launch_logcumsumexp_cuda_kernelERKNSB_10TensorBaseESF_lENKUlvE_clEvENKUlvE_clEvEUlddE_dEEDaPvRmT3_T4_T5_mT6_P12ihipStream_tbENKUlT_T0_E_clISt17integral_constantIbLb0EESV_IbLb1EEEEDaSR_SS_EUlSR_E0_NS1_11comp_targetILNS1_3genE10ELNS1_11target_archE1201ELNS1_3gpuE5ELNS1_3repE0EEENS1_30default_config_static_selectorELNS0_4arch9wavefront6targetE0EEEvT1_.num_vgpr, 119
	.set _ZN7rocprim17ROCPRIM_400000_NS6detail17trampoline_kernelINS0_14default_configENS1_20scan_config_selectorIdEEZZNS1_9scan_implILNS1_25lookback_scan_determinismE0ELb0ELb0ES3_PKdPddZZZN2at6native31launch_logcumsumexp_cuda_kernelERKNSB_10TensorBaseESF_lENKUlvE_clEvENKUlvE_clEvEUlddE_dEEDaPvRmT3_T4_T5_mT6_P12ihipStream_tbENKUlT_T0_E_clISt17integral_constantIbLb0EESV_IbLb1EEEEDaSR_SS_EUlSR_E0_NS1_11comp_targetILNS1_3genE10ELNS1_11target_archE1201ELNS1_3gpuE5ELNS1_3repE0EEENS1_30default_config_static_selectorELNS0_4arch9wavefront6targetE0EEEvT1_.num_agpr, 0
	.set _ZN7rocprim17ROCPRIM_400000_NS6detail17trampoline_kernelINS0_14default_configENS1_20scan_config_selectorIdEEZZNS1_9scan_implILNS1_25lookback_scan_determinismE0ELb0ELb0ES3_PKdPddZZZN2at6native31launch_logcumsumexp_cuda_kernelERKNSB_10TensorBaseESF_lENKUlvE_clEvENKUlvE_clEvEUlddE_dEEDaPvRmT3_T4_T5_mT6_P12ihipStream_tbENKUlT_T0_E_clISt17integral_constantIbLb0EESV_IbLb1EEEEDaSR_SS_EUlSR_E0_NS1_11comp_targetILNS1_3genE10ELNS1_11target_archE1201ELNS1_3gpuE5ELNS1_3repE0EEENS1_30default_config_static_selectorELNS0_4arch9wavefront6targetE0EEEvT1_.numbered_sgpr, 48
	.set _ZN7rocprim17ROCPRIM_400000_NS6detail17trampoline_kernelINS0_14default_configENS1_20scan_config_selectorIdEEZZNS1_9scan_implILNS1_25lookback_scan_determinismE0ELb0ELb0ES3_PKdPddZZZN2at6native31launch_logcumsumexp_cuda_kernelERKNSB_10TensorBaseESF_lENKUlvE_clEvENKUlvE_clEvEUlddE_dEEDaPvRmT3_T4_T5_mT6_P12ihipStream_tbENKUlT_T0_E_clISt17integral_constantIbLb0EESV_IbLb1EEEEDaSR_SS_EUlSR_E0_NS1_11comp_targetILNS1_3genE10ELNS1_11target_archE1201ELNS1_3gpuE5ELNS1_3repE0EEENS1_30default_config_static_selectorELNS0_4arch9wavefront6targetE0EEEvT1_.num_named_barrier, 0
	.set _ZN7rocprim17ROCPRIM_400000_NS6detail17trampoline_kernelINS0_14default_configENS1_20scan_config_selectorIdEEZZNS1_9scan_implILNS1_25lookback_scan_determinismE0ELb0ELb0ES3_PKdPddZZZN2at6native31launch_logcumsumexp_cuda_kernelERKNSB_10TensorBaseESF_lENKUlvE_clEvENKUlvE_clEvEUlddE_dEEDaPvRmT3_T4_T5_mT6_P12ihipStream_tbENKUlT_T0_E_clISt17integral_constantIbLb0EESV_IbLb1EEEEDaSR_SS_EUlSR_E0_NS1_11comp_targetILNS1_3genE10ELNS1_11target_archE1201ELNS1_3gpuE5ELNS1_3repE0EEENS1_30default_config_static_selectorELNS0_4arch9wavefront6targetE0EEEvT1_.private_seg_size, 0
	.set _ZN7rocprim17ROCPRIM_400000_NS6detail17trampoline_kernelINS0_14default_configENS1_20scan_config_selectorIdEEZZNS1_9scan_implILNS1_25lookback_scan_determinismE0ELb0ELb0ES3_PKdPddZZZN2at6native31launch_logcumsumexp_cuda_kernelERKNSB_10TensorBaseESF_lENKUlvE_clEvENKUlvE_clEvEUlddE_dEEDaPvRmT3_T4_T5_mT6_P12ihipStream_tbENKUlT_T0_E_clISt17integral_constantIbLb0EESV_IbLb1EEEEDaSR_SS_EUlSR_E0_NS1_11comp_targetILNS1_3genE10ELNS1_11target_archE1201ELNS1_3gpuE5ELNS1_3repE0EEENS1_30default_config_static_selectorELNS0_4arch9wavefront6targetE0EEEvT1_.uses_vcc, 1
	.set _ZN7rocprim17ROCPRIM_400000_NS6detail17trampoline_kernelINS0_14default_configENS1_20scan_config_selectorIdEEZZNS1_9scan_implILNS1_25lookback_scan_determinismE0ELb0ELb0ES3_PKdPddZZZN2at6native31launch_logcumsumexp_cuda_kernelERKNSB_10TensorBaseESF_lENKUlvE_clEvENKUlvE_clEvEUlddE_dEEDaPvRmT3_T4_T5_mT6_P12ihipStream_tbENKUlT_T0_E_clISt17integral_constantIbLb0EESV_IbLb1EEEEDaSR_SS_EUlSR_E0_NS1_11comp_targetILNS1_3genE10ELNS1_11target_archE1201ELNS1_3gpuE5ELNS1_3repE0EEENS1_30default_config_static_selectorELNS0_4arch9wavefront6targetE0EEEvT1_.uses_flat_scratch, 0
	.set _ZN7rocprim17ROCPRIM_400000_NS6detail17trampoline_kernelINS0_14default_configENS1_20scan_config_selectorIdEEZZNS1_9scan_implILNS1_25lookback_scan_determinismE0ELb0ELb0ES3_PKdPddZZZN2at6native31launch_logcumsumexp_cuda_kernelERKNSB_10TensorBaseESF_lENKUlvE_clEvENKUlvE_clEvEUlddE_dEEDaPvRmT3_T4_T5_mT6_P12ihipStream_tbENKUlT_T0_E_clISt17integral_constantIbLb0EESV_IbLb1EEEEDaSR_SS_EUlSR_E0_NS1_11comp_targetILNS1_3genE10ELNS1_11target_archE1201ELNS1_3gpuE5ELNS1_3repE0EEENS1_30default_config_static_selectorELNS0_4arch9wavefront6targetE0EEEvT1_.has_dyn_sized_stack, 0
	.set _ZN7rocprim17ROCPRIM_400000_NS6detail17trampoline_kernelINS0_14default_configENS1_20scan_config_selectorIdEEZZNS1_9scan_implILNS1_25lookback_scan_determinismE0ELb0ELb0ES3_PKdPddZZZN2at6native31launch_logcumsumexp_cuda_kernelERKNSB_10TensorBaseESF_lENKUlvE_clEvENKUlvE_clEvEUlddE_dEEDaPvRmT3_T4_T5_mT6_P12ihipStream_tbENKUlT_T0_E_clISt17integral_constantIbLb0EESV_IbLb1EEEEDaSR_SS_EUlSR_E0_NS1_11comp_targetILNS1_3genE10ELNS1_11target_archE1201ELNS1_3gpuE5ELNS1_3repE0EEENS1_30default_config_static_selectorELNS0_4arch9wavefront6targetE0EEEvT1_.has_recursion, 0
	.set _ZN7rocprim17ROCPRIM_400000_NS6detail17trampoline_kernelINS0_14default_configENS1_20scan_config_selectorIdEEZZNS1_9scan_implILNS1_25lookback_scan_determinismE0ELb0ELb0ES3_PKdPddZZZN2at6native31launch_logcumsumexp_cuda_kernelERKNSB_10TensorBaseESF_lENKUlvE_clEvENKUlvE_clEvEUlddE_dEEDaPvRmT3_T4_T5_mT6_P12ihipStream_tbENKUlT_T0_E_clISt17integral_constantIbLb0EESV_IbLb1EEEEDaSR_SS_EUlSR_E0_NS1_11comp_targetILNS1_3genE10ELNS1_11target_archE1201ELNS1_3gpuE5ELNS1_3repE0EEENS1_30default_config_static_selectorELNS0_4arch9wavefront6targetE0EEEvT1_.has_indirect_call, 0
	.section	.AMDGPU.csdata,"",@progbits
; Kernel info:
; codeLenInByte = 74652
; TotalNumSgprs: 50
; NumVgprs: 119
; ScratchSize: 0
; MemoryBound: 0
; FloatMode: 240
; IeeeMode: 1
; LDSByteSize: 33792 bytes/workgroup (compile time only)
; SGPRBlocks: 0
; VGPRBlocks: 27
; NumSGPRsForWavesPerEU: 50
; NumVGPRsForWavesPerEU: 217
; Occupancy: 6
; WaveLimiterHint : 0
; COMPUTE_PGM_RSRC2:SCRATCH_EN: 0
; COMPUTE_PGM_RSRC2:USER_SGPR: 2
; COMPUTE_PGM_RSRC2:TRAP_HANDLER: 0
; COMPUTE_PGM_RSRC2:TGID_X_EN: 1
; COMPUTE_PGM_RSRC2:TGID_Y_EN: 0
; COMPUTE_PGM_RSRC2:TGID_Z_EN: 0
; COMPUTE_PGM_RSRC2:TIDIG_COMP_CNT: 0
	.section	.text._ZN7rocprim17ROCPRIM_400000_NS6detail17trampoline_kernelINS0_14default_configENS1_20scan_config_selectorIdEEZZNS1_9scan_implILNS1_25lookback_scan_determinismE0ELb0ELb0ES3_PKdPddZZZN2at6native31launch_logcumsumexp_cuda_kernelERKNSB_10TensorBaseESF_lENKUlvE_clEvENKUlvE_clEvEUlddE_dEEDaPvRmT3_T4_T5_mT6_P12ihipStream_tbENKUlT_T0_E_clISt17integral_constantIbLb0EESV_IbLb1EEEEDaSR_SS_EUlSR_E0_NS1_11comp_targetILNS1_3genE10ELNS1_11target_archE1200ELNS1_3gpuE4ELNS1_3repE0EEENS1_30default_config_static_selectorELNS0_4arch9wavefront6targetE0EEEvT1_,"axG",@progbits,_ZN7rocprim17ROCPRIM_400000_NS6detail17trampoline_kernelINS0_14default_configENS1_20scan_config_selectorIdEEZZNS1_9scan_implILNS1_25lookback_scan_determinismE0ELb0ELb0ES3_PKdPddZZZN2at6native31launch_logcumsumexp_cuda_kernelERKNSB_10TensorBaseESF_lENKUlvE_clEvENKUlvE_clEvEUlddE_dEEDaPvRmT3_T4_T5_mT6_P12ihipStream_tbENKUlT_T0_E_clISt17integral_constantIbLb0EESV_IbLb1EEEEDaSR_SS_EUlSR_E0_NS1_11comp_targetILNS1_3genE10ELNS1_11target_archE1200ELNS1_3gpuE4ELNS1_3repE0EEENS1_30default_config_static_selectorELNS0_4arch9wavefront6targetE0EEEvT1_,comdat
	.globl	_ZN7rocprim17ROCPRIM_400000_NS6detail17trampoline_kernelINS0_14default_configENS1_20scan_config_selectorIdEEZZNS1_9scan_implILNS1_25lookback_scan_determinismE0ELb0ELb0ES3_PKdPddZZZN2at6native31launch_logcumsumexp_cuda_kernelERKNSB_10TensorBaseESF_lENKUlvE_clEvENKUlvE_clEvEUlddE_dEEDaPvRmT3_T4_T5_mT6_P12ihipStream_tbENKUlT_T0_E_clISt17integral_constantIbLb0EESV_IbLb1EEEEDaSR_SS_EUlSR_E0_NS1_11comp_targetILNS1_3genE10ELNS1_11target_archE1200ELNS1_3gpuE4ELNS1_3repE0EEENS1_30default_config_static_selectorELNS0_4arch9wavefront6targetE0EEEvT1_ ; -- Begin function _ZN7rocprim17ROCPRIM_400000_NS6detail17trampoline_kernelINS0_14default_configENS1_20scan_config_selectorIdEEZZNS1_9scan_implILNS1_25lookback_scan_determinismE0ELb0ELb0ES3_PKdPddZZZN2at6native31launch_logcumsumexp_cuda_kernelERKNSB_10TensorBaseESF_lENKUlvE_clEvENKUlvE_clEvEUlddE_dEEDaPvRmT3_T4_T5_mT6_P12ihipStream_tbENKUlT_T0_E_clISt17integral_constantIbLb0EESV_IbLb1EEEEDaSR_SS_EUlSR_E0_NS1_11comp_targetILNS1_3genE10ELNS1_11target_archE1200ELNS1_3gpuE4ELNS1_3repE0EEENS1_30default_config_static_selectorELNS0_4arch9wavefront6targetE0EEEvT1_
	.p2align	8
	.type	_ZN7rocprim17ROCPRIM_400000_NS6detail17trampoline_kernelINS0_14default_configENS1_20scan_config_selectorIdEEZZNS1_9scan_implILNS1_25lookback_scan_determinismE0ELb0ELb0ES3_PKdPddZZZN2at6native31launch_logcumsumexp_cuda_kernelERKNSB_10TensorBaseESF_lENKUlvE_clEvENKUlvE_clEvEUlddE_dEEDaPvRmT3_T4_T5_mT6_P12ihipStream_tbENKUlT_T0_E_clISt17integral_constantIbLb0EESV_IbLb1EEEEDaSR_SS_EUlSR_E0_NS1_11comp_targetILNS1_3genE10ELNS1_11target_archE1200ELNS1_3gpuE4ELNS1_3repE0EEENS1_30default_config_static_selectorELNS0_4arch9wavefront6targetE0EEEvT1_,@function
_ZN7rocprim17ROCPRIM_400000_NS6detail17trampoline_kernelINS0_14default_configENS1_20scan_config_selectorIdEEZZNS1_9scan_implILNS1_25lookback_scan_determinismE0ELb0ELb0ES3_PKdPddZZZN2at6native31launch_logcumsumexp_cuda_kernelERKNSB_10TensorBaseESF_lENKUlvE_clEvENKUlvE_clEvEUlddE_dEEDaPvRmT3_T4_T5_mT6_P12ihipStream_tbENKUlT_T0_E_clISt17integral_constantIbLb0EESV_IbLb1EEEEDaSR_SS_EUlSR_E0_NS1_11comp_targetILNS1_3genE10ELNS1_11target_archE1200ELNS1_3gpuE4ELNS1_3repE0EEENS1_30default_config_static_selectorELNS0_4arch9wavefront6targetE0EEEvT1_: ; @_ZN7rocprim17ROCPRIM_400000_NS6detail17trampoline_kernelINS0_14default_configENS1_20scan_config_selectorIdEEZZNS1_9scan_implILNS1_25lookback_scan_determinismE0ELb0ELb0ES3_PKdPddZZZN2at6native31launch_logcumsumexp_cuda_kernelERKNSB_10TensorBaseESF_lENKUlvE_clEvENKUlvE_clEvEUlddE_dEEDaPvRmT3_T4_T5_mT6_P12ihipStream_tbENKUlT_T0_E_clISt17integral_constantIbLb0EESV_IbLb1EEEEDaSR_SS_EUlSR_E0_NS1_11comp_targetILNS1_3genE10ELNS1_11target_archE1200ELNS1_3gpuE4ELNS1_3repE0EEENS1_30default_config_static_selectorELNS0_4arch9wavefront6targetE0EEEvT1_
; %bb.0:
	.section	.rodata,"a",@progbits
	.p2align	6, 0x0
	.amdhsa_kernel _ZN7rocprim17ROCPRIM_400000_NS6detail17trampoline_kernelINS0_14default_configENS1_20scan_config_selectorIdEEZZNS1_9scan_implILNS1_25lookback_scan_determinismE0ELb0ELb0ES3_PKdPddZZZN2at6native31launch_logcumsumexp_cuda_kernelERKNSB_10TensorBaseESF_lENKUlvE_clEvENKUlvE_clEvEUlddE_dEEDaPvRmT3_T4_T5_mT6_P12ihipStream_tbENKUlT_T0_E_clISt17integral_constantIbLb0EESV_IbLb1EEEEDaSR_SS_EUlSR_E0_NS1_11comp_targetILNS1_3genE10ELNS1_11target_archE1200ELNS1_3gpuE4ELNS1_3repE0EEENS1_30default_config_static_selectorELNS0_4arch9wavefront6targetE0EEEvT1_
		.amdhsa_group_segment_fixed_size 0
		.amdhsa_private_segment_fixed_size 0
		.amdhsa_kernarg_size 40
		.amdhsa_user_sgpr_count 2
		.amdhsa_user_sgpr_dispatch_ptr 0
		.amdhsa_user_sgpr_queue_ptr 0
		.amdhsa_user_sgpr_kernarg_segment_ptr 1
		.amdhsa_user_sgpr_dispatch_id 0
		.amdhsa_user_sgpr_private_segment_size 0
		.amdhsa_wavefront_size32 1
		.amdhsa_uses_dynamic_stack 0
		.amdhsa_enable_private_segment 0
		.amdhsa_system_sgpr_workgroup_id_x 1
		.amdhsa_system_sgpr_workgroup_id_y 0
		.amdhsa_system_sgpr_workgroup_id_z 0
		.amdhsa_system_sgpr_workgroup_info 0
		.amdhsa_system_vgpr_workitem_id 0
		.amdhsa_next_free_vgpr 1
		.amdhsa_next_free_sgpr 1
		.amdhsa_reserve_vcc 0
		.amdhsa_float_round_mode_32 0
		.amdhsa_float_round_mode_16_64 0
		.amdhsa_float_denorm_mode_32 3
		.amdhsa_float_denorm_mode_16_64 3
		.amdhsa_fp16_overflow 0
		.amdhsa_workgroup_processor_mode 1
		.amdhsa_memory_ordered 1
		.amdhsa_forward_progress 1
		.amdhsa_inst_pref_size 0
		.amdhsa_round_robin_scheduling 0
		.amdhsa_exception_fp_ieee_invalid_op 0
		.amdhsa_exception_fp_denorm_src 0
		.amdhsa_exception_fp_ieee_div_zero 0
		.amdhsa_exception_fp_ieee_overflow 0
		.amdhsa_exception_fp_ieee_underflow 0
		.amdhsa_exception_fp_ieee_inexact 0
		.amdhsa_exception_int_div_zero 0
	.end_amdhsa_kernel
	.section	.text._ZN7rocprim17ROCPRIM_400000_NS6detail17trampoline_kernelINS0_14default_configENS1_20scan_config_selectorIdEEZZNS1_9scan_implILNS1_25lookback_scan_determinismE0ELb0ELb0ES3_PKdPddZZZN2at6native31launch_logcumsumexp_cuda_kernelERKNSB_10TensorBaseESF_lENKUlvE_clEvENKUlvE_clEvEUlddE_dEEDaPvRmT3_T4_T5_mT6_P12ihipStream_tbENKUlT_T0_E_clISt17integral_constantIbLb0EESV_IbLb1EEEEDaSR_SS_EUlSR_E0_NS1_11comp_targetILNS1_3genE10ELNS1_11target_archE1200ELNS1_3gpuE4ELNS1_3repE0EEENS1_30default_config_static_selectorELNS0_4arch9wavefront6targetE0EEEvT1_,"axG",@progbits,_ZN7rocprim17ROCPRIM_400000_NS6detail17trampoline_kernelINS0_14default_configENS1_20scan_config_selectorIdEEZZNS1_9scan_implILNS1_25lookback_scan_determinismE0ELb0ELb0ES3_PKdPddZZZN2at6native31launch_logcumsumexp_cuda_kernelERKNSB_10TensorBaseESF_lENKUlvE_clEvENKUlvE_clEvEUlddE_dEEDaPvRmT3_T4_T5_mT6_P12ihipStream_tbENKUlT_T0_E_clISt17integral_constantIbLb0EESV_IbLb1EEEEDaSR_SS_EUlSR_E0_NS1_11comp_targetILNS1_3genE10ELNS1_11target_archE1200ELNS1_3gpuE4ELNS1_3repE0EEENS1_30default_config_static_selectorELNS0_4arch9wavefront6targetE0EEEvT1_,comdat
.Lfunc_end81:
	.size	_ZN7rocprim17ROCPRIM_400000_NS6detail17trampoline_kernelINS0_14default_configENS1_20scan_config_selectorIdEEZZNS1_9scan_implILNS1_25lookback_scan_determinismE0ELb0ELb0ES3_PKdPddZZZN2at6native31launch_logcumsumexp_cuda_kernelERKNSB_10TensorBaseESF_lENKUlvE_clEvENKUlvE_clEvEUlddE_dEEDaPvRmT3_T4_T5_mT6_P12ihipStream_tbENKUlT_T0_E_clISt17integral_constantIbLb0EESV_IbLb1EEEEDaSR_SS_EUlSR_E0_NS1_11comp_targetILNS1_3genE10ELNS1_11target_archE1200ELNS1_3gpuE4ELNS1_3repE0EEENS1_30default_config_static_selectorELNS0_4arch9wavefront6targetE0EEEvT1_, .Lfunc_end81-_ZN7rocprim17ROCPRIM_400000_NS6detail17trampoline_kernelINS0_14default_configENS1_20scan_config_selectorIdEEZZNS1_9scan_implILNS1_25lookback_scan_determinismE0ELb0ELb0ES3_PKdPddZZZN2at6native31launch_logcumsumexp_cuda_kernelERKNSB_10TensorBaseESF_lENKUlvE_clEvENKUlvE_clEvEUlddE_dEEDaPvRmT3_T4_T5_mT6_P12ihipStream_tbENKUlT_T0_E_clISt17integral_constantIbLb0EESV_IbLb1EEEEDaSR_SS_EUlSR_E0_NS1_11comp_targetILNS1_3genE10ELNS1_11target_archE1200ELNS1_3gpuE4ELNS1_3repE0EEENS1_30default_config_static_selectorELNS0_4arch9wavefront6targetE0EEEvT1_
                                        ; -- End function
	.set _ZN7rocprim17ROCPRIM_400000_NS6detail17trampoline_kernelINS0_14default_configENS1_20scan_config_selectorIdEEZZNS1_9scan_implILNS1_25lookback_scan_determinismE0ELb0ELb0ES3_PKdPddZZZN2at6native31launch_logcumsumexp_cuda_kernelERKNSB_10TensorBaseESF_lENKUlvE_clEvENKUlvE_clEvEUlddE_dEEDaPvRmT3_T4_T5_mT6_P12ihipStream_tbENKUlT_T0_E_clISt17integral_constantIbLb0EESV_IbLb1EEEEDaSR_SS_EUlSR_E0_NS1_11comp_targetILNS1_3genE10ELNS1_11target_archE1200ELNS1_3gpuE4ELNS1_3repE0EEENS1_30default_config_static_selectorELNS0_4arch9wavefront6targetE0EEEvT1_.num_vgpr, 0
	.set _ZN7rocprim17ROCPRIM_400000_NS6detail17trampoline_kernelINS0_14default_configENS1_20scan_config_selectorIdEEZZNS1_9scan_implILNS1_25lookback_scan_determinismE0ELb0ELb0ES3_PKdPddZZZN2at6native31launch_logcumsumexp_cuda_kernelERKNSB_10TensorBaseESF_lENKUlvE_clEvENKUlvE_clEvEUlddE_dEEDaPvRmT3_T4_T5_mT6_P12ihipStream_tbENKUlT_T0_E_clISt17integral_constantIbLb0EESV_IbLb1EEEEDaSR_SS_EUlSR_E0_NS1_11comp_targetILNS1_3genE10ELNS1_11target_archE1200ELNS1_3gpuE4ELNS1_3repE0EEENS1_30default_config_static_selectorELNS0_4arch9wavefront6targetE0EEEvT1_.num_agpr, 0
	.set _ZN7rocprim17ROCPRIM_400000_NS6detail17trampoline_kernelINS0_14default_configENS1_20scan_config_selectorIdEEZZNS1_9scan_implILNS1_25lookback_scan_determinismE0ELb0ELb0ES3_PKdPddZZZN2at6native31launch_logcumsumexp_cuda_kernelERKNSB_10TensorBaseESF_lENKUlvE_clEvENKUlvE_clEvEUlddE_dEEDaPvRmT3_T4_T5_mT6_P12ihipStream_tbENKUlT_T0_E_clISt17integral_constantIbLb0EESV_IbLb1EEEEDaSR_SS_EUlSR_E0_NS1_11comp_targetILNS1_3genE10ELNS1_11target_archE1200ELNS1_3gpuE4ELNS1_3repE0EEENS1_30default_config_static_selectorELNS0_4arch9wavefront6targetE0EEEvT1_.numbered_sgpr, 0
	.set _ZN7rocprim17ROCPRIM_400000_NS6detail17trampoline_kernelINS0_14default_configENS1_20scan_config_selectorIdEEZZNS1_9scan_implILNS1_25lookback_scan_determinismE0ELb0ELb0ES3_PKdPddZZZN2at6native31launch_logcumsumexp_cuda_kernelERKNSB_10TensorBaseESF_lENKUlvE_clEvENKUlvE_clEvEUlddE_dEEDaPvRmT3_T4_T5_mT6_P12ihipStream_tbENKUlT_T0_E_clISt17integral_constantIbLb0EESV_IbLb1EEEEDaSR_SS_EUlSR_E0_NS1_11comp_targetILNS1_3genE10ELNS1_11target_archE1200ELNS1_3gpuE4ELNS1_3repE0EEENS1_30default_config_static_selectorELNS0_4arch9wavefront6targetE0EEEvT1_.num_named_barrier, 0
	.set _ZN7rocprim17ROCPRIM_400000_NS6detail17trampoline_kernelINS0_14default_configENS1_20scan_config_selectorIdEEZZNS1_9scan_implILNS1_25lookback_scan_determinismE0ELb0ELb0ES3_PKdPddZZZN2at6native31launch_logcumsumexp_cuda_kernelERKNSB_10TensorBaseESF_lENKUlvE_clEvENKUlvE_clEvEUlddE_dEEDaPvRmT3_T4_T5_mT6_P12ihipStream_tbENKUlT_T0_E_clISt17integral_constantIbLb0EESV_IbLb1EEEEDaSR_SS_EUlSR_E0_NS1_11comp_targetILNS1_3genE10ELNS1_11target_archE1200ELNS1_3gpuE4ELNS1_3repE0EEENS1_30default_config_static_selectorELNS0_4arch9wavefront6targetE0EEEvT1_.private_seg_size, 0
	.set _ZN7rocprim17ROCPRIM_400000_NS6detail17trampoline_kernelINS0_14default_configENS1_20scan_config_selectorIdEEZZNS1_9scan_implILNS1_25lookback_scan_determinismE0ELb0ELb0ES3_PKdPddZZZN2at6native31launch_logcumsumexp_cuda_kernelERKNSB_10TensorBaseESF_lENKUlvE_clEvENKUlvE_clEvEUlddE_dEEDaPvRmT3_T4_T5_mT6_P12ihipStream_tbENKUlT_T0_E_clISt17integral_constantIbLb0EESV_IbLb1EEEEDaSR_SS_EUlSR_E0_NS1_11comp_targetILNS1_3genE10ELNS1_11target_archE1200ELNS1_3gpuE4ELNS1_3repE0EEENS1_30default_config_static_selectorELNS0_4arch9wavefront6targetE0EEEvT1_.uses_vcc, 0
	.set _ZN7rocprim17ROCPRIM_400000_NS6detail17trampoline_kernelINS0_14default_configENS1_20scan_config_selectorIdEEZZNS1_9scan_implILNS1_25lookback_scan_determinismE0ELb0ELb0ES3_PKdPddZZZN2at6native31launch_logcumsumexp_cuda_kernelERKNSB_10TensorBaseESF_lENKUlvE_clEvENKUlvE_clEvEUlddE_dEEDaPvRmT3_T4_T5_mT6_P12ihipStream_tbENKUlT_T0_E_clISt17integral_constantIbLb0EESV_IbLb1EEEEDaSR_SS_EUlSR_E0_NS1_11comp_targetILNS1_3genE10ELNS1_11target_archE1200ELNS1_3gpuE4ELNS1_3repE0EEENS1_30default_config_static_selectorELNS0_4arch9wavefront6targetE0EEEvT1_.uses_flat_scratch, 0
	.set _ZN7rocprim17ROCPRIM_400000_NS6detail17trampoline_kernelINS0_14default_configENS1_20scan_config_selectorIdEEZZNS1_9scan_implILNS1_25lookback_scan_determinismE0ELb0ELb0ES3_PKdPddZZZN2at6native31launch_logcumsumexp_cuda_kernelERKNSB_10TensorBaseESF_lENKUlvE_clEvENKUlvE_clEvEUlddE_dEEDaPvRmT3_T4_T5_mT6_P12ihipStream_tbENKUlT_T0_E_clISt17integral_constantIbLb0EESV_IbLb1EEEEDaSR_SS_EUlSR_E0_NS1_11comp_targetILNS1_3genE10ELNS1_11target_archE1200ELNS1_3gpuE4ELNS1_3repE0EEENS1_30default_config_static_selectorELNS0_4arch9wavefront6targetE0EEEvT1_.has_dyn_sized_stack, 0
	.set _ZN7rocprim17ROCPRIM_400000_NS6detail17trampoline_kernelINS0_14default_configENS1_20scan_config_selectorIdEEZZNS1_9scan_implILNS1_25lookback_scan_determinismE0ELb0ELb0ES3_PKdPddZZZN2at6native31launch_logcumsumexp_cuda_kernelERKNSB_10TensorBaseESF_lENKUlvE_clEvENKUlvE_clEvEUlddE_dEEDaPvRmT3_T4_T5_mT6_P12ihipStream_tbENKUlT_T0_E_clISt17integral_constantIbLb0EESV_IbLb1EEEEDaSR_SS_EUlSR_E0_NS1_11comp_targetILNS1_3genE10ELNS1_11target_archE1200ELNS1_3gpuE4ELNS1_3repE0EEENS1_30default_config_static_selectorELNS0_4arch9wavefront6targetE0EEEvT1_.has_recursion, 0
	.set _ZN7rocprim17ROCPRIM_400000_NS6detail17trampoline_kernelINS0_14default_configENS1_20scan_config_selectorIdEEZZNS1_9scan_implILNS1_25lookback_scan_determinismE0ELb0ELb0ES3_PKdPddZZZN2at6native31launch_logcumsumexp_cuda_kernelERKNSB_10TensorBaseESF_lENKUlvE_clEvENKUlvE_clEvEUlddE_dEEDaPvRmT3_T4_T5_mT6_P12ihipStream_tbENKUlT_T0_E_clISt17integral_constantIbLb0EESV_IbLb1EEEEDaSR_SS_EUlSR_E0_NS1_11comp_targetILNS1_3genE10ELNS1_11target_archE1200ELNS1_3gpuE4ELNS1_3repE0EEENS1_30default_config_static_selectorELNS0_4arch9wavefront6targetE0EEEvT1_.has_indirect_call, 0
	.section	.AMDGPU.csdata,"",@progbits
; Kernel info:
; codeLenInByte = 0
; TotalNumSgprs: 0
; NumVgprs: 0
; ScratchSize: 0
; MemoryBound: 0
; FloatMode: 240
; IeeeMode: 1
; LDSByteSize: 0 bytes/workgroup (compile time only)
; SGPRBlocks: 0
; VGPRBlocks: 0
; NumSGPRsForWavesPerEU: 1
; NumVGPRsForWavesPerEU: 1
; Occupancy: 16
; WaveLimiterHint : 0
; COMPUTE_PGM_RSRC2:SCRATCH_EN: 0
; COMPUTE_PGM_RSRC2:USER_SGPR: 2
; COMPUTE_PGM_RSRC2:TRAP_HANDLER: 0
; COMPUTE_PGM_RSRC2:TGID_X_EN: 1
; COMPUTE_PGM_RSRC2:TGID_Y_EN: 0
; COMPUTE_PGM_RSRC2:TGID_Z_EN: 0
; COMPUTE_PGM_RSRC2:TIDIG_COMP_CNT: 0
	.section	.text._ZN7rocprim17ROCPRIM_400000_NS6detail17trampoline_kernelINS0_14default_configENS1_20scan_config_selectorIdEEZZNS1_9scan_implILNS1_25lookback_scan_determinismE0ELb0ELb0ES3_PKdPddZZZN2at6native31launch_logcumsumexp_cuda_kernelERKNSB_10TensorBaseESF_lENKUlvE_clEvENKUlvE_clEvEUlddE_dEEDaPvRmT3_T4_T5_mT6_P12ihipStream_tbENKUlT_T0_E_clISt17integral_constantIbLb0EESV_IbLb1EEEEDaSR_SS_EUlSR_E0_NS1_11comp_targetILNS1_3genE9ELNS1_11target_archE1100ELNS1_3gpuE3ELNS1_3repE0EEENS1_30default_config_static_selectorELNS0_4arch9wavefront6targetE0EEEvT1_,"axG",@progbits,_ZN7rocprim17ROCPRIM_400000_NS6detail17trampoline_kernelINS0_14default_configENS1_20scan_config_selectorIdEEZZNS1_9scan_implILNS1_25lookback_scan_determinismE0ELb0ELb0ES3_PKdPddZZZN2at6native31launch_logcumsumexp_cuda_kernelERKNSB_10TensorBaseESF_lENKUlvE_clEvENKUlvE_clEvEUlddE_dEEDaPvRmT3_T4_T5_mT6_P12ihipStream_tbENKUlT_T0_E_clISt17integral_constantIbLb0EESV_IbLb1EEEEDaSR_SS_EUlSR_E0_NS1_11comp_targetILNS1_3genE9ELNS1_11target_archE1100ELNS1_3gpuE3ELNS1_3repE0EEENS1_30default_config_static_selectorELNS0_4arch9wavefront6targetE0EEEvT1_,comdat
	.globl	_ZN7rocprim17ROCPRIM_400000_NS6detail17trampoline_kernelINS0_14default_configENS1_20scan_config_selectorIdEEZZNS1_9scan_implILNS1_25lookback_scan_determinismE0ELb0ELb0ES3_PKdPddZZZN2at6native31launch_logcumsumexp_cuda_kernelERKNSB_10TensorBaseESF_lENKUlvE_clEvENKUlvE_clEvEUlddE_dEEDaPvRmT3_T4_T5_mT6_P12ihipStream_tbENKUlT_T0_E_clISt17integral_constantIbLb0EESV_IbLb1EEEEDaSR_SS_EUlSR_E0_NS1_11comp_targetILNS1_3genE9ELNS1_11target_archE1100ELNS1_3gpuE3ELNS1_3repE0EEENS1_30default_config_static_selectorELNS0_4arch9wavefront6targetE0EEEvT1_ ; -- Begin function _ZN7rocprim17ROCPRIM_400000_NS6detail17trampoline_kernelINS0_14default_configENS1_20scan_config_selectorIdEEZZNS1_9scan_implILNS1_25lookback_scan_determinismE0ELb0ELb0ES3_PKdPddZZZN2at6native31launch_logcumsumexp_cuda_kernelERKNSB_10TensorBaseESF_lENKUlvE_clEvENKUlvE_clEvEUlddE_dEEDaPvRmT3_T4_T5_mT6_P12ihipStream_tbENKUlT_T0_E_clISt17integral_constantIbLb0EESV_IbLb1EEEEDaSR_SS_EUlSR_E0_NS1_11comp_targetILNS1_3genE9ELNS1_11target_archE1100ELNS1_3gpuE3ELNS1_3repE0EEENS1_30default_config_static_selectorELNS0_4arch9wavefront6targetE0EEEvT1_
	.p2align	8
	.type	_ZN7rocprim17ROCPRIM_400000_NS6detail17trampoline_kernelINS0_14default_configENS1_20scan_config_selectorIdEEZZNS1_9scan_implILNS1_25lookback_scan_determinismE0ELb0ELb0ES3_PKdPddZZZN2at6native31launch_logcumsumexp_cuda_kernelERKNSB_10TensorBaseESF_lENKUlvE_clEvENKUlvE_clEvEUlddE_dEEDaPvRmT3_T4_T5_mT6_P12ihipStream_tbENKUlT_T0_E_clISt17integral_constantIbLb0EESV_IbLb1EEEEDaSR_SS_EUlSR_E0_NS1_11comp_targetILNS1_3genE9ELNS1_11target_archE1100ELNS1_3gpuE3ELNS1_3repE0EEENS1_30default_config_static_selectorELNS0_4arch9wavefront6targetE0EEEvT1_,@function
_ZN7rocprim17ROCPRIM_400000_NS6detail17trampoline_kernelINS0_14default_configENS1_20scan_config_selectorIdEEZZNS1_9scan_implILNS1_25lookback_scan_determinismE0ELb0ELb0ES3_PKdPddZZZN2at6native31launch_logcumsumexp_cuda_kernelERKNSB_10TensorBaseESF_lENKUlvE_clEvENKUlvE_clEvEUlddE_dEEDaPvRmT3_T4_T5_mT6_P12ihipStream_tbENKUlT_T0_E_clISt17integral_constantIbLb0EESV_IbLb1EEEEDaSR_SS_EUlSR_E0_NS1_11comp_targetILNS1_3genE9ELNS1_11target_archE1100ELNS1_3gpuE3ELNS1_3repE0EEENS1_30default_config_static_selectorELNS0_4arch9wavefront6targetE0EEEvT1_: ; @_ZN7rocprim17ROCPRIM_400000_NS6detail17trampoline_kernelINS0_14default_configENS1_20scan_config_selectorIdEEZZNS1_9scan_implILNS1_25lookback_scan_determinismE0ELb0ELb0ES3_PKdPddZZZN2at6native31launch_logcumsumexp_cuda_kernelERKNSB_10TensorBaseESF_lENKUlvE_clEvENKUlvE_clEvEUlddE_dEEDaPvRmT3_T4_T5_mT6_P12ihipStream_tbENKUlT_T0_E_clISt17integral_constantIbLb0EESV_IbLb1EEEEDaSR_SS_EUlSR_E0_NS1_11comp_targetILNS1_3genE9ELNS1_11target_archE1100ELNS1_3gpuE3ELNS1_3repE0EEENS1_30default_config_static_selectorELNS0_4arch9wavefront6targetE0EEEvT1_
; %bb.0:
	.section	.rodata,"a",@progbits
	.p2align	6, 0x0
	.amdhsa_kernel _ZN7rocprim17ROCPRIM_400000_NS6detail17trampoline_kernelINS0_14default_configENS1_20scan_config_selectorIdEEZZNS1_9scan_implILNS1_25lookback_scan_determinismE0ELb0ELb0ES3_PKdPddZZZN2at6native31launch_logcumsumexp_cuda_kernelERKNSB_10TensorBaseESF_lENKUlvE_clEvENKUlvE_clEvEUlddE_dEEDaPvRmT3_T4_T5_mT6_P12ihipStream_tbENKUlT_T0_E_clISt17integral_constantIbLb0EESV_IbLb1EEEEDaSR_SS_EUlSR_E0_NS1_11comp_targetILNS1_3genE9ELNS1_11target_archE1100ELNS1_3gpuE3ELNS1_3repE0EEENS1_30default_config_static_selectorELNS0_4arch9wavefront6targetE0EEEvT1_
		.amdhsa_group_segment_fixed_size 0
		.amdhsa_private_segment_fixed_size 0
		.amdhsa_kernarg_size 40
		.amdhsa_user_sgpr_count 2
		.amdhsa_user_sgpr_dispatch_ptr 0
		.amdhsa_user_sgpr_queue_ptr 0
		.amdhsa_user_sgpr_kernarg_segment_ptr 1
		.amdhsa_user_sgpr_dispatch_id 0
		.amdhsa_user_sgpr_private_segment_size 0
		.amdhsa_wavefront_size32 1
		.amdhsa_uses_dynamic_stack 0
		.amdhsa_enable_private_segment 0
		.amdhsa_system_sgpr_workgroup_id_x 1
		.amdhsa_system_sgpr_workgroup_id_y 0
		.amdhsa_system_sgpr_workgroup_id_z 0
		.amdhsa_system_sgpr_workgroup_info 0
		.amdhsa_system_vgpr_workitem_id 0
		.amdhsa_next_free_vgpr 1
		.amdhsa_next_free_sgpr 1
		.amdhsa_reserve_vcc 0
		.amdhsa_float_round_mode_32 0
		.amdhsa_float_round_mode_16_64 0
		.amdhsa_float_denorm_mode_32 3
		.amdhsa_float_denorm_mode_16_64 3
		.amdhsa_fp16_overflow 0
		.amdhsa_workgroup_processor_mode 1
		.amdhsa_memory_ordered 1
		.amdhsa_forward_progress 1
		.amdhsa_inst_pref_size 0
		.amdhsa_round_robin_scheduling 0
		.amdhsa_exception_fp_ieee_invalid_op 0
		.amdhsa_exception_fp_denorm_src 0
		.amdhsa_exception_fp_ieee_div_zero 0
		.amdhsa_exception_fp_ieee_overflow 0
		.amdhsa_exception_fp_ieee_underflow 0
		.amdhsa_exception_fp_ieee_inexact 0
		.amdhsa_exception_int_div_zero 0
	.end_amdhsa_kernel
	.section	.text._ZN7rocprim17ROCPRIM_400000_NS6detail17trampoline_kernelINS0_14default_configENS1_20scan_config_selectorIdEEZZNS1_9scan_implILNS1_25lookback_scan_determinismE0ELb0ELb0ES3_PKdPddZZZN2at6native31launch_logcumsumexp_cuda_kernelERKNSB_10TensorBaseESF_lENKUlvE_clEvENKUlvE_clEvEUlddE_dEEDaPvRmT3_T4_T5_mT6_P12ihipStream_tbENKUlT_T0_E_clISt17integral_constantIbLb0EESV_IbLb1EEEEDaSR_SS_EUlSR_E0_NS1_11comp_targetILNS1_3genE9ELNS1_11target_archE1100ELNS1_3gpuE3ELNS1_3repE0EEENS1_30default_config_static_selectorELNS0_4arch9wavefront6targetE0EEEvT1_,"axG",@progbits,_ZN7rocprim17ROCPRIM_400000_NS6detail17trampoline_kernelINS0_14default_configENS1_20scan_config_selectorIdEEZZNS1_9scan_implILNS1_25lookback_scan_determinismE0ELb0ELb0ES3_PKdPddZZZN2at6native31launch_logcumsumexp_cuda_kernelERKNSB_10TensorBaseESF_lENKUlvE_clEvENKUlvE_clEvEUlddE_dEEDaPvRmT3_T4_T5_mT6_P12ihipStream_tbENKUlT_T0_E_clISt17integral_constantIbLb0EESV_IbLb1EEEEDaSR_SS_EUlSR_E0_NS1_11comp_targetILNS1_3genE9ELNS1_11target_archE1100ELNS1_3gpuE3ELNS1_3repE0EEENS1_30default_config_static_selectorELNS0_4arch9wavefront6targetE0EEEvT1_,comdat
.Lfunc_end82:
	.size	_ZN7rocprim17ROCPRIM_400000_NS6detail17trampoline_kernelINS0_14default_configENS1_20scan_config_selectorIdEEZZNS1_9scan_implILNS1_25lookback_scan_determinismE0ELb0ELb0ES3_PKdPddZZZN2at6native31launch_logcumsumexp_cuda_kernelERKNSB_10TensorBaseESF_lENKUlvE_clEvENKUlvE_clEvEUlddE_dEEDaPvRmT3_T4_T5_mT6_P12ihipStream_tbENKUlT_T0_E_clISt17integral_constantIbLb0EESV_IbLb1EEEEDaSR_SS_EUlSR_E0_NS1_11comp_targetILNS1_3genE9ELNS1_11target_archE1100ELNS1_3gpuE3ELNS1_3repE0EEENS1_30default_config_static_selectorELNS0_4arch9wavefront6targetE0EEEvT1_, .Lfunc_end82-_ZN7rocprim17ROCPRIM_400000_NS6detail17trampoline_kernelINS0_14default_configENS1_20scan_config_selectorIdEEZZNS1_9scan_implILNS1_25lookback_scan_determinismE0ELb0ELb0ES3_PKdPddZZZN2at6native31launch_logcumsumexp_cuda_kernelERKNSB_10TensorBaseESF_lENKUlvE_clEvENKUlvE_clEvEUlddE_dEEDaPvRmT3_T4_T5_mT6_P12ihipStream_tbENKUlT_T0_E_clISt17integral_constantIbLb0EESV_IbLb1EEEEDaSR_SS_EUlSR_E0_NS1_11comp_targetILNS1_3genE9ELNS1_11target_archE1100ELNS1_3gpuE3ELNS1_3repE0EEENS1_30default_config_static_selectorELNS0_4arch9wavefront6targetE0EEEvT1_
                                        ; -- End function
	.set _ZN7rocprim17ROCPRIM_400000_NS6detail17trampoline_kernelINS0_14default_configENS1_20scan_config_selectorIdEEZZNS1_9scan_implILNS1_25lookback_scan_determinismE0ELb0ELb0ES3_PKdPddZZZN2at6native31launch_logcumsumexp_cuda_kernelERKNSB_10TensorBaseESF_lENKUlvE_clEvENKUlvE_clEvEUlddE_dEEDaPvRmT3_T4_T5_mT6_P12ihipStream_tbENKUlT_T0_E_clISt17integral_constantIbLb0EESV_IbLb1EEEEDaSR_SS_EUlSR_E0_NS1_11comp_targetILNS1_3genE9ELNS1_11target_archE1100ELNS1_3gpuE3ELNS1_3repE0EEENS1_30default_config_static_selectorELNS0_4arch9wavefront6targetE0EEEvT1_.num_vgpr, 0
	.set _ZN7rocprim17ROCPRIM_400000_NS6detail17trampoline_kernelINS0_14default_configENS1_20scan_config_selectorIdEEZZNS1_9scan_implILNS1_25lookback_scan_determinismE0ELb0ELb0ES3_PKdPddZZZN2at6native31launch_logcumsumexp_cuda_kernelERKNSB_10TensorBaseESF_lENKUlvE_clEvENKUlvE_clEvEUlddE_dEEDaPvRmT3_T4_T5_mT6_P12ihipStream_tbENKUlT_T0_E_clISt17integral_constantIbLb0EESV_IbLb1EEEEDaSR_SS_EUlSR_E0_NS1_11comp_targetILNS1_3genE9ELNS1_11target_archE1100ELNS1_3gpuE3ELNS1_3repE0EEENS1_30default_config_static_selectorELNS0_4arch9wavefront6targetE0EEEvT1_.num_agpr, 0
	.set _ZN7rocprim17ROCPRIM_400000_NS6detail17trampoline_kernelINS0_14default_configENS1_20scan_config_selectorIdEEZZNS1_9scan_implILNS1_25lookback_scan_determinismE0ELb0ELb0ES3_PKdPddZZZN2at6native31launch_logcumsumexp_cuda_kernelERKNSB_10TensorBaseESF_lENKUlvE_clEvENKUlvE_clEvEUlddE_dEEDaPvRmT3_T4_T5_mT6_P12ihipStream_tbENKUlT_T0_E_clISt17integral_constantIbLb0EESV_IbLb1EEEEDaSR_SS_EUlSR_E0_NS1_11comp_targetILNS1_3genE9ELNS1_11target_archE1100ELNS1_3gpuE3ELNS1_3repE0EEENS1_30default_config_static_selectorELNS0_4arch9wavefront6targetE0EEEvT1_.numbered_sgpr, 0
	.set _ZN7rocprim17ROCPRIM_400000_NS6detail17trampoline_kernelINS0_14default_configENS1_20scan_config_selectorIdEEZZNS1_9scan_implILNS1_25lookback_scan_determinismE0ELb0ELb0ES3_PKdPddZZZN2at6native31launch_logcumsumexp_cuda_kernelERKNSB_10TensorBaseESF_lENKUlvE_clEvENKUlvE_clEvEUlddE_dEEDaPvRmT3_T4_T5_mT6_P12ihipStream_tbENKUlT_T0_E_clISt17integral_constantIbLb0EESV_IbLb1EEEEDaSR_SS_EUlSR_E0_NS1_11comp_targetILNS1_3genE9ELNS1_11target_archE1100ELNS1_3gpuE3ELNS1_3repE0EEENS1_30default_config_static_selectorELNS0_4arch9wavefront6targetE0EEEvT1_.num_named_barrier, 0
	.set _ZN7rocprim17ROCPRIM_400000_NS6detail17trampoline_kernelINS0_14default_configENS1_20scan_config_selectorIdEEZZNS1_9scan_implILNS1_25lookback_scan_determinismE0ELb0ELb0ES3_PKdPddZZZN2at6native31launch_logcumsumexp_cuda_kernelERKNSB_10TensorBaseESF_lENKUlvE_clEvENKUlvE_clEvEUlddE_dEEDaPvRmT3_T4_T5_mT6_P12ihipStream_tbENKUlT_T0_E_clISt17integral_constantIbLb0EESV_IbLb1EEEEDaSR_SS_EUlSR_E0_NS1_11comp_targetILNS1_3genE9ELNS1_11target_archE1100ELNS1_3gpuE3ELNS1_3repE0EEENS1_30default_config_static_selectorELNS0_4arch9wavefront6targetE0EEEvT1_.private_seg_size, 0
	.set _ZN7rocprim17ROCPRIM_400000_NS6detail17trampoline_kernelINS0_14default_configENS1_20scan_config_selectorIdEEZZNS1_9scan_implILNS1_25lookback_scan_determinismE0ELb0ELb0ES3_PKdPddZZZN2at6native31launch_logcumsumexp_cuda_kernelERKNSB_10TensorBaseESF_lENKUlvE_clEvENKUlvE_clEvEUlddE_dEEDaPvRmT3_T4_T5_mT6_P12ihipStream_tbENKUlT_T0_E_clISt17integral_constantIbLb0EESV_IbLb1EEEEDaSR_SS_EUlSR_E0_NS1_11comp_targetILNS1_3genE9ELNS1_11target_archE1100ELNS1_3gpuE3ELNS1_3repE0EEENS1_30default_config_static_selectorELNS0_4arch9wavefront6targetE0EEEvT1_.uses_vcc, 0
	.set _ZN7rocprim17ROCPRIM_400000_NS6detail17trampoline_kernelINS0_14default_configENS1_20scan_config_selectorIdEEZZNS1_9scan_implILNS1_25lookback_scan_determinismE0ELb0ELb0ES3_PKdPddZZZN2at6native31launch_logcumsumexp_cuda_kernelERKNSB_10TensorBaseESF_lENKUlvE_clEvENKUlvE_clEvEUlddE_dEEDaPvRmT3_T4_T5_mT6_P12ihipStream_tbENKUlT_T0_E_clISt17integral_constantIbLb0EESV_IbLb1EEEEDaSR_SS_EUlSR_E0_NS1_11comp_targetILNS1_3genE9ELNS1_11target_archE1100ELNS1_3gpuE3ELNS1_3repE0EEENS1_30default_config_static_selectorELNS0_4arch9wavefront6targetE0EEEvT1_.uses_flat_scratch, 0
	.set _ZN7rocprim17ROCPRIM_400000_NS6detail17trampoline_kernelINS0_14default_configENS1_20scan_config_selectorIdEEZZNS1_9scan_implILNS1_25lookback_scan_determinismE0ELb0ELb0ES3_PKdPddZZZN2at6native31launch_logcumsumexp_cuda_kernelERKNSB_10TensorBaseESF_lENKUlvE_clEvENKUlvE_clEvEUlddE_dEEDaPvRmT3_T4_T5_mT6_P12ihipStream_tbENKUlT_T0_E_clISt17integral_constantIbLb0EESV_IbLb1EEEEDaSR_SS_EUlSR_E0_NS1_11comp_targetILNS1_3genE9ELNS1_11target_archE1100ELNS1_3gpuE3ELNS1_3repE0EEENS1_30default_config_static_selectorELNS0_4arch9wavefront6targetE0EEEvT1_.has_dyn_sized_stack, 0
	.set _ZN7rocprim17ROCPRIM_400000_NS6detail17trampoline_kernelINS0_14default_configENS1_20scan_config_selectorIdEEZZNS1_9scan_implILNS1_25lookback_scan_determinismE0ELb0ELb0ES3_PKdPddZZZN2at6native31launch_logcumsumexp_cuda_kernelERKNSB_10TensorBaseESF_lENKUlvE_clEvENKUlvE_clEvEUlddE_dEEDaPvRmT3_T4_T5_mT6_P12ihipStream_tbENKUlT_T0_E_clISt17integral_constantIbLb0EESV_IbLb1EEEEDaSR_SS_EUlSR_E0_NS1_11comp_targetILNS1_3genE9ELNS1_11target_archE1100ELNS1_3gpuE3ELNS1_3repE0EEENS1_30default_config_static_selectorELNS0_4arch9wavefront6targetE0EEEvT1_.has_recursion, 0
	.set _ZN7rocprim17ROCPRIM_400000_NS6detail17trampoline_kernelINS0_14default_configENS1_20scan_config_selectorIdEEZZNS1_9scan_implILNS1_25lookback_scan_determinismE0ELb0ELb0ES3_PKdPddZZZN2at6native31launch_logcumsumexp_cuda_kernelERKNSB_10TensorBaseESF_lENKUlvE_clEvENKUlvE_clEvEUlddE_dEEDaPvRmT3_T4_T5_mT6_P12ihipStream_tbENKUlT_T0_E_clISt17integral_constantIbLb0EESV_IbLb1EEEEDaSR_SS_EUlSR_E0_NS1_11comp_targetILNS1_3genE9ELNS1_11target_archE1100ELNS1_3gpuE3ELNS1_3repE0EEENS1_30default_config_static_selectorELNS0_4arch9wavefront6targetE0EEEvT1_.has_indirect_call, 0
	.section	.AMDGPU.csdata,"",@progbits
; Kernel info:
; codeLenInByte = 0
; TotalNumSgprs: 0
; NumVgprs: 0
; ScratchSize: 0
; MemoryBound: 0
; FloatMode: 240
; IeeeMode: 1
; LDSByteSize: 0 bytes/workgroup (compile time only)
; SGPRBlocks: 0
; VGPRBlocks: 0
; NumSGPRsForWavesPerEU: 1
; NumVGPRsForWavesPerEU: 1
; Occupancy: 16
; WaveLimiterHint : 0
; COMPUTE_PGM_RSRC2:SCRATCH_EN: 0
; COMPUTE_PGM_RSRC2:USER_SGPR: 2
; COMPUTE_PGM_RSRC2:TRAP_HANDLER: 0
; COMPUTE_PGM_RSRC2:TGID_X_EN: 1
; COMPUTE_PGM_RSRC2:TGID_Y_EN: 0
; COMPUTE_PGM_RSRC2:TGID_Z_EN: 0
; COMPUTE_PGM_RSRC2:TIDIG_COMP_CNT: 0
	.section	.text._ZN7rocprim17ROCPRIM_400000_NS6detail17trampoline_kernelINS0_14default_configENS1_20scan_config_selectorIdEEZZNS1_9scan_implILNS1_25lookback_scan_determinismE0ELb0ELb0ES3_PKdPddZZZN2at6native31launch_logcumsumexp_cuda_kernelERKNSB_10TensorBaseESF_lENKUlvE_clEvENKUlvE_clEvEUlddE_dEEDaPvRmT3_T4_T5_mT6_P12ihipStream_tbENKUlT_T0_E_clISt17integral_constantIbLb0EESV_IbLb1EEEEDaSR_SS_EUlSR_E0_NS1_11comp_targetILNS1_3genE8ELNS1_11target_archE1030ELNS1_3gpuE2ELNS1_3repE0EEENS1_30default_config_static_selectorELNS0_4arch9wavefront6targetE0EEEvT1_,"axG",@progbits,_ZN7rocprim17ROCPRIM_400000_NS6detail17trampoline_kernelINS0_14default_configENS1_20scan_config_selectorIdEEZZNS1_9scan_implILNS1_25lookback_scan_determinismE0ELb0ELb0ES3_PKdPddZZZN2at6native31launch_logcumsumexp_cuda_kernelERKNSB_10TensorBaseESF_lENKUlvE_clEvENKUlvE_clEvEUlddE_dEEDaPvRmT3_T4_T5_mT6_P12ihipStream_tbENKUlT_T0_E_clISt17integral_constantIbLb0EESV_IbLb1EEEEDaSR_SS_EUlSR_E0_NS1_11comp_targetILNS1_3genE8ELNS1_11target_archE1030ELNS1_3gpuE2ELNS1_3repE0EEENS1_30default_config_static_selectorELNS0_4arch9wavefront6targetE0EEEvT1_,comdat
	.globl	_ZN7rocprim17ROCPRIM_400000_NS6detail17trampoline_kernelINS0_14default_configENS1_20scan_config_selectorIdEEZZNS1_9scan_implILNS1_25lookback_scan_determinismE0ELb0ELb0ES3_PKdPddZZZN2at6native31launch_logcumsumexp_cuda_kernelERKNSB_10TensorBaseESF_lENKUlvE_clEvENKUlvE_clEvEUlddE_dEEDaPvRmT3_T4_T5_mT6_P12ihipStream_tbENKUlT_T0_E_clISt17integral_constantIbLb0EESV_IbLb1EEEEDaSR_SS_EUlSR_E0_NS1_11comp_targetILNS1_3genE8ELNS1_11target_archE1030ELNS1_3gpuE2ELNS1_3repE0EEENS1_30default_config_static_selectorELNS0_4arch9wavefront6targetE0EEEvT1_ ; -- Begin function _ZN7rocprim17ROCPRIM_400000_NS6detail17trampoline_kernelINS0_14default_configENS1_20scan_config_selectorIdEEZZNS1_9scan_implILNS1_25lookback_scan_determinismE0ELb0ELb0ES3_PKdPddZZZN2at6native31launch_logcumsumexp_cuda_kernelERKNSB_10TensorBaseESF_lENKUlvE_clEvENKUlvE_clEvEUlddE_dEEDaPvRmT3_T4_T5_mT6_P12ihipStream_tbENKUlT_T0_E_clISt17integral_constantIbLb0EESV_IbLb1EEEEDaSR_SS_EUlSR_E0_NS1_11comp_targetILNS1_3genE8ELNS1_11target_archE1030ELNS1_3gpuE2ELNS1_3repE0EEENS1_30default_config_static_selectorELNS0_4arch9wavefront6targetE0EEEvT1_
	.p2align	8
	.type	_ZN7rocprim17ROCPRIM_400000_NS6detail17trampoline_kernelINS0_14default_configENS1_20scan_config_selectorIdEEZZNS1_9scan_implILNS1_25lookback_scan_determinismE0ELb0ELb0ES3_PKdPddZZZN2at6native31launch_logcumsumexp_cuda_kernelERKNSB_10TensorBaseESF_lENKUlvE_clEvENKUlvE_clEvEUlddE_dEEDaPvRmT3_T4_T5_mT6_P12ihipStream_tbENKUlT_T0_E_clISt17integral_constantIbLb0EESV_IbLb1EEEEDaSR_SS_EUlSR_E0_NS1_11comp_targetILNS1_3genE8ELNS1_11target_archE1030ELNS1_3gpuE2ELNS1_3repE0EEENS1_30default_config_static_selectorELNS0_4arch9wavefront6targetE0EEEvT1_,@function
_ZN7rocprim17ROCPRIM_400000_NS6detail17trampoline_kernelINS0_14default_configENS1_20scan_config_selectorIdEEZZNS1_9scan_implILNS1_25lookback_scan_determinismE0ELb0ELb0ES3_PKdPddZZZN2at6native31launch_logcumsumexp_cuda_kernelERKNSB_10TensorBaseESF_lENKUlvE_clEvENKUlvE_clEvEUlddE_dEEDaPvRmT3_T4_T5_mT6_P12ihipStream_tbENKUlT_T0_E_clISt17integral_constantIbLb0EESV_IbLb1EEEEDaSR_SS_EUlSR_E0_NS1_11comp_targetILNS1_3genE8ELNS1_11target_archE1030ELNS1_3gpuE2ELNS1_3repE0EEENS1_30default_config_static_selectorELNS0_4arch9wavefront6targetE0EEEvT1_: ; @_ZN7rocprim17ROCPRIM_400000_NS6detail17trampoline_kernelINS0_14default_configENS1_20scan_config_selectorIdEEZZNS1_9scan_implILNS1_25lookback_scan_determinismE0ELb0ELb0ES3_PKdPddZZZN2at6native31launch_logcumsumexp_cuda_kernelERKNSB_10TensorBaseESF_lENKUlvE_clEvENKUlvE_clEvEUlddE_dEEDaPvRmT3_T4_T5_mT6_P12ihipStream_tbENKUlT_T0_E_clISt17integral_constantIbLb0EESV_IbLb1EEEEDaSR_SS_EUlSR_E0_NS1_11comp_targetILNS1_3genE8ELNS1_11target_archE1030ELNS1_3gpuE2ELNS1_3repE0EEENS1_30default_config_static_selectorELNS0_4arch9wavefront6targetE0EEEvT1_
; %bb.0:
	.section	.rodata,"a",@progbits
	.p2align	6, 0x0
	.amdhsa_kernel _ZN7rocprim17ROCPRIM_400000_NS6detail17trampoline_kernelINS0_14default_configENS1_20scan_config_selectorIdEEZZNS1_9scan_implILNS1_25lookback_scan_determinismE0ELb0ELb0ES3_PKdPddZZZN2at6native31launch_logcumsumexp_cuda_kernelERKNSB_10TensorBaseESF_lENKUlvE_clEvENKUlvE_clEvEUlddE_dEEDaPvRmT3_T4_T5_mT6_P12ihipStream_tbENKUlT_T0_E_clISt17integral_constantIbLb0EESV_IbLb1EEEEDaSR_SS_EUlSR_E0_NS1_11comp_targetILNS1_3genE8ELNS1_11target_archE1030ELNS1_3gpuE2ELNS1_3repE0EEENS1_30default_config_static_selectorELNS0_4arch9wavefront6targetE0EEEvT1_
		.amdhsa_group_segment_fixed_size 0
		.amdhsa_private_segment_fixed_size 0
		.amdhsa_kernarg_size 40
		.amdhsa_user_sgpr_count 2
		.amdhsa_user_sgpr_dispatch_ptr 0
		.amdhsa_user_sgpr_queue_ptr 0
		.amdhsa_user_sgpr_kernarg_segment_ptr 1
		.amdhsa_user_sgpr_dispatch_id 0
		.amdhsa_user_sgpr_private_segment_size 0
		.amdhsa_wavefront_size32 1
		.amdhsa_uses_dynamic_stack 0
		.amdhsa_enable_private_segment 0
		.amdhsa_system_sgpr_workgroup_id_x 1
		.amdhsa_system_sgpr_workgroup_id_y 0
		.amdhsa_system_sgpr_workgroup_id_z 0
		.amdhsa_system_sgpr_workgroup_info 0
		.amdhsa_system_vgpr_workitem_id 0
		.amdhsa_next_free_vgpr 1
		.amdhsa_next_free_sgpr 1
		.amdhsa_reserve_vcc 0
		.amdhsa_float_round_mode_32 0
		.amdhsa_float_round_mode_16_64 0
		.amdhsa_float_denorm_mode_32 3
		.amdhsa_float_denorm_mode_16_64 3
		.amdhsa_fp16_overflow 0
		.amdhsa_workgroup_processor_mode 1
		.amdhsa_memory_ordered 1
		.amdhsa_forward_progress 1
		.amdhsa_inst_pref_size 0
		.amdhsa_round_robin_scheduling 0
		.amdhsa_exception_fp_ieee_invalid_op 0
		.amdhsa_exception_fp_denorm_src 0
		.amdhsa_exception_fp_ieee_div_zero 0
		.amdhsa_exception_fp_ieee_overflow 0
		.amdhsa_exception_fp_ieee_underflow 0
		.amdhsa_exception_fp_ieee_inexact 0
		.amdhsa_exception_int_div_zero 0
	.end_amdhsa_kernel
	.section	.text._ZN7rocprim17ROCPRIM_400000_NS6detail17trampoline_kernelINS0_14default_configENS1_20scan_config_selectorIdEEZZNS1_9scan_implILNS1_25lookback_scan_determinismE0ELb0ELb0ES3_PKdPddZZZN2at6native31launch_logcumsumexp_cuda_kernelERKNSB_10TensorBaseESF_lENKUlvE_clEvENKUlvE_clEvEUlddE_dEEDaPvRmT3_T4_T5_mT6_P12ihipStream_tbENKUlT_T0_E_clISt17integral_constantIbLb0EESV_IbLb1EEEEDaSR_SS_EUlSR_E0_NS1_11comp_targetILNS1_3genE8ELNS1_11target_archE1030ELNS1_3gpuE2ELNS1_3repE0EEENS1_30default_config_static_selectorELNS0_4arch9wavefront6targetE0EEEvT1_,"axG",@progbits,_ZN7rocprim17ROCPRIM_400000_NS6detail17trampoline_kernelINS0_14default_configENS1_20scan_config_selectorIdEEZZNS1_9scan_implILNS1_25lookback_scan_determinismE0ELb0ELb0ES3_PKdPddZZZN2at6native31launch_logcumsumexp_cuda_kernelERKNSB_10TensorBaseESF_lENKUlvE_clEvENKUlvE_clEvEUlddE_dEEDaPvRmT3_T4_T5_mT6_P12ihipStream_tbENKUlT_T0_E_clISt17integral_constantIbLb0EESV_IbLb1EEEEDaSR_SS_EUlSR_E0_NS1_11comp_targetILNS1_3genE8ELNS1_11target_archE1030ELNS1_3gpuE2ELNS1_3repE0EEENS1_30default_config_static_selectorELNS0_4arch9wavefront6targetE0EEEvT1_,comdat
.Lfunc_end83:
	.size	_ZN7rocprim17ROCPRIM_400000_NS6detail17trampoline_kernelINS0_14default_configENS1_20scan_config_selectorIdEEZZNS1_9scan_implILNS1_25lookback_scan_determinismE0ELb0ELb0ES3_PKdPddZZZN2at6native31launch_logcumsumexp_cuda_kernelERKNSB_10TensorBaseESF_lENKUlvE_clEvENKUlvE_clEvEUlddE_dEEDaPvRmT3_T4_T5_mT6_P12ihipStream_tbENKUlT_T0_E_clISt17integral_constantIbLb0EESV_IbLb1EEEEDaSR_SS_EUlSR_E0_NS1_11comp_targetILNS1_3genE8ELNS1_11target_archE1030ELNS1_3gpuE2ELNS1_3repE0EEENS1_30default_config_static_selectorELNS0_4arch9wavefront6targetE0EEEvT1_, .Lfunc_end83-_ZN7rocprim17ROCPRIM_400000_NS6detail17trampoline_kernelINS0_14default_configENS1_20scan_config_selectorIdEEZZNS1_9scan_implILNS1_25lookback_scan_determinismE0ELb0ELb0ES3_PKdPddZZZN2at6native31launch_logcumsumexp_cuda_kernelERKNSB_10TensorBaseESF_lENKUlvE_clEvENKUlvE_clEvEUlddE_dEEDaPvRmT3_T4_T5_mT6_P12ihipStream_tbENKUlT_T0_E_clISt17integral_constantIbLb0EESV_IbLb1EEEEDaSR_SS_EUlSR_E0_NS1_11comp_targetILNS1_3genE8ELNS1_11target_archE1030ELNS1_3gpuE2ELNS1_3repE0EEENS1_30default_config_static_selectorELNS0_4arch9wavefront6targetE0EEEvT1_
                                        ; -- End function
	.set _ZN7rocprim17ROCPRIM_400000_NS6detail17trampoline_kernelINS0_14default_configENS1_20scan_config_selectorIdEEZZNS1_9scan_implILNS1_25lookback_scan_determinismE0ELb0ELb0ES3_PKdPddZZZN2at6native31launch_logcumsumexp_cuda_kernelERKNSB_10TensorBaseESF_lENKUlvE_clEvENKUlvE_clEvEUlddE_dEEDaPvRmT3_T4_T5_mT6_P12ihipStream_tbENKUlT_T0_E_clISt17integral_constantIbLb0EESV_IbLb1EEEEDaSR_SS_EUlSR_E0_NS1_11comp_targetILNS1_3genE8ELNS1_11target_archE1030ELNS1_3gpuE2ELNS1_3repE0EEENS1_30default_config_static_selectorELNS0_4arch9wavefront6targetE0EEEvT1_.num_vgpr, 0
	.set _ZN7rocprim17ROCPRIM_400000_NS6detail17trampoline_kernelINS0_14default_configENS1_20scan_config_selectorIdEEZZNS1_9scan_implILNS1_25lookback_scan_determinismE0ELb0ELb0ES3_PKdPddZZZN2at6native31launch_logcumsumexp_cuda_kernelERKNSB_10TensorBaseESF_lENKUlvE_clEvENKUlvE_clEvEUlddE_dEEDaPvRmT3_T4_T5_mT6_P12ihipStream_tbENKUlT_T0_E_clISt17integral_constantIbLb0EESV_IbLb1EEEEDaSR_SS_EUlSR_E0_NS1_11comp_targetILNS1_3genE8ELNS1_11target_archE1030ELNS1_3gpuE2ELNS1_3repE0EEENS1_30default_config_static_selectorELNS0_4arch9wavefront6targetE0EEEvT1_.num_agpr, 0
	.set _ZN7rocprim17ROCPRIM_400000_NS6detail17trampoline_kernelINS0_14default_configENS1_20scan_config_selectorIdEEZZNS1_9scan_implILNS1_25lookback_scan_determinismE0ELb0ELb0ES3_PKdPddZZZN2at6native31launch_logcumsumexp_cuda_kernelERKNSB_10TensorBaseESF_lENKUlvE_clEvENKUlvE_clEvEUlddE_dEEDaPvRmT3_T4_T5_mT6_P12ihipStream_tbENKUlT_T0_E_clISt17integral_constantIbLb0EESV_IbLb1EEEEDaSR_SS_EUlSR_E0_NS1_11comp_targetILNS1_3genE8ELNS1_11target_archE1030ELNS1_3gpuE2ELNS1_3repE0EEENS1_30default_config_static_selectorELNS0_4arch9wavefront6targetE0EEEvT1_.numbered_sgpr, 0
	.set _ZN7rocprim17ROCPRIM_400000_NS6detail17trampoline_kernelINS0_14default_configENS1_20scan_config_selectorIdEEZZNS1_9scan_implILNS1_25lookback_scan_determinismE0ELb0ELb0ES3_PKdPddZZZN2at6native31launch_logcumsumexp_cuda_kernelERKNSB_10TensorBaseESF_lENKUlvE_clEvENKUlvE_clEvEUlddE_dEEDaPvRmT3_T4_T5_mT6_P12ihipStream_tbENKUlT_T0_E_clISt17integral_constantIbLb0EESV_IbLb1EEEEDaSR_SS_EUlSR_E0_NS1_11comp_targetILNS1_3genE8ELNS1_11target_archE1030ELNS1_3gpuE2ELNS1_3repE0EEENS1_30default_config_static_selectorELNS0_4arch9wavefront6targetE0EEEvT1_.num_named_barrier, 0
	.set _ZN7rocprim17ROCPRIM_400000_NS6detail17trampoline_kernelINS0_14default_configENS1_20scan_config_selectorIdEEZZNS1_9scan_implILNS1_25lookback_scan_determinismE0ELb0ELb0ES3_PKdPddZZZN2at6native31launch_logcumsumexp_cuda_kernelERKNSB_10TensorBaseESF_lENKUlvE_clEvENKUlvE_clEvEUlddE_dEEDaPvRmT3_T4_T5_mT6_P12ihipStream_tbENKUlT_T0_E_clISt17integral_constantIbLb0EESV_IbLb1EEEEDaSR_SS_EUlSR_E0_NS1_11comp_targetILNS1_3genE8ELNS1_11target_archE1030ELNS1_3gpuE2ELNS1_3repE0EEENS1_30default_config_static_selectorELNS0_4arch9wavefront6targetE0EEEvT1_.private_seg_size, 0
	.set _ZN7rocprim17ROCPRIM_400000_NS6detail17trampoline_kernelINS0_14default_configENS1_20scan_config_selectorIdEEZZNS1_9scan_implILNS1_25lookback_scan_determinismE0ELb0ELb0ES3_PKdPddZZZN2at6native31launch_logcumsumexp_cuda_kernelERKNSB_10TensorBaseESF_lENKUlvE_clEvENKUlvE_clEvEUlddE_dEEDaPvRmT3_T4_T5_mT6_P12ihipStream_tbENKUlT_T0_E_clISt17integral_constantIbLb0EESV_IbLb1EEEEDaSR_SS_EUlSR_E0_NS1_11comp_targetILNS1_3genE8ELNS1_11target_archE1030ELNS1_3gpuE2ELNS1_3repE0EEENS1_30default_config_static_selectorELNS0_4arch9wavefront6targetE0EEEvT1_.uses_vcc, 0
	.set _ZN7rocprim17ROCPRIM_400000_NS6detail17trampoline_kernelINS0_14default_configENS1_20scan_config_selectorIdEEZZNS1_9scan_implILNS1_25lookback_scan_determinismE0ELb0ELb0ES3_PKdPddZZZN2at6native31launch_logcumsumexp_cuda_kernelERKNSB_10TensorBaseESF_lENKUlvE_clEvENKUlvE_clEvEUlddE_dEEDaPvRmT3_T4_T5_mT6_P12ihipStream_tbENKUlT_T0_E_clISt17integral_constantIbLb0EESV_IbLb1EEEEDaSR_SS_EUlSR_E0_NS1_11comp_targetILNS1_3genE8ELNS1_11target_archE1030ELNS1_3gpuE2ELNS1_3repE0EEENS1_30default_config_static_selectorELNS0_4arch9wavefront6targetE0EEEvT1_.uses_flat_scratch, 0
	.set _ZN7rocprim17ROCPRIM_400000_NS6detail17trampoline_kernelINS0_14default_configENS1_20scan_config_selectorIdEEZZNS1_9scan_implILNS1_25lookback_scan_determinismE0ELb0ELb0ES3_PKdPddZZZN2at6native31launch_logcumsumexp_cuda_kernelERKNSB_10TensorBaseESF_lENKUlvE_clEvENKUlvE_clEvEUlddE_dEEDaPvRmT3_T4_T5_mT6_P12ihipStream_tbENKUlT_T0_E_clISt17integral_constantIbLb0EESV_IbLb1EEEEDaSR_SS_EUlSR_E0_NS1_11comp_targetILNS1_3genE8ELNS1_11target_archE1030ELNS1_3gpuE2ELNS1_3repE0EEENS1_30default_config_static_selectorELNS0_4arch9wavefront6targetE0EEEvT1_.has_dyn_sized_stack, 0
	.set _ZN7rocprim17ROCPRIM_400000_NS6detail17trampoline_kernelINS0_14default_configENS1_20scan_config_selectorIdEEZZNS1_9scan_implILNS1_25lookback_scan_determinismE0ELb0ELb0ES3_PKdPddZZZN2at6native31launch_logcumsumexp_cuda_kernelERKNSB_10TensorBaseESF_lENKUlvE_clEvENKUlvE_clEvEUlddE_dEEDaPvRmT3_T4_T5_mT6_P12ihipStream_tbENKUlT_T0_E_clISt17integral_constantIbLb0EESV_IbLb1EEEEDaSR_SS_EUlSR_E0_NS1_11comp_targetILNS1_3genE8ELNS1_11target_archE1030ELNS1_3gpuE2ELNS1_3repE0EEENS1_30default_config_static_selectorELNS0_4arch9wavefront6targetE0EEEvT1_.has_recursion, 0
	.set _ZN7rocprim17ROCPRIM_400000_NS6detail17trampoline_kernelINS0_14default_configENS1_20scan_config_selectorIdEEZZNS1_9scan_implILNS1_25lookback_scan_determinismE0ELb0ELb0ES3_PKdPddZZZN2at6native31launch_logcumsumexp_cuda_kernelERKNSB_10TensorBaseESF_lENKUlvE_clEvENKUlvE_clEvEUlddE_dEEDaPvRmT3_T4_T5_mT6_P12ihipStream_tbENKUlT_T0_E_clISt17integral_constantIbLb0EESV_IbLb1EEEEDaSR_SS_EUlSR_E0_NS1_11comp_targetILNS1_3genE8ELNS1_11target_archE1030ELNS1_3gpuE2ELNS1_3repE0EEENS1_30default_config_static_selectorELNS0_4arch9wavefront6targetE0EEEvT1_.has_indirect_call, 0
	.section	.AMDGPU.csdata,"",@progbits
; Kernel info:
; codeLenInByte = 0
; TotalNumSgprs: 0
; NumVgprs: 0
; ScratchSize: 0
; MemoryBound: 0
; FloatMode: 240
; IeeeMode: 1
; LDSByteSize: 0 bytes/workgroup (compile time only)
; SGPRBlocks: 0
; VGPRBlocks: 0
; NumSGPRsForWavesPerEU: 1
; NumVGPRsForWavesPerEU: 1
; Occupancy: 16
; WaveLimiterHint : 0
; COMPUTE_PGM_RSRC2:SCRATCH_EN: 0
; COMPUTE_PGM_RSRC2:USER_SGPR: 2
; COMPUTE_PGM_RSRC2:TRAP_HANDLER: 0
; COMPUTE_PGM_RSRC2:TGID_X_EN: 1
; COMPUTE_PGM_RSRC2:TGID_Y_EN: 0
; COMPUTE_PGM_RSRC2:TGID_Z_EN: 0
; COMPUTE_PGM_RSRC2:TIDIG_COMP_CNT: 0
	.section	.text._ZN2at6native32tensor_kernel_scan_innermost_dimIdZZZNS0_31launch_logcumsumexp_cuda_kernelERKNS_10TensorBaseES4_lENKUlvE_clEvENKUlvE_clEvEUlddE_EEvPT_PKS8_jjjS8_T0_,"axG",@progbits,_ZN2at6native32tensor_kernel_scan_innermost_dimIdZZZNS0_31launch_logcumsumexp_cuda_kernelERKNS_10TensorBaseES4_lENKUlvE_clEvENKUlvE_clEvEUlddE_EEvPT_PKS8_jjjS8_T0_,comdat
	.globl	_ZN2at6native32tensor_kernel_scan_innermost_dimIdZZZNS0_31launch_logcumsumexp_cuda_kernelERKNS_10TensorBaseES4_lENKUlvE_clEvENKUlvE_clEvEUlddE_EEvPT_PKS8_jjjS8_T0_ ; -- Begin function _ZN2at6native32tensor_kernel_scan_innermost_dimIdZZZNS0_31launch_logcumsumexp_cuda_kernelERKNS_10TensorBaseES4_lENKUlvE_clEvENKUlvE_clEvEUlddE_EEvPT_PKS8_jjjS8_T0_
	.p2align	8
	.type	_ZN2at6native32tensor_kernel_scan_innermost_dimIdZZZNS0_31launch_logcumsumexp_cuda_kernelERKNS_10TensorBaseES4_lENKUlvE_clEvENKUlvE_clEvEUlddE_EEvPT_PKS8_jjjS8_T0_,@function
_ZN2at6native32tensor_kernel_scan_innermost_dimIdZZZNS0_31launch_logcumsumexp_cuda_kernelERKNS_10TensorBaseES4_lENKUlvE_clEvENKUlvE_clEvEUlddE_EEvPT_PKS8_jjjS8_T0_: ; @_ZN2at6native32tensor_kernel_scan_innermost_dimIdZZZNS0_31launch_logcumsumexp_cuda_kernelERKNS_10TensorBaseES4_lENKUlvE_clEvENKUlvE_clEvEUlddE_EEvPT_PKS8_jjjS8_T0_
; %bb.0:
	s_clause 0x2
	s_load_b96 s[12:14], s[0:1], 0x10
	s_load_b128 s[8:11], s[0:1], 0x0
	s_load_b64 s[16:17], s[0:1], 0x20
	v_bfe_u32 v14, v0, 10, 10
	s_wait_kmcnt 0x0
	s_lshl_b32 s15, 2, s14
	s_mul_hi_u32 s2, s12, s13
	s_delay_alu instid0(VALU_DEP_1) | instskip(SKIP_2) | instid1(VALU_DEP_1)
	v_mul_lo_u32 v1, s15, v14
	s_cmp_lg_u32 s2, 0
	s_mov_b32 s2, -1
	v_lshl_add_u32 v15, v1, 3, 0
	s_cbranch_scc1 .LBB84_30
; %bb.1:
	s_load_u16 s3, s[0:1], 0x3e
	s_wait_kmcnt 0x0
	s_mul_i32 s33, ttmp9, s3
	s_delay_alu instid0(SALU_CYCLE_1)
	s_cmp_ge_u32 s33, s12
	s_cbranch_scc1 .LBB84_29
; %bb.2:
	s_add_nc_u64 s[4:5], s[0:1], 48
	v_and_b32_e32 v12, 0x3ff, v0
	s_load_b32 s67, s[4:5], 0x0
	s_lshl_b32 s64, 1, s14
	s_cmp_lg_u32 s13, 0
	v_mov_b32_e32 v2, 0
	v_lshl_add_u32 v13, v12, 3, v15
	s_cselect_b32 s65, -1, 0
	s_lshl_b32 s4, s15, 3
	v_cmp_eq_u32_e64 s2, 0, v12
	v_add3_u32 v16, v15, s4, -8
	v_lshl_add_u32 v17, s64, 3, v13
	s_mov_b32 s18, 0x652b82fe
	s_mov_b32 s20, 0xfefa39ef
	;; [unrolled: 1-line block ×24, first 2 shown]
	s_add_co_i32 s66, s14, 1
	s_wait_kmcnt 0x0
	s_mul_i32 s67, s67, s3
	s_mov_b32 s27, 0x3e5ade15
	s_mov_b32 s29, 0x3ec71dee
	;; [unrolled: 1-line block ×19, first 2 shown]
	s_branch .LBB84_4
.LBB84_3:                               ;   in Loop: Header=BB84_4 Depth=1
	s_add_co_i32 s33, s33, s67
	s_wait_alu 0xfffe
	s_cmp_ge_u32 s33, s12
	s_cbranch_scc1 .LBB84_29
.LBB84_4:                               ; =>This Loop Header: Depth=1
                                        ;     Child Loop BB84_7 Depth 2
                                        ;       Child Loop BB84_19 Depth 3
	s_and_not1_b32 vcc_lo, exec_lo, s65
	s_cbranch_vccnz .LBB84_3
; %bb.5:                                ;   in Loop: Header=BB84_4 Depth=1
	v_dual_mov_b32 v6, s16 :: v_dual_add_nc_u32 v5, s33, v14
	v_mov_b32_e32 v7, s17
	s_mov_b32 s68, 0
	s_delay_alu instid0(VALU_DEP_2) | instskip(SKIP_2) | instid1(VALU_DEP_3)
	v_mul_lo_u32 v1, v5, s13
	v_cmp_le_u32_e64 s3, s12, v5
	v_cmp_gt_u32_e32 vcc_lo, s12, v5
	v_lshlrev_b64_e32 v[3:4], 3, v[1:2]
	s_delay_alu instid0(VALU_DEP_1) | instskip(SKIP_1) | instid1(VALU_DEP_2)
	v_add_co_u32 v18, s4, s10, v3
	s_wait_alu 0xf1ff
	v_add_co_ci_u32_e64 v19, null, s11, v4, s4
	v_add_co_u32 v20, s4, s8, v3
	s_wait_alu 0xf1ff
	v_add_co_ci_u32_e64 v21, null, s9, v4, s4
	s_branch .LBB84_7
.LBB84_6:                               ;   in Loop: Header=BB84_7 Depth=2
	s_wait_alu 0xfffe
	s_or_b32 exec_lo, exec_lo, s5
	ds_load_b64 v[6:7], v16
	s_add_co_i32 s68, s68, s15
	s_wait_storecnt 0x0
	s_wait_loadcnt_dscnt 0x0
	s_wait_alu 0xfffe
	s_cmp_ge_u32 s68, s13
	s_barrier_signal -1
	s_barrier_wait -1
	global_inv scope:SCOPE_SE
	s_cbranch_scc1 .LBB84_3
.LBB84_7:                               ;   Parent Loop BB84_4 Depth=1
                                        ; =>  This Loop Header: Depth=2
                                        ;       Child Loop BB84_19 Depth 3
	s_wait_alu 0xfffe
	v_add_nc_u32_e32 v1, s68, v12
	s_delay_alu instid0(VALU_DEP_1)
	v_add_nc_u32_e32 v3, s64, v1
	s_and_saveexec_b32 s69, vcc_lo
	s_cbranch_execz .LBB84_16
; %bb.8:                                ;   in Loop: Header=BB84_7 Depth=2
	v_dual_mov_b32 v4, s16 :: v_dual_mov_b32 v5, s17
	s_mov_b32 s5, exec_lo
	v_cmpx_gt_u32_e64 s13, v1
	s_cbranch_execz .LBB84_10
; %bb.9:                                ;   in Loop: Header=BB84_7 Depth=2
	v_lshlrev_b64_e32 v[4:5], 3, v[1:2]
	s_delay_alu instid0(VALU_DEP_1) | instskip(SKIP_1) | instid1(VALU_DEP_2)
	v_add_co_u32 v4, s4, v18, v4
	s_wait_alu 0xf1ff
	v_add_co_ci_u32_e64 v5, null, v19, v5, s4
	global_load_b64 v[4:5], v[4:5], off
.LBB84_10:                              ;   in Loop: Header=BB84_7 Depth=2
	s_wait_alu 0xfffe
	s_or_b32 exec_lo, exec_lo, s5
	v_dual_mov_b32 v8, s16 :: v_dual_mov_b32 v9, s17
	s_mov_b32 s5, exec_lo
	s_wait_loadcnt 0x0
	ds_store_b64 v13, v[4:5]
	v_cmpx_gt_u32_e64 s13, v3
	s_cbranch_execz .LBB84_12
; %bb.11:                               ;   in Loop: Header=BB84_7 Depth=2
	v_mov_b32_e32 v4, v2
	s_delay_alu instid0(VALU_DEP_1) | instskip(NEXT) | instid1(VALU_DEP_1)
	v_lshlrev_b64_e32 v[4:5], 3, v[3:4]
	v_add_co_u32 v4, s4, v18, v4
	s_wait_alu 0xf1ff
	s_delay_alu instid0(VALU_DEP_2)
	v_add_co_ci_u32_e64 v5, null, v19, v5, s4
	global_load_b64 v[8:9], v[4:5], off
.LBB84_12:                              ;   in Loop: Header=BB84_7 Depth=2
	s_wait_alu 0xfffe
	s_or_b32 exec_lo, exec_lo, s5
	s_wait_loadcnt 0x0
	ds_store_b64 v17, v[8:9]
	s_and_b32 exec_lo, exec_lo, s2
	s_cbranch_execz .LBB84_16
; %bb.13:                               ;   in Loop: Header=BB84_7 Depth=2
	ds_load_b64 v[8:9], v15
	v_max_num_f64_e32 v[4:5], v[6:7], v[6:7]
	v_cmp_u_f64_e64 s5, v[6:7], v[6:7]
	s_wait_dscnt 0x0
	v_max_num_f64_e32 v[10:11], v[8:9], v[8:9]
	v_cmp_u_f64_e64 s4, v[8:9], v[8:9]
	s_delay_alu instid0(VALU_DEP_2) | instskip(SKIP_2) | instid1(VALU_DEP_2)
	v_min_num_f64_e32 v[22:23], v[10:11], v[4:5]
	v_max_num_f64_e32 v[4:5], v[10:11], v[4:5]
	s_wait_alu 0xf1ff
	v_cndmask_b32_e64 v10, v22, v8, s4
	s_delay_alu instid0(VALU_DEP_3) | instskip(NEXT) | instid1(VALU_DEP_3)
	v_cndmask_b32_e64 v11, v23, v9, s4
	v_cndmask_b32_e64 v5, v5, v9, s4
	s_delay_alu instid0(VALU_DEP_4) | instskip(NEXT) | instid1(VALU_DEP_4)
	v_cndmask_b32_e64 v4, v4, v8, s4
	v_cndmask_b32_e64 v10, v10, v6, s5
	s_delay_alu instid0(VALU_DEP_4) | instskip(NEXT) | instid1(VALU_DEP_4)
	v_cndmask_b32_e64 v11, v11, v7, s5
	v_cndmask_b32_e64 v5, v5, v7, s5
	s_delay_alu instid0(VALU_DEP_4) | instskip(NEXT) | instid1(VALU_DEP_3)
	v_cndmask_b32_e64 v4, v4, v6, s5
	v_cmp_class_f64_e64 s5, v[10:11], 0x1f8
	s_delay_alu instid0(VALU_DEP_2)
	v_cmp_neq_f64_e64 s4, v[10:11], v[4:5]
	s_or_b32 s4, s4, s5
	s_wait_alu 0xfffe
	s_and_saveexec_b32 s70, s4
	s_cbranch_execz .LBB84_15
; %bb.14:                               ;   in Loop: Header=BB84_7 Depth=2
	v_add_f64_e64 v[6:7], v[10:11], -v[4:5]
	s_mov_b32 s61, s47
	s_mov_b32 s6, s20
	;; [unrolled: 1-line block ×3, first 2 shown]
	s_delay_alu instid0(VALU_DEP_1) | instskip(SKIP_2) | instid1(VALU_DEP_3)
	v_mul_f64_e32 v[8:9], s[18:19], v[6:7]
	v_cmp_nlt_f64_e64 s4, 0x40900000, v[6:7]
	v_cmp_ngt_f64_e64 s5, 0xc090cc00, v[6:7]
	v_rndne_f64_e32 v[8:9], v[8:9]
	s_delay_alu instid0(VALU_DEP_1) | instskip(SKIP_1) | instid1(VALU_DEP_2)
	v_fma_f64 v[10:11], v[8:9], s[20:21], v[6:7]
	v_cvt_i32_f64_e32 v24, v[8:9]
	v_fma_f64 v[10:11], v[8:9], s[22:23], v[10:11]
	s_delay_alu instid0(VALU_DEP_1) | instskip(NEXT) | instid1(VALU_DEP_1)
	v_fma_f64 v[22:23], v[10:11], s[26:27], s[24:25]
	v_fma_f64 v[22:23], v[10:11], v[22:23], s[28:29]
	s_delay_alu instid0(VALU_DEP_1) | instskip(NEXT) | instid1(VALU_DEP_1)
	v_fma_f64 v[22:23], v[10:11], v[22:23], s[30:31]
	;; [unrolled: 3-line block ×5, first 2 shown]
	v_fma_f64 v[22:23], v[10:11], v[22:23], 1.0
	s_delay_alu instid0(VALU_DEP_1) | instskip(NEXT) | instid1(VALU_DEP_1)
	v_fma_f64 v[8:9], v[10:11], v[22:23], 1.0
	v_ldexp_f64 v[8:9], v[8:9], v24
	s_wait_alu 0xf1ff
	s_delay_alu instid0(VALU_DEP_1) | instskip(SKIP_2) | instid1(VALU_DEP_2)
	v_cndmask_b32_e64 v9, 0x7ff00000, v9, s4
	s_and_b32 s4, s5, s4
	s_wait_alu 0xfffe
	v_cndmask_b32_e64 v6, 0, v8, s4
	s_delay_alu instid0(VALU_DEP_2) | instskip(NEXT) | instid1(VALU_DEP_1)
	v_cndmask_b32_e64 v7, 0, v9, s5
	v_add_f64_e32 v[8:9], 1.0, v[6:7]
	v_cmp_neq_f64_e64 s5, 0x7ff00000, v[6:7]
	s_delay_alu instid0(VALU_DEP_2) | instskip(SKIP_2) | instid1(VALU_DEP_3)
	v_frexp_mant_f64_e32 v[10:11], v[8:9]
	v_frexp_exp_i32_f64_e32 v24, v[8:9]
	v_add_f64_e32 v[22:23], -1.0, v[8:9]
	v_cmp_gt_f64_e64 s4, s[46:47], v[10:11]
	s_delay_alu instid0(VALU_DEP_2) | instskip(SKIP_2) | instid1(VALU_DEP_3)
	v_add_f64_e64 v[10:11], v[22:23], -v[8:9]
	v_add_f64_e64 v[22:23], v[6:7], -v[22:23]
	s_wait_alu 0xf1ff
	v_subrev_co_ci_u32_e64 v40, null, 0, v24, s4
	s_delay_alu instid0(VALU_DEP_3) | instskip(SKIP_1) | instid1(VALU_DEP_3)
	v_add_f64_e32 v[10:11], 1.0, v[10:11]
	v_cmp_nge_f64_e64 s4, -1.0, v[6:7]
	v_sub_nc_u32_e32 v26, 0, v40
	s_delay_alu instid0(VALU_DEP_1) | instskip(NEXT) | instid1(VALU_DEP_4)
	v_ldexp_f64 v[8:9], v[8:9], v26
	v_add_f64_e32 v[10:11], v[22:23], v[10:11]
	s_and_b32 s4, s4, s5
	s_delay_alu instid0(VALU_DEP_2) | instskip(SKIP_1) | instid1(VALU_DEP_3)
	v_add_f64_e32 v[24:25], 1.0, v[8:9]
	v_add_f64_e32 v[30:31], -1.0, v[8:9]
	v_ldexp_f64 v[10:11], v[10:11], v26
	s_delay_alu instid0(VALU_DEP_3) | instskip(NEXT) | instid1(VALU_DEP_3)
	v_add_f64_e32 v[22:23], -1.0, v[24:25]
	v_add_f64_e32 v[32:33], 1.0, v[30:31]
	s_delay_alu instid0(VALU_DEP_2) | instskip(NEXT) | instid1(VALU_DEP_2)
	v_add_f64_e64 v[22:23], v[8:9], -v[22:23]
	v_add_f64_e64 v[8:9], v[8:9], -v[32:33]
	s_delay_alu instid0(VALU_DEP_2) | instskip(NEXT) | instid1(VALU_DEP_2)
	v_add_f64_e32 v[22:23], v[10:11], v[22:23]
	v_add_f64_e32 v[8:9], v[10:11], v[8:9]
	s_delay_alu instid0(VALU_DEP_2) | instskip(NEXT) | instid1(VALU_DEP_2)
	v_add_f64_e32 v[26:27], v[24:25], v[22:23]
	v_add_f64_e32 v[32:33], v[30:31], v[8:9]
	s_delay_alu instid0(VALU_DEP_2) | instskip(SKIP_1) | instid1(VALU_DEP_2)
	v_rcp_f64_e32 v[28:29], v[26:27]
	v_add_f64_e64 v[24:25], v[26:27], -v[24:25]
	v_add_f64_e64 v[30:31], v[32:33], -v[30:31]
	s_delay_alu instid0(VALU_DEP_2) | instskip(NEXT) | instid1(TRANS32_DEP_1)
	v_add_f64_e64 v[22:23], v[22:23], -v[24:25]
	v_fma_f64 v[34:35], -v[26:27], v[28:29], 1.0
	s_delay_alu instid0(VALU_DEP_3) | instskip(NEXT) | instid1(VALU_DEP_2)
	v_add_f64_e64 v[8:9], v[8:9], -v[30:31]
	v_fma_f64 v[28:29], v[34:35], v[28:29], v[28:29]
	s_delay_alu instid0(VALU_DEP_1) | instskip(NEXT) | instid1(VALU_DEP_1)
	v_fma_f64 v[10:11], -v[26:27], v[28:29], 1.0
	v_fma_f64 v[10:11], v[10:11], v[28:29], v[28:29]
	s_delay_alu instid0(VALU_DEP_1) | instskip(NEXT) | instid1(VALU_DEP_1)
	v_mul_f64_e32 v[28:29], v[32:33], v[10:11]
	v_mul_f64_e32 v[34:35], v[26:27], v[28:29]
	s_delay_alu instid0(VALU_DEP_1) | instskip(NEXT) | instid1(VALU_DEP_1)
	v_fma_f64 v[24:25], v[28:29], v[26:27], -v[34:35]
	v_fma_f64 v[24:25], v[28:29], v[22:23], v[24:25]
	s_delay_alu instid0(VALU_DEP_1) | instskip(NEXT) | instid1(VALU_DEP_1)
	v_add_f64_e32 v[36:37], v[34:35], v[24:25]
	v_add_f64_e64 v[38:39], v[32:33], -v[36:37]
	v_add_f64_e64 v[30:31], v[36:37], -v[34:35]
	s_delay_alu instid0(VALU_DEP_2) | instskip(NEXT) | instid1(VALU_DEP_2)
	v_add_f64_e64 v[32:33], v[32:33], -v[38:39]
	v_add_f64_e64 v[24:25], v[30:31], -v[24:25]
	s_delay_alu instid0(VALU_DEP_2) | instskip(NEXT) | instid1(VALU_DEP_1)
	v_add_f64_e64 v[32:33], v[32:33], -v[36:37]
	v_add_f64_e32 v[8:9], v[8:9], v[32:33]
	s_delay_alu instid0(VALU_DEP_1) | instskip(NEXT) | instid1(VALU_DEP_1)
	v_add_f64_e32 v[8:9], v[24:25], v[8:9]
	v_add_f64_e32 v[24:25], v[38:39], v[8:9]
	s_delay_alu instid0(VALU_DEP_1) | instskip(SKIP_1) | instid1(VALU_DEP_2)
	v_mul_f64_e32 v[30:31], v[10:11], v[24:25]
	v_add_f64_e64 v[36:37], v[38:39], -v[24:25]
	v_mul_f64_e32 v[32:33], v[26:27], v[30:31]
	s_delay_alu instid0(VALU_DEP_2) | instskip(NEXT) | instid1(VALU_DEP_2)
	v_add_f64_e32 v[8:9], v[8:9], v[36:37]
	v_fma_f64 v[26:27], v[30:31], v[26:27], -v[32:33]
	s_delay_alu instid0(VALU_DEP_1) | instskip(NEXT) | instid1(VALU_DEP_1)
	v_fma_f64 v[22:23], v[30:31], v[22:23], v[26:27]
	v_add_f64_e32 v[26:27], v[32:33], v[22:23]
	s_delay_alu instid0(VALU_DEP_1) | instskip(SKIP_1) | instid1(VALU_DEP_2)
	v_add_f64_e64 v[34:35], v[24:25], -v[26:27]
	v_add_f64_e64 v[32:33], v[26:27], -v[32:33]
	;; [unrolled: 1-line block ×3, first 2 shown]
	s_delay_alu instid0(VALU_DEP_2) | instskip(NEXT) | instid1(VALU_DEP_2)
	v_add_f64_e64 v[22:23], v[32:33], -v[22:23]
	v_add_f64_e64 v[24:25], v[24:25], -v[26:27]
	s_delay_alu instid0(VALU_DEP_1) | instskip(SKIP_1) | instid1(VALU_DEP_2)
	v_add_f64_e32 v[8:9], v[8:9], v[24:25]
	v_add_f64_e32 v[24:25], v[28:29], v[30:31]
	;; [unrolled: 1-line block ×3, first 2 shown]
	s_delay_alu instid0(VALU_DEP_2) | instskip(NEXT) | instid1(VALU_DEP_2)
	v_add_f64_e64 v[22:23], v[24:25], -v[28:29]
	v_add_f64_e32 v[8:9], v[34:35], v[8:9]
	s_delay_alu instid0(VALU_DEP_2) | instskip(NEXT) | instid1(VALU_DEP_2)
	v_add_f64_e64 v[22:23], v[30:31], -v[22:23]
	v_mul_f64_e32 v[8:9], v[10:11], v[8:9]
	s_delay_alu instid0(VALU_DEP_1) | instskip(NEXT) | instid1(VALU_DEP_1)
	v_add_f64_e32 v[8:9], v[22:23], v[8:9]
	v_add_f64_e32 v[10:11], v[24:25], v[8:9]
	s_delay_alu instid0(VALU_DEP_1) | instskip(NEXT) | instid1(VALU_DEP_1)
	v_mul_f64_e32 v[22:23], v[10:11], v[10:11]
	v_fma_f64 v[26:27], v[22:23], s[50:51], s[48:49]
	v_mul_f64_e32 v[28:29], v[10:11], v[22:23]
	s_delay_alu instid0(VALU_DEP_2) | instskip(NEXT) | instid1(VALU_DEP_1)
	v_fma_f64 v[26:27], v[22:23], v[26:27], s[52:53]
	v_fma_f64 v[26:27], v[22:23], v[26:27], s[54:55]
	s_delay_alu instid0(VALU_DEP_1) | instskip(NEXT) | instid1(VALU_DEP_1)
	v_fma_f64 v[26:27], v[22:23], v[26:27], s[56:57]
	v_fma_f64 v[26:27], v[22:23], v[26:27], s[58:59]
	s_delay_alu instid0(VALU_DEP_1) | instskip(SKIP_2) | instid1(VALU_DEP_3)
	v_fma_f64 v[22:23], v[22:23], v[26:27], s[60:61]
	v_ldexp_f64 v[26:27], v[10:11], 1
	v_add_f64_e64 v[10:11], v[10:11], -v[24:25]
	v_mul_f64_e32 v[22:23], v[28:29], v[22:23]
	v_cvt_f64_i32_e32 v[28:29], v40
	s_delay_alu instid0(VALU_DEP_3) | instskip(NEXT) | instid1(VALU_DEP_3)
	v_add_f64_e64 v[8:9], v[8:9], -v[10:11]
	v_add_f64_e32 v[24:25], v[26:27], v[22:23]
	s_delay_alu instid0(VALU_DEP_3) | instskip(NEXT) | instid1(VALU_DEP_3)
	v_mul_f64_e32 v[30:31], s[6:7], v[28:29]
	v_ldexp_f64 v[8:9], v[8:9], 1
	s_delay_alu instid0(VALU_DEP_3) | instskip(NEXT) | instid1(VALU_DEP_3)
	v_add_f64_e64 v[10:11], v[24:25], -v[26:27]
	v_fma_f64 v[26:27], v[28:29], s[6:7], -v[30:31]
	v_cmp_ngt_f64_e64 s6, -1.0, v[6:7]
	s_delay_alu instid0(VALU_DEP_3) | instskip(NEXT) | instid1(VALU_DEP_3)
	v_add_f64_e64 v[10:11], v[22:23], -v[10:11]
	v_fma_f64 v[22:23], v[28:29], s[62:63], v[26:27]
	s_delay_alu instid0(VALU_DEP_2) | instskip(NEXT) | instid1(VALU_DEP_2)
	v_add_f64_e32 v[8:9], v[8:9], v[10:11]
	v_add_f64_e32 v[10:11], v[30:31], v[22:23]
	s_delay_alu instid0(VALU_DEP_2) | instskip(NEXT) | instid1(VALU_DEP_2)
	v_add_f64_e32 v[26:27], v[24:25], v[8:9]
	v_add_f64_e64 v[30:31], v[10:11], -v[30:31]
	s_delay_alu instid0(VALU_DEP_2) | instskip(SKIP_1) | instid1(VALU_DEP_3)
	v_add_f64_e32 v[28:29], v[10:11], v[26:27]
	v_add_f64_e64 v[24:25], v[26:27], -v[24:25]
	v_add_f64_e64 v[22:23], v[22:23], -v[30:31]
	s_delay_alu instid0(VALU_DEP_3) | instskip(NEXT) | instid1(VALU_DEP_3)
	v_add_f64_e64 v[32:33], v[28:29], -v[10:11]
	v_add_f64_e64 v[8:9], v[8:9], -v[24:25]
	s_delay_alu instid0(VALU_DEP_2) | instskip(SKIP_1) | instid1(VALU_DEP_3)
	v_add_f64_e64 v[34:35], v[28:29], -v[32:33]
	v_add_f64_e64 v[24:25], v[26:27], -v[32:33]
	v_add_f64_e32 v[26:27], v[22:23], v[8:9]
	s_delay_alu instid0(VALU_DEP_3) | instskip(NEXT) | instid1(VALU_DEP_1)
	v_add_f64_e64 v[10:11], v[10:11], -v[34:35]
	v_add_f64_e32 v[10:11], v[24:25], v[10:11]
	s_delay_alu instid0(VALU_DEP_3) | instskip(NEXT) | instid1(VALU_DEP_2)
	v_add_f64_e64 v[24:25], v[26:27], -v[22:23]
	v_add_f64_e32 v[10:11], v[26:27], v[10:11]
	s_delay_alu instid0(VALU_DEP_2) | instskip(SKIP_1) | instid1(VALU_DEP_3)
	v_add_f64_e64 v[26:27], v[26:27], -v[24:25]
	v_add_f64_e64 v[8:9], v[8:9], -v[24:25]
	v_add_f64_e32 v[30:31], v[28:29], v[10:11]
	s_delay_alu instid0(VALU_DEP_3) | instskip(NEXT) | instid1(VALU_DEP_2)
	v_add_f64_e64 v[22:23], v[22:23], -v[26:27]
	v_add_f64_e64 v[24:25], v[30:31], -v[28:29]
	s_delay_alu instid0(VALU_DEP_2) | instskip(NEXT) | instid1(VALU_DEP_2)
	v_add_f64_e32 v[8:9], v[8:9], v[22:23]
	v_add_f64_e64 v[10:11], v[10:11], -v[24:25]
	s_delay_alu instid0(VALU_DEP_1) | instskip(NEXT) | instid1(VALU_DEP_1)
	v_add_f64_e32 v[8:9], v[8:9], v[10:11]
	v_add_f64_e32 v[8:9], v[30:31], v[8:9]
	s_wait_alu 0xfffe
	s_delay_alu instid0(VALU_DEP_1) | instskip(SKIP_1) | instid1(VALU_DEP_3)
	v_cndmask_b32_e64 v8, 0, v8, s4
	v_cmp_neq_f64_e64 s4, -1.0, v[6:7]
	v_cndmask_b32_e64 v9, 0x7ff00000, v9, s5
	s_wait_alu 0xf1ff
	s_delay_alu instid0(VALU_DEP_1) | instskip(NEXT) | instid1(VALU_DEP_1)
	v_cndmask_b32_e64 v9, 0x7ff80000, v9, s6
	v_cndmask_b32_e64 v9, 0xfff00000, v9, s4
	s_delay_alu instid0(VALU_DEP_1)
	v_add_f64_e32 v[8:9], v[4:5], v[8:9]
.LBB84_15:                              ;   in Loop: Header=BB84_7 Depth=2
	s_or_b32 exec_lo, exec_lo, s70
	ds_store_b64 v15, v[8:9]
.LBB84_16:                              ;   in Loop: Header=BB84_7 Depth=2
	s_wait_alu 0xfffe
	s_or_b32 exec_lo, exec_lo, s69
	v_mov_b32_e32 v4, 0
	s_mov_b32 s69, 0
	s_wait_dscnt 0x0
	s_barrier_signal -1
	s_barrier_wait -1
	global_inv scope:SCOPE_SE
	s_branch .LBB84_19
.LBB84_17:                              ;   in Loop: Header=BB84_19 Depth=3
	s_or_b32 exec_lo, exec_lo, s71
	ds_store_b64 v11, v[6:7]
.LBB84_18:                              ;   in Loop: Header=BB84_19 Depth=3
	s_or_b32 exec_lo, exec_lo, s70
	v_cmp_eq_u32_e64 s4, s66, v10
	v_mov_b32_e32 v4, v10
	s_wait_loadcnt_dscnt 0x0
	s_barrier_signal -1
	s_barrier_wait -1
	s_or_b32 s69, s4, s69
	global_inv scope:SCOPE_SE
	s_wait_alu 0xfffe
	s_and_not1_b32 exec_lo, exec_lo, s69
	s_cbranch_execz .LBB84_24
.LBB84_19:                              ;   Parent Loop BB84_4 Depth=1
                                        ;     Parent Loop BB84_7 Depth=2
                                        ; =>    This Inner Loop Header: Depth=3
	v_add_nc_u32_e32 v10, 1, v4
	s_and_saveexec_b32 s4, s3
	s_wait_alu 0xfffe
	s_xor_b32 s4, exec_lo, s4
; %bb.20:                               ;   in Loop: Header=BB84_19 Depth=3
	v_add_nc_u32_e32 v10, 1, v4
                                        ; implicit-def: $vgpr4
; %bb.21:                               ;   in Loop: Header=BB84_19 Depth=3
	s_wait_alu 0xfffe
	s_and_not1_saveexec_b32 s70, s4
	s_cbranch_execz .LBB84_18
; %bb.22:                               ;   in Loop: Header=BB84_19 Depth=3
	v_lshlrev_b32_e64 v5, v4, 1
	v_lshrrev_b32_e32 v6, v4, v12
	v_bfm_b32 v4, v4, 0
	s_delay_alu instid0(VALU_DEP_2) | instskip(NEXT) | instid1(VALU_DEP_2)
	v_lshl_or_b32 v5, v6, v10, v5
	v_and_b32_e32 v4, v4, v12
	s_delay_alu instid0(VALU_DEP_2) | instskip(NEXT) | instid1(VALU_DEP_1)
	v_lshl_add_u32 v5, v5, 3, v15
	v_add_nc_u32_e32 v6, -8, v5
	s_delay_alu instid0(VALU_DEP_3)
	v_lshl_add_u32 v11, v4, 3, v5
	ds_load_b64 v[4:5], v6
	ds_load_b64 v[6:7], v11
	s_wait_dscnt 0x1
	v_max_num_f64_e32 v[8:9], v[4:5], v[4:5]
	s_wait_dscnt 0x0
	v_max_num_f64_e32 v[22:23], v[6:7], v[6:7]
	v_cmp_u_f64_e64 s4, v[6:7], v[6:7]
	v_cmp_u_f64_e64 s5, v[4:5], v[4:5]
	s_delay_alu instid0(VALU_DEP_3) | instskip(SKIP_2) | instid1(VALU_DEP_2)
	v_min_num_f64_e32 v[24:25], v[22:23], v[8:9]
	v_max_num_f64_e32 v[8:9], v[22:23], v[8:9]
	s_wait_alu 0xf1ff
	v_cndmask_b32_e64 v22, v24, v6, s4
	s_delay_alu instid0(VALU_DEP_3) | instskip(NEXT) | instid1(VALU_DEP_3)
	v_cndmask_b32_e64 v23, v25, v7, s4
	v_cndmask_b32_e64 v24, v9, v7, s4
	s_delay_alu instid0(VALU_DEP_4) | instskip(NEXT) | instid1(VALU_DEP_4)
	v_cndmask_b32_e64 v25, v8, v6, s4
	v_cndmask_b32_e64 v8, v22, v4, s5
	s_delay_alu instid0(VALU_DEP_4) | instskip(NEXT) | instid1(VALU_DEP_4)
	v_cndmask_b32_e64 v9, v23, v5, s5
	v_cndmask_b32_e64 v5, v24, v5, s5
	s_delay_alu instid0(VALU_DEP_4) | instskip(NEXT) | instid1(VALU_DEP_3)
	v_cndmask_b32_e64 v4, v25, v4, s5
	v_cmp_class_f64_e64 s5, v[8:9], 0x1f8
	s_delay_alu instid0(VALU_DEP_2)
	v_cmp_neq_f64_e64 s4, v[8:9], v[4:5]
	s_or_b32 s4, s4, s5
	s_wait_alu 0xfffe
	s_and_saveexec_b32 s71, s4
	s_cbranch_execz .LBB84_17
; %bb.23:                               ;   in Loop: Header=BB84_19 Depth=3
	v_add_f64_e64 v[6:7], v[8:9], -v[4:5]
	s_mov_b32 s61, s47
	s_mov_b32 s6, s20
	;; [unrolled: 1-line block ×3, first 2 shown]
	s_delay_alu instid0(VALU_DEP_1) | instskip(SKIP_2) | instid1(VALU_DEP_3)
	v_mul_f64_e32 v[8:9], s[18:19], v[6:7]
	v_cmp_nlt_f64_e64 s4, 0x40900000, v[6:7]
	v_cmp_ngt_f64_e64 s5, 0xc090cc00, v[6:7]
	v_rndne_f64_e32 v[8:9], v[8:9]
	s_delay_alu instid0(VALU_DEP_1) | instskip(SKIP_1) | instid1(VALU_DEP_2)
	v_fma_f64 v[22:23], v[8:9], s[20:21], v[6:7]
	v_cvt_i32_f64_e32 v26, v[8:9]
	v_fma_f64 v[22:23], v[8:9], s[22:23], v[22:23]
	s_delay_alu instid0(VALU_DEP_1) | instskip(NEXT) | instid1(VALU_DEP_1)
	v_fma_f64 v[24:25], v[22:23], s[26:27], s[24:25]
	v_fma_f64 v[24:25], v[22:23], v[24:25], s[28:29]
	s_delay_alu instid0(VALU_DEP_1) | instskip(NEXT) | instid1(VALU_DEP_1)
	v_fma_f64 v[24:25], v[22:23], v[24:25], s[30:31]
	;; [unrolled: 3-line block ×5, first 2 shown]
	v_fma_f64 v[24:25], v[22:23], v[24:25], 1.0
	s_delay_alu instid0(VALU_DEP_1) | instskip(NEXT) | instid1(VALU_DEP_1)
	v_fma_f64 v[8:9], v[22:23], v[24:25], 1.0
	v_ldexp_f64 v[8:9], v[8:9], v26
	s_wait_alu 0xf1ff
	s_delay_alu instid0(VALU_DEP_1) | instskip(SKIP_2) | instid1(VALU_DEP_2)
	v_cndmask_b32_e64 v9, 0x7ff00000, v9, s4
	s_and_b32 s4, s5, s4
	s_wait_alu 0xfffe
	v_cndmask_b32_e64 v6, 0, v8, s4
	s_delay_alu instid0(VALU_DEP_2) | instskip(NEXT) | instid1(VALU_DEP_1)
	v_cndmask_b32_e64 v7, 0, v9, s5
	v_add_f64_e32 v[8:9], 1.0, v[6:7]
	v_cmp_neq_f64_e64 s5, 0x7ff00000, v[6:7]
	s_delay_alu instid0(VALU_DEP_2) | instskip(SKIP_2) | instid1(VALU_DEP_3)
	v_frexp_mant_f64_e32 v[22:23], v[8:9]
	v_frexp_exp_i32_f64_e32 v26, v[8:9]
	v_add_f64_e32 v[24:25], -1.0, v[8:9]
	v_cmp_gt_f64_e64 s4, s[46:47], v[22:23]
	s_delay_alu instid0(VALU_DEP_2) | instskip(SKIP_2) | instid1(VALU_DEP_3)
	v_add_f64_e64 v[22:23], v[24:25], -v[8:9]
	v_add_f64_e64 v[24:25], v[6:7], -v[24:25]
	s_wait_alu 0xf1ff
	v_subrev_co_ci_u32_e64 v42, null, 0, v26, s4
	s_delay_alu instid0(VALU_DEP_3) | instskip(SKIP_1) | instid1(VALU_DEP_3)
	v_add_f64_e32 v[22:23], 1.0, v[22:23]
	v_cmp_nge_f64_e64 s4, -1.0, v[6:7]
	v_sub_nc_u32_e32 v28, 0, v42
	s_delay_alu instid0(VALU_DEP_1) | instskip(NEXT) | instid1(VALU_DEP_4)
	v_ldexp_f64 v[8:9], v[8:9], v28
	v_add_f64_e32 v[22:23], v[24:25], v[22:23]
	s_and_b32 s4, s4, s5
	s_delay_alu instid0(VALU_DEP_2) | instskip(SKIP_1) | instid1(VALU_DEP_3)
	v_add_f64_e32 v[26:27], 1.0, v[8:9]
	v_add_f64_e32 v[32:33], -1.0, v[8:9]
	v_ldexp_f64 v[22:23], v[22:23], v28
	s_delay_alu instid0(VALU_DEP_3) | instskip(NEXT) | instid1(VALU_DEP_3)
	v_add_f64_e32 v[24:25], -1.0, v[26:27]
	v_add_f64_e32 v[34:35], 1.0, v[32:33]
	s_delay_alu instid0(VALU_DEP_2) | instskip(NEXT) | instid1(VALU_DEP_2)
	v_add_f64_e64 v[24:25], v[8:9], -v[24:25]
	v_add_f64_e64 v[8:9], v[8:9], -v[34:35]
	s_delay_alu instid0(VALU_DEP_2) | instskip(NEXT) | instid1(VALU_DEP_2)
	v_add_f64_e32 v[24:25], v[22:23], v[24:25]
	v_add_f64_e32 v[8:9], v[22:23], v[8:9]
	s_delay_alu instid0(VALU_DEP_2) | instskip(NEXT) | instid1(VALU_DEP_2)
	v_add_f64_e32 v[28:29], v[26:27], v[24:25]
	v_add_f64_e32 v[34:35], v[32:33], v[8:9]
	s_delay_alu instid0(VALU_DEP_2) | instskip(SKIP_1) | instid1(VALU_DEP_2)
	v_rcp_f64_e32 v[30:31], v[28:29]
	v_add_f64_e64 v[26:27], v[28:29], -v[26:27]
	v_add_f64_e64 v[32:33], v[34:35], -v[32:33]
	s_delay_alu instid0(VALU_DEP_2) | instskip(NEXT) | instid1(TRANS32_DEP_1)
	v_add_f64_e64 v[24:25], v[24:25], -v[26:27]
	v_fma_f64 v[36:37], -v[28:29], v[30:31], 1.0
	s_delay_alu instid0(VALU_DEP_3) | instskip(NEXT) | instid1(VALU_DEP_2)
	v_add_f64_e64 v[8:9], v[8:9], -v[32:33]
	v_fma_f64 v[30:31], v[36:37], v[30:31], v[30:31]
	s_delay_alu instid0(VALU_DEP_1) | instskip(NEXT) | instid1(VALU_DEP_1)
	v_fma_f64 v[22:23], -v[28:29], v[30:31], 1.0
	v_fma_f64 v[22:23], v[22:23], v[30:31], v[30:31]
	s_delay_alu instid0(VALU_DEP_1) | instskip(NEXT) | instid1(VALU_DEP_1)
	v_mul_f64_e32 v[30:31], v[34:35], v[22:23]
	v_mul_f64_e32 v[36:37], v[28:29], v[30:31]
	s_delay_alu instid0(VALU_DEP_1) | instskip(NEXT) | instid1(VALU_DEP_1)
	v_fma_f64 v[26:27], v[30:31], v[28:29], -v[36:37]
	v_fma_f64 v[26:27], v[30:31], v[24:25], v[26:27]
	s_delay_alu instid0(VALU_DEP_1) | instskip(NEXT) | instid1(VALU_DEP_1)
	v_add_f64_e32 v[38:39], v[36:37], v[26:27]
	v_add_f64_e64 v[40:41], v[34:35], -v[38:39]
	v_add_f64_e64 v[32:33], v[38:39], -v[36:37]
	s_delay_alu instid0(VALU_DEP_2) | instskip(NEXT) | instid1(VALU_DEP_2)
	v_add_f64_e64 v[34:35], v[34:35], -v[40:41]
	v_add_f64_e64 v[26:27], v[32:33], -v[26:27]
	s_delay_alu instid0(VALU_DEP_2) | instskip(NEXT) | instid1(VALU_DEP_1)
	v_add_f64_e64 v[34:35], v[34:35], -v[38:39]
	v_add_f64_e32 v[8:9], v[8:9], v[34:35]
	s_delay_alu instid0(VALU_DEP_1) | instskip(NEXT) | instid1(VALU_DEP_1)
	v_add_f64_e32 v[8:9], v[26:27], v[8:9]
	v_add_f64_e32 v[26:27], v[40:41], v[8:9]
	s_delay_alu instid0(VALU_DEP_1) | instskip(SKIP_1) | instid1(VALU_DEP_2)
	v_mul_f64_e32 v[32:33], v[22:23], v[26:27]
	v_add_f64_e64 v[38:39], v[40:41], -v[26:27]
	v_mul_f64_e32 v[34:35], v[28:29], v[32:33]
	s_delay_alu instid0(VALU_DEP_2) | instskip(NEXT) | instid1(VALU_DEP_2)
	v_add_f64_e32 v[8:9], v[8:9], v[38:39]
	v_fma_f64 v[28:29], v[32:33], v[28:29], -v[34:35]
	s_delay_alu instid0(VALU_DEP_1) | instskip(NEXT) | instid1(VALU_DEP_1)
	v_fma_f64 v[24:25], v[32:33], v[24:25], v[28:29]
	v_add_f64_e32 v[28:29], v[34:35], v[24:25]
	s_delay_alu instid0(VALU_DEP_1) | instskip(SKIP_1) | instid1(VALU_DEP_2)
	v_add_f64_e64 v[36:37], v[26:27], -v[28:29]
	v_add_f64_e64 v[34:35], v[28:29], -v[34:35]
	;; [unrolled: 1-line block ×3, first 2 shown]
	s_delay_alu instid0(VALU_DEP_2) | instskip(NEXT) | instid1(VALU_DEP_2)
	v_add_f64_e64 v[24:25], v[34:35], -v[24:25]
	v_add_f64_e64 v[26:27], v[26:27], -v[28:29]
	s_delay_alu instid0(VALU_DEP_1) | instskip(SKIP_1) | instid1(VALU_DEP_2)
	v_add_f64_e32 v[8:9], v[8:9], v[26:27]
	v_add_f64_e32 v[26:27], v[30:31], v[32:33]
	;; [unrolled: 1-line block ×3, first 2 shown]
	s_delay_alu instid0(VALU_DEP_2) | instskip(NEXT) | instid1(VALU_DEP_2)
	v_add_f64_e64 v[24:25], v[26:27], -v[30:31]
	v_add_f64_e32 v[8:9], v[36:37], v[8:9]
	s_delay_alu instid0(VALU_DEP_2) | instskip(NEXT) | instid1(VALU_DEP_2)
	v_add_f64_e64 v[24:25], v[32:33], -v[24:25]
	v_mul_f64_e32 v[8:9], v[22:23], v[8:9]
	s_delay_alu instid0(VALU_DEP_1) | instskip(NEXT) | instid1(VALU_DEP_1)
	v_add_f64_e32 v[8:9], v[24:25], v[8:9]
	v_add_f64_e32 v[22:23], v[26:27], v[8:9]
	s_delay_alu instid0(VALU_DEP_1) | instskip(NEXT) | instid1(VALU_DEP_1)
	v_mul_f64_e32 v[24:25], v[22:23], v[22:23]
	v_fma_f64 v[28:29], v[24:25], s[50:51], s[48:49]
	v_mul_f64_e32 v[30:31], v[22:23], v[24:25]
	s_delay_alu instid0(VALU_DEP_2) | instskip(NEXT) | instid1(VALU_DEP_1)
	v_fma_f64 v[28:29], v[24:25], v[28:29], s[52:53]
	v_fma_f64 v[28:29], v[24:25], v[28:29], s[54:55]
	s_delay_alu instid0(VALU_DEP_1) | instskip(NEXT) | instid1(VALU_DEP_1)
	v_fma_f64 v[28:29], v[24:25], v[28:29], s[56:57]
	v_fma_f64 v[28:29], v[24:25], v[28:29], s[58:59]
	s_delay_alu instid0(VALU_DEP_1) | instskip(SKIP_2) | instid1(VALU_DEP_3)
	v_fma_f64 v[24:25], v[24:25], v[28:29], s[60:61]
	v_ldexp_f64 v[28:29], v[22:23], 1
	v_add_f64_e64 v[22:23], v[22:23], -v[26:27]
	v_mul_f64_e32 v[24:25], v[30:31], v[24:25]
	v_cvt_f64_i32_e32 v[30:31], v42
	s_delay_alu instid0(VALU_DEP_3) | instskip(NEXT) | instid1(VALU_DEP_3)
	v_add_f64_e64 v[8:9], v[8:9], -v[22:23]
	v_add_f64_e32 v[26:27], v[28:29], v[24:25]
	s_delay_alu instid0(VALU_DEP_3) | instskip(NEXT) | instid1(VALU_DEP_3)
	v_mul_f64_e32 v[32:33], s[6:7], v[30:31]
	v_ldexp_f64 v[8:9], v[8:9], 1
	s_delay_alu instid0(VALU_DEP_3) | instskip(NEXT) | instid1(VALU_DEP_3)
	v_add_f64_e64 v[22:23], v[26:27], -v[28:29]
	v_fma_f64 v[28:29], v[30:31], s[6:7], -v[32:33]
	v_cmp_ngt_f64_e64 s6, -1.0, v[6:7]
	s_delay_alu instid0(VALU_DEP_3) | instskip(NEXT) | instid1(VALU_DEP_3)
	v_add_f64_e64 v[22:23], v[24:25], -v[22:23]
	v_fma_f64 v[24:25], v[30:31], s[62:63], v[28:29]
	s_delay_alu instid0(VALU_DEP_2) | instskip(NEXT) | instid1(VALU_DEP_2)
	v_add_f64_e32 v[8:9], v[8:9], v[22:23]
	v_add_f64_e32 v[22:23], v[32:33], v[24:25]
	s_delay_alu instid0(VALU_DEP_2) | instskip(NEXT) | instid1(VALU_DEP_2)
	v_add_f64_e32 v[28:29], v[26:27], v[8:9]
	v_add_f64_e64 v[32:33], v[22:23], -v[32:33]
	s_delay_alu instid0(VALU_DEP_2) | instskip(SKIP_1) | instid1(VALU_DEP_3)
	v_add_f64_e32 v[30:31], v[22:23], v[28:29]
	v_add_f64_e64 v[26:27], v[28:29], -v[26:27]
	v_add_f64_e64 v[24:25], v[24:25], -v[32:33]
	s_delay_alu instid0(VALU_DEP_3) | instskip(NEXT) | instid1(VALU_DEP_3)
	v_add_f64_e64 v[34:35], v[30:31], -v[22:23]
	v_add_f64_e64 v[8:9], v[8:9], -v[26:27]
	s_delay_alu instid0(VALU_DEP_2) | instskip(SKIP_1) | instid1(VALU_DEP_3)
	v_add_f64_e64 v[36:37], v[30:31], -v[34:35]
	v_add_f64_e64 v[26:27], v[28:29], -v[34:35]
	v_add_f64_e32 v[28:29], v[24:25], v[8:9]
	s_delay_alu instid0(VALU_DEP_3) | instskip(NEXT) | instid1(VALU_DEP_1)
	v_add_f64_e64 v[22:23], v[22:23], -v[36:37]
	v_add_f64_e32 v[22:23], v[26:27], v[22:23]
	s_delay_alu instid0(VALU_DEP_3) | instskip(NEXT) | instid1(VALU_DEP_2)
	v_add_f64_e64 v[26:27], v[28:29], -v[24:25]
	v_add_f64_e32 v[22:23], v[28:29], v[22:23]
	s_delay_alu instid0(VALU_DEP_2) | instskip(SKIP_1) | instid1(VALU_DEP_3)
	v_add_f64_e64 v[28:29], v[28:29], -v[26:27]
	v_add_f64_e64 v[8:9], v[8:9], -v[26:27]
	v_add_f64_e32 v[32:33], v[30:31], v[22:23]
	s_delay_alu instid0(VALU_DEP_3) | instskip(NEXT) | instid1(VALU_DEP_2)
	v_add_f64_e64 v[24:25], v[24:25], -v[28:29]
	v_add_f64_e64 v[26:27], v[32:33], -v[30:31]
	s_delay_alu instid0(VALU_DEP_2) | instskip(NEXT) | instid1(VALU_DEP_2)
	v_add_f64_e32 v[8:9], v[8:9], v[24:25]
	v_add_f64_e64 v[22:23], v[22:23], -v[26:27]
	s_delay_alu instid0(VALU_DEP_1) | instskip(NEXT) | instid1(VALU_DEP_1)
	v_add_f64_e32 v[8:9], v[8:9], v[22:23]
	v_add_f64_e32 v[8:9], v[32:33], v[8:9]
	s_wait_alu 0xfffe
	s_delay_alu instid0(VALU_DEP_1) | instskip(SKIP_1) | instid1(VALU_DEP_3)
	v_cndmask_b32_e64 v8, 0, v8, s4
	v_cmp_neq_f64_e64 s4, -1.0, v[6:7]
	v_cndmask_b32_e64 v9, 0x7ff00000, v9, s5
	s_wait_alu 0xf1ff
	s_delay_alu instid0(VALU_DEP_1) | instskip(NEXT) | instid1(VALU_DEP_1)
	v_cndmask_b32_e64 v9, 0x7ff80000, v9, s6
	v_cndmask_b32_e64 v9, 0xfff00000, v9, s4
	s_delay_alu instid0(VALU_DEP_1)
	v_add_f64_e32 v[6:7], v[4:5], v[8:9]
	s_branch .LBB84_17
.LBB84_24:                              ;   in Loop: Header=BB84_7 Depth=2
	s_or_b32 exec_lo, exec_lo, s69
	s_and_saveexec_b32 s5, vcc_lo
	s_cbranch_execz .LBB84_6
; %bb.25:                               ;   in Loop: Header=BB84_7 Depth=2
	s_mov_b32 s6, exec_lo
	v_cmpx_gt_u32_e64 s13, v1
	s_cbranch_execz .LBB84_27
; %bb.26:                               ;   in Loop: Header=BB84_7 Depth=2
	ds_load_b64 v[4:5], v13
	v_lshlrev_b64_e32 v[6:7], 3, v[1:2]
	s_delay_alu instid0(VALU_DEP_1) | instskip(SKIP_1) | instid1(VALU_DEP_2)
	v_add_co_u32 v6, s4, v20, v6
	s_wait_alu 0xf1ff
	v_add_co_ci_u32_e64 v7, null, v21, v7, s4
	s_wait_dscnt 0x0
	global_store_b64 v[6:7], v[4:5], off
.LBB84_27:                              ;   in Loop: Header=BB84_7 Depth=2
	s_wait_alu 0xfffe
	s_or_b32 exec_lo, exec_lo, s6
	v_cmp_gt_u32_e64 s4, s13, v3
	s_and_b32 exec_lo, exec_lo, s4
	s_cbranch_execz .LBB84_6
; %bb.28:                               ;   in Loop: Header=BB84_7 Depth=2
	ds_load_b64 v[5:6], v17
	v_mov_b32_e32 v4, v2
	s_delay_alu instid0(VALU_DEP_1) | instskip(NEXT) | instid1(VALU_DEP_1)
	v_lshlrev_b64_e32 v[3:4], 3, v[3:4]
	v_add_co_u32 v3, s4, v20, v3
	s_wait_alu 0xf1ff
	s_delay_alu instid0(VALU_DEP_2)
	v_add_co_ci_u32_e64 v4, null, v21, v4, s4
	s_wait_dscnt 0x0
	global_store_b64 v[3:4], v[5:6], off
	s_branch .LBB84_6
.LBB84_29:
	s_mov_b32 s2, 0
.LBB84_30:
	s_delay_alu instid0(SALU_CYCLE_1)
	s_and_not1_b32 vcc_lo, exec_lo, s2
	s_cbranch_vccnz .LBB84_61
; %bb.31:
	v_mov_b32_e32 v1, 0
	s_mov_b32 s7, 0
	s_mov_b32 s6, s12
	global_load_u16 v2, v1, s[0:1] offset:62
	s_wait_loadcnt 0x0
	v_and_b32_e32 v4, 0xffff, v2
	s_delay_alu instid0(VALU_DEP_1) | instskip(SKIP_2) | instid1(VALU_DEP_1)
	v_mul_hi_u32 v3, ttmp9, v4
	v_mul_lo_u32 v2, ttmp9, v4
	s_wait_alu 0xfffe
	v_cmp_le_u64_e32 vcc_lo, s[6:7], v[2:3]
	s_cbranch_vccnz .LBB84_61
; %bb.32:
	s_add_nc_u64 s[0:1], s[0:1], 48
	v_and_b32_e32 v0, 0x3ff, v0
	s_load_b32 s1, s[0:1], 0x0
	s_lshl_b32 s18, 1, s14
	s_mov_b32 s20, s13
	s_wait_alu 0xfffe
	s_ashr_i32 s19, s18, 31
	s_cmp_lg_u32 s13, 0
	v_lshl_add_u32 v16, v0, 3, v15
	s_cselect_b32 s33, -1, 0
	s_wait_alu 0xfffe
	s_lshl_b64 s[26:27], s[18:19], 1
	v_cmp_eq_u32_e64 s0, 0, v0
	s_wait_alu 0xfffe
	s_lshl_b32 s2, s26, 3
	v_lshl_add_u32 v18, s18, 3, v16
	v_add3_u32 v17, v15, s2, -8
	s_mov_b32 s22, 0x652b82fe
	s_mov_b32 s24, 0xfefa39ef
	;; [unrolled: 1-line block ×3, first 2 shown]
	s_add_co_i32 s68, s14, 1
	s_mov_b32 s14, 0xfca7ab0c
	s_mov_b32 s28, 0x6a5dcb37
	;; [unrolled: 1-line block ×4, first 2 shown]
	s_wait_kmcnt 0x0
	v_mul_lo_u32 v19, s1, v4
	s_mov_b32 s36, 0x14761f6e
	s_mov_b32 s38, 0x1852b7b0
	;; [unrolled: 1-line block ×37, first 2 shown]
	s_branch .LBB84_34
.LBB84_33:                              ;   in Loop: Header=BB84_34 Depth=1
	v_add_co_u32 v2, vcc_lo, v2, v19
	s_wait_alu 0xfffd
	v_add_co_ci_u32_e64 v3, null, 0, v3, vcc_lo
	s_delay_alu instid0(VALU_DEP_1)
	v_cmp_le_u64_e32 vcc_lo, s[6:7], v[2:3]
	s_cbranch_vccnz .LBB84_61
.LBB84_34:                              ; =>This Loop Header: Depth=1
                                        ;     Child Loop BB84_37 Depth 2
                                        ;       Child Loop BB84_49 Depth 3
	s_and_not1_b32 vcc_lo, exec_lo, s33
	s_wait_alu 0xfffe
	s_cbranch_vccnz .LBB84_33
; %bb.35:                               ;   in Loop: Header=BB84_34 Depth=1
	v_add_co_u32 v4, vcc_lo, v2, v14
	s_wait_alu 0xfffd
	v_add_co_ci_u32_e64 v5, null, 0, v3, vcc_lo
	s_mov_b64 s[66:67], 0
	v_mad_co_u64_u32 v[6:7], null, v4, s20, 0
	v_cmp_gt_u64_e64 s1, s[6:7], v[4:5]
	v_cmp_le_u64_e64 s2, s[6:7], v[4:5]
	s_delay_alu instid0(VALU_DEP_3) | instskip(SKIP_1) | instid1(VALU_DEP_2)
	v_mad_co_u64_u32 v[7:8], null, v5, s20, v[7:8]
	v_dual_mov_b32 v8, s16 :: v_dual_mov_b32 v9, s17
	v_lshlrev_b64_e32 v[6:7], 3, v[6:7]
	s_delay_alu instid0(VALU_DEP_1) | instskip(SKIP_1) | instid1(VALU_DEP_2)
	v_add_co_u32 v20, vcc_lo, s10, v6
	s_wait_alu 0xfffd
	v_add_co_ci_u32_e64 v21, null, s11, v7, vcc_lo
	v_add_co_u32 v22, vcc_lo, s8, v6
	s_wait_alu 0xfffd
	v_add_co_ci_u32_e64 v23, null, s9, v7, vcc_lo
	s_branch .LBB84_37
.LBB84_36:                              ;   in Loop: Header=BB84_37 Depth=2
	s_wait_alu 0xfffe
	s_or_b32 exec_lo, exec_lo, s3
	ds_load_b64 v[8:9], v17
	s_add_nc_u64 s[66:67], s[66:67], s[26:27]
	s_wait_storecnt 0x0
	s_wait_loadcnt_dscnt 0x0
	s_wait_alu 0xfffe
	v_cmp_ge_u64_e64 s3, s[66:67], s[20:21]
	s_barrier_signal -1
	s_barrier_wait -1
	global_inv scope:SCOPE_SE
	s_and_b32 vcc_lo, exec_lo, s3
	s_wait_alu 0xfffe
	s_cbranch_vccnz .LBB84_33
.LBB84_37:                              ;   Parent Loop BB84_34 Depth=1
                                        ; =>  This Loop Header: Depth=2
                                        ;       Child Loop BB84_49 Depth 3
	s_wait_alu 0xfffe
	v_add_co_u32 v6, s3, s66, v0
	s_wait_alu 0xf1ff
	v_add_co_ci_u32_e64 v7, null, s67, 0, s3
	s_delay_alu instid0(VALU_DEP_2) | instskip(SKIP_1) | instid1(VALU_DEP_2)
	v_add_co_u32 v4, vcc_lo, v6, s18
	s_wait_alu 0xfffd
	v_add_co_ci_u32_e64 v5, null, s19, v7, vcc_lo
	s_and_saveexec_b32 s69, s1
	s_cbranch_execz .LBB84_46
; %bb.38:                               ;   in Loop: Header=BB84_37 Depth=2
	v_dual_mov_b32 v10, s16 :: v_dual_mov_b32 v11, s17
	s_mov_b32 s3, exec_lo
	v_cmpx_gt_u64_e64 s[20:21], v[6:7]
	s_cbranch_execz .LBB84_40
; %bb.39:                               ;   in Loop: Header=BB84_37 Depth=2
	v_lshlrev_b64_e32 v[10:11], 3, v[6:7]
	s_delay_alu instid0(VALU_DEP_1) | instskip(SKIP_1) | instid1(VALU_DEP_2)
	v_add_co_u32 v10, vcc_lo, v20, v10
	s_wait_alu 0xfffd
	v_add_co_ci_u32_e64 v11, null, v21, v11, vcc_lo
	global_load_b64 v[10:11], v[10:11], off
.LBB84_40:                              ;   in Loop: Header=BB84_37 Depth=2
	s_wait_alu 0xfffe
	s_or_b32 exec_lo, exec_lo, s3
	v_dual_mov_b32 v12, s16 :: v_dual_mov_b32 v13, s17
	s_mov_b32 s3, exec_lo
	s_wait_loadcnt 0x0
	ds_store_b64 v16, v[10:11]
	v_cmpx_gt_u64_e64 s[20:21], v[4:5]
	s_cbranch_execz .LBB84_42
; %bb.41:                               ;   in Loop: Header=BB84_37 Depth=2
	v_lshlrev_b64_e32 v[10:11], 3, v[4:5]
	s_delay_alu instid0(VALU_DEP_1) | instskip(SKIP_1) | instid1(VALU_DEP_2)
	v_add_co_u32 v10, vcc_lo, v20, v10
	s_wait_alu 0xfffd
	v_add_co_ci_u32_e64 v11, null, v21, v11, vcc_lo
	global_load_b64 v[12:13], v[10:11], off
.LBB84_42:                              ;   in Loop: Header=BB84_37 Depth=2
	s_wait_alu 0xfffe
	s_or_b32 exec_lo, exec_lo, s3
	s_wait_loadcnt 0x0
	ds_store_b64 v18, v[12:13]
	s_and_b32 exec_lo, exec_lo, s0
	s_cbranch_execz .LBB84_46
; %bb.43:                               ;   in Loop: Header=BB84_37 Depth=2
	ds_load_b64 v[10:11], v15
	v_max_num_f64_e32 v[12:13], v[8:9], v[8:9]
	v_cmp_u_f64_e64 s3, v[8:9], v[8:9]
	s_wait_dscnt 0x0
	v_max_num_f64_e32 v[24:25], v[10:11], v[10:11]
	v_cmp_u_f64_e32 vcc_lo, v[10:11], v[10:11]
	s_delay_alu instid0(VALU_DEP_2) | instskip(SKIP_2) | instid1(VALU_DEP_2)
	v_min_num_f64_e32 v[26:27], v[24:25], v[12:13]
	v_max_num_f64_e32 v[12:13], v[24:25], v[12:13]
	s_wait_alu 0xfffd
	v_dual_cndmask_b32 v24, v26, v10 :: v_dual_cndmask_b32 v25, v27, v11
	s_delay_alu instid0(VALU_DEP_2) | instskip(SKIP_1) | instid1(VALU_DEP_2)
	v_dual_cndmask_b32 v26, v13, v11 :: v_dual_cndmask_b32 v27, v12, v10
	s_wait_alu 0xf1ff
	v_cndmask_b32_e64 v12, v24, v8, s3
	s_delay_alu instid0(VALU_DEP_3) | instskip(NEXT) | instid1(VALU_DEP_3)
	v_cndmask_b32_e64 v13, v25, v9, s3
	v_cndmask_b32_e64 v9, v26, v9, s3
	;; [unrolled: 1-line block ×3, first 2 shown]
	s_delay_alu instid0(VALU_DEP_3) | instskip(NEXT) | instid1(VALU_DEP_2)
	v_cmp_class_f64_e64 s3, v[12:13], 0x1f8
	v_cmp_neq_f64_e32 vcc_lo, v[12:13], v[8:9]
	s_or_b32 s3, vcc_lo, s3
	s_wait_alu 0xfffe
	s_and_saveexec_b32 s70, s3
	s_cbranch_execz .LBB84_45
; %bb.44:                               ;   in Loop: Header=BB84_37 Depth=2
	v_add_f64_e64 v[10:11], v[12:13], -v[8:9]
	s_mov_b32 s63, s49
	s_mov_b32 s4, s24
	;; [unrolled: 1-line block ×3, first 2 shown]
	s_delay_alu instid0(VALU_DEP_1) | instskip(SKIP_2) | instid1(VALU_DEP_3)
	v_mul_f64_e32 v[12:13], s[22:23], v[10:11]
	v_cmp_nlt_f64_e32 vcc_lo, 0x40900000, v[10:11]
	v_cmp_ngt_f64_e64 s3, 0xc090cc00, v[10:11]
	v_rndne_f64_e32 v[12:13], v[12:13]
	s_delay_alu instid0(VALU_DEP_1) | instskip(SKIP_1) | instid1(VALU_DEP_2)
	v_fma_f64 v[24:25], v[12:13], s[24:25], v[10:11]
	v_cvt_i32_f64_e32 v28, v[12:13]
	v_fma_f64 v[24:25], v[12:13], s[12:13], v[24:25]
	s_delay_alu instid0(VALU_DEP_1) | instskip(NEXT) | instid1(VALU_DEP_1)
	v_fma_f64 v[26:27], v[24:25], s[28:29], s[14:15]
	v_fma_f64 v[26:27], v[24:25], v[26:27], s[30:31]
	s_delay_alu instid0(VALU_DEP_1) | instskip(NEXT) | instid1(VALU_DEP_1)
	v_fma_f64 v[26:27], v[24:25], v[26:27], s[34:35]
	v_fma_f64 v[26:27], v[24:25], v[26:27], s[36:37]
	s_delay_alu instid0(VALU_DEP_1) | instskip(NEXT) | instid1(VALU_DEP_1)
	v_fma_f64 v[26:27], v[24:25], v[26:27], s[38:39]
	v_fma_f64 v[26:27], v[24:25], v[26:27], s[40:41]
	s_delay_alu instid0(VALU_DEP_1) | instskip(NEXT) | instid1(VALU_DEP_1)
	v_fma_f64 v[26:27], v[24:25], v[26:27], s[42:43]
	v_fma_f64 v[26:27], v[24:25], v[26:27], s[44:45]
	s_delay_alu instid0(VALU_DEP_1) | instskip(NEXT) | instid1(VALU_DEP_1)
	v_fma_f64 v[26:27], v[24:25], v[26:27], s[46:47]
	v_fma_f64 v[26:27], v[24:25], v[26:27], 1.0
	s_delay_alu instid0(VALU_DEP_1) | instskip(NEXT) | instid1(VALU_DEP_1)
	v_fma_f64 v[12:13], v[24:25], v[26:27], 1.0
	v_ldexp_f64 v[12:13], v[12:13], v28
	s_wait_alu 0xfffd
	s_delay_alu instid0(VALU_DEP_1) | instskip(SKIP_2) | instid1(VALU_DEP_2)
	v_cndmask_b32_e32 v13, 0x7ff00000, v13, vcc_lo
	s_and_b32 vcc_lo, s3, vcc_lo
	s_wait_alu 0xfffe
	v_cndmask_b32_e32 v10, 0, v12, vcc_lo
	s_delay_alu instid0(VALU_DEP_2) | instskip(NEXT) | instid1(VALU_DEP_1)
	v_cndmask_b32_e64 v11, 0, v13, s3
	v_add_f64_e32 v[12:13], 1.0, v[10:11]
	v_cmp_neq_f64_e64 s3, 0x7ff00000, v[10:11]
	s_delay_alu instid0(VALU_DEP_2) | instskip(SKIP_2) | instid1(VALU_DEP_3)
	v_frexp_mant_f64_e32 v[24:25], v[12:13]
	v_frexp_exp_i32_f64_e32 v28, v[12:13]
	v_add_f64_e32 v[26:27], -1.0, v[12:13]
	v_cmp_gt_f64_e32 vcc_lo, s[48:49], v[24:25]
	s_delay_alu instid0(VALU_DEP_2) | instskip(SKIP_3) | instid1(VALU_DEP_3)
	v_add_f64_e64 v[24:25], v[26:27], -v[12:13]
	v_add_f64_e64 v[26:27], v[10:11], -v[26:27]
	s_wait_alu 0xfffd
	v_subrev_co_ci_u32_e64 v44, null, 0, v28, vcc_lo
	v_add_f64_e32 v[24:25], 1.0, v[24:25]
	v_cmp_nge_f64_e32 vcc_lo, -1.0, v[10:11]
	s_delay_alu instid0(VALU_DEP_3) | instskip(NEXT) | instid1(VALU_DEP_1)
	v_sub_nc_u32_e32 v30, 0, v44
	v_ldexp_f64 v[12:13], v[12:13], v30
	s_delay_alu instid0(VALU_DEP_4) | instskip(SKIP_1) | instid1(VALU_DEP_2)
	v_add_f64_e32 v[24:25], v[26:27], v[24:25]
	s_and_b32 vcc_lo, vcc_lo, s3
	v_add_f64_e32 v[28:29], 1.0, v[12:13]
	v_add_f64_e32 v[34:35], -1.0, v[12:13]
	s_delay_alu instid0(VALU_DEP_3) | instskip(NEXT) | instid1(VALU_DEP_3)
	v_ldexp_f64 v[24:25], v[24:25], v30
	v_add_f64_e32 v[26:27], -1.0, v[28:29]
	s_delay_alu instid0(VALU_DEP_3) | instskip(NEXT) | instid1(VALU_DEP_2)
	v_add_f64_e32 v[36:37], 1.0, v[34:35]
	v_add_f64_e64 v[26:27], v[12:13], -v[26:27]
	s_delay_alu instid0(VALU_DEP_2) | instskip(NEXT) | instid1(VALU_DEP_2)
	v_add_f64_e64 v[12:13], v[12:13], -v[36:37]
	v_add_f64_e32 v[26:27], v[24:25], v[26:27]
	s_delay_alu instid0(VALU_DEP_2) | instskip(NEXT) | instid1(VALU_DEP_2)
	v_add_f64_e32 v[12:13], v[24:25], v[12:13]
	v_add_f64_e32 v[30:31], v[28:29], v[26:27]
	s_delay_alu instid0(VALU_DEP_2) | instskip(NEXT) | instid1(VALU_DEP_2)
	v_add_f64_e32 v[36:37], v[34:35], v[12:13]
	v_rcp_f64_e32 v[32:33], v[30:31]
	v_add_f64_e64 v[28:29], v[30:31], -v[28:29]
	s_delay_alu instid0(VALU_DEP_2) | instskip(NEXT) | instid1(VALU_DEP_2)
	v_add_f64_e64 v[34:35], v[36:37], -v[34:35]
	v_add_f64_e64 v[26:27], v[26:27], -v[28:29]
	s_delay_alu instid0(TRANS32_DEP_1) | instskip(NEXT) | instid1(VALU_DEP_3)
	v_fma_f64 v[38:39], -v[30:31], v[32:33], 1.0
	v_add_f64_e64 v[12:13], v[12:13], -v[34:35]
	s_delay_alu instid0(VALU_DEP_2) | instskip(NEXT) | instid1(VALU_DEP_1)
	v_fma_f64 v[32:33], v[38:39], v[32:33], v[32:33]
	v_fma_f64 v[24:25], -v[30:31], v[32:33], 1.0
	s_delay_alu instid0(VALU_DEP_1) | instskip(NEXT) | instid1(VALU_DEP_1)
	v_fma_f64 v[24:25], v[24:25], v[32:33], v[32:33]
	v_mul_f64_e32 v[32:33], v[36:37], v[24:25]
	s_delay_alu instid0(VALU_DEP_1) | instskip(NEXT) | instid1(VALU_DEP_1)
	v_mul_f64_e32 v[38:39], v[30:31], v[32:33]
	v_fma_f64 v[28:29], v[32:33], v[30:31], -v[38:39]
	s_delay_alu instid0(VALU_DEP_1) | instskip(NEXT) | instid1(VALU_DEP_1)
	v_fma_f64 v[28:29], v[32:33], v[26:27], v[28:29]
	v_add_f64_e32 v[40:41], v[38:39], v[28:29]
	s_delay_alu instid0(VALU_DEP_1) | instskip(SKIP_1) | instid1(VALU_DEP_2)
	v_add_f64_e64 v[42:43], v[36:37], -v[40:41]
	v_add_f64_e64 v[34:35], v[40:41], -v[38:39]
	v_add_f64_e64 v[36:37], v[36:37], -v[42:43]
	s_delay_alu instid0(VALU_DEP_2) | instskip(NEXT) | instid1(VALU_DEP_2)
	v_add_f64_e64 v[28:29], v[34:35], -v[28:29]
	v_add_f64_e64 v[36:37], v[36:37], -v[40:41]
	s_delay_alu instid0(VALU_DEP_1) | instskip(NEXT) | instid1(VALU_DEP_1)
	v_add_f64_e32 v[12:13], v[12:13], v[36:37]
	v_add_f64_e32 v[12:13], v[28:29], v[12:13]
	s_delay_alu instid0(VALU_DEP_1) | instskip(NEXT) | instid1(VALU_DEP_1)
	v_add_f64_e32 v[28:29], v[42:43], v[12:13]
	v_mul_f64_e32 v[34:35], v[24:25], v[28:29]
	v_add_f64_e64 v[40:41], v[42:43], -v[28:29]
	s_delay_alu instid0(VALU_DEP_2) | instskip(NEXT) | instid1(VALU_DEP_2)
	v_mul_f64_e32 v[36:37], v[30:31], v[34:35]
	v_add_f64_e32 v[12:13], v[12:13], v[40:41]
	s_delay_alu instid0(VALU_DEP_2) | instskip(NEXT) | instid1(VALU_DEP_1)
	v_fma_f64 v[30:31], v[34:35], v[30:31], -v[36:37]
	v_fma_f64 v[26:27], v[34:35], v[26:27], v[30:31]
	s_delay_alu instid0(VALU_DEP_1) | instskip(NEXT) | instid1(VALU_DEP_1)
	v_add_f64_e32 v[30:31], v[36:37], v[26:27]
	v_add_f64_e64 v[38:39], v[28:29], -v[30:31]
	v_add_f64_e64 v[36:37], v[30:31], -v[36:37]
	s_delay_alu instid0(VALU_DEP_2) | instskip(NEXT) | instid1(VALU_DEP_2)
	v_add_f64_e64 v[28:29], v[28:29], -v[38:39]
	v_add_f64_e64 v[26:27], v[36:37], -v[26:27]
	s_delay_alu instid0(VALU_DEP_2) | instskip(NEXT) | instid1(VALU_DEP_1)
	v_add_f64_e64 v[28:29], v[28:29], -v[30:31]
	v_add_f64_e32 v[12:13], v[12:13], v[28:29]
	v_add_f64_e32 v[28:29], v[32:33], v[34:35]
	s_delay_alu instid0(VALU_DEP_2) | instskip(NEXT) | instid1(VALU_DEP_2)
	v_add_f64_e32 v[12:13], v[26:27], v[12:13]
	v_add_f64_e64 v[26:27], v[28:29], -v[32:33]
	s_delay_alu instid0(VALU_DEP_2) | instskip(NEXT) | instid1(VALU_DEP_2)
	v_add_f64_e32 v[12:13], v[38:39], v[12:13]
	v_add_f64_e64 v[26:27], v[34:35], -v[26:27]
	s_delay_alu instid0(VALU_DEP_2) | instskip(NEXT) | instid1(VALU_DEP_1)
	v_mul_f64_e32 v[12:13], v[24:25], v[12:13]
	v_add_f64_e32 v[12:13], v[26:27], v[12:13]
	s_delay_alu instid0(VALU_DEP_1) | instskip(NEXT) | instid1(VALU_DEP_1)
	v_add_f64_e32 v[24:25], v[28:29], v[12:13]
	v_mul_f64_e32 v[26:27], v[24:25], v[24:25]
	s_delay_alu instid0(VALU_DEP_1) | instskip(SKIP_1) | instid1(VALU_DEP_2)
	v_fma_f64 v[30:31], v[26:27], s[52:53], s[50:51]
	v_mul_f64_e32 v[32:33], v[24:25], v[26:27]
	v_fma_f64 v[30:31], v[26:27], v[30:31], s[54:55]
	s_delay_alu instid0(VALU_DEP_1) | instskip(NEXT) | instid1(VALU_DEP_1)
	v_fma_f64 v[30:31], v[26:27], v[30:31], s[56:57]
	v_fma_f64 v[30:31], v[26:27], v[30:31], s[58:59]
	s_delay_alu instid0(VALU_DEP_1) | instskip(NEXT) | instid1(VALU_DEP_1)
	v_fma_f64 v[30:31], v[26:27], v[30:31], s[60:61]
	v_fma_f64 v[26:27], v[26:27], v[30:31], s[62:63]
	v_ldexp_f64 v[30:31], v[24:25], 1
	v_add_f64_e64 v[24:25], v[24:25], -v[28:29]
	s_delay_alu instid0(VALU_DEP_3) | instskip(SKIP_1) | instid1(VALU_DEP_3)
	v_mul_f64_e32 v[26:27], v[32:33], v[26:27]
	v_cvt_f64_i32_e32 v[32:33], v44
	v_add_f64_e64 v[12:13], v[12:13], -v[24:25]
	s_delay_alu instid0(VALU_DEP_3) | instskip(NEXT) | instid1(VALU_DEP_3)
	v_add_f64_e32 v[28:29], v[30:31], v[26:27]
	v_mul_f64_e32 v[34:35], s[4:5], v[32:33]
	s_delay_alu instid0(VALU_DEP_3) | instskip(NEXT) | instid1(VALU_DEP_3)
	v_ldexp_f64 v[12:13], v[12:13], 1
	v_add_f64_e64 v[24:25], v[28:29], -v[30:31]
	s_delay_alu instid0(VALU_DEP_3) | instskip(SKIP_1) | instid1(VALU_DEP_3)
	v_fma_f64 v[30:31], v[32:33], s[4:5], -v[34:35]
	v_cmp_ngt_f64_e64 s4, -1.0, v[10:11]
	v_add_f64_e64 v[24:25], v[26:27], -v[24:25]
	s_delay_alu instid0(VALU_DEP_3) | instskip(NEXT) | instid1(VALU_DEP_2)
	v_fma_f64 v[26:27], v[32:33], s[64:65], v[30:31]
	v_add_f64_e32 v[12:13], v[12:13], v[24:25]
	s_delay_alu instid0(VALU_DEP_2) | instskip(NEXT) | instid1(VALU_DEP_2)
	v_add_f64_e32 v[24:25], v[34:35], v[26:27]
	v_add_f64_e32 v[30:31], v[28:29], v[12:13]
	s_delay_alu instid0(VALU_DEP_2) | instskip(NEXT) | instid1(VALU_DEP_2)
	v_add_f64_e64 v[34:35], v[24:25], -v[34:35]
	v_add_f64_e32 v[32:33], v[24:25], v[30:31]
	v_add_f64_e64 v[28:29], v[30:31], -v[28:29]
	s_delay_alu instid0(VALU_DEP_3) | instskip(NEXT) | instid1(VALU_DEP_3)
	v_add_f64_e64 v[26:27], v[26:27], -v[34:35]
	v_add_f64_e64 v[36:37], v[32:33], -v[24:25]
	s_delay_alu instid0(VALU_DEP_3) | instskip(NEXT) | instid1(VALU_DEP_2)
	v_add_f64_e64 v[12:13], v[12:13], -v[28:29]
	v_add_f64_e64 v[38:39], v[32:33], -v[36:37]
	;; [unrolled: 1-line block ×3, first 2 shown]
	s_delay_alu instid0(VALU_DEP_3) | instskip(NEXT) | instid1(VALU_DEP_3)
	v_add_f64_e32 v[30:31], v[26:27], v[12:13]
	v_add_f64_e64 v[24:25], v[24:25], -v[38:39]
	s_delay_alu instid0(VALU_DEP_1) | instskip(NEXT) | instid1(VALU_DEP_3)
	v_add_f64_e32 v[24:25], v[28:29], v[24:25]
	v_add_f64_e64 v[28:29], v[30:31], -v[26:27]
	s_delay_alu instid0(VALU_DEP_2) | instskip(NEXT) | instid1(VALU_DEP_2)
	v_add_f64_e32 v[24:25], v[30:31], v[24:25]
	v_add_f64_e64 v[30:31], v[30:31], -v[28:29]
	v_add_f64_e64 v[12:13], v[12:13], -v[28:29]
	s_delay_alu instid0(VALU_DEP_3) | instskip(NEXT) | instid1(VALU_DEP_3)
	v_add_f64_e32 v[34:35], v[32:33], v[24:25]
	v_add_f64_e64 v[26:27], v[26:27], -v[30:31]
	s_delay_alu instid0(VALU_DEP_2) | instskip(NEXT) | instid1(VALU_DEP_2)
	v_add_f64_e64 v[28:29], v[34:35], -v[32:33]
	v_add_f64_e32 v[12:13], v[12:13], v[26:27]
	s_delay_alu instid0(VALU_DEP_2) | instskip(NEXT) | instid1(VALU_DEP_1)
	v_add_f64_e64 v[24:25], v[24:25], -v[28:29]
	v_add_f64_e32 v[12:13], v[12:13], v[24:25]
	s_delay_alu instid0(VALU_DEP_1) | instskip(SKIP_1) | instid1(VALU_DEP_1)
	v_add_f64_e32 v[12:13], v[34:35], v[12:13]
	s_wait_alu 0xfffe
	v_cndmask_b32_e32 v12, 0, v12, vcc_lo
	v_cmp_neq_f64_e32 vcc_lo, -1.0, v[10:11]
	s_delay_alu instid0(VALU_DEP_3) | instskip(SKIP_1) | instid1(VALU_DEP_1)
	v_cndmask_b32_e64 v13, 0x7ff00000, v13, s3
	s_wait_alu 0xf1ff
	v_cndmask_b32_e64 v13, 0x7ff80000, v13, s4
	s_wait_alu 0xfffd
	s_delay_alu instid0(VALU_DEP_1) | instskip(NEXT) | instid1(VALU_DEP_1)
	v_cndmask_b32_e32 v13, 0xfff00000, v13, vcc_lo
	v_add_f64_e32 v[10:11], v[8:9], v[12:13]
.LBB84_45:                              ;   in Loop: Header=BB84_37 Depth=2
	s_or_b32 exec_lo, exec_lo, s70
	ds_store_b64 v15, v[10:11]
.LBB84_46:                              ;   in Loop: Header=BB84_37 Depth=2
	s_wait_alu 0xfffe
	s_or_b32 exec_lo, exec_lo, s69
	v_mov_b32_e32 v11, 0
	s_mov_b32 s69, 0
	s_wait_dscnt 0x0
	s_barrier_signal -1
	s_barrier_wait -1
	global_inv scope:SCOPE_SE
	s_branch .LBB84_49
.LBB84_47:                              ;   in Loop: Header=BB84_49 Depth=3
	s_or_b32 exec_lo, exec_lo, s71
	ds_store_b64 v25, v[10:11]
.LBB84_48:                              ;   in Loop: Header=BB84_49 Depth=3
	s_or_b32 exec_lo, exec_lo, s70
	v_cmp_eq_u32_e32 vcc_lo, s68, v24
	v_mov_b32_e32 v11, v24
	s_wait_loadcnt_dscnt 0x0
	s_barrier_signal -1
	s_barrier_wait -1
	s_or_b32 s69, vcc_lo, s69
	global_inv scope:SCOPE_SE
	s_wait_alu 0xfffe
	s_and_not1_b32 exec_lo, exec_lo, s69
	s_cbranch_execz .LBB84_56
.LBB84_49:                              ;   Parent Loop BB84_34 Depth=1
                                        ;     Parent Loop BB84_37 Depth=2
                                        ; =>    This Inner Loop Header: Depth=3
	v_add_nc_u32_e32 v24, 1, v11
	s_and_saveexec_b32 s3, s2
	s_wait_alu 0xfffe
	s_xor_b32 s3, exec_lo, s3
; %bb.50:                               ;   in Loop: Header=BB84_49 Depth=3
	v_add_nc_u32_e32 v24, 1, v11
                                        ; implicit-def: $vgpr11
; %bb.51:                               ;   in Loop: Header=BB84_49 Depth=3
	s_wait_alu 0xfffe
	s_and_not1_saveexec_b32 s70, s3
	s_cbranch_execz .LBB84_48
; %bb.52:                               ;   in Loop: Header=BB84_49 Depth=3
	v_lshlrev_b32_e64 v8, v11, 1
	s_delay_alu instid0(VALU_DEP_1) | instskip(NEXT) | instid1(VALU_DEP_1)
	v_ashrrev_i32_e32 v9, 31, v8
	v_cmp_ge_u64_e32 vcc_lo, v[0:1], v[8:9]
	v_dual_mov_b32 v10, v1 :: v_dual_mov_b32 v9, v0
	s_and_saveexec_b32 s3, vcc_lo
	s_cbranch_execz .LBB84_54
; %bb.53:                               ;   in Loop: Header=BB84_49 Depth=3
	v_cvt_f32_u32_e32 v9, v8
	v_sub_nc_u32_e32 v10, 0, v8
	s_delay_alu instid0(VALU_DEP_2) | instskip(NEXT) | instid1(TRANS32_DEP_1)
	v_rcp_iflag_f32_e32 v9, v9
	v_mul_f32_e32 v9, 0x4f7ffffe, v9
	s_delay_alu instid0(VALU_DEP_1) | instskip(NEXT) | instid1(VALU_DEP_1)
	v_cvt_u32_f32_e32 v9, v9
	v_mul_lo_u32 v10, v10, v9
	s_delay_alu instid0(VALU_DEP_1) | instskip(NEXT) | instid1(VALU_DEP_1)
	v_mul_hi_u32 v10, v9, v10
	v_add_nc_u32_e32 v9, v9, v10
	s_delay_alu instid0(VALU_DEP_1) | instskip(NEXT) | instid1(VALU_DEP_1)
	v_mul_hi_u32 v9, v0, v9
	v_mul_lo_u32 v9, v9, v8
	s_delay_alu instid0(VALU_DEP_1) | instskip(NEXT) | instid1(VALU_DEP_1)
	v_sub_nc_u32_e32 v9, v0, v9
	v_sub_nc_u32_e32 v10, v9, v8
	v_cmp_ge_u32_e32 vcc_lo, v9, v8
	s_wait_alu 0xfffd
	s_delay_alu instid0(VALU_DEP_2) | instskip(NEXT) | instid1(VALU_DEP_1)
	v_cndmask_b32_e32 v9, v9, v10, vcc_lo
	v_sub_nc_u32_e32 v10, v9, v8
	v_cmp_ge_u32_e32 vcc_lo, v9, v8
	s_wait_alu 0xfffd
	s_delay_alu instid0(VALU_DEP_2)
	v_cndmask_b32_e32 v9, v9, v10, vcc_lo
.LBB84_54:                              ;   in Loop: Header=BB84_49 Depth=3
	s_wait_alu 0xfffe
	s_or_b32 exec_lo, exec_lo, s3
	v_lshrrev_b32_e32 v10, v11, v0
	s_delay_alu instid0(VALU_DEP_1) | instskip(NEXT) | instid1(VALU_DEP_1)
	v_lshl_or_b32 v8, v10, v24, v8
	v_lshl_add_u32 v8, v8, 3, v15
	s_delay_alu instid0(VALU_DEP_1)
	v_add_nc_u32_e32 v10, -8, v8
	v_lshl_add_u32 v25, v9, 3, v8
	ds_load_b64 v[8:9], v10
	ds_load_b64 v[10:11], v25
	s_wait_dscnt 0x1
	v_max_num_f64_e32 v[12:13], v[8:9], v[8:9]
	s_wait_dscnt 0x0
	v_max_num_f64_e32 v[26:27], v[10:11], v[10:11]
	v_cmp_u_f64_e32 vcc_lo, v[10:11], v[10:11]
	v_cmp_u_f64_e64 s3, v[8:9], v[8:9]
	s_delay_alu instid0(VALU_DEP_3) | instskip(SKIP_2) | instid1(VALU_DEP_2)
	v_min_num_f64_e32 v[28:29], v[26:27], v[12:13]
	v_max_num_f64_e32 v[12:13], v[26:27], v[12:13]
	s_wait_alu 0xfffd
	v_dual_cndmask_b32 v26, v28, v10 :: v_dual_cndmask_b32 v27, v29, v11
	s_delay_alu instid0(VALU_DEP_2) | instskip(SKIP_1) | instid1(VALU_DEP_2)
	v_dual_cndmask_b32 v28, v13, v11 :: v_dual_cndmask_b32 v29, v12, v10
	s_wait_alu 0xf1ff
	v_cndmask_b32_e64 v12, v26, v8, s3
	s_delay_alu instid0(VALU_DEP_3) | instskip(NEXT) | instid1(VALU_DEP_3)
	v_cndmask_b32_e64 v13, v27, v9, s3
	v_cndmask_b32_e64 v9, v28, v9, s3
	v_cndmask_b32_e64 v8, v29, v8, s3
	s_delay_alu instid0(VALU_DEP_3) | instskip(NEXT) | instid1(VALU_DEP_2)
	v_cmp_class_f64_e64 s3, v[12:13], 0x1f8
	v_cmp_neq_f64_e32 vcc_lo, v[12:13], v[8:9]
	s_or_b32 s3, vcc_lo, s3
	s_wait_alu 0xfffe
	s_and_saveexec_b32 s71, s3
	s_cbranch_execz .LBB84_47
; %bb.55:                               ;   in Loop: Header=BB84_49 Depth=3
	v_add_f64_e64 v[10:11], v[12:13], -v[8:9]
	s_mov_b32 s63, s49
	s_mov_b32 s4, s24
	;; [unrolled: 1-line block ×3, first 2 shown]
	s_delay_alu instid0(VALU_DEP_1) | instskip(SKIP_2) | instid1(VALU_DEP_3)
	v_mul_f64_e32 v[12:13], s[22:23], v[10:11]
	v_cmp_nlt_f64_e32 vcc_lo, 0x40900000, v[10:11]
	v_cmp_ngt_f64_e64 s3, 0xc090cc00, v[10:11]
	v_rndne_f64_e32 v[12:13], v[12:13]
	s_delay_alu instid0(VALU_DEP_1) | instskip(SKIP_1) | instid1(VALU_DEP_2)
	v_fma_f64 v[26:27], v[12:13], s[24:25], v[10:11]
	v_cvt_i32_f64_e32 v30, v[12:13]
	v_fma_f64 v[26:27], v[12:13], s[12:13], v[26:27]
	s_delay_alu instid0(VALU_DEP_1) | instskip(NEXT) | instid1(VALU_DEP_1)
	v_fma_f64 v[28:29], v[26:27], s[28:29], s[14:15]
	v_fma_f64 v[28:29], v[26:27], v[28:29], s[30:31]
	s_delay_alu instid0(VALU_DEP_1) | instskip(NEXT) | instid1(VALU_DEP_1)
	v_fma_f64 v[28:29], v[26:27], v[28:29], s[34:35]
	;; [unrolled: 3-line block ×5, first 2 shown]
	v_fma_f64 v[28:29], v[26:27], v[28:29], 1.0
	s_delay_alu instid0(VALU_DEP_1) | instskip(NEXT) | instid1(VALU_DEP_1)
	v_fma_f64 v[12:13], v[26:27], v[28:29], 1.0
	v_ldexp_f64 v[12:13], v[12:13], v30
	s_wait_alu 0xfffd
	s_delay_alu instid0(VALU_DEP_1) | instskip(SKIP_2) | instid1(VALU_DEP_2)
	v_cndmask_b32_e32 v13, 0x7ff00000, v13, vcc_lo
	s_and_b32 vcc_lo, s3, vcc_lo
	s_wait_alu 0xfffe
	v_cndmask_b32_e32 v10, 0, v12, vcc_lo
	s_delay_alu instid0(VALU_DEP_2) | instskip(NEXT) | instid1(VALU_DEP_1)
	v_cndmask_b32_e64 v11, 0, v13, s3
	v_add_f64_e32 v[12:13], 1.0, v[10:11]
	v_cmp_neq_f64_e64 s3, 0x7ff00000, v[10:11]
	s_delay_alu instid0(VALU_DEP_2) | instskip(SKIP_2) | instid1(VALU_DEP_3)
	v_frexp_mant_f64_e32 v[26:27], v[12:13]
	v_frexp_exp_i32_f64_e32 v30, v[12:13]
	v_add_f64_e32 v[28:29], -1.0, v[12:13]
	v_cmp_gt_f64_e32 vcc_lo, s[48:49], v[26:27]
	s_delay_alu instid0(VALU_DEP_2) | instskip(SKIP_3) | instid1(VALU_DEP_3)
	v_add_f64_e64 v[26:27], v[28:29], -v[12:13]
	v_add_f64_e64 v[28:29], v[10:11], -v[28:29]
	s_wait_alu 0xfffd
	v_subrev_co_ci_u32_e64 v46, null, 0, v30, vcc_lo
	v_add_f64_e32 v[26:27], 1.0, v[26:27]
	v_cmp_nge_f64_e32 vcc_lo, -1.0, v[10:11]
	s_delay_alu instid0(VALU_DEP_3) | instskip(NEXT) | instid1(VALU_DEP_1)
	v_sub_nc_u32_e32 v32, 0, v46
	v_ldexp_f64 v[12:13], v[12:13], v32
	s_delay_alu instid0(VALU_DEP_4) | instskip(SKIP_1) | instid1(VALU_DEP_2)
	v_add_f64_e32 v[26:27], v[28:29], v[26:27]
	s_and_b32 vcc_lo, vcc_lo, s3
	v_add_f64_e32 v[30:31], 1.0, v[12:13]
	v_add_f64_e32 v[36:37], -1.0, v[12:13]
	s_delay_alu instid0(VALU_DEP_3) | instskip(NEXT) | instid1(VALU_DEP_3)
	v_ldexp_f64 v[26:27], v[26:27], v32
	v_add_f64_e32 v[28:29], -1.0, v[30:31]
	s_delay_alu instid0(VALU_DEP_3) | instskip(NEXT) | instid1(VALU_DEP_2)
	v_add_f64_e32 v[38:39], 1.0, v[36:37]
	v_add_f64_e64 v[28:29], v[12:13], -v[28:29]
	s_delay_alu instid0(VALU_DEP_2) | instskip(NEXT) | instid1(VALU_DEP_2)
	v_add_f64_e64 v[12:13], v[12:13], -v[38:39]
	v_add_f64_e32 v[28:29], v[26:27], v[28:29]
	s_delay_alu instid0(VALU_DEP_2) | instskip(NEXT) | instid1(VALU_DEP_2)
	v_add_f64_e32 v[12:13], v[26:27], v[12:13]
	v_add_f64_e32 v[32:33], v[30:31], v[28:29]
	s_delay_alu instid0(VALU_DEP_2) | instskip(NEXT) | instid1(VALU_DEP_2)
	v_add_f64_e32 v[38:39], v[36:37], v[12:13]
	v_rcp_f64_e32 v[34:35], v[32:33]
	v_add_f64_e64 v[30:31], v[32:33], -v[30:31]
	s_delay_alu instid0(VALU_DEP_2) | instskip(NEXT) | instid1(VALU_DEP_2)
	v_add_f64_e64 v[36:37], v[38:39], -v[36:37]
	v_add_f64_e64 v[28:29], v[28:29], -v[30:31]
	s_delay_alu instid0(TRANS32_DEP_1) | instskip(NEXT) | instid1(VALU_DEP_3)
	v_fma_f64 v[40:41], -v[32:33], v[34:35], 1.0
	v_add_f64_e64 v[12:13], v[12:13], -v[36:37]
	s_delay_alu instid0(VALU_DEP_2) | instskip(NEXT) | instid1(VALU_DEP_1)
	v_fma_f64 v[34:35], v[40:41], v[34:35], v[34:35]
	v_fma_f64 v[26:27], -v[32:33], v[34:35], 1.0
	s_delay_alu instid0(VALU_DEP_1) | instskip(NEXT) | instid1(VALU_DEP_1)
	v_fma_f64 v[26:27], v[26:27], v[34:35], v[34:35]
	v_mul_f64_e32 v[34:35], v[38:39], v[26:27]
	s_delay_alu instid0(VALU_DEP_1) | instskip(NEXT) | instid1(VALU_DEP_1)
	v_mul_f64_e32 v[40:41], v[32:33], v[34:35]
	v_fma_f64 v[30:31], v[34:35], v[32:33], -v[40:41]
	s_delay_alu instid0(VALU_DEP_1) | instskip(NEXT) | instid1(VALU_DEP_1)
	v_fma_f64 v[30:31], v[34:35], v[28:29], v[30:31]
	v_add_f64_e32 v[42:43], v[40:41], v[30:31]
	s_delay_alu instid0(VALU_DEP_1) | instskip(SKIP_1) | instid1(VALU_DEP_2)
	v_add_f64_e64 v[44:45], v[38:39], -v[42:43]
	v_add_f64_e64 v[36:37], v[42:43], -v[40:41]
	;; [unrolled: 1-line block ×3, first 2 shown]
	s_delay_alu instid0(VALU_DEP_2) | instskip(NEXT) | instid1(VALU_DEP_2)
	v_add_f64_e64 v[30:31], v[36:37], -v[30:31]
	v_add_f64_e64 v[38:39], v[38:39], -v[42:43]
	s_delay_alu instid0(VALU_DEP_1) | instskip(NEXT) | instid1(VALU_DEP_1)
	v_add_f64_e32 v[12:13], v[12:13], v[38:39]
	v_add_f64_e32 v[12:13], v[30:31], v[12:13]
	s_delay_alu instid0(VALU_DEP_1) | instskip(NEXT) | instid1(VALU_DEP_1)
	v_add_f64_e32 v[30:31], v[44:45], v[12:13]
	v_mul_f64_e32 v[36:37], v[26:27], v[30:31]
	v_add_f64_e64 v[42:43], v[44:45], -v[30:31]
	s_delay_alu instid0(VALU_DEP_2) | instskip(NEXT) | instid1(VALU_DEP_2)
	v_mul_f64_e32 v[38:39], v[32:33], v[36:37]
	v_add_f64_e32 v[12:13], v[12:13], v[42:43]
	s_delay_alu instid0(VALU_DEP_2) | instskip(NEXT) | instid1(VALU_DEP_1)
	v_fma_f64 v[32:33], v[36:37], v[32:33], -v[38:39]
	v_fma_f64 v[28:29], v[36:37], v[28:29], v[32:33]
	s_delay_alu instid0(VALU_DEP_1) | instskip(NEXT) | instid1(VALU_DEP_1)
	v_add_f64_e32 v[32:33], v[38:39], v[28:29]
	v_add_f64_e64 v[40:41], v[30:31], -v[32:33]
	v_add_f64_e64 v[38:39], v[32:33], -v[38:39]
	s_delay_alu instid0(VALU_DEP_2) | instskip(NEXT) | instid1(VALU_DEP_2)
	v_add_f64_e64 v[30:31], v[30:31], -v[40:41]
	v_add_f64_e64 v[28:29], v[38:39], -v[28:29]
	s_delay_alu instid0(VALU_DEP_2) | instskip(NEXT) | instid1(VALU_DEP_1)
	v_add_f64_e64 v[30:31], v[30:31], -v[32:33]
	v_add_f64_e32 v[12:13], v[12:13], v[30:31]
	v_add_f64_e32 v[30:31], v[34:35], v[36:37]
	s_delay_alu instid0(VALU_DEP_2) | instskip(NEXT) | instid1(VALU_DEP_2)
	v_add_f64_e32 v[12:13], v[28:29], v[12:13]
	v_add_f64_e64 v[28:29], v[30:31], -v[34:35]
	s_delay_alu instid0(VALU_DEP_2) | instskip(NEXT) | instid1(VALU_DEP_2)
	v_add_f64_e32 v[12:13], v[40:41], v[12:13]
	v_add_f64_e64 v[28:29], v[36:37], -v[28:29]
	s_delay_alu instid0(VALU_DEP_2) | instskip(NEXT) | instid1(VALU_DEP_1)
	v_mul_f64_e32 v[12:13], v[26:27], v[12:13]
	v_add_f64_e32 v[12:13], v[28:29], v[12:13]
	s_delay_alu instid0(VALU_DEP_1) | instskip(NEXT) | instid1(VALU_DEP_1)
	v_add_f64_e32 v[26:27], v[30:31], v[12:13]
	v_mul_f64_e32 v[28:29], v[26:27], v[26:27]
	s_delay_alu instid0(VALU_DEP_1) | instskip(SKIP_1) | instid1(VALU_DEP_2)
	v_fma_f64 v[32:33], v[28:29], s[52:53], s[50:51]
	v_mul_f64_e32 v[34:35], v[26:27], v[28:29]
	v_fma_f64 v[32:33], v[28:29], v[32:33], s[54:55]
	s_delay_alu instid0(VALU_DEP_1) | instskip(NEXT) | instid1(VALU_DEP_1)
	v_fma_f64 v[32:33], v[28:29], v[32:33], s[56:57]
	v_fma_f64 v[32:33], v[28:29], v[32:33], s[58:59]
	s_delay_alu instid0(VALU_DEP_1) | instskip(NEXT) | instid1(VALU_DEP_1)
	v_fma_f64 v[32:33], v[28:29], v[32:33], s[60:61]
	v_fma_f64 v[28:29], v[28:29], v[32:33], s[62:63]
	v_ldexp_f64 v[32:33], v[26:27], 1
	v_add_f64_e64 v[26:27], v[26:27], -v[30:31]
	s_delay_alu instid0(VALU_DEP_3) | instskip(SKIP_1) | instid1(VALU_DEP_3)
	v_mul_f64_e32 v[28:29], v[34:35], v[28:29]
	v_cvt_f64_i32_e32 v[34:35], v46
	v_add_f64_e64 v[12:13], v[12:13], -v[26:27]
	s_delay_alu instid0(VALU_DEP_3) | instskip(NEXT) | instid1(VALU_DEP_3)
	v_add_f64_e32 v[30:31], v[32:33], v[28:29]
	v_mul_f64_e32 v[36:37], s[4:5], v[34:35]
	s_delay_alu instid0(VALU_DEP_3) | instskip(NEXT) | instid1(VALU_DEP_3)
	v_ldexp_f64 v[12:13], v[12:13], 1
	v_add_f64_e64 v[26:27], v[30:31], -v[32:33]
	s_delay_alu instid0(VALU_DEP_3) | instskip(SKIP_1) | instid1(VALU_DEP_3)
	v_fma_f64 v[32:33], v[34:35], s[4:5], -v[36:37]
	v_cmp_ngt_f64_e64 s4, -1.0, v[10:11]
	v_add_f64_e64 v[26:27], v[28:29], -v[26:27]
	s_delay_alu instid0(VALU_DEP_3) | instskip(NEXT) | instid1(VALU_DEP_2)
	v_fma_f64 v[28:29], v[34:35], s[64:65], v[32:33]
	v_add_f64_e32 v[12:13], v[12:13], v[26:27]
	s_delay_alu instid0(VALU_DEP_2) | instskip(NEXT) | instid1(VALU_DEP_2)
	v_add_f64_e32 v[26:27], v[36:37], v[28:29]
	v_add_f64_e32 v[32:33], v[30:31], v[12:13]
	s_delay_alu instid0(VALU_DEP_2) | instskip(NEXT) | instid1(VALU_DEP_2)
	v_add_f64_e64 v[36:37], v[26:27], -v[36:37]
	v_add_f64_e32 v[34:35], v[26:27], v[32:33]
	v_add_f64_e64 v[30:31], v[32:33], -v[30:31]
	s_delay_alu instid0(VALU_DEP_3) | instskip(NEXT) | instid1(VALU_DEP_3)
	v_add_f64_e64 v[28:29], v[28:29], -v[36:37]
	v_add_f64_e64 v[38:39], v[34:35], -v[26:27]
	s_delay_alu instid0(VALU_DEP_3) | instskip(NEXT) | instid1(VALU_DEP_2)
	v_add_f64_e64 v[12:13], v[12:13], -v[30:31]
	v_add_f64_e64 v[40:41], v[34:35], -v[38:39]
	;; [unrolled: 1-line block ×3, first 2 shown]
	s_delay_alu instid0(VALU_DEP_3) | instskip(NEXT) | instid1(VALU_DEP_3)
	v_add_f64_e32 v[32:33], v[28:29], v[12:13]
	v_add_f64_e64 v[26:27], v[26:27], -v[40:41]
	s_delay_alu instid0(VALU_DEP_1) | instskip(NEXT) | instid1(VALU_DEP_3)
	v_add_f64_e32 v[26:27], v[30:31], v[26:27]
	v_add_f64_e64 v[30:31], v[32:33], -v[28:29]
	s_delay_alu instid0(VALU_DEP_2) | instskip(NEXT) | instid1(VALU_DEP_2)
	v_add_f64_e32 v[26:27], v[32:33], v[26:27]
	v_add_f64_e64 v[32:33], v[32:33], -v[30:31]
	v_add_f64_e64 v[12:13], v[12:13], -v[30:31]
	s_delay_alu instid0(VALU_DEP_3) | instskip(NEXT) | instid1(VALU_DEP_3)
	v_add_f64_e32 v[36:37], v[34:35], v[26:27]
	v_add_f64_e64 v[28:29], v[28:29], -v[32:33]
	s_delay_alu instid0(VALU_DEP_2) | instskip(NEXT) | instid1(VALU_DEP_2)
	v_add_f64_e64 v[30:31], v[36:37], -v[34:35]
	v_add_f64_e32 v[12:13], v[12:13], v[28:29]
	s_delay_alu instid0(VALU_DEP_2) | instskip(NEXT) | instid1(VALU_DEP_1)
	v_add_f64_e64 v[26:27], v[26:27], -v[30:31]
	v_add_f64_e32 v[12:13], v[12:13], v[26:27]
	s_delay_alu instid0(VALU_DEP_1) | instskip(SKIP_1) | instid1(VALU_DEP_1)
	v_add_f64_e32 v[12:13], v[36:37], v[12:13]
	s_wait_alu 0xfffe
	v_cndmask_b32_e32 v12, 0, v12, vcc_lo
	v_cmp_neq_f64_e32 vcc_lo, -1.0, v[10:11]
	s_delay_alu instid0(VALU_DEP_3) | instskip(SKIP_1) | instid1(VALU_DEP_1)
	v_cndmask_b32_e64 v13, 0x7ff00000, v13, s3
	s_wait_alu 0xf1ff
	v_cndmask_b32_e64 v13, 0x7ff80000, v13, s4
	s_wait_alu 0xfffd
	s_delay_alu instid0(VALU_DEP_1) | instskip(NEXT) | instid1(VALU_DEP_1)
	v_cndmask_b32_e32 v13, 0xfff00000, v13, vcc_lo
	v_add_f64_e32 v[10:11], v[8:9], v[12:13]
	s_branch .LBB84_47
.LBB84_56:                              ;   in Loop: Header=BB84_37 Depth=2
	s_or_b32 exec_lo, exec_lo, s69
	s_and_saveexec_b32 s3, s1
	s_cbranch_execz .LBB84_36
; %bb.57:                               ;   in Loop: Header=BB84_37 Depth=2
	s_mov_b32 s4, exec_lo
	v_cmpx_gt_u64_e64 s[20:21], v[6:7]
	s_cbranch_execz .LBB84_59
; %bb.58:                               ;   in Loop: Header=BB84_37 Depth=2
	ds_load_b64 v[8:9], v16
	v_lshlrev_b64_e32 v[6:7], 3, v[6:7]
	s_delay_alu instid0(VALU_DEP_1) | instskip(SKIP_1) | instid1(VALU_DEP_2)
	v_add_co_u32 v6, vcc_lo, v22, v6
	s_wait_alu 0xfffd
	v_add_co_ci_u32_e64 v7, null, v23, v7, vcc_lo
	s_wait_dscnt 0x0
	global_store_b64 v[6:7], v[8:9], off
.LBB84_59:                              ;   in Loop: Header=BB84_37 Depth=2
	s_wait_alu 0xfffe
	s_or_b32 exec_lo, exec_lo, s4
	v_cmp_gt_u64_e32 vcc_lo, s[20:21], v[4:5]
	s_and_b32 exec_lo, exec_lo, vcc_lo
	s_cbranch_execz .LBB84_36
; %bb.60:                               ;   in Loop: Header=BB84_37 Depth=2
	ds_load_b64 v[6:7], v18
	v_lshlrev_b64_e32 v[4:5], 3, v[4:5]
	s_delay_alu instid0(VALU_DEP_1) | instskip(SKIP_1) | instid1(VALU_DEP_2)
	v_add_co_u32 v4, vcc_lo, v22, v4
	s_wait_alu 0xfffd
	v_add_co_ci_u32_e64 v5, null, v23, v5, vcc_lo
	s_wait_dscnt 0x0
	global_store_b64 v[4:5], v[6:7], off
	s_branch .LBB84_36
.LBB84_61:
	s_endpgm
	.section	.rodata,"a",@progbits
	.p2align	6, 0x0
	.amdhsa_kernel _ZN2at6native32tensor_kernel_scan_innermost_dimIdZZZNS0_31launch_logcumsumexp_cuda_kernelERKNS_10TensorBaseES4_lENKUlvE_clEvENKUlvE_clEvEUlddE_EEvPT_PKS8_jjjS8_T0_
		.amdhsa_group_segment_fixed_size 0
		.amdhsa_private_segment_fixed_size 0
		.amdhsa_kernarg_size 304
		.amdhsa_user_sgpr_count 2
		.amdhsa_user_sgpr_dispatch_ptr 0
		.amdhsa_user_sgpr_queue_ptr 0
		.amdhsa_user_sgpr_kernarg_segment_ptr 1
		.amdhsa_user_sgpr_dispatch_id 0
		.amdhsa_user_sgpr_private_segment_size 0
		.amdhsa_wavefront_size32 1
		.amdhsa_uses_dynamic_stack 0
		.amdhsa_enable_private_segment 0
		.amdhsa_system_sgpr_workgroup_id_x 1
		.amdhsa_system_sgpr_workgroup_id_y 0
		.amdhsa_system_sgpr_workgroup_id_z 0
		.amdhsa_system_sgpr_workgroup_info 0
		.amdhsa_system_vgpr_workitem_id 1
		.amdhsa_next_free_vgpr 47
		.amdhsa_next_free_sgpr 72
		.amdhsa_reserve_vcc 1
		.amdhsa_float_round_mode_32 0
		.amdhsa_float_round_mode_16_64 0
		.amdhsa_float_denorm_mode_32 3
		.amdhsa_float_denorm_mode_16_64 3
		.amdhsa_fp16_overflow 0
		.amdhsa_workgroup_processor_mode 1
		.amdhsa_memory_ordered 1
		.amdhsa_forward_progress 1
		.amdhsa_inst_pref_size 66
		.amdhsa_round_robin_scheduling 0
		.amdhsa_exception_fp_ieee_invalid_op 0
		.amdhsa_exception_fp_denorm_src 0
		.amdhsa_exception_fp_ieee_div_zero 0
		.amdhsa_exception_fp_ieee_overflow 0
		.amdhsa_exception_fp_ieee_underflow 0
		.amdhsa_exception_fp_ieee_inexact 0
		.amdhsa_exception_int_div_zero 0
	.end_amdhsa_kernel
	.section	.text._ZN2at6native32tensor_kernel_scan_innermost_dimIdZZZNS0_31launch_logcumsumexp_cuda_kernelERKNS_10TensorBaseES4_lENKUlvE_clEvENKUlvE_clEvEUlddE_EEvPT_PKS8_jjjS8_T0_,"axG",@progbits,_ZN2at6native32tensor_kernel_scan_innermost_dimIdZZZNS0_31launch_logcumsumexp_cuda_kernelERKNS_10TensorBaseES4_lENKUlvE_clEvENKUlvE_clEvEUlddE_EEvPT_PKS8_jjjS8_T0_,comdat
.Lfunc_end84:
	.size	_ZN2at6native32tensor_kernel_scan_innermost_dimIdZZZNS0_31launch_logcumsumexp_cuda_kernelERKNS_10TensorBaseES4_lENKUlvE_clEvENKUlvE_clEvEUlddE_EEvPT_PKS8_jjjS8_T0_, .Lfunc_end84-_ZN2at6native32tensor_kernel_scan_innermost_dimIdZZZNS0_31launch_logcumsumexp_cuda_kernelERKNS_10TensorBaseES4_lENKUlvE_clEvENKUlvE_clEvEUlddE_EEvPT_PKS8_jjjS8_T0_
                                        ; -- End function
	.set _ZN2at6native32tensor_kernel_scan_innermost_dimIdZZZNS0_31launch_logcumsumexp_cuda_kernelERKNS_10TensorBaseES4_lENKUlvE_clEvENKUlvE_clEvEUlddE_EEvPT_PKS8_jjjS8_T0_.num_vgpr, 47
	.set _ZN2at6native32tensor_kernel_scan_innermost_dimIdZZZNS0_31launch_logcumsumexp_cuda_kernelERKNS_10TensorBaseES4_lENKUlvE_clEvENKUlvE_clEvEUlddE_EEvPT_PKS8_jjjS8_T0_.num_agpr, 0
	.set _ZN2at6native32tensor_kernel_scan_innermost_dimIdZZZNS0_31launch_logcumsumexp_cuda_kernelERKNS_10TensorBaseES4_lENKUlvE_clEvENKUlvE_clEvEUlddE_EEvPT_PKS8_jjjS8_T0_.numbered_sgpr, 72
	.set _ZN2at6native32tensor_kernel_scan_innermost_dimIdZZZNS0_31launch_logcumsumexp_cuda_kernelERKNS_10TensorBaseES4_lENKUlvE_clEvENKUlvE_clEvEUlddE_EEvPT_PKS8_jjjS8_T0_.num_named_barrier, 0
	.set _ZN2at6native32tensor_kernel_scan_innermost_dimIdZZZNS0_31launch_logcumsumexp_cuda_kernelERKNS_10TensorBaseES4_lENKUlvE_clEvENKUlvE_clEvEUlddE_EEvPT_PKS8_jjjS8_T0_.private_seg_size, 0
	.set _ZN2at6native32tensor_kernel_scan_innermost_dimIdZZZNS0_31launch_logcumsumexp_cuda_kernelERKNS_10TensorBaseES4_lENKUlvE_clEvENKUlvE_clEvEUlddE_EEvPT_PKS8_jjjS8_T0_.uses_vcc, 1
	.set _ZN2at6native32tensor_kernel_scan_innermost_dimIdZZZNS0_31launch_logcumsumexp_cuda_kernelERKNS_10TensorBaseES4_lENKUlvE_clEvENKUlvE_clEvEUlddE_EEvPT_PKS8_jjjS8_T0_.uses_flat_scratch, 0
	.set _ZN2at6native32tensor_kernel_scan_innermost_dimIdZZZNS0_31launch_logcumsumexp_cuda_kernelERKNS_10TensorBaseES4_lENKUlvE_clEvENKUlvE_clEvEUlddE_EEvPT_PKS8_jjjS8_T0_.has_dyn_sized_stack, 0
	.set _ZN2at6native32tensor_kernel_scan_innermost_dimIdZZZNS0_31launch_logcumsumexp_cuda_kernelERKNS_10TensorBaseES4_lENKUlvE_clEvENKUlvE_clEvEUlddE_EEvPT_PKS8_jjjS8_T0_.has_recursion, 0
	.set _ZN2at6native32tensor_kernel_scan_innermost_dimIdZZZNS0_31launch_logcumsumexp_cuda_kernelERKNS_10TensorBaseES4_lENKUlvE_clEvENKUlvE_clEvEUlddE_EEvPT_PKS8_jjjS8_T0_.has_indirect_call, 0
	.section	.AMDGPU.csdata,"",@progbits
; Kernel info:
; codeLenInByte = 8380
; TotalNumSgprs: 74
; NumVgprs: 47
; ScratchSize: 0
; MemoryBound: 0
; FloatMode: 240
; IeeeMode: 1
; LDSByteSize: 0 bytes/workgroup (compile time only)
; SGPRBlocks: 0
; VGPRBlocks: 5
; NumSGPRsForWavesPerEU: 74
; NumVGPRsForWavesPerEU: 47
; Occupancy: 16
; WaveLimiterHint : 0
; COMPUTE_PGM_RSRC2:SCRATCH_EN: 0
; COMPUTE_PGM_RSRC2:USER_SGPR: 2
; COMPUTE_PGM_RSRC2:TRAP_HANDLER: 0
; COMPUTE_PGM_RSRC2:TGID_X_EN: 1
; COMPUTE_PGM_RSRC2:TGID_Y_EN: 0
; COMPUTE_PGM_RSRC2:TGID_Z_EN: 0
; COMPUTE_PGM_RSRC2:TIDIG_COMP_CNT: 1
	.section	.text._ZN2at6native28tensor_kernel_scan_outer_dimIdjZZZNS0_31launch_logcumsumexp_cuda_kernelERKNS_10TensorBaseES4_lENKUlvE_clEvENKUlvE_clEvEUlddE_EEvPT_PKS8_jjjS8_T1_,"axG",@progbits,_ZN2at6native28tensor_kernel_scan_outer_dimIdjZZZNS0_31launch_logcumsumexp_cuda_kernelERKNS_10TensorBaseES4_lENKUlvE_clEvENKUlvE_clEvEUlddE_EEvPT_PKS8_jjjS8_T1_,comdat
	.globl	_ZN2at6native28tensor_kernel_scan_outer_dimIdjZZZNS0_31launch_logcumsumexp_cuda_kernelERKNS_10TensorBaseES4_lENKUlvE_clEvENKUlvE_clEvEUlddE_EEvPT_PKS8_jjjS8_T1_ ; -- Begin function _ZN2at6native28tensor_kernel_scan_outer_dimIdjZZZNS0_31launch_logcumsumexp_cuda_kernelERKNS_10TensorBaseES4_lENKUlvE_clEvENKUlvE_clEvEUlddE_EEvPT_PKS8_jjjS8_T1_
	.p2align	8
	.type	_ZN2at6native28tensor_kernel_scan_outer_dimIdjZZZNS0_31launch_logcumsumexp_cuda_kernelERKNS_10TensorBaseES4_lENKUlvE_clEvENKUlvE_clEvEUlddE_EEvPT_PKS8_jjjS8_T1_,@function
_ZN2at6native28tensor_kernel_scan_outer_dimIdjZZZNS0_31launch_logcumsumexp_cuda_kernelERKNS_10TensorBaseES4_lENKUlvE_clEvENKUlvE_clEvEUlddE_EEvPT_PKS8_jjjS8_T1_: ; @_ZN2at6native28tensor_kernel_scan_outer_dimIdjZZZNS0_31launch_logcumsumexp_cuda_kernelERKNS_10TensorBaseES4_lENKUlvE_clEvENKUlvE_clEvEUlddE_EEvPT_PKS8_jjjS8_T1_
; %bb.0:
	s_load_b96 s[8:10], s[0:1], 0x10
	s_wait_kmcnt 0x0
	s_cmp_ge_u32 ttmp9, s8
	s_cbranch_scc1 .LBB85_11
; %bb.1:
	s_clause 0x3
	s_load_b32 s2, s[0:1], 0x3c
	s_load_b32 s33, s[0:1], 0x30
	s_load_b128 s[4:7], s[0:1], 0x0
	s_load_b64 s[12:13], s[0:1], 0x20
	v_mov_b32_e32 v1, 0
	s_add_nc_u64 s[14:15], s[0:1], 48
	s_mul_i32 s0, ttmp9, s10
	s_mov_b32 s17, 0
	s_mul_i32 s1, s0, s9
	s_mov_b32 s16, s9
	s_mov_b32 s18, 0x652b82fe
	;; [unrolled: 1-line block ×11, first 2 shown]
	s_wait_kmcnt 0x0
	s_and_b32 s68, s2, 0xffff
	s_mul_i32 s69, s33, s10
	v_mad_co_u64_u32 v[2:3], null, ttmp7, s68, v[0:1]
	s_cmp_lg_u32 s10, 0
	s_mov_b32 s42, 0x555502a1
	s_mov_b32 s44, 0x55555511
	;; [unrolled: 1-line block ×5, first 2 shown]
	v_cmp_gt_u32_e64 s0, s9, v2
	s_mov_b32 s52, 0xbf559e2b
	s_mov_b32 s54, 0xd7f4df2e
	s_mov_b32 s56, 0x16291751
	s_mov_b32 s58, 0x9b27acf1
	s_mov_b32 s60, 0x998ef7b6
	s_mov_b32 s11, ttmp9
	s_mov_b32 s19, 0x3ff71547
	s_mov_b32 s21, 0xbfe62e42
	;; [unrolled: 1-line block ×5, first 2 shown]
	s_mul_i32 s69, s69, s9
	s_cselect_b32 s70, -1, 0
	s_lshl_b64 s[28:29], s[16:17], 3
	s_mov_b32 s31, 0x3ec71dee
	s_mov_b32 s35, 0x3efa0199
	;; [unrolled: 1-line block ×19, first 2 shown]
	s_branch .LBB85_3
.LBB85_2:                               ;   in Loop: Header=BB85_3 Depth=1
	s_or_b32 exec_lo, exec_lo, s71
	s_add_co_i32 s11, s33, s11
	s_wait_alu 0xfffe
	s_add_co_i32 s16, s16, s69
	s_cmp_ge_u32 s11, s8
	s_cbranch_scc1 .LBB85_11
.LBB85_3:                               ; =>This Loop Header: Depth=1
                                        ;     Child Loop BB85_6 Depth 2
                                        ;       Child Loop BB85_9 Depth 3
	s_and_saveexec_b32 s71, s0
	s_cbranch_execz .LBB85_2
; %bb.4:                                ;   in Loop: Header=BB85_3 Depth=1
	s_load_b32 s72, s[14:15], 0x4
	v_mov_b32_e32 v0, v2
	s_lshl_b64 s[66:67], s[16:17], 3
	s_mov_b32 s73, 0
	s_wait_kmcnt 0x0
	s_mul_i32 s72, s72, s68
	s_branch .LBB85_6
.LBB85_5:                               ;   in Loop: Header=BB85_6 Depth=2
	s_wait_alu 0xfffe
	v_add_nc_u32_e32 v0, s72, v0
	s_delay_alu instid0(VALU_DEP_1)
	v_cmp_le_u32_e32 vcc_lo, s9, v0
	s_or_b32 s73, vcc_lo, s73
	s_wait_alu 0xfffe
	s_and_not1_b32 exec_lo, exec_lo, s73
	s_cbranch_execz .LBB85_2
.LBB85_6:                               ;   Parent Loop BB85_3 Depth=1
                                        ; =>  This Loop Header: Depth=2
                                        ;       Child Loop BB85_9 Depth 3
	s_and_not1_b32 vcc_lo, exec_lo, s70
	s_wait_alu 0xfffe
	s_cbranch_vccnz .LBB85_5
; %bb.7:                                ;   in Loop: Header=BB85_6 Depth=2
	v_lshlrev_b64_e32 v[3:4], 3, v[0:1]
	v_dual_mov_b32 v5, s12 :: v_dual_mov_b32 v6, s13
	s_mov_b32 s74, s10
	s_delay_alu instid0(VALU_DEP_2) | instskip(SKIP_1) | instid1(VALU_DEP_3)
	v_add_co_u32 v9, vcc_lo, s66, v3
	s_wait_alu 0xfffd
	v_add_co_ci_u32_e64 v10, null, s67, v4, vcc_lo
	s_branch .LBB85_9
.LBB85_8:                               ;   in Loop: Header=BB85_9 Depth=3
	s_or_b32 exec_lo, exec_lo, s75
	v_add_co_u32 v3, vcc_lo, s4, v9
	s_wait_alu 0xfffd
	v_add_co_ci_u32_e64 v4, null, s5, v10, vcc_lo
	v_add_co_u32 v9, vcc_lo, v9, s28
	s_wait_alu 0xfffd
	v_add_co_ci_u32_e64 v10, null, s29, v10, vcc_lo
	s_add_co_i32 s74, s74, -1
	global_store_b64 v[3:4], v[5:6], off
	s_cmp_eq_u32 s74, 0
	s_cbranch_scc1 .LBB85_5
.LBB85_9:                               ;   Parent Loop BB85_3 Depth=1
                                        ;     Parent Loop BB85_6 Depth=2
                                        ; =>    This Inner Loop Header: Depth=3
	s_delay_alu instid0(VALU_DEP_2) | instskip(SKIP_1) | instid1(VALU_DEP_2)
	v_add_co_u32 v3, vcc_lo, s6, v9
	s_wait_alu 0xfffd
	v_add_co_ci_u32_e64 v4, null, s7, v10, vcc_lo
	v_max_num_f64_e32 v[7:8], v[5:6], v[5:6]
	v_cmp_u_f64_e32 vcc_lo, v[5:6], v[5:6]
	global_load_b64 v[3:4], v[3:4], off
	s_wait_loadcnt 0x0
	v_max_num_f64_e32 v[11:12], v[3:4], v[3:4]
	v_cmp_u_f64_e64 s1, v[3:4], v[3:4]
	s_delay_alu instid0(VALU_DEP_2) | instskip(SKIP_2) | instid1(VALU_DEP_2)
	v_min_num_f64_e32 v[13:14], v[7:8], v[11:12]
	v_max_num_f64_e32 v[7:8], v[7:8], v[11:12]
	s_wait_alu 0xfffd
	v_dual_cndmask_b32 v11, v13, v5 :: v_dual_cndmask_b32 v12, v14, v6
	s_delay_alu instid0(VALU_DEP_2) | instskip(SKIP_1) | instid1(VALU_DEP_2)
	v_dual_cndmask_b32 v13, v8, v6 :: v_dual_cndmask_b32 v14, v7, v5
	s_wait_alu 0xf1ff
	v_cndmask_b32_e64 v7, v11, v3, s1
	s_delay_alu instid0(VALU_DEP_3) | instskip(NEXT) | instid1(VALU_DEP_3)
	v_cndmask_b32_e64 v8, v12, v4, s1
	v_cndmask_b32_e64 v4, v13, v4, s1
	;; [unrolled: 1-line block ×3, first 2 shown]
	s_delay_alu instid0(VALU_DEP_3) | instskip(NEXT) | instid1(VALU_DEP_2)
	v_cmp_class_f64_e64 s1, v[7:8], 0x1f8
	v_cmp_neq_f64_e32 vcc_lo, v[7:8], v[3:4]
	s_or_b32 s1, vcc_lo, s1
	s_wait_alu 0xfffe
	s_and_saveexec_b32 s75, s1
	s_cbranch_execz .LBB85_8
; %bb.10:                               ;   in Loop: Header=BB85_9 Depth=3
	v_add_f64_e64 v[5:6], v[7:8], -v[3:4]
	s_mov_b32 s63, s49
	s_mov_b32 s2, s20
	;; [unrolled: 1-line block ×3, first 2 shown]
	s_delay_alu instid0(VALU_DEP_1) | instskip(SKIP_2) | instid1(VALU_DEP_3)
	v_mul_f64_e32 v[7:8], s[18:19], v[5:6]
	v_cmp_nlt_f64_e32 vcc_lo, 0x40900000, v[5:6]
	v_cmp_ngt_f64_e64 s1, 0xc090cc00, v[5:6]
	v_rndne_f64_e32 v[7:8], v[7:8]
	s_delay_alu instid0(VALU_DEP_1) | instskip(SKIP_1) | instid1(VALU_DEP_2)
	v_fma_f64 v[11:12], v[7:8], s[20:21], v[5:6]
	v_cvt_i32_f64_e32 v15, v[7:8]
	v_fma_f64 v[11:12], v[7:8], s[22:23], v[11:12]
	s_delay_alu instid0(VALU_DEP_1) | instskip(NEXT) | instid1(VALU_DEP_1)
	v_fma_f64 v[13:14], v[11:12], s[26:27], s[24:25]
	v_fma_f64 v[13:14], v[11:12], v[13:14], s[30:31]
	s_delay_alu instid0(VALU_DEP_1) | instskip(NEXT) | instid1(VALU_DEP_1)
	v_fma_f64 v[13:14], v[11:12], v[13:14], s[34:35]
	;; [unrolled: 3-line block ×5, first 2 shown]
	v_fma_f64 v[13:14], v[11:12], v[13:14], 1.0
	s_delay_alu instid0(VALU_DEP_1) | instskip(NEXT) | instid1(VALU_DEP_1)
	v_fma_f64 v[7:8], v[11:12], v[13:14], 1.0
	v_ldexp_f64 v[7:8], v[7:8], v15
	s_wait_alu 0xfffd
	s_delay_alu instid0(VALU_DEP_1) | instskip(SKIP_2) | instid1(VALU_DEP_2)
	v_cndmask_b32_e32 v8, 0x7ff00000, v8, vcc_lo
	s_and_b32 vcc_lo, s1, vcc_lo
	s_wait_alu 0xfffe
	v_cndmask_b32_e32 v5, 0, v7, vcc_lo
	s_delay_alu instid0(VALU_DEP_2) | instskip(NEXT) | instid1(VALU_DEP_1)
	v_cndmask_b32_e64 v6, 0, v8, s1
	v_add_f64_e32 v[7:8], 1.0, v[5:6]
	v_cmp_neq_f64_e64 s1, 0x7ff00000, v[5:6]
	s_delay_alu instid0(VALU_DEP_2) | instskip(SKIP_2) | instid1(VALU_DEP_3)
	v_frexp_mant_f64_e32 v[11:12], v[7:8]
	v_frexp_exp_i32_f64_e32 v15, v[7:8]
	v_add_f64_e32 v[13:14], -1.0, v[7:8]
	v_cmp_gt_f64_e32 vcc_lo, s[48:49], v[11:12]
	s_delay_alu instid0(VALU_DEP_2) | instskip(SKIP_3) | instid1(VALU_DEP_3)
	v_add_f64_e64 v[11:12], v[13:14], -v[7:8]
	v_add_f64_e64 v[13:14], v[5:6], -v[13:14]
	s_wait_alu 0xfffd
	v_subrev_co_ci_u32_e64 v31, null, 0, v15, vcc_lo
	v_add_f64_e32 v[11:12], 1.0, v[11:12]
	v_cmp_nge_f64_e32 vcc_lo, -1.0, v[5:6]
	s_delay_alu instid0(VALU_DEP_3) | instskip(NEXT) | instid1(VALU_DEP_1)
	v_sub_nc_u32_e32 v17, 0, v31
	v_ldexp_f64 v[7:8], v[7:8], v17
	s_delay_alu instid0(VALU_DEP_4) | instskip(SKIP_1) | instid1(VALU_DEP_2)
	v_add_f64_e32 v[11:12], v[13:14], v[11:12]
	s_and_b32 vcc_lo, vcc_lo, s1
	v_add_f64_e32 v[15:16], 1.0, v[7:8]
	v_add_f64_e32 v[21:22], -1.0, v[7:8]
	s_delay_alu instid0(VALU_DEP_3) | instskip(NEXT) | instid1(VALU_DEP_3)
	v_ldexp_f64 v[11:12], v[11:12], v17
	v_add_f64_e32 v[13:14], -1.0, v[15:16]
	s_delay_alu instid0(VALU_DEP_3) | instskip(NEXT) | instid1(VALU_DEP_2)
	v_add_f64_e32 v[23:24], 1.0, v[21:22]
	v_add_f64_e64 v[13:14], v[7:8], -v[13:14]
	s_delay_alu instid0(VALU_DEP_2) | instskip(NEXT) | instid1(VALU_DEP_2)
	v_add_f64_e64 v[7:8], v[7:8], -v[23:24]
	v_add_f64_e32 v[13:14], v[11:12], v[13:14]
	s_delay_alu instid0(VALU_DEP_2) | instskip(NEXT) | instid1(VALU_DEP_2)
	v_add_f64_e32 v[7:8], v[11:12], v[7:8]
	v_add_f64_e32 v[17:18], v[15:16], v[13:14]
	s_delay_alu instid0(VALU_DEP_2) | instskip(NEXT) | instid1(VALU_DEP_2)
	v_add_f64_e32 v[23:24], v[21:22], v[7:8]
	v_rcp_f64_e32 v[19:20], v[17:18]
	v_add_f64_e64 v[15:16], v[17:18], -v[15:16]
	s_delay_alu instid0(VALU_DEP_2) | instskip(NEXT) | instid1(VALU_DEP_2)
	v_add_f64_e64 v[21:22], v[23:24], -v[21:22]
	v_add_f64_e64 v[13:14], v[13:14], -v[15:16]
	s_delay_alu instid0(TRANS32_DEP_1) | instskip(NEXT) | instid1(VALU_DEP_3)
	v_fma_f64 v[25:26], -v[17:18], v[19:20], 1.0
	v_add_f64_e64 v[7:8], v[7:8], -v[21:22]
	s_delay_alu instid0(VALU_DEP_2) | instskip(NEXT) | instid1(VALU_DEP_1)
	v_fma_f64 v[19:20], v[25:26], v[19:20], v[19:20]
	v_fma_f64 v[11:12], -v[17:18], v[19:20], 1.0
	s_delay_alu instid0(VALU_DEP_1) | instskip(NEXT) | instid1(VALU_DEP_1)
	v_fma_f64 v[11:12], v[11:12], v[19:20], v[19:20]
	v_mul_f64_e32 v[19:20], v[23:24], v[11:12]
	s_delay_alu instid0(VALU_DEP_1) | instskip(NEXT) | instid1(VALU_DEP_1)
	v_mul_f64_e32 v[25:26], v[17:18], v[19:20]
	v_fma_f64 v[15:16], v[19:20], v[17:18], -v[25:26]
	s_delay_alu instid0(VALU_DEP_1) | instskip(NEXT) | instid1(VALU_DEP_1)
	v_fma_f64 v[15:16], v[19:20], v[13:14], v[15:16]
	v_add_f64_e32 v[27:28], v[25:26], v[15:16]
	s_delay_alu instid0(VALU_DEP_1) | instskip(SKIP_1) | instid1(VALU_DEP_2)
	v_add_f64_e64 v[29:30], v[23:24], -v[27:28]
	v_add_f64_e64 v[21:22], v[27:28], -v[25:26]
	;; [unrolled: 1-line block ×3, first 2 shown]
	s_delay_alu instid0(VALU_DEP_2) | instskip(NEXT) | instid1(VALU_DEP_2)
	v_add_f64_e64 v[15:16], v[21:22], -v[15:16]
	v_add_f64_e64 v[23:24], v[23:24], -v[27:28]
	s_delay_alu instid0(VALU_DEP_1) | instskip(NEXT) | instid1(VALU_DEP_1)
	v_add_f64_e32 v[7:8], v[7:8], v[23:24]
	v_add_f64_e32 v[7:8], v[15:16], v[7:8]
	s_delay_alu instid0(VALU_DEP_1) | instskip(NEXT) | instid1(VALU_DEP_1)
	v_add_f64_e32 v[15:16], v[29:30], v[7:8]
	v_mul_f64_e32 v[21:22], v[11:12], v[15:16]
	v_add_f64_e64 v[27:28], v[29:30], -v[15:16]
	s_delay_alu instid0(VALU_DEP_2) | instskip(NEXT) | instid1(VALU_DEP_2)
	v_mul_f64_e32 v[23:24], v[17:18], v[21:22]
	v_add_f64_e32 v[7:8], v[7:8], v[27:28]
	s_delay_alu instid0(VALU_DEP_2) | instskip(NEXT) | instid1(VALU_DEP_1)
	v_fma_f64 v[17:18], v[21:22], v[17:18], -v[23:24]
	v_fma_f64 v[13:14], v[21:22], v[13:14], v[17:18]
	s_delay_alu instid0(VALU_DEP_1) | instskip(NEXT) | instid1(VALU_DEP_1)
	v_add_f64_e32 v[17:18], v[23:24], v[13:14]
	v_add_f64_e64 v[25:26], v[15:16], -v[17:18]
	v_add_f64_e64 v[23:24], v[17:18], -v[23:24]
	s_delay_alu instid0(VALU_DEP_2) | instskip(NEXT) | instid1(VALU_DEP_2)
	v_add_f64_e64 v[15:16], v[15:16], -v[25:26]
	v_add_f64_e64 v[13:14], v[23:24], -v[13:14]
	s_delay_alu instid0(VALU_DEP_2) | instskip(NEXT) | instid1(VALU_DEP_1)
	v_add_f64_e64 v[15:16], v[15:16], -v[17:18]
	v_add_f64_e32 v[7:8], v[7:8], v[15:16]
	v_add_f64_e32 v[15:16], v[19:20], v[21:22]
	s_delay_alu instid0(VALU_DEP_2) | instskip(NEXT) | instid1(VALU_DEP_2)
	v_add_f64_e32 v[7:8], v[13:14], v[7:8]
	v_add_f64_e64 v[13:14], v[15:16], -v[19:20]
	s_delay_alu instid0(VALU_DEP_2) | instskip(NEXT) | instid1(VALU_DEP_2)
	v_add_f64_e32 v[7:8], v[25:26], v[7:8]
	v_add_f64_e64 v[13:14], v[21:22], -v[13:14]
	s_delay_alu instid0(VALU_DEP_2) | instskip(NEXT) | instid1(VALU_DEP_1)
	v_mul_f64_e32 v[7:8], v[11:12], v[7:8]
	v_add_f64_e32 v[7:8], v[13:14], v[7:8]
	s_delay_alu instid0(VALU_DEP_1) | instskip(NEXT) | instid1(VALU_DEP_1)
	v_add_f64_e32 v[11:12], v[15:16], v[7:8]
	v_mul_f64_e32 v[13:14], v[11:12], v[11:12]
	s_delay_alu instid0(VALU_DEP_1) | instskip(SKIP_1) | instid1(VALU_DEP_2)
	v_fma_f64 v[17:18], v[13:14], s[52:53], s[50:51]
	v_mul_f64_e32 v[19:20], v[11:12], v[13:14]
	v_fma_f64 v[17:18], v[13:14], v[17:18], s[54:55]
	s_delay_alu instid0(VALU_DEP_1) | instskip(NEXT) | instid1(VALU_DEP_1)
	v_fma_f64 v[17:18], v[13:14], v[17:18], s[56:57]
	v_fma_f64 v[17:18], v[13:14], v[17:18], s[58:59]
	s_delay_alu instid0(VALU_DEP_1) | instskip(NEXT) | instid1(VALU_DEP_1)
	v_fma_f64 v[17:18], v[13:14], v[17:18], s[60:61]
	v_fma_f64 v[13:14], v[13:14], v[17:18], s[62:63]
	v_ldexp_f64 v[17:18], v[11:12], 1
	v_add_f64_e64 v[11:12], v[11:12], -v[15:16]
	s_delay_alu instid0(VALU_DEP_3) | instskip(SKIP_1) | instid1(VALU_DEP_3)
	v_mul_f64_e32 v[13:14], v[19:20], v[13:14]
	v_cvt_f64_i32_e32 v[19:20], v31
	v_add_f64_e64 v[7:8], v[7:8], -v[11:12]
	s_delay_alu instid0(VALU_DEP_3) | instskip(NEXT) | instid1(VALU_DEP_3)
	v_add_f64_e32 v[15:16], v[17:18], v[13:14]
	v_mul_f64_e32 v[21:22], s[2:3], v[19:20]
	s_delay_alu instid0(VALU_DEP_3) | instskip(NEXT) | instid1(VALU_DEP_3)
	v_ldexp_f64 v[7:8], v[7:8], 1
	v_add_f64_e64 v[11:12], v[15:16], -v[17:18]
	s_delay_alu instid0(VALU_DEP_3) | instskip(SKIP_1) | instid1(VALU_DEP_3)
	v_fma_f64 v[17:18], v[19:20], s[2:3], -v[21:22]
	v_cmp_ngt_f64_e64 s2, -1.0, v[5:6]
	v_add_f64_e64 v[11:12], v[13:14], -v[11:12]
	s_delay_alu instid0(VALU_DEP_3) | instskip(NEXT) | instid1(VALU_DEP_2)
	v_fma_f64 v[13:14], v[19:20], s[64:65], v[17:18]
	v_add_f64_e32 v[7:8], v[7:8], v[11:12]
	s_delay_alu instid0(VALU_DEP_2) | instskip(NEXT) | instid1(VALU_DEP_2)
	v_add_f64_e32 v[11:12], v[21:22], v[13:14]
	v_add_f64_e32 v[17:18], v[15:16], v[7:8]
	s_delay_alu instid0(VALU_DEP_2) | instskip(NEXT) | instid1(VALU_DEP_2)
	v_add_f64_e64 v[21:22], v[11:12], -v[21:22]
	v_add_f64_e32 v[19:20], v[11:12], v[17:18]
	v_add_f64_e64 v[15:16], v[17:18], -v[15:16]
	s_delay_alu instid0(VALU_DEP_3) | instskip(NEXT) | instid1(VALU_DEP_3)
	v_add_f64_e64 v[13:14], v[13:14], -v[21:22]
	v_add_f64_e64 v[23:24], v[19:20], -v[11:12]
	s_delay_alu instid0(VALU_DEP_3) | instskip(NEXT) | instid1(VALU_DEP_2)
	v_add_f64_e64 v[7:8], v[7:8], -v[15:16]
	v_add_f64_e64 v[25:26], v[19:20], -v[23:24]
	;; [unrolled: 1-line block ×3, first 2 shown]
	s_delay_alu instid0(VALU_DEP_3) | instskip(NEXT) | instid1(VALU_DEP_3)
	v_add_f64_e32 v[17:18], v[13:14], v[7:8]
	v_add_f64_e64 v[11:12], v[11:12], -v[25:26]
	s_delay_alu instid0(VALU_DEP_1) | instskip(NEXT) | instid1(VALU_DEP_3)
	v_add_f64_e32 v[11:12], v[15:16], v[11:12]
	v_add_f64_e64 v[15:16], v[17:18], -v[13:14]
	s_delay_alu instid0(VALU_DEP_2) | instskip(NEXT) | instid1(VALU_DEP_2)
	v_add_f64_e32 v[11:12], v[17:18], v[11:12]
	v_add_f64_e64 v[17:18], v[17:18], -v[15:16]
	v_add_f64_e64 v[7:8], v[7:8], -v[15:16]
	s_delay_alu instid0(VALU_DEP_3) | instskip(NEXT) | instid1(VALU_DEP_3)
	v_add_f64_e32 v[21:22], v[19:20], v[11:12]
	v_add_f64_e64 v[13:14], v[13:14], -v[17:18]
	s_delay_alu instid0(VALU_DEP_2) | instskip(NEXT) | instid1(VALU_DEP_2)
	v_add_f64_e64 v[15:16], v[21:22], -v[19:20]
	v_add_f64_e32 v[7:8], v[7:8], v[13:14]
	s_delay_alu instid0(VALU_DEP_2) | instskip(NEXT) | instid1(VALU_DEP_1)
	v_add_f64_e64 v[11:12], v[11:12], -v[15:16]
	v_add_f64_e32 v[7:8], v[7:8], v[11:12]
	s_delay_alu instid0(VALU_DEP_1) | instskip(SKIP_1) | instid1(VALU_DEP_1)
	v_add_f64_e32 v[7:8], v[21:22], v[7:8]
	s_wait_alu 0xfffe
	v_cndmask_b32_e32 v7, 0, v7, vcc_lo
	v_cmp_neq_f64_e32 vcc_lo, -1.0, v[5:6]
	s_delay_alu instid0(VALU_DEP_3) | instskip(SKIP_1) | instid1(VALU_DEP_1)
	v_cndmask_b32_e64 v8, 0x7ff00000, v8, s1
	s_wait_alu 0xf1ff
	v_cndmask_b32_e64 v8, 0x7ff80000, v8, s2
	s_wait_alu 0xfffd
	s_delay_alu instid0(VALU_DEP_1) | instskip(NEXT) | instid1(VALU_DEP_1)
	v_cndmask_b32_e32 v8, 0xfff00000, v8, vcc_lo
	v_add_f64_e32 v[5:6], v[3:4], v[7:8]
	s_branch .LBB85_8
.LBB85_11:
	s_endpgm
	.section	.rodata,"a",@progbits
	.p2align	6, 0x0
	.amdhsa_kernel _ZN2at6native28tensor_kernel_scan_outer_dimIdjZZZNS0_31launch_logcumsumexp_cuda_kernelERKNS_10TensorBaseES4_lENKUlvE_clEvENKUlvE_clEvEUlddE_EEvPT_PKS8_jjjS8_T1_
		.amdhsa_group_segment_fixed_size 0
		.amdhsa_private_segment_fixed_size 0
		.amdhsa_kernarg_size 304
		.amdhsa_user_sgpr_count 2
		.amdhsa_user_sgpr_dispatch_ptr 0
		.amdhsa_user_sgpr_queue_ptr 0
		.amdhsa_user_sgpr_kernarg_segment_ptr 1
		.amdhsa_user_sgpr_dispatch_id 0
		.amdhsa_user_sgpr_private_segment_size 0
		.amdhsa_wavefront_size32 1
		.amdhsa_uses_dynamic_stack 0
		.amdhsa_enable_private_segment 0
		.amdhsa_system_sgpr_workgroup_id_x 1
		.amdhsa_system_sgpr_workgroup_id_y 1
		.amdhsa_system_sgpr_workgroup_id_z 0
		.amdhsa_system_sgpr_workgroup_info 0
		.amdhsa_system_vgpr_workitem_id 0
		.amdhsa_next_free_vgpr 32
		.amdhsa_next_free_sgpr 76
		.amdhsa_reserve_vcc 1
		.amdhsa_float_round_mode_32 0
		.amdhsa_float_round_mode_16_64 0
		.amdhsa_float_denorm_mode_32 3
		.amdhsa_float_denorm_mode_16_64 3
		.amdhsa_fp16_overflow 0
		.amdhsa_workgroup_processor_mode 1
		.amdhsa_memory_ordered 1
		.amdhsa_forward_progress 1
		.amdhsa_inst_pref_size 17
		.amdhsa_round_robin_scheduling 0
		.amdhsa_exception_fp_ieee_invalid_op 0
		.amdhsa_exception_fp_denorm_src 0
		.amdhsa_exception_fp_ieee_div_zero 0
		.amdhsa_exception_fp_ieee_overflow 0
		.amdhsa_exception_fp_ieee_underflow 0
		.amdhsa_exception_fp_ieee_inexact 0
		.amdhsa_exception_int_div_zero 0
	.end_amdhsa_kernel
	.section	.text._ZN2at6native28tensor_kernel_scan_outer_dimIdjZZZNS0_31launch_logcumsumexp_cuda_kernelERKNS_10TensorBaseES4_lENKUlvE_clEvENKUlvE_clEvEUlddE_EEvPT_PKS8_jjjS8_T1_,"axG",@progbits,_ZN2at6native28tensor_kernel_scan_outer_dimIdjZZZNS0_31launch_logcumsumexp_cuda_kernelERKNS_10TensorBaseES4_lENKUlvE_clEvENKUlvE_clEvEUlddE_EEvPT_PKS8_jjjS8_T1_,comdat
.Lfunc_end85:
	.size	_ZN2at6native28tensor_kernel_scan_outer_dimIdjZZZNS0_31launch_logcumsumexp_cuda_kernelERKNS_10TensorBaseES4_lENKUlvE_clEvENKUlvE_clEvEUlddE_EEvPT_PKS8_jjjS8_T1_, .Lfunc_end85-_ZN2at6native28tensor_kernel_scan_outer_dimIdjZZZNS0_31launch_logcumsumexp_cuda_kernelERKNS_10TensorBaseES4_lENKUlvE_clEvENKUlvE_clEvEUlddE_EEvPT_PKS8_jjjS8_T1_
                                        ; -- End function
	.set _ZN2at6native28tensor_kernel_scan_outer_dimIdjZZZNS0_31launch_logcumsumexp_cuda_kernelERKNS_10TensorBaseES4_lENKUlvE_clEvENKUlvE_clEvEUlddE_EEvPT_PKS8_jjjS8_T1_.num_vgpr, 32
	.set _ZN2at6native28tensor_kernel_scan_outer_dimIdjZZZNS0_31launch_logcumsumexp_cuda_kernelERKNS_10TensorBaseES4_lENKUlvE_clEvENKUlvE_clEvEUlddE_EEvPT_PKS8_jjjS8_T1_.num_agpr, 0
	.set _ZN2at6native28tensor_kernel_scan_outer_dimIdjZZZNS0_31launch_logcumsumexp_cuda_kernelERKNS_10TensorBaseES4_lENKUlvE_clEvENKUlvE_clEvEUlddE_EEvPT_PKS8_jjjS8_T1_.numbered_sgpr, 76
	.set _ZN2at6native28tensor_kernel_scan_outer_dimIdjZZZNS0_31launch_logcumsumexp_cuda_kernelERKNS_10TensorBaseES4_lENKUlvE_clEvENKUlvE_clEvEUlddE_EEvPT_PKS8_jjjS8_T1_.num_named_barrier, 0
	.set _ZN2at6native28tensor_kernel_scan_outer_dimIdjZZZNS0_31launch_logcumsumexp_cuda_kernelERKNS_10TensorBaseES4_lENKUlvE_clEvENKUlvE_clEvEUlddE_EEvPT_PKS8_jjjS8_T1_.private_seg_size, 0
	.set _ZN2at6native28tensor_kernel_scan_outer_dimIdjZZZNS0_31launch_logcumsumexp_cuda_kernelERKNS_10TensorBaseES4_lENKUlvE_clEvENKUlvE_clEvEUlddE_EEvPT_PKS8_jjjS8_T1_.uses_vcc, 1
	.set _ZN2at6native28tensor_kernel_scan_outer_dimIdjZZZNS0_31launch_logcumsumexp_cuda_kernelERKNS_10TensorBaseES4_lENKUlvE_clEvENKUlvE_clEvEUlddE_EEvPT_PKS8_jjjS8_T1_.uses_flat_scratch, 0
	.set _ZN2at6native28tensor_kernel_scan_outer_dimIdjZZZNS0_31launch_logcumsumexp_cuda_kernelERKNS_10TensorBaseES4_lENKUlvE_clEvENKUlvE_clEvEUlddE_EEvPT_PKS8_jjjS8_T1_.has_dyn_sized_stack, 0
	.set _ZN2at6native28tensor_kernel_scan_outer_dimIdjZZZNS0_31launch_logcumsumexp_cuda_kernelERKNS_10TensorBaseES4_lENKUlvE_clEvENKUlvE_clEvEUlddE_EEvPT_PKS8_jjjS8_T1_.has_recursion, 0
	.set _ZN2at6native28tensor_kernel_scan_outer_dimIdjZZZNS0_31launch_logcumsumexp_cuda_kernelERKNS_10TensorBaseES4_lENKUlvE_clEvENKUlvE_clEvEUlddE_EEvPT_PKS8_jjjS8_T1_.has_indirect_call, 0
	.section	.AMDGPU.csdata,"",@progbits
; Kernel info:
; codeLenInByte = 2084
; TotalNumSgprs: 78
; NumVgprs: 32
; ScratchSize: 0
; MemoryBound: 0
; FloatMode: 240
; IeeeMode: 1
; LDSByteSize: 0 bytes/workgroup (compile time only)
; SGPRBlocks: 0
; VGPRBlocks: 3
; NumSGPRsForWavesPerEU: 78
; NumVGPRsForWavesPerEU: 32
; Occupancy: 16
; WaveLimiterHint : 0
; COMPUTE_PGM_RSRC2:SCRATCH_EN: 0
; COMPUTE_PGM_RSRC2:USER_SGPR: 2
; COMPUTE_PGM_RSRC2:TRAP_HANDLER: 0
; COMPUTE_PGM_RSRC2:TGID_X_EN: 1
; COMPUTE_PGM_RSRC2:TGID_Y_EN: 1
; COMPUTE_PGM_RSRC2:TGID_Z_EN: 0
; COMPUTE_PGM_RSRC2:TIDIG_COMP_CNT: 0
	.section	.text._ZN2at6native28tensor_kernel_scan_outer_dimIdmZZZNS0_31launch_logcumsumexp_cuda_kernelERKNS_10TensorBaseES4_lENKUlvE_clEvENKUlvE_clEvEUlddE_EEvPT_PKS8_jjjS8_T1_,"axG",@progbits,_ZN2at6native28tensor_kernel_scan_outer_dimIdmZZZNS0_31launch_logcumsumexp_cuda_kernelERKNS_10TensorBaseES4_lENKUlvE_clEvENKUlvE_clEvEUlddE_EEvPT_PKS8_jjjS8_T1_,comdat
	.globl	_ZN2at6native28tensor_kernel_scan_outer_dimIdmZZZNS0_31launch_logcumsumexp_cuda_kernelERKNS_10TensorBaseES4_lENKUlvE_clEvENKUlvE_clEvEUlddE_EEvPT_PKS8_jjjS8_T1_ ; -- Begin function _ZN2at6native28tensor_kernel_scan_outer_dimIdmZZZNS0_31launch_logcumsumexp_cuda_kernelERKNS_10TensorBaseES4_lENKUlvE_clEvENKUlvE_clEvEUlddE_EEvPT_PKS8_jjjS8_T1_
	.p2align	8
	.type	_ZN2at6native28tensor_kernel_scan_outer_dimIdmZZZNS0_31launch_logcumsumexp_cuda_kernelERKNS_10TensorBaseES4_lENKUlvE_clEvENKUlvE_clEvEUlddE_EEvPT_PKS8_jjjS8_T1_,@function
_ZN2at6native28tensor_kernel_scan_outer_dimIdmZZZNS0_31launch_logcumsumexp_cuda_kernelERKNS_10TensorBaseES4_lENKUlvE_clEvENKUlvE_clEvEUlddE_EEvPT_PKS8_jjjS8_T1_: ; @_ZN2at6native28tensor_kernel_scan_outer_dimIdmZZZNS0_31launch_logcumsumexp_cuda_kernelERKNS_10TensorBaseES4_lENKUlvE_clEvENKUlvE_clEvEUlddE_EEvPT_PKS8_jjjS8_T1_
; %bb.0:
	s_load_b96 s[8:10], s[0:1], 0x10
	s_wait_kmcnt 0x0
	s_cmp_ge_u32 ttmp9, s8
	s_cbranch_scc1 .LBB86_11
; %bb.1:
	s_clause 0x3
	s_load_b32 s28, s[0:1], 0x3c
	s_load_b32 s11, s[0:1], 0x30
	s_load_b128 s[4:7], s[0:1], 0x0
	s_load_b64 s[12:13], s[0:1], 0x20
	v_mov_b32_e32 v1, 0
	s_mov_b32 s17, 0
	s_add_nc_u64 s[14:15], s[0:1], 48
	s_mov_b32 s16, s10
	s_mov_b32 s0, s9
	;; [unrolled: 1-line block ×4, first 2 shown]
	s_mul_u64 s[2:3], s[16:17], s[0:1]
	s_mov_b32 s20, 0xfefa39ef
	s_mov_b32 s22, 0x3b39803f
	;; [unrolled: 1-line block ×8, first 2 shown]
	s_wait_kmcnt 0x0
	s_and_b32 s33, s28, 0xffff
	s_cmp_lg_u32 s10, 0
	v_mad_co_u64_u32 v[2:3], null, ttmp7, s33, v[0:1]
	s_cselect_b32 s70, -1, 0
	s_lshl_b64 s[34:35], s[0:1], 3
	s_mov_b32 s28, 0x623fde64
	s_mov_b32 s44, 0x555502a1
	;; [unrolled: 1-line block ×4, first 2 shown]
	v_cmp_gt_u32_e64 s0, s9, v2
	s_mov_b32 s50, 0x55555555
	s_mov_b32 s52, 0x6b47b09a
	;; [unrolled: 1-line block ×13, first 2 shown]
	s_lshl_b64 s[30:31], s[2:3], 3
	s_mov_b32 s37, 0x3efa0199
	s_mov_b32 s39, 0x3f2a01a0
	;; [unrolled: 1-line block ×17, first 2 shown]
	s_mov_b32 s16, ttmp9
	s_branch .LBB86_3
.LBB86_2:                               ;   in Loop: Header=BB86_3 Depth=1
	s_or_b32 exec_lo, exec_lo, s71
	s_add_co_i32 s16, s16, s11
	s_delay_alu instid0(SALU_CYCLE_1)
	s_cmp_ge_u32 s16, s8
	s_cbranch_scc1 .LBB86_11
.LBB86_3:                               ; =>This Loop Header: Depth=1
                                        ;     Child Loop BB86_6 Depth 2
                                        ;       Child Loop BB86_9 Depth 3
	s_and_saveexec_b32 s71, s0
	s_cbranch_execz .LBB86_2
; %bb.4:                                ;   in Loop: Header=BB86_3 Depth=1
	s_load_b32 s72, s[14:15], 0x4
	v_mov_b32_e32 v0, v2
	s_mul_u64 s[68:69], s[30:31], s[16:17]
	s_mov_b32 s73, 0
	s_wait_kmcnt 0x0
	s_mul_i32 s72, s72, s33
	s_branch .LBB86_6
.LBB86_5:                               ;   in Loop: Header=BB86_6 Depth=2
	s_wait_alu 0xfffe
	v_add_nc_u32_e32 v0, s72, v0
	s_delay_alu instid0(VALU_DEP_1)
	v_cmp_le_u32_e32 vcc_lo, s9, v0
	s_or_b32 s73, vcc_lo, s73
	s_wait_alu 0xfffe
	s_and_not1_b32 exec_lo, exec_lo, s73
	s_cbranch_execz .LBB86_2
.LBB86_6:                               ;   Parent Loop BB86_3 Depth=1
                                        ; =>  This Loop Header: Depth=2
                                        ;       Child Loop BB86_9 Depth 3
	s_and_not1_b32 vcc_lo, exec_lo, s70
	s_wait_alu 0xfffe
	s_cbranch_vccnz .LBB86_5
; %bb.7:                                ;   in Loop: Header=BB86_6 Depth=2
	v_lshlrev_b64_e32 v[3:4], 3, v[0:1]
	v_dual_mov_b32 v5, s12 :: v_dual_mov_b32 v6, s13
	s_mov_b32 s74, s10
	s_delay_alu instid0(VALU_DEP_2) | instskip(SKIP_1) | instid1(VALU_DEP_3)
	v_add_co_u32 v9, vcc_lo, s68, v3
	s_wait_alu 0xfffd
	v_add_co_ci_u32_e64 v10, null, s69, v4, vcc_lo
	s_branch .LBB86_9
.LBB86_8:                               ;   in Loop: Header=BB86_9 Depth=3
	s_or_b32 exec_lo, exec_lo, s75
	v_add_co_u32 v3, vcc_lo, s4, v9
	s_wait_alu 0xfffd
	v_add_co_ci_u32_e64 v4, null, s5, v10, vcc_lo
	v_add_co_u32 v9, vcc_lo, v9, s34
	s_wait_alu 0xfffd
	v_add_co_ci_u32_e64 v10, null, s35, v10, vcc_lo
	s_add_co_i32 s74, s74, -1
	global_store_b64 v[3:4], v[5:6], off
	s_cmp_eq_u32 s74, 0
	s_cbranch_scc1 .LBB86_5
.LBB86_9:                               ;   Parent Loop BB86_3 Depth=1
                                        ;     Parent Loop BB86_6 Depth=2
                                        ; =>    This Inner Loop Header: Depth=3
	s_delay_alu instid0(VALU_DEP_2) | instskip(SKIP_1) | instid1(VALU_DEP_2)
	v_add_co_u32 v3, vcc_lo, s6, v9
	s_wait_alu 0xfffd
	v_add_co_ci_u32_e64 v4, null, s7, v10, vcc_lo
	v_max_num_f64_e32 v[7:8], v[5:6], v[5:6]
	v_cmp_u_f64_e32 vcc_lo, v[5:6], v[5:6]
	global_load_b64 v[3:4], v[3:4], off
	s_wait_loadcnt 0x0
	v_max_num_f64_e32 v[11:12], v[3:4], v[3:4]
	v_cmp_u_f64_e64 s1, v[3:4], v[3:4]
	s_delay_alu instid0(VALU_DEP_2) | instskip(SKIP_2) | instid1(VALU_DEP_2)
	v_min_num_f64_e32 v[13:14], v[7:8], v[11:12]
	v_max_num_f64_e32 v[7:8], v[7:8], v[11:12]
	s_wait_alu 0xfffd
	v_dual_cndmask_b32 v11, v13, v5 :: v_dual_cndmask_b32 v12, v14, v6
	s_delay_alu instid0(VALU_DEP_2) | instskip(SKIP_1) | instid1(VALU_DEP_2)
	v_dual_cndmask_b32 v13, v8, v6 :: v_dual_cndmask_b32 v14, v7, v5
	s_wait_alu 0xf1ff
	v_cndmask_b32_e64 v7, v11, v3, s1
	s_delay_alu instid0(VALU_DEP_3) | instskip(NEXT) | instid1(VALU_DEP_3)
	v_cndmask_b32_e64 v8, v12, v4, s1
	v_cndmask_b32_e64 v4, v13, v4, s1
	;; [unrolled: 1-line block ×3, first 2 shown]
	s_delay_alu instid0(VALU_DEP_3) | instskip(NEXT) | instid1(VALU_DEP_2)
	v_cmp_class_f64_e64 s1, v[7:8], 0x1f8
	v_cmp_neq_f64_e32 vcc_lo, v[7:8], v[3:4]
	s_or_b32 s1, vcc_lo, s1
	s_wait_alu 0xfffe
	s_and_saveexec_b32 s75, s1
	s_cbranch_execz .LBB86_8
; %bb.10:                               ;   in Loop: Header=BB86_9 Depth=3
	v_add_f64_e64 v[5:6], v[7:8], -v[3:4]
	s_mov_b32 s65, s51
	s_mov_b32 s2, s20
	;; [unrolled: 1-line block ×3, first 2 shown]
	s_delay_alu instid0(VALU_DEP_1) | instskip(SKIP_2) | instid1(VALU_DEP_3)
	v_mul_f64_e32 v[7:8], s[18:19], v[5:6]
	v_cmp_nlt_f64_e32 vcc_lo, 0x40900000, v[5:6]
	v_cmp_ngt_f64_e64 s1, 0xc090cc00, v[5:6]
	v_rndne_f64_e32 v[7:8], v[7:8]
	s_delay_alu instid0(VALU_DEP_1) | instskip(SKIP_1) | instid1(VALU_DEP_2)
	v_fma_f64 v[11:12], v[7:8], s[20:21], v[5:6]
	v_cvt_i32_f64_e32 v15, v[7:8]
	v_fma_f64 v[11:12], v[7:8], s[22:23], v[11:12]
	s_delay_alu instid0(VALU_DEP_1) | instskip(NEXT) | instid1(VALU_DEP_1)
	v_fma_f64 v[13:14], v[11:12], s[26:27], s[24:25]
	v_fma_f64 v[13:14], v[11:12], v[13:14], s[28:29]
	s_delay_alu instid0(VALU_DEP_1) | instskip(NEXT) | instid1(VALU_DEP_1)
	v_fma_f64 v[13:14], v[11:12], v[13:14], s[36:37]
	;; [unrolled: 3-line block ×5, first 2 shown]
	v_fma_f64 v[13:14], v[11:12], v[13:14], 1.0
	s_delay_alu instid0(VALU_DEP_1) | instskip(NEXT) | instid1(VALU_DEP_1)
	v_fma_f64 v[7:8], v[11:12], v[13:14], 1.0
	v_ldexp_f64 v[7:8], v[7:8], v15
	s_wait_alu 0xfffd
	s_delay_alu instid0(VALU_DEP_1) | instskip(SKIP_2) | instid1(VALU_DEP_2)
	v_cndmask_b32_e32 v8, 0x7ff00000, v8, vcc_lo
	s_and_b32 vcc_lo, s1, vcc_lo
	s_wait_alu 0xfffe
	v_cndmask_b32_e32 v5, 0, v7, vcc_lo
	s_delay_alu instid0(VALU_DEP_2) | instskip(NEXT) | instid1(VALU_DEP_1)
	v_cndmask_b32_e64 v6, 0, v8, s1
	v_add_f64_e32 v[7:8], 1.0, v[5:6]
	v_cmp_neq_f64_e64 s1, 0x7ff00000, v[5:6]
	s_delay_alu instid0(VALU_DEP_2) | instskip(SKIP_2) | instid1(VALU_DEP_3)
	v_frexp_mant_f64_e32 v[11:12], v[7:8]
	v_frexp_exp_i32_f64_e32 v15, v[7:8]
	v_add_f64_e32 v[13:14], -1.0, v[7:8]
	v_cmp_gt_f64_e32 vcc_lo, s[50:51], v[11:12]
	s_delay_alu instid0(VALU_DEP_2) | instskip(SKIP_3) | instid1(VALU_DEP_3)
	v_add_f64_e64 v[11:12], v[13:14], -v[7:8]
	v_add_f64_e64 v[13:14], v[5:6], -v[13:14]
	s_wait_alu 0xfffd
	v_subrev_co_ci_u32_e64 v31, null, 0, v15, vcc_lo
	v_add_f64_e32 v[11:12], 1.0, v[11:12]
	v_cmp_nge_f64_e32 vcc_lo, -1.0, v[5:6]
	s_delay_alu instid0(VALU_DEP_3) | instskip(NEXT) | instid1(VALU_DEP_1)
	v_sub_nc_u32_e32 v17, 0, v31
	v_ldexp_f64 v[7:8], v[7:8], v17
	s_delay_alu instid0(VALU_DEP_4) | instskip(SKIP_1) | instid1(VALU_DEP_2)
	v_add_f64_e32 v[11:12], v[13:14], v[11:12]
	s_and_b32 vcc_lo, vcc_lo, s1
	v_add_f64_e32 v[15:16], 1.0, v[7:8]
	v_add_f64_e32 v[21:22], -1.0, v[7:8]
	s_delay_alu instid0(VALU_DEP_3) | instskip(NEXT) | instid1(VALU_DEP_3)
	v_ldexp_f64 v[11:12], v[11:12], v17
	v_add_f64_e32 v[13:14], -1.0, v[15:16]
	s_delay_alu instid0(VALU_DEP_3) | instskip(NEXT) | instid1(VALU_DEP_2)
	v_add_f64_e32 v[23:24], 1.0, v[21:22]
	v_add_f64_e64 v[13:14], v[7:8], -v[13:14]
	s_delay_alu instid0(VALU_DEP_2) | instskip(NEXT) | instid1(VALU_DEP_2)
	v_add_f64_e64 v[7:8], v[7:8], -v[23:24]
	v_add_f64_e32 v[13:14], v[11:12], v[13:14]
	s_delay_alu instid0(VALU_DEP_2) | instskip(NEXT) | instid1(VALU_DEP_2)
	v_add_f64_e32 v[7:8], v[11:12], v[7:8]
	v_add_f64_e32 v[17:18], v[15:16], v[13:14]
	s_delay_alu instid0(VALU_DEP_2) | instskip(NEXT) | instid1(VALU_DEP_2)
	v_add_f64_e32 v[23:24], v[21:22], v[7:8]
	v_rcp_f64_e32 v[19:20], v[17:18]
	v_add_f64_e64 v[15:16], v[17:18], -v[15:16]
	s_delay_alu instid0(VALU_DEP_2) | instskip(NEXT) | instid1(VALU_DEP_2)
	v_add_f64_e64 v[21:22], v[23:24], -v[21:22]
	v_add_f64_e64 v[13:14], v[13:14], -v[15:16]
	s_delay_alu instid0(TRANS32_DEP_1) | instskip(NEXT) | instid1(VALU_DEP_3)
	v_fma_f64 v[25:26], -v[17:18], v[19:20], 1.0
	v_add_f64_e64 v[7:8], v[7:8], -v[21:22]
	s_delay_alu instid0(VALU_DEP_2) | instskip(NEXT) | instid1(VALU_DEP_1)
	v_fma_f64 v[19:20], v[25:26], v[19:20], v[19:20]
	v_fma_f64 v[11:12], -v[17:18], v[19:20], 1.0
	s_delay_alu instid0(VALU_DEP_1) | instskip(NEXT) | instid1(VALU_DEP_1)
	v_fma_f64 v[11:12], v[11:12], v[19:20], v[19:20]
	v_mul_f64_e32 v[19:20], v[23:24], v[11:12]
	s_delay_alu instid0(VALU_DEP_1) | instskip(NEXT) | instid1(VALU_DEP_1)
	v_mul_f64_e32 v[25:26], v[17:18], v[19:20]
	v_fma_f64 v[15:16], v[19:20], v[17:18], -v[25:26]
	s_delay_alu instid0(VALU_DEP_1) | instskip(NEXT) | instid1(VALU_DEP_1)
	v_fma_f64 v[15:16], v[19:20], v[13:14], v[15:16]
	v_add_f64_e32 v[27:28], v[25:26], v[15:16]
	s_delay_alu instid0(VALU_DEP_1) | instskip(SKIP_1) | instid1(VALU_DEP_2)
	v_add_f64_e64 v[29:30], v[23:24], -v[27:28]
	v_add_f64_e64 v[21:22], v[27:28], -v[25:26]
	;; [unrolled: 1-line block ×3, first 2 shown]
	s_delay_alu instid0(VALU_DEP_2) | instskip(NEXT) | instid1(VALU_DEP_2)
	v_add_f64_e64 v[15:16], v[21:22], -v[15:16]
	v_add_f64_e64 v[23:24], v[23:24], -v[27:28]
	s_delay_alu instid0(VALU_DEP_1) | instskip(NEXT) | instid1(VALU_DEP_1)
	v_add_f64_e32 v[7:8], v[7:8], v[23:24]
	v_add_f64_e32 v[7:8], v[15:16], v[7:8]
	s_delay_alu instid0(VALU_DEP_1) | instskip(NEXT) | instid1(VALU_DEP_1)
	v_add_f64_e32 v[15:16], v[29:30], v[7:8]
	v_mul_f64_e32 v[21:22], v[11:12], v[15:16]
	v_add_f64_e64 v[27:28], v[29:30], -v[15:16]
	s_delay_alu instid0(VALU_DEP_2) | instskip(NEXT) | instid1(VALU_DEP_2)
	v_mul_f64_e32 v[23:24], v[17:18], v[21:22]
	v_add_f64_e32 v[7:8], v[7:8], v[27:28]
	s_delay_alu instid0(VALU_DEP_2) | instskip(NEXT) | instid1(VALU_DEP_1)
	v_fma_f64 v[17:18], v[21:22], v[17:18], -v[23:24]
	v_fma_f64 v[13:14], v[21:22], v[13:14], v[17:18]
	s_delay_alu instid0(VALU_DEP_1) | instskip(NEXT) | instid1(VALU_DEP_1)
	v_add_f64_e32 v[17:18], v[23:24], v[13:14]
	v_add_f64_e64 v[25:26], v[15:16], -v[17:18]
	v_add_f64_e64 v[23:24], v[17:18], -v[23:24]
	s_delay_alu instid0(VALU_DEP_2) | instskip(NEXT) | instid1(VALU_DEP_2)
	v_add_f64_e64 v[15:16], v[15:16], -v[25:26]
	v_add_f64_e64 v[13:14], v[23:24], -v[13:14]
	s_delay_alu instid0(VALU_DEP_2) | instskip(NEXT) | instid1(VALU_DEP_1)
	v_add_f64_e64 v[15:16], v[15:16], -v[17:18]
	v_add_f64_e32 v[7:8], v[7:8], v[15:16]
	v_add_f64_e32 v[15:16], v[19:20], v[21:22]
	s_delay_alu instid0(VALU_DEP_2) | instskip(NEXT) | instid1(VALU_DEP_2)
	v_add_f64_e32 v[7:8], v[13:14], v[7:8]
	v_add_f64_e64 v[13:14], v[15:16], -v[19:20]
	s_delay_alu instid0(VALU_DEP_2) | instskip(NEXT) | instid1(VALU_DEP_2)
	v_add_f64_e32 v[7:8], v[25:26], v[7:8]
	v_add_f64_e64 v[13:14], v[21:22], -v[13:14]
	s_delay_alu instid0(VALU_DEP_2) | instskip(NEXT) | instid1(VALU_DEP_1)
	v_mul_f64_e32 v[7:8], v[11:12], v[7:8]
	v_add_f64_e32 v[7:8], v[13:14], v[7:8]
	s_delay_alu instid0(VALU_DEP_1) | instskip(NEXT) | instid1(VALU_DEP_1)
	v_add_f64_e32 v[11:12], v[15:16], v[7:8]
	v_mul_f64_e32 v[13:14], v[11:12], v[11:12]
	s_delay_alu instid0(VALU_DEP_1) | instskip(SKIP_1) | instid1(VALU_DEP_2)
	v_fma_f64 v[17:18], v[13:14], s[54:55], s[52:53]
	v_mul_f64_e32 v[19:20], v[11:12], v[13:14]
	v_fma_f64 v[17:18], v[13:14], v[17:18], s[56:57]
	s_delay_alu instid0(VALU_DEP_1) | instskip(NEXT) | instid1(VALU_DEP_1)
	v_fma_f64 v[17:18], v[13:14], v[17:18], s[58:59]
	v_fma_f64 v[17:18], v[13:14], v[17:18], s[60:61]
	s_delay_alu instid0(VALU_DEP_1) | instskip(NEXT) | instid1(VALU_DEP_1)
	v_fma_f64 v[17:18], v[13:14], v[17:18], s[62:63]
	v_fma_f64 v[13:14], v[13:14], v[17:18], s[64:65]
	v_ldexp_f64 v[17:18], v[11:12], 1
	v_add_f64_e64 v[11:12], v[11:12], -v[15:16]
	s_delay_alu instid0(VALU_DEP_3) | instskip(SKIP_1) | instid1(VALU_DEP_3)
	v_mul_f64_e32 v[13:14], v[19:20], v[13:14]
	v_cvt_f64_i32_e32 v[19:20], v31
	v_add_f64_e64 v[7:8], v[7:8], -v[11:12]
	s_delay_alu instid0(VALU_DEP_3) | instskip(NEXT) | instid1(VALU_DEP_3)
	v_add_f64_e32 v[15:16], v[17:18], v[13:14]
	v_mul_f64_e32 v[21:22], s[2:3], v[19:20]
	s_delay_alu instid0(VALU_DEP_3) | instskip(NEXT) | instid1(VALU_DEP_3)
	v_ldexp_f64 v[7:8], v[7:8], 1
	v_add_f64_e64 v[11:12], v[15:16], -v[17:18]
	s_delay_alu instid0(VALU_DEP_3) | instskip(SKIP_1) | instid1(VALU_DEP_3)
	v_fma_f64 v[17:18], v[19:20], s[2:3], -v[21:22]
	v_cmp_ngt_f64_e64 s2, -1.0, v[5:6]
	v_add_f64_e64 v[11:12], v[13:14], -v[11:12]
	s_delay_alu instid0(VALU_DEP_3) | instskip(NEXT) | instid1(VALU_DEP_2)
	v_fma_f64 v[13:14], v[19:20], s[66:67], v[17:18]
	v_add_f64_e32 v[7:8], v[7:8], v[11:12]
	s_delay_alu instid0(VALU_DEP_2) | instskip(NEXT) | instid1(VALU_DEP_2)
	v_add_f64_e32 v[11:12], v[21:22], v[13:14]
	v_add_f64_e32 v[17:18], v[15:16], v[7:8]
	s_delay_alu instid0(VALU_DEP_2) | instskip(NEXT) | instid1(VALU_DEP_2)
	v_add_f64_e64 v[21:22], v[11:12], -v[21:22]
	v_add_f64_e32 v[19:20], v[11:12], v[17:18]
	v_add_f64_e64 v[15:16], v[17:18], -v[15:16]
	s_delay_alu instid0(VALU_DEP_3) | instskip(NEXT) | instid1(VALU_DEP_3)
	v_add_f64_e64 v[13:14], v[13:14], -v[21:22]
	v_add_f64_e64 v[23:24], v[19:20], -v[11:12]
	s_delay_alu instid0(VALU_DEP_3) | instskip(NEXT) | instid1(VALU_DEP_2)
	v_add_f64_e64 v[7:8], v[7:8], -v[15:16]
	v_add_f64_e64 v[25:26], v[19:20], -v[23:24]
	;; [unrolled: 1-line block ×3, first 2 shown]
	s_delay_alu instid0(VALU_DEP_3) | instskip(NEXT) | instid1(VALU_DEP_3)
	v_add_f64_e32 v[17:18], v[13:14], v[7:8]
	v_add_f64_e64 v[11:12], v[11:12], -v[25:26]
	s_delay_alu instid0(VALU_DEP_1) | instskip(NEXT) | instid1(VALU_DEP_3)
	v_add_f64_e32 v[11:12], v[15:16], v[11:12]
	v_add_f64_e64 v[15:16], v[17:18], -v[13:14]
	s_delay_alu instid0(VALU_DEP_2) | instskip(NEXT) | instid1(VALU_DEP_2)
	v_add_f64_e32 v[11:12], v[17:18], v[11:12]
	v_add_f64_e64 v[17:18], v[17:18], -v[15:16]
	v_add_f64_e64 v[7:8], v[7:8], -v[15:16]
	s_delay_alu instid0(VALU_DEP_3) | instskip(NEXT) | instid1(VALU_DEP_3)
	v_add_f64_e32 v[21:22], v[19:20], v[11:12]
	v_add_f64_e64 v[13:14], v[13:14], -v[17:18]
	s_delay_alu instid0(VALU_DEP_2) | instskip(NEXT) | instid1(VALU_DEP_2)
	v_add_f64_e64 v[15:16], v[21:22], -v[19:20]
	v_add_f64_e32 v[7:8], v[7:8], v[13:14]
	s_delay_alu instid0(VALU_DEP_2) | instskip(NEXT) | instid1(VALU_DEP_1)
	v_add_f64_e64 v[11:12], v[11:12], -v[15:16]
	v_add_f64_e32 v[7:8], v[7:8], v[11:12]
	s_delay_alu instid0(VALU_DEP_1) | instskip(SKIP_1) | instid1(VALU_DEP_1)
	v_add_f64_e32 v[7:8], v[21:22], v[7:8]
	s_wait_alu 0xfffe
	v_cndmask_b32_e32 v7, 0, v7, vcc_lo
	v_cmp_neq_f64_e32 vcc_lo, -1.0, v[5:6]
	s_delay_alu instid0(VALU_DEP_3) | instskip(SKIP_1) | instid1(VALU_DEP_1)
	v_cndmask_b32_e64 v8, 0x7ff00000, v8, s1
	s_wait_alu 0xf1ff
	v_cndmask_b32_e64 v8, 0x7ff80000, v8, s2
	s_wait_alu 0xfffd
	s_delay_alu instid0(VALU_DEP_1) | instskip(NEXT) | instid1(VALU_DEP_1)
	v_cndmask_b32_e32 v8, 0xfff00000, v8, vcc_lo
	v_add_f64_e32 v[5:6], v[3:4], v[7:8]
	s_branch .LBB86_8
.LBB86_11:
	s_endpgm
	.section	.rodata,"a",@progbits
	.p2align	6, 0x0
	.amdhsa_kernel _ZN2at6native28tensor_kernel_scan_outer_dimIdmZZZNS0_31launch_logcumsumexp_cuda_kernelERKNS_10TensorBaseES4_lENKUlvE_clEvENKUlvE_clEvEUlddE_EEvPT_PKS8_jjjS8_T1_
		.amdhsa_group_segment_fixed_size 0
		.amdhsa_private_segment_fixed_size 0
		.amdhsa_kernarg_size 304
		.amdhsa_user_sgpr_count 2
		.amdhsa_user_sgpr_dispatch_ptr 0
		.amdhsa_user_sgpr_queue_ptr 0
		.amdhsa_user_sgpr_kernarg_segment_ptr 1
		.amdhsa_user_sgpr_dispatch_id 0
		.amdhsa_user_sgpr_private_segment_size 0
		.amdhsa_wavefront_size32 1
		.amdhsa_uses_dynamic_stack 0
		.amdhsa_enable_private_segment 0
		.amdhsa_system_sgpr_workgroup_id_x 1
		.amdhsa_system_sgpr_workgroup_id_y 1
		.amdhsa_system_sgpr_workgroup_id_z 0
		.amdhsa_system_sgpr_workgroup_info 0
		.amdhsa_system_vgpr_workitem_id 0
		.amdhsa_next_free_vgpr 32
		.amdhsa_next_free_sgpr 76
		.amdhsa_reserve_vcc 1
		.amdhsa_float_round_mode_32 0
		.amdhsa_float_round_mode_16_64 0
		.amdhsa_float_denorm_mode_32 3
		.amdhsa_float_denorm_mode_16_64 3
		.amdhsa_fp16_overflow 0
		.amdhsa_workgroup_processor_mode 1
		.amdhsa_memory_ordered 1
		.amdhsa_forward_progress 1
		.amdhsa_inst_pref_size 17
		.amdhsa_round_robin_scheduling 0
		.amdhsa_exception_fp_ieee_invalid_op 0
		.amdhsa_exception_fp_denorm_src 0
		.amdhsa_exception_fp_ieee_div_zero 0
		.amdhsa_exception_fp_ieee_overflow 0
		.amdhsa_exception_fp_ieee_underflow 0
		.amdhsa_exception_fp_ieee_inexact 0
		.amdhsa_exception_int_div_zero 0
	.end_amdhsa_kernel
	.section	.text._ZN2at6native28tensor_kernel_scan_outer_dimIdmZZZNS0_31launch_logcumsumexp_cuda_kernelERKNS_10TensorBaseES4_lENKUlvE_clEvENKUlvE_clEvEUlddE_EEvPT_PKS8_jjjS8_T1_,"axG",@progbits,_ZN2at6native28tensor_kernel_scan_outer_dimIdmZZZNS0_31launch_logcumsumexp_cuda_kernelERKNS_10TensorBaseES4_lENKUlvE_clEvENKUlvE_clEvEUlddE_EEvPT_PKS8_jjjS8_T1_,comdat
.Lfunc_end86:
	.size	_ZN2at6native28tensor_kernel_scan_outer_dimIdmZZZNS0_31launch_logcumsumexp_cuda_kernelERKNS_10TensorBaseES4_lENKUlvE_clEvENKUlvE_clEvEUlddE_EEvPT_PKS8_jjjS8_T1_, .Lfunc_end86-_ZN2at6native28tensor_kernel_scan_outer_dimIdmZZZNS0_31launch_logcumsumexp_cuda_kernelERKNS_10TensorBaseES4_lENKUlvE_clEvENKUlvE_clEvEUlddE_EEvPT_PKS8_jjjS8_T1_
                                        ; -- End function
	.set _ZN2at6native28tensor_kernel_scan_outer_dimIdmZZZNS0_31launch_logcumsumexp_cuda_kernelERKNS_10TensorBaseES4_lENKUlvE_clEvENKUlvE_clEvEUlddE_EEvPT_PKS8_jjjS8_T1_.num_vgpr, 32
	.set _ZN2at6native28tensor_kernel_scan_outer_dimIdmZZZNS0_31launch_logcumsumexp_cuda_kernelERKNS_10TensorBaseES4_lENKUlvE_clEvENKUlvE_clEvEUlddE_EEvPT_PKS8_jjjS8_T1_.num_agpr, 0
	.set _ZN2at6native28tensor_kernel_scan_outer_dimIdmZZZNS0_31launch_logcumsumexp_cuda_kernelERKNS_10TensorBaseES4_lENKUlvE_clEvENKUlvE_clEvEUlddE_EEvPT_PKS8_jjjS8_T1_.numbered_sgpr, 76
	.set _ZN2at6native28tensor_kernel_scan_outer_dimIdmZZZNS0_31launch_logcumsumexp_cuda_kernelERKNS_10TensorBaseES4_lENKUlvE_clEvENKUlvE_clEvEUlddE_EEvPT_PKS8_jjjS8_T1_.num_named_barrier, 0
	.set _ZN2at6native28tensor_kernel_scan_outer_dimIdmZZZNS0_31launch_logcumsumexp_cuda_kernelERKNS_10TensorBaseES4_lENKUlvE_clEvENKUlvE_clEvEUlddE_EEvPT_PKS8_jjjS8_T1_.private_seg_size, 0
	.set _ZN2at6native28tensor_kernel_scan_outer_dimIdmZZZNS0_31launch_logcumsumexp_cuda_kernelERKNS_10TensorBaseES4_lENKUlvE_clEvENKUlvE_clEvEUlddE_EEvPT_PKS8_jjjS8_T1_.uses_vcc, 1
	.set _ZN2at6native28tensor_kernel_scan_outer_dimIdmZZZNS0_31launch_logcumsumexp_cuda_kernelERKNS_10TensorBaseES4_lENKUlvE_clEvENKUlvE_clEvEUlddE_EEvPT_PKS8_jjjS8_T1_.uses_flat_scratch, 0
	.set _ZN2at6native28tensor_kernel_scan_outer_dimIdmZZZNS0_31launch_logcumsumexp_cuda_kernelERKNS_10TensorBaseES4_lENKUlvE_clEvENKUlvE_clEvEUlddE_EEvPT_PKS8_jjjS8_T1_.has_dyn_sized_stack, 0
	.set _ZN2at6native28tensor_kernel_scan_outer_dimIdmZZZNS0_31launch_logcumsumexp_cuda_kernelERKNS_10TensorBaseES4_lENKUlvE_clEvENKUlvE_clEvEUlddE_EEvPT_PKS8_jjjS8_T1_.has_recursion, 0
	.set _ZN2at6native28tensor_kernel_scan_outer_dimIdmZZZNS0_31launch_logcumsumexp_cuda_kernelERKNS_10TensorBaseES4_lENKUlvE_clEvENKUlvE_clEvEUlddE_EEvPT_PKS8_jjjS8_T1_.has_indirect_call, 0
	.section	.AMDGPU.csdata,"",@progbits
; Kernel info:
; codeLenInByte = 2076
; TotalNumSgprs: 78
; NumVgprs: 32
; ScratchSize: 0
; MemoryBound: 0
; FloatMode: 240
; IeeeMode: 1
; LDSByteSize: 0 bytes/workgroup (compile time only)
; SGPRBlocks: 0
; VGPRBlocks: 3
; NumSGPRsForWavesPerEU: 78
; NumVGPRsForWavesPerEU: 32
; Occupancy: 16
; WaveLimiterHint : 0
; COMPUTE_PGM_RSRC2:SCRATCH_EN: 0
; COMPUTE_PGM_RSRC2:USER_SGPR: 2
; COMPUTE_PGM_RSRC2:TRAP_HANDLER: 0
; COMPUTE_PGM_RSRC2:TGID_X_EN: 1
; COMPUTE_PGM_RSRC2:TGID_Y_EN: 1
; COMPUTE_PGM_RSRC2:TGID_Z_EN: 0
; COMPUTE_PGM_RSRC2:TIDIG_COMP_CNT: 0
	.section	.text._ZN7rocprim17ROCPRIM_400000_NS6detail31init_lookback_scan_state_kernelINS1_19lookback_scan_stateIfLb0ELb1EEENS1_16block_id_wrapperIjLb0EEEEEvT_jT0_jPNS7_10value_typeE,"axG",@progbits,_ZN7rocprim17ROCPRIM_400000_NS6detail31init_lookback_scan_state_kernelINS1_19lookback_scan_stateIfLb0ELb1EEENS1_16block_id_wrapperIjLb0EEEEEvT_jT0_jPNS7_10value_typeE,comdat
	.protected	_ZN7rocprim17ROCPRIM_400000_NS6detail31init_lookback_scan_state_kernelINS1_19lookback_scan_stateIfLb0ELb1EEENS1_16block_id_wrapperIjLb0EEEEEvT_jT0_jPNS7_10value_typeE ; -- Begin function _ZN7rocprim17ROCPRIM_400000_NS6detail31init_lookback_scan_state_kernelINS1_19lookback_scan_stateIfLb0ELb1EEENS1_16block_id_wrapperIjLb0EEEEEvT_jT0_jPNS7_10value_typeE
	.globl	_ZN7rocprim17ROCPRIM_400000_NS6detail31init_lookback_scan_state_kernelINS1_19lookback_scan_stateIfLb0ELb1EEENS1_16block_id_wrapperIjLb0EEEEEvT_jT0_jPNS7_10value_typeE
	.p2align	8
	.type	_ZN7rocprim17ROCPRIM_400000_NS6detail31init_lookback_scan_state_kernelINS1_19lookback_scan_stateIfLb0ELb1EEENS1_16block_id_wrapperIjLb0EEEEEvT_jT0_jPNS7_10value_typeE,@function
_ZN7rocprim17ROCPRIM_400000_NS6detail31init_lookback_scan_state_kernelINS1_19lookback_scan_stateIfLb0ELb1EEENS1_16block_id_wrapperIjLb0EEEEEvT_jT0_jPNS7_10value_typeE: ; @_ZN7rocprim17ROCPRIM_400000_NS6detail31init_lookback_scan_state_kernelINS1_19lookback_scan_stateIfLb0ELb1EEENS1_16block_id_wrapperIjLb0EEEEEvT_jT0_jPNS7_10value_typeE
; %bb.0:
	s_clause 0x2
	s_load_b32 s7, s[0:1], 0x2c
	s_load_b64 s[2:3], s[0:1], 0x18
	s_load_b96 s[4:6], s[0:1], 0x0
	s_wait_kmcnt 0x0
	s_and_b32 s7, s7, 0xffff
	s_cmp_eq_u64 s[2:3], 0
	v_mad_co_u64_u32 v[0:1], null, ttmp9, s7, v[0:1]
	s_cbranch_scc1 .LBB87_6
; %bb.1:
	s_load_b32 s0, s[0:1], 0x10
	s_wait_kmcnt 0x0
	s_cmp_lt_u32 s0, s6
	s_cselect_b32 s1, s0, 0
	s_wait_alu 0xfffe
	v_cmp_eq_u32_e32 vcc_lo, s1, v0
	s_mov_b32 s1, 0
	s_and_saveexec_b32 s7, vcc_lo
	s_cbranch_execz .LBB87_5
; %bb.2:
	s_add_co_i32 s0, s0, 32
	v_mov_b32_e32 v3, 0
	s_wait_alu 0xfffe
	s_lshl_b64 s[0:1], s[0:1], 3
	s_wait_alu 0xfffe
	s_add_nc_u64 s[0:1], s[4:5], s[0:1]
	global_load_b64 v[1:2], v3, s[0:1] scope:SCOPE_DEV
	s_wait_loadcnt 0x0
	v_and_b32_e32 v4, 0xff, v2
	s_delay_alu instid0(VALU_DEP_1)
	v_cmp_ne_u64_e32 vcc_lo, 0, v[3:4]
	s_cbranch_vccnz .LBB87_4
.LBB87_3:                               ; =>This Inner Loop Header: Depth=1
	global_load_b64 v[1:2], v3, s[0:1] scope:SCOPE_DEV
	s_wait_loadcnt 0x0
	v_and_b32_e32 v4, 0xff, v2
	s_delay_alu instid0(VALU_DEP_1)
	v_cmp_eq_u64_e32 vcc_lo, 0, v[3:4]
	s_cbranch_vccnz .LBB87_3
.LBB87_4:
	v_mov_b32_e32 v2, 0
	global_store_b32 v2, v1, s[2:3]
.LBB87_5:
	s_wait_alu 0xfffe
	s_or_b32 exec_lo, exec_lo, s7
.LBB87_6:
	s_delay_alu instid0(SALU_CYCLE_1)
	s_mov_b32 s0, exec_lo
	v_cmpx_gt_u32_e64 s6, v0
	s_cbranch_execz .LBB87_8
; %bb.7:
	v_dual_mov_b32 v2, 0 :: v_dual_add_nc_u32 v1, 32, v0
	s_delay_alu instid0(VALU_DEP_1) | instskip(SKIP_1) | instid1(VALU_DEP_2)
	v_lshlrev_b64_e32 v[3:4], 3, v[1:2]
	v_mov_b32_e32 v1, v2
	v_add_co_u32 v3, vcc_lo, s4, v3
	s_delay_alu instid0(VALU_DEP_1)
	v_add_co_ci_u32_e64 v4, null, s5, v4, vcc_lo
	global_store_b64 v[3:4], v[1:2], off
.LBB87_8:
	s_wait_alu 0xfffe
	s_or_b32 exec_lo, exec_lo, s0
	s_delay_alu instid0(SALU_CYCLE_1)
	s_mov_b32 s0, exec_lo
	v_cmpx_gt_u32_e32 32, v0
	s_cbranch_execz .LBB87_10
; %bb.9:
	v_dual_mov_b32 v1, 0 :: v_dual_mov_b32 v4, 0xff
	s_delay_alu instid0(VALU_DEP_1) | instskip(NEXT) | instid1(VALU_DEP_1)
	v_lshlrev_b64_e32 v[2:3], 3, v[0:1]
	v_add_co_u32 v5, vcc_lo, s4, v2
	s_wait_alu 0xfffd
	s_delay_alu instid0(VALU_DEP_2)
	v_add_co_ci_u32_e64 v6, null, s5, v3, vcc_lo
	v_mov_b32_e32 v3, v1
	global_store_b64 v[5:6], v[3:4], off
.LBB87_10:
	s_endpgm
	.section	.rodata,"a",@progbits
	.p2align	6, 0x0
	.amdhsa_kernel _ZN7rocprim17ROCPRIM_400000_NS6detail31init_lookback_scan_state_kernelINS1_19lookback_scan_stateIfLb0ELb1EEENS1_16block_id_wrapperIjLb0EEEEEvT_jT0_jPNS7_10value_typeE
		.amdhsa_group_segment_fixed_size 0
		.amdhsa_private_segment_fixed_size 0
		.amdhsa_kernarg_size 288
		.amdhsa_user_sgpr_count 2
		.amdhsa_user_sgpr_dispatch_ptr 0
		.amdhsa_user_sgpr_queue_ptr 0
		.amdhsa_user_sgpr_kernarg_segment_ptr 1
		.amdhsa_user_sgpr_dispatch_id 0
		.amdhsa_user_sgpr_private_segment_size 0
		.amdhsa_wavefront_size32 1
		.amdhsa_uses_dynamic_stack 0
		.amdhsa_enable_private_segment 0
		.amdhsa_system_sgpr_workgroup_id_x 1
		.amdhsa_system_sgpr_workgroup_id_y 0
		.amdhsa_system_sgpr_workgroup_id_z 0
		.amdhsa_system_sgpr_workgroup_info 0
		.amdhsa_system_vgpr_workitem_id 0
		.amdhsa_next_free_vgpr 7
		.amdhsa_next_free_sgpr 8
		.amdhsa_reserve_vcc 1
		.amdhsa_float_round_mode_32 0
		.amdhsa_float_round_mode_16_64 0
		.amdhsa_float_denorm_mode_32 3
		.amdhsa_float_denorm_mode_16_64 3
		.amdhsa_fp16_overflow 0
		.amdhsa_workgroup_processor_mode 1
		.amdhsa_memory_ordered 1
		.amdhsa_forward_progress 1
		.amdhsa_inst_pref_size 3
		.amdhsa_round_robin_scheduling 0
		.amdhsa_exception_fp_ieee_invalid_op 0
		.amdhsa_exception_fp_denorm_src 0
		.amdhsa_exception_fp_ieee_div_zero 0
		.amdhsa_exception_fp_ieee_overflow 0
		.amdhsa_exception_fp_ieee_underflow 0
		.amdhsa_exception_fp_ieee_inexact 0
		.amdhsa_exception_int_div_zero 0
	.end_amdhsa_kernel
	.section	.text._ZN7rocprim17ROCPRIM_400000_NS6detail31init_lookback_scan_state_kernelINS1_19lookback_scan_stateIfLb0ELb1EEENS1_16block_id_wrapperIjLb0EEEEEvT_jT0_jPNS7_10value_typeE,"axG",@progbits,_ZN7rocprim17ROCPRIM_400000_NS6detail31init_lookback_scan_state_kernelINS1_19lookback_scan_stateIfLb0ELb1EEENS1_16block_id_wrapperIjLb0EEEEEvT_jT0_jPNS7_10value_typeE,comdat
.Lfunc_end87:
	.size	_ZN7rocprim17ROCPRIM_400000_NS6detail31init_lookback_scan_state_kernelINS1_19lookback_scan_stateIfLb0ELb1EEENS1_16block_id_wrapperIjLb0EEEEEvT_jT0_jPNS7_10value_typeE, .Lfunc_end87-_ZN7rocprim17ROCPRIM_400000_NS6detail31init_lookback_scan_state_kernelINS1_19lookback_scan_stateIfLb0ELb1EEENS1_16block_id_wrapperIjLb0EEEEEvT_jT0_jPNS7_10value_typeE
                                        ; -- End function
	.set _ZN7rocprim17ROCPRIM_400000_NS6detail31init_lookback_scan_state_kernelINS1_19lookback_scan_stateIfLb0ELb1EEENS1_16block_id_wrapperIjLb0EEEEEvT_jT0_jPNS7_10value_typeE.num_vgpr, 7
	.set _ZN7rocprim17ROCPRIM_400000_NS6detail31init_lookback_scan_state_kernelINS1_19lookback_scan_stateIfLb0ELb1EEENS1_16block_id_wrapperIjLb0EEEEEvT_jT0_jPNS7_10value_typeE.num_agpr, 0
	.set _ZN7rocprim17ROCPRIM_400000_NS6detail31init_lookback_scan_state_kernelINS1_19lookback_scan_stateIfLb0ELb1EEENS1_16block_id_wrapperIjLb0EEEEEvT_jT0_jPNS7_10value_typeE.numbered_sgpr, 8
	.set _ZN7rocprim17ROCPRIM_400000_NS6detail31init_lookback_scan_state_kernelINS1_19lookback_scan_stateIfLb0ELb1EEENS1_16block_id_wrapperIjLb0EEEEEvT_jT0_jPNS7_10value_typeE.num_named_barrier, 0
	.set _ZN7rocprim17ROCPRIM_400000_NS6detail31init_lookback_scan_state_kernelINS1_19lookback_scan_stateIfLb0ELb1EEENS1_16block_id_wrapperIjLb0EEEEEvT_jT0_jPNS7_10value_typeE.private_seg_size, 0
	.set _ZN7rocprim17ROCPRIM_400000_NS6detail31init_lookback_scan_state_kernelINS1_19lookback_scan_stateIfLb0ELb1EEENS1_16block_id_wrapperIjLb0EEEEEvT_jT0_jPNS7_10value_typeE.uses_vcc, 1
	.set _ZN7rocprim17ROCPRIM_400000_NS6detail31init_lookback_scan_state_kernelINS1_19lookback_scan_stateIfLb0ELb1EEENS1_16block_id_wrapperIjLb0EEEEEvT_jT0_jPNS7_10value_typeE.uses_flat_scratch, 0
	.set _ZN7rocprim17ROCPRIM_400000_NS6detail31init_lookback_scan_state_kernelINS1_19lookback_scan_stateIfLb0ELb1EEENS1_16block_id_wrapperIjLb0EEEEEvT_jT0_jPNS7_10value_typeE.has_dyn_sized_stack, 0
	.set _ZN7rocprim17ROCPRIM_400000_NS6detail31init_lookback_scan_state_kernelINS1_19lookback_scan_stateIfLb0ELb1EEENS1_16block_id_wrapperIjLb0EEEEEvT_jT0_jPNS7_10value_typeE.has_recursion, 0
	.set _ZN7rocprim17ROCPRIM_400000_NS6detail31init_lookback_scan_state_kernelINS1_19lookback_scan_stateIfLb0ELb1EEENS1_16block_id_wrapperIjLb0EEEEEvT_jT0_jPNS7_10value_typeE.has_indirect_call, 0
	.section	.AMDGPU.csdata,"",@progbits
; Kernel info:
; codeLenInByte = 376
; TotalNumSgprs: 10
; NumVgprs: 7
; ScratchSize: 0
; MemoryBound: 0
; FloatMode: 240
; IeeeMode: 1
; LDSByteSize: 0 bytes/workgroup (compile time only)
; SGPRBlocks: 0
; VGPRBlocks: 0
; NumSGPRsForWavesPerEU: 10
; NumVGPRsForWavesPerEU: 7
; Occupancy: 16
; WaveLimiterHint : 0
; COMPUTE_PGM_RSRC2:SCRATCH_EN: 0
; COMPUTE_PGM_RSRC2:USER_SGPR: 2
; COMPUTE_PGM_RSRC2:TRAP_HANDLER: 0
; COMPUTE_PGM_RSRC2:TGID_X_EN: 1
; COMPUTE_PGM_RSRC2:TGID_Y_EN: 0
; COMPUTE_PGM_RSRC2:TGID_Z_EN: 0
; COMPUTE_PGM_RSRC2:TIDIG_COMP_CNT: 0
	.section	.text._ZN7rocprim17ROCPRIM_400000_NS6detail17trampoline_kernelINS0_14default_configENS1_20scan_config_selectorIfEEZZNS1_9scan_implILNS1_25lookback_scan_determinismE0ELb0ELb0ES3_PKfPffZZZN2at6native31launch_logcumsumexp_cuda_kernelERKNSB_10TensorBaseESF_lENKUlvE_clEvENKUlvE0_clEvEUlffE_fEEDaPvRmT3_T4_T5_mT6_P12ihipStream_tbENKUlT_T0_E_clISt17integral_constantIbLb0EESW_EEDaSR_SS_EUlSR_E_NS1_11comp_targetILNS1_3genE0ELNS1_11target_archE4294967295ELNS1_3gpuE0ELNS1_3repE0EEENS1_30default_config_static_selectorELNS0_4arch9wavefront6targetE0EEEvT1_,"axG",@progbits,_ZN7rocprim17ROCPRIM_400000_NS6detail17trampoline_kernelINS0_14default_configENS1_20scan_config_selectorIfEEZZNS1_9scan_implILNS1_25lookback_scan_determinismE0ELb0ELb0ES3_PKfPffZZZN2at6native31launch_logcumsumexp_cuda_kernelERKNSB_10TensorBaseESF_lENKUlvE_clEvENKUlvE0_clEvEUlffE_fEEDaPvRmT3_T4_T5_mT6_P12ihipStream_tbENKUlT_T0_E_clISt17integral_constantIbLb0EESW_EEDaSR_SS_EUlSR_E_NS1_11comp_targetILNS1_3genE0ELNS1_11target_archE4294967295ELNS1_3gpuE0ELNS1_3repE0EEENS1_30default_config_static_selectorELNS0_4arch9wavefront6targetE0EEEvT1_,comdat
	.globl	_ZN7rocprim17ROCPRIM_400000_NS6detail17trampoline_kernelINS0_14default_configENS1_20scan_config_selectorIfEEZZNS1_9scan_implILNS1_25lookback_scan_determinismE0ELb0ELb0ES3_PKfPffZZZN2at6native31launch_logcumsumexp_cuda_kernelERKNSB_10TensorBaseESF_lENKUlvE_clEvENKUlvE0_clEvEUlffE_fEEDaPvRmT3_T4_T5_mT6_P12ihipStream_tbENKUlT_T0_E_clISt17integral_constantIbLb0EESW_EEDaSR_SS_EUlSR_E_NS1_11comp_targetILNS1_3genE0ELNS1_11target_archE4294967295ELNS1_3gpuE0ELNS1_3repE0EEENS1_30default_config_static_selectorELNS0_4arch9wavefront6targetE0EEEvT1_ ; -- Begin function _ZN7rocprim17ROCPRIM_400000_NS6detail17trampoline_kernelINS0_14default_configENS1_20scan_config_selectorIfEEZZNS1_9scan_implILNS1_25lookback_scan_determinismE0ELb0ELb0ES3_PKfPffZZZN2at6native31launch_logcumsumexp_cuda_kernelERKNSB_10TensorBaseESF_lENKUlvE_clEvENKUlvE0_clEvEUlffE_fEEDaPvRmT3_T4_T5_mT6_P12ihipStream_tbENKUlT_T0_E_clISt17integral_constantIbLb0EESW_EEDaSR_SS_EUlSR_E_NS1_11comp_targetILNS1_3genE0ELNS1_11target_archE4294967295ELNS1_3gpuE0ELNS1_3repE0EEENS1_30default_config_static_selectorELNS0_4arch9wavefront6targetE0EEEvT1_
	.p2align	8
	.type	_ZN7rocprim17ROCPRIM_400000_NS6detail17trampoline_kernelINS0_14default_configENS1_20scan_config_selectorIfEEZZNS1_9scan_implILNS1_25lookback_scan_determinismE0ELb0ELb0ES3_PKfPffZZZN2at6native31launch_logcumsumexp_cuda_kernelERKNSB_10TensorBaseESF_lENKUlvE_clEvENKUlvE0_clEvEUlffE_fEEDaPvRmT3_T4_T5_mT6_P12ihipStream_tbENKUlT_T0_E_clISt17integral_constantIbLb0EESW_EEDaSR_SS_EUlSR_E_NS1_11comp_targetILNS1_3genE0ELNS1_11target_archE4294967295ELNS1_3gpuE0ELNS1_3repE0EEENS1_30default_config_static_selectorELNS0_4arch9wavefront6targetE0EEEvT1_,@function
_ZN7rocprim17ROCPRIM_400000_NS6detail17trampoline_kernelINS0_14default_configENS1_20scan_config_selectorIfEEZZNS1_9scan_implILNS1_25lookback_scan_determinismE0ELb0ELb0ES3_PKfPffZZZN2at6native31launch_logcumsumexp_cuda_kernelERKNSB_10TensorBaseESF_lENKUlvE_clEvENKUlvE0_clEvEUlffE_fEEDaPvRmT3_T4_T5_mT6_P12ihipStream_tbENKUlT_T0_E_clISt17integral_constantIbLb0EESW_EEDaSR_SS_EUlSR_E_NS1_11comp_targetILNS1_3genE0ELNS1_11target_archE4294967295ELNS1_3gpuE0ELNS1_3repE0EEENS1_30default_config_static_selectorELNS0_4arch9wavefront6targetE0EEEvT1_: ; @_ZN7rocprim17ROCPRIM_400000_NS6detail17trampoline_kernelINS0_14default_configENS1_20scan_config_selectorIfEEZZNS1_9scan_implILNS1_25lookback_scan_determinismE0ELb0ELb0ES3_PKfPffZZZN2at6native31launch_logcumsumexp_cuda_kernelERKNSB_10TensorBaseESF_lENKUlvE_clEvENKUlvE0_clEvEUlffE_fEEDaPvRmT3_T4_T5_mT6_P12ihipStream_tbENKUlT_T0_E_clISt17integral_constantIbLb0EESW_EEDaSR_SS_EUlSR_E_NS1_11comp_targetILNS1_3genE0ELNS1_11target_archE4294967295ELNS1_3gpuE0ELNS1_3repE0EEENS1_30default_config_static_selectorELNS0_4arch9wavefront6targetE0EEEvT1_
; %bb.0:
	.section	.rodata,"a",@progbits
	.p2align	6, 0x0
	.amdhsa_kernel _ZN7rocprim17ROCPRIM_400000_NS6detail17trampoline_kernelINS0_14default_configENS1_20scan_config_selectorIfEEZZNS1_9scan_implILNS1_25lookback_scan_determinismE0ELb0ELb0ES3_PKfPffZZZN2at6native31launch_logcumsumexp_cuda_kernelERKNSB_10TensorBaseESF_lENKUlvE_clEvENKUlvE0_clEvEUlffE_fEEDaPvRmT3_T4_T5_mT6_P12ihipStream_tbENKUlT_T0_E_clISt17integral_constantIbLb0EESW_EEDaSR_SS_EUlSR_E_NS1_11comp_targetILNS1_3genE0ELNS1_11target_archE4294967295ELNS1_3gpuE0ELNS1_3repE0EEENS1_30default_config_static_selectorELNS0_4arch9wavefront6targetE0EEEvT1_
		.amdhsa_group_segment_fixed_size 0
		.amdhsa_private_segment_fixed_size 0
		.amdhsa_kernarg_size 96
		.amdhsa_user_sgpr_count 2
		.amdhsa_user_sgpr_dispatch_ptr 0
		.amdhsa_user_sgpr_queue_ptr 0
		.amdhsa_user_sgpr_kernarg_segment_ptr 1
		.amdhsa_user_sgpr_dispatch_id 0
		.amdhsa_user_sgpr_private_segment_size 0
		.amdhsa_wavefront_size32 1
		.amdhsa_uses_dynamic_stack 0
		.amdhsa_enable_private_segment 0
		.amdhsa_system_sgpr_workgroup_id_x 1
		.amdhsa_system_sgpr_workgroup_id_y 0
		.amdhsa_system_sgpr_workgroup_id_z 0
		.amdhsa_system_sgpr_workgroup_info 0
		.amdhsa_system_vgpr_workitem_id 0
		.amdhsa_next_free_vgpr 1
		.amdhsa_next_free_sgpr 1
		.amdhsa_reserve_vcc 0
		.amdhsa_float_round_mode_32 0
		.amdhsa_float_round_mode_16_64 0
		.amdhsa_float_denorm_mode_32 3
		.amdhsa_float_denorm_mode_16_64 3
		.amdhsa_fp16_overflow 0
		.amdhsa_workgroup_processor_mode 1
		.amdhsa_memory_ordered 1
		.amdhsa_forward_progress 1
		.amdhsa_inst_pref_size 0
		.amdhsa_round_robin_scheduling 0
		.amdhsa_exception_fp_ieee_invalid_op 0
		.amdhsa_exception_fp_denorm_src 0
		.amdhsa_exception_fp_ieee_div_zero 0
		.amdhsa_exception_fp_ieee_overflow 0
		.amdhsa_exception_fp_ieee_underflow 0
		.amdhsa_exception_fp_ieee_inexact 0
		.amdhsa_exception_int_div_zero 0
	.end_amdhsa_kernel
	.section	.text._ZN7rocprim17ROCPRIM_400000_NS6detail17trampoline_kernelINS0_14default_configENS1_20scan_config_selectorIfEEZZNS1_9scan_implILNS1_25lookback_scan_determinismE0ELb0ELb0ES3_PKfPffZZZN2at6native31launch_logcumsumexp_cuda_kernelERKNSB_10TensorBaseESF_lENKUlvE_clEvENKUlvE0_clEvEUlffE_fEEDaPvRmT3_T4_T5_mT6_P12ihipStream_tbENKUlT_T0_E_clISt17integral_constantIbLb0EESW_EEDaSR_SS_EUlSR_E_NS1_11comp_targetILNS1_3genE0ELNS1_11target_archE4294967295ELNS1_3gpuE0ELNS1_3repE0EEENS1_30default_config_static_selectorELNS0_4arch9wavefront6targetE0EEEvT1_,"axG",@progbits,_ZN7rocprim17ROCPRIM_400000_NS6detail17trampoline_kernelINS0_14default_configENS1_20scan_config_selectorIfEEZZNS1_9scan_implILNS1_25lookback_scan_determinismE0ELb0ELb0ES3_PKfPffZZZN2at6native31launch_logcumsumexp_cuda_kernelERKNSB_10TensorBaseESF_lENKUlvE_clEvENKUlvE0_clEvEUlffE_fEEDaPvRmT3_T4_T5_mT6_P12ihipStream_tbENKUlT_T0_E_clISt17integral_constantIbLb0EESW_EEDaSR_SS_EUlSR_E_NS1_11comp_targetILNS1_3genE0ELNS1_11target_archE4294967295ELNS1_3gpuE0ELNS1_3repE0EEENS1_30default_config_static_selectorELNS0_4arch9wavefront6targetE0EEEvT1_,comdat
.Lfunc_end88:
	.size	_ZN7rocprim17ROCPRIM_400000_NS6detail17trampoline_kernelINS0_14default_configENS1_20scan_config_selectorIfEEZZNS1_9scan_implILNS1_25lookback_scan_determinismE0ELb0ELb0ES3_PKfPffZZZN2at6native31launch_logcumsumexp_cuda_kernelERKNSB_10TensorBaseESF_lENKUlvE_clEvENKUlvE0_clEvEUlffE_fEEDaPvRmT3_T4_T5_mT6_P12ihipStream_tbENKUlT_T0_E_clISt17integral_constantIbLb0EESW_EEDaSR_SS_EUlSR_E_NS1_11comp_targetILNS1_3genE0ELNS1_11target_archE4294967295ELNS1_3gpuE0ELNS1_3repE0EEENS1_30default_config_static_selectorELNS0_4arch9wavefront6targetE0EEEvT1_, .Lfunc_end88-_ZN7rocprim17ROCPRIM_400000_NS6detail17trampoline_kernelINS0_14default_configENS1_20scan_config_selectorIfEEZZNS1_9scan_implILNS1_25lookback_scan_determinismE0ELb0ELb0ES3_PKfPffZZZN2at6native31launch_logcumsumexp_cuda_kernelERKNSB_10TensorBaseESF_lENKUlvE_clEvENKUlvE0_clEvEUlffE_fEEDaPvRmT3_T4_T5_mT6_P12ihipStream_tbENKUlT_T0_E_clISt17integral_constantIbLb0EESW_EEDaSR_SS_EUlSR_E_NS1_11comp_targetILNS1_3genE0ELNS1_11target_archE4294967295ELNS1_3gpuE0ELNS1_3repE0EEENS1_30default_config_static_selectorELNS0_4arch9wavefront6targetE0EEEvT1_
                                        ; -- End function
	.set _ZN7rocprim17ROCPRIM_400000_NS6detail17trampoline_kernelINS0_14default_configENS1_20scan_config_selectorIfEEZZNS1_9scan_implILNS1_25lookback_scan_determinismE0ELb0ELb0ES3_PKfPffZZZN2at6native31launch_logcumsumexp_cuda_kernelERKNSB_10TensorBaseESF_lENKUlvE_clEvENKUlvE0_clEvEUlffE_fEEDaPvRmT3_T4_T5_mT6_P12ihipStream_tbENKUlT_T0_E_clISt17integral_constantIbLb0EESW_EEDaSR_SS_EUlSR_E_NS1_11comp_targetILNS1_3genE0ELNS1_11target_archE4294967295ELNS1_3gpuE0ELNS1_3repE0EEENS1_30default_config_static_selectorELNS0_4arch9wavefront6targetE0EEEvT1_.num_vgpr, 0
	.set _ZN7rocprim17ROCPRIM_400000_NS6detail17trampoline_kernelINS0_14default_configENS1_20scan_config_selectorIfEEZZNS1_9scan_implILNS1_25lookback_scan_determinismE0ELb0ELb0ES3_PKfPffZZZN2at6native31launch_logcumsumexp_cuda_kernelERKNSB_10TensorBaseESF_lENKUlvE_clEvENKUlvE0_clEvEUlffE_fEEDaPvRmT3_T4_T5_mT6_P12ihipStream_tbENKUlT_T0_E_clISt17integral_constantIbLb0EESW_EEDaSR_SS_EUlSR_E_NS1_11comp_targetILNS1_3genE0ELNS1_11target_archE4294967295ELNS1_3gpuE0ELNS1_3repE0EEENS1_30default_config_static_selectorELNS0_4arch9wavefront6targetE0EEEvT1_.num_agpr, 0
	.set _ZN7rocprim17ROCPRIM_400000_NS6detail17trampoline_kernelINS0_14default_configENS1_20scan_config_selectorIfEEZZNS1_9scan_implILNS1_25lookback_scan_determinismE0ELb0ELb0ES3_PKfPffZZZN2at6native31launch_logcumsumexp_cuda_kernelERKNSB_10TensorBaseESF_lENKUlvE_clEvENKUlvE0_clEvEUlffE_fEEDaPvRmT3_T4_T5_mT6_P12ihipStream_tbENKUlT_T0_E_clISt17integral_constantIbLb0EESW_EEDaSR_SS_EUlSR_E_NS1_11comp_targetILNS1_3genE0ELNS1_11target_archE4294967295ELNS1_3gpuE0ELNS1_3repE0EEENS1_30default_config_static_selectorELNS0_4arch9wavefront6targetE0EEEvT1_.numbered_sgpr, 0
	.set _ZN7rocprim17ROCPRIM_400000_NS6detail17trampoline_kernelINS0_14default_configENS1_20scan_config_selectorIfEEZZNS1_9scan_implILNS1_25lookback_scan_determinismE0ELb0ELb0ES3_PKfPffZZZN2at6native31launch_logcumsumexp_cuda_kernelERKNSB_10TensorBaseESF_lENKUlvE_clEvENKUlvE0_clEvEUlffE_fEEDaPvRmT3_T4_T5_mT6_P12ihipStream_tbENKUlT_T0_E_clISt17integral_constantIbLb0EESW_EEDaSR_SS_EUlSR_E_NS1_11comp_targetILNS1_3genE0ELNS1_11target_archE4294967295ELNS1_3gpuE0ELNS1_3repE0EEENS1_30default_config_static_selectorELNS0_4arch9wavefront6targetE0EEEvT1_.num_named_barrier, 0
	.set _ZN7rocprim17ROCPRIM_400000_NS6detail17trampoline_kernelINS0_14default_configENS1_20scan_config_selectorIfEEZZNS1_9scan_implILNS1_25lookback_scan_determinismE0ELb0ELb0ES3_PKfPffZZZN2at6native31launch_logcumsumexp_cuda_kernelERKNSB_10TensorBaseESF_lENKUlvE_clEvENKUlvE0_clEvEUlffE_fEEDaPvRmT3_T4_T5_mT6_P12ihipStream_tbENKUlT_T0_E_clISt17integral_constantIbLb0EESW_EEDaSR_SS_EUlSR_E_NS1_11comp_targetILNS1_3genE0ELNS1_11target_archE4294967295ELNS1_3gpuE0ELNS1_3repE0EEENS1_30default_config_static_selectorELNS0_4arch9wavefront6targetE0EEEvT1_.private_seg_size, 0
	.set _ZN7rocprim17ROCPRIM_400000_NS6detail17trampoline_kernelINS0_14default_configENS1_20scan_config_selectorIfEEZZNS1_9scan_implILNS1_25lookback_scan_determinismE0ELb0ELb0ES3_PKfPffZZZN2at6native31launch_logcumsumexp_cuda_kernelERKNSB_10TensorBaseESF_lENKUlvE_clEvENKUlvE0_clEvEUlffE_fEEDaPvRmT3_T4_T5_mT6_P12ihipStream_tbENKUlT_T0_E_clISt17integral_constantIbLb0EESW_EEDaSR_SS_EUlSR_E_NS1_11comp_targetILNS1_3genE0ELNS1_11target_archE4294967295ELNS1_3gpuE0ELNS1_3repE0EEENS1_30default_config_static_selectorELNS0_4arch9wavefront6targetE0EEEvT1_.uses_vcc, 0
	.set _ZN7rocprim17ROCPRIM_400000_NS6detail17trampoline_kernelINS0_14default_configENS1_20scan_config_selectorIfEEZZNS1_9scan_implILNS1_25lookback_scan_determinismE0ELb0ELb0ES3_PKfPffZZZN2at6native31launch_logcumsumexp_cuda_kernelERKNSB_10TensorBaseESF_lENKUlvE_clEvENKUlvE0_clEvEUlffE_fEEDaPvRmT3_T4_T5_mT6_P12ihipStream_tbENKUlT_T0_E_clISt17integral_constantIbLb0EESW_EEDaSR_SS_EUlSR_E_NS1_11comp_targetILNS1_3genE0ELNS1_11target_archE4294967295ELNS1_3gpuE0ELNS1_3repE0EEENS1_30default_config_static_selectorELNS0_4arch9wavefront6targetE0EEEvT1_.uses_flat_scratch, 0
	.set _ZN7rocprim17ROCPRIM_400000_NS6detail17trampoline_kernelINS0_14default_configENS1_20scan_config_selectorIfEEZZNS1_9scan_implILNS1_25lookback_scan_determinismE0ELb0ELb0ES3_PKfPffZZZN2at6native31launch_logcumsumexp_cuda_kernelERKNSB_10TensorBaseESF_lENKUlvE_clEvENKUlvE0_clEvEUlffE_fEEDaPvRmT3_T4_T5_mT6_P12ihipStream_tbENKUlT_T0_E_clISt17integral_constantIbLb0EESW_EEDaSR_SS_EUlSR_E_NS1_11comp_targetILNS1_3genE0ELNS1_11target_archE4294967295ELNS1_3gpuE0ELNS1_3repE0EEENS1_30default_config_static_selectorELNS0_4arch9wavefront6targetE0EEEvT1_.has_dyn_sized_stack, 0
	.set _ZN7rocprim17ROCPRIM_400000_NS6detail17trampoline_kernelINS0_14default_configENS1_20scan_config_selectorIfEEZZNS1_9scan_implILNS1_25lookback_scan_determinismE0ELb0ELb0ES3_PKfPffZZZN2at6native31launch_logcumsumexp_cuda_kernelERKNSB_10TensorBaseESF_lENKUlvE_clEvENKUlvE0_clEvEUlffE_fEEDaPvRmT3_T4_T5_mT6_P12ihipStream_tbENKUlT_T0_E_clISt17integral_constantIbLb0EESW_EEDaSR_SS_EUlSR_E_NS1_11comp_targetILNS1_3genE0ELNS1_11target_archE4294967295ELNS1_3gpuE0ELNS1_3repE0EEENS1_30default_config_static_selectorELNS0_4arch9wavefront6targetE0EEEvT1_.has_recursion, 0
	.set _ZN7rocprim17ROCPRIM_400000_NS6detail17trampoline_kernelINS0_14default_configENS1_20scan_config_selectorIfEEZZNS1_9scan_implILNS1_25lookback_scan_determinismE0ELb0ELb0ES3_PKfPffZZZN2at6native31launch_logcumsumexp_cuda_kernelERKNSB_10TensorBaseESF_lENKUlvE_clEvENKUlvE0_clEvEUlffE_fEEDaPvRmT3_T4_T5_mT6_P12ihipStream_tbENKUlT_T0_E_clISt17integral_constantIbLb0EESW_EEDaSR_SS_EUlSR_E_NS1_11comp_targetILNS1_3genE0ELNS1_11target_archE4294967295ELNS1_3gpuE0ELNS1_3repE0EEENS1_30default_config_static_selectorELNS0_4arch9wavefront6targetE0EEEvT1_.has_indirect_call, 0
	.section	.AMDGPU.csdata,"",@progbits
; Kernel info:
; codeLenInByte = 0
; TotalNumSgprs: 0
; NumVgprs: 0
; ScratchSize: 0
; MemoryBound: 0
; FloatMode: 240
; IeeeMode: 1
; LDSByteSize: 0 bytes/workgroup (compile time only)
; SGPRBlocks: 0
; VGPRBlocks: 0
; NumSGPRsForWavesPerEU: 1
; NumVGPRsForWavesPerEU: 1
; Occupancy: 16
; WaveLimiterHint : 0
; COMPUTE_PGM_RSRC2:SCRATCH_EN: 0
; COMPUTE_PGM_RSRC2:USER_SGPR: 2
; COMPUTE_PGM_RSRC2:TRAP_HANDLER: 0
; COMPUTE_PGM_RSRC2:TGID_X_EN: 1
; COMPUTE_PGM_RSRC2:TGID_Y_EN: 0
; COMPUTE_PGM_RSRC2:TGID_Z_EN: 0
; COMPUTE_PGM_RSRC2:TIDIG_COMP_CNT: 0
	.section	.text._ZN7rocprim17ROCPRIM_400000_NS6detail17trampoline_kernelINS0_14default_configENS1_20scan_config_selectorIfEEZZNS1_9scan_implILNS1_25lookback_scan_determinismE0ELb0ELb0ES3_PKfPffZZZN2at6native31launch_logcumsumexp_cuda_kernelERKNSB_10TensorBaseESF_lENKUlvE_clEvENKUlvE0_clEvEUlffE_fEEDaPvRmT3_T4_T5_mT6_P12ihipStream_tbENKUlT_T0_E_clISt17integral_constantIbLb0EESW_EEDaSR_SS_EUlSR_E_NS1_11comp_targetILNS1_3genE5ELNS1_11target_archE942ELNS1_3gpuE9ELNS1_3repE0EEENS1_30default_config_static_selectorELNS0_4arch9wavefront6targetE0EEEvT1_,"axG",@progbits,_ZN7rocprim17ROCPRIM_400000_NS6detail17trampoline_kernelINS0_14default_configENS1_20scan_config_selectorIfEEZZNS1_9scan_implILNS1_25lookback_scan_determinismE0ELb0ELb0ES3_PKfPffZZZN2at6native31launch_logcumsumexp_cuda_kernelERKNSB_10TensorBaseESF_lENKUlvE_clEvENKUlvE0_clEvEUlffE_fEEDaPvRmT3_T4_T5_mT6_P12ihipStream_tbENKUlT_T0_E_clISt17integral_constantIbLb0EESW_EEDaSR_SS_EUlSR_E_NS1_11comp_targetILNS1_3genE5ELNS1_11target_archE942ELNS1_3gpuE9ELNS1_3repE0EEENS1_30default_config_static_selectorELNS0_4arch9wavefront6targetE0EEEvT1_,comdat
	.globl	_ZN7rocprim17ROCPRIM_400000_NS6detail17trampoline_kernelINS0_14default_configENS1_20scan_config_selectorIfEEZZNS1_9scan_implILNS1_25lookback_scan_determinismE0ELb0ELb0ES3_PKfPffZZZN2at6native31launch_logcumsumexp_cuda_kernelERKNSB_10TensorBaseESF_lENKUlvE_clEvENKUlvE0_clEvEUlffE_fEEDaPvRmT3_T4_T5_mT6_P12ihipStream_tbENKUlT_T0_E_clISt17integral_constantIbLb0EESW_EEDaSR_SS_EUlSR_E_NS1_11comp_targetILNS1_3genE5ELNS1_11target_archE942ELNS1_3gpuE9ELNS1_3repE0EEENS1_30default_config_static_selectorELNS0_4arch9wavefront6targetE0EEEvT1_ ; -- Begin function _ZN7rocprim17ROCPRIM_400000_NS6detail17trampoline_kernelINS0_14default_configENS1_20scan_config_selectorIfEEZZNS1_9scan_implILNS1_25lookback_scan_determinismE0ELb0ELb0ES3_PKfPffZZZN2at6native31launch_logcumsumexp_cuda_kernelERKNSB_10TensorBaseESF_lENKUlvE_clEvENKUlvE0_clEvEUlffE_fEEDaPvRmT3_T4_T5_mT6_P12ihipStream_tbENKUlT_T0_E_clISt17integral_constantIbLb0EESW_EEDaSR_SS_EUlSR_E_NS1_11comp_targetILNS1_3genE5ELNS1_11target_archE942ELNS1_3gpuE9ELNS1_3repE0EEENS1_30default_config_static_selectorELNS0_4arch9wavefront6targetE0EEEvT1_
	.p2align	8
	.type	_ZN7rocprim17ROCPRIM_400000_NS6detail17trampoline_kernelINS0_14default_configENS1_20scan_config_selectorIfEEZZNS1_9scan_implILNS1_25lookback_scan_determinismE0ELb0ELb0ES3_PKfPffZZZN2at6native31launch_logcumsumexp_cuda_kernelERKNSB_10TensorBaseESF_lENKUlvE_clEvENKUlvE0_clEvEUlffE_fEEDaPvRmT3_T4_T5_mT6_P12ihipStream_tbENKUlT_T0_E_clISt17integral_constantIbLb0EESW_EEDaSR_SS_EUlSR_E_NS1_11comp_targetILNS1_3genE5ELNS1_11target_archE942ELNS1_3gpuE9ELNS1_3repE0EEENS1_30default_config_static_selectorELNS0_4arch9wavefront6targetE0EEEvT1_,@function
_ZN7rocprim17ROCPRIM_400000_NS6detail17trampoline_kernelINS0_14default_configENS1_20scan_config_selectorIfEEZZNS1_9scan_implILNS1_25lookback_scan_determinismE0ELb0ELb0ES3_PKfPffZZZN2at6native31launch_logcumsumexp_cuda_kernelERKNSB_10TensorBaseESF_lENKUlvE_clEvENKUlvE0_clEvEUlffE_fEEDaPvRmT3_T4_T5_mT6_P12ihipStream_tbENKUlT_T0_E_clISt17integral_constantIbLb0EESW_EEDaSR_SS_EUlSR_E_NS1_11comp_targetILNS1_3genE5ELNS1_11target_archE942ELNS1_3gpuE9ELNS1_3repE0EEENS1_30default_config_static_selectorELNS0_4arch9wavefront6targetE0EEEvT1_: ; @_ZN7rocprim17ROCPRIM_400000_NS6detail17trampoline_kernelINS0_14default_configENS1_20scan_config_selectorIfEEZZNS1_9scan_implILNS1_25lookback_scan_determinismE0ELb0ELb0ES3_PKfPffZZZN2at6native31launch_logcumsumexp_cuda_kernelERKNSB_10TensorBaseESF_lENKUlvE_clEvENKUlvE0_clEvEUlffE_fEEDaPvRmT3_T4_T5_mT6_P12ihipStream_tbENKUlT_T0_E_clISt17integral_constantIbLb0EESW_EEDaSR_SS_EUlSR_E_NS1_11comp_targetILNS1_3genE5ELNS1_11target_archE942ELNS1_3gpuE9ELNS1_3repE0EEENS1_30default_config_static_selectorELNS0_4arch9wavefront6targetE0EEEvT1_
; %bb.0:
	.section	.rodata,"a",@progbits
	.p2align	6, 0x0
	.amdhsa_kernel _ZN7rocprim17ROCPRIM_400000_NS6detail17trampoline_kernelINS0_14default_configENS1_20scan_config_selectorIfEEZZNS1_9scan_implILNS1_25lookback_scan_determinismE0ELb0ELb0ES3_PKfPffZZZN2at6native31launch_logcumsumexp_cuda_kernelERKNSB_10TensorBaseESF_lENKUlvE_clEvENKUlvE0_clEvEUlffE_fEEDaPvRmT3_T4_T5_mT6_P12ihipStream_tbENKUlT_T0_E_clISt17integral_constantIbLb0EESW_EEDaSR_SS_EUlSR_E_NS1_11comp_targetILNS1_3genE5ELNS1_11target_archE942ELNS1_3gpuE9ELNS1_3repE0EEENS1_30default_config_static_selectorELNS0_4arch9wavefront6targetE0EEEvT1_
		.amdhsa_group_segment_fixed_size 0
		.amdhsa_private_segment_fixed_size 0
		.amdhsa_kernarg_size 96
		.amdhsa_user_sgpr_count 2
		.amdhsa_user_sgpr_dispatch_ptr 0
		.amdhsa_user_sgpr_queue_ptr 0
		.amdhsa_user_sgpr_kernarg_segment_ptr 1
		.amdhsa_user_sgpr_dispatch_id 0
		.amdhsa_user_sgpr_private_segment_size 0
		.amdhsa_wavefront_size32 1
		.amdhsa_uses_dynamic_stack 0
		.amdhsa_enable_private_segment 0
		.amdhsa_system_sgpr_workgroup_id_x 1
		.amdhsa_system_sgpr_workgroup_id_y 0
		.amdhsa_system_sgpr_workgroup_id_z 0
		.amdhsa_system_sgpr_workgroup_info 0
		.amdhsa_system_vgpr_workitem_id 0
		.amdhsa_next_free_vgpr 1
		.amdhsa_next_free_sgpr 1
		.amdhsa_reserve_vcc 0
		.amdhsa_float_round_mode_32 0
		.amdhsa_float_round_mode_16_64 0
		.amdhsa_float_denorm_mode_32 3
		.amdhsa_float_denorm_mode_16_64 3
		.amdhsa_fp16_overflow 0
		.amdhsa_workgroup_processor_mode 1
		.amdhsa_memory_ordered 1
		.amdhsa_forward_progress 1
		.amdhsa_inst_pref_size 0
		.amdhsa_round_robin_scheduling 0
		.amdhsa_exception_fp_ieee_invalid_op 0
		.amdhsa_exception_fp_denorm_src 0
		.amdhsa_exception_fp_ieee_div_zero 0
		.amdhsa_exception_fp_ieee_overflow 0
		.amdhsa_exception_fp_ieee_underflow 0
		.amdhsa_exception_fp_ieee_inexact 0
		.amdhsa_exception_int_div_zero 0
	.end_amdhsa_kernel
	.section	.text._ZN7rocprim17ROCPRIM_400000_NS6detail17trampoline_kernelINS0_14default_configENS1_20scan_config_selectorIfEEZZNS1_9scan_implILNS1_25lookback_scan_determinismE0ELb0ELb0ES3_PKfPffZZZN2at6native31launch_logcumsumexp_cuda_kernelERKNSB_10TensorBaseESF_lENKUlvE_clEvENKUlvE0_clEvEUlffE_fEEDaPvRmT3_T4_T5_mT6_P12ihipStream_tbENKUlT_T0_E_clISt17integral_constantIbLb0EESW_EEDaSR_SS_EUlSR_E_NS1_11comp_targetILNS1_3genE5ELNS1_11target_archE942ELNS1_3gpuE9ELNS1_3repE0EEENS1_30default_config_static_selectorELNS0_4arch9wavefront6targetE0EEEvT1_,"axG",@progbits,_ZN7rocprim17ROCPRIM_400000_NS6detail17trampoline_kernelINS0_14default_configENS1_20scan_config_selectorIfEEZZNS1_9scan_implILNS1_25lookback_scan_determinismE0ELb0ELb0ES3_PKfPffZZZN2at6native31launch_logcumsumexp_cuda_kernelERKNSB_10TensorBaseESF_lENKUlvE_clEvENKUlvE0_clEvEUlffE_fEEDaPvRmT3_T4_T5_mT6_P12ihipStream_tbENKUlT_T0_E_clISt17integral_constantIbLb0EESW_EEDaSR_SS_EUlSR_E_NS1_11comp_targetILNS1_3genE5ELNS1_11target_archE942ELNS1_3gpuE9ELNS1_3repE0EEENS1_30default_config_static_selectorELNS0_4arch9wavefront6targetE0EEEvT1_,comdat
.Lfunc_end89:
	.size	_ZN7rocprim17ROCPRIM_400000_NS6detail17trampoline_kernelINS0_14default_configENS1_20scan_config_selectorIfEEZZNS1_9scan_implILNS1_25lookback_scan_determinismE0ELb0ELb0ES3_PKfPffZZZN2at6native31launch_logcumsumexp_cuda_kernelERKNSB_10TensorBaseESF_lENKUlvE_clEvENKUlvE0_clEvEUlffE_fEEDaPvRmT3_T4_T5_mT6_P12ihipStream_tbENKUlT_T0_E_clISt17integral_constantIbLb0EESW_EEDaSR_SS_EUlSR_E_NS1_11comp_targetILNS1_3genE5ELNS1_11target_archE942ELNS1_3gpuE9ELNS1_3repE0EEENS1_30default_config_static_selectorELNS0_4arch9wavefront6targetE0EEEvT1_, .Lfunc_end89-_ZN7rocprim17ROCPRIM_400000_NS6detail17trampoline_kernelINS0_14default_configENS1_20scan_config_selectorIfEEZZNS1_9scan_implILNS1_25lookback_scan_determinismE0ELb0ELb0ES3_PKfPffZZZN2at6native31launch_logcumsumexp_cuda_kernelERKNSB_10TensorBaseESF_lENKUlvE_clEvENKUlvE0_clEvEUlffE_fEEDaPvRmT3_T4_T5_mT6_P12ihipStream_tbENKUlT_T0_E_clISt17integral_constantIbLb0EESW_EEDaSR_SS_EUlSR_E_NS1_11comp_targetILNS1_3genE5ELNS1_11target_archE942ELNS1_3gpuE9ELNS1_3repE0EEENS1_30default_config_static_selectorELNS0_4arch9wavefront6targetE0EEEvT1_
                                        ; -- End function
	.set _ZN7rocprim17ROCPRIM_400000_NS6detail17trampoline_kernelINS0_14default_configENS1_20scan_config_selectorIfEEZZNS1_9scan_implILNS1_25lookback_scan_determinismE0ELb0ELb0ES3_PKfPffZZZN2at6native31launch_logcumsumexp_cuda_kernelERKNSB_10TensorBaseESF_lENKUlvE_clEvENKUlvE0_clEvEUlffE_fEEDaPvRmT3_T4_T5_mT6_P12ihipStream_tbENKUlT_T0_E_clISt17integral_constantIbLb0EESW_EEDaSR_SS_EUlSR_E_NS1_11comp_targetILNS1_3genE5ELNS1_11target_archE942ELNS1_3gpuE9ELNS1_3repE0EEENS1_30default_config_static_selectorELNS0_4arch9wavefront6targetE0EEEvT1_.num_vgpr, 0
	.set _ZN7rocprim17ROCPRIM_400000_NS6detail17trampoline_kernelINS0_14default_configENS1_20scan_config_selectorIfEEZZNS1_9scan_implILNS1_25lookback_scan_determinismE0ELb0ELb0ES3_PKfPffZZZN2at6native31launch_logcumsumexp_cuda_kernelERKNSB_10TensorBaseESF_lENKUlvE_clEvENKUlvE0_clEvEUlffE_fEEDaPvRmT3_T4_T5_mT6_P12ihipStream_tbENKUlT_T0_E_clISt17integral_constantIbLb0EESW_EEDaSR_SS_EUlSR_E_NS1_11comp_targetILNS1_3genE5ELNS1_11target_archE942ELNS1_3gpuE9ELNS1_3repE0EEENS1_30default_config_static_selectorELNS0_4arch9wavefront6targetE0EEEvT1_.num_agpr, 0
	.set _ZN7rocprim17ROCPRIM_400000_NS6detail17trampoline_kernelINS0_14default_configENS1_20scan_config_selectorIfEEZZNS1_9scan_implILNS1_25lookback_scan_determinismE0ELb0ELb0ES3_PKfPffZZZN2at6native31launch_logcumsumexp_cuda_kernelERKNSB_10TensorBaseESF_lENKUlvE_clEvENKUlvE0_clEvEUlffE_fEEDaPvRmT3_T4_T5_mT6_P12ihipStream_tbENKUlT_T0_E_clISt17integral_constantIbLb0EESW_EEDaSR_SS_EUlSR_E_NS1_11comp_targetILNS1_3genE5ELNS1_11target_archE942ELNS1_3gpuE9ELNS1_3repE0EEENS1_30default_config_static_selectorELNS0_4arch9wavefront6targetE0EEEvT1_.numbered_sgpr, 0
	.set _ZN7rocprim17ROCPRIM_400000_NS6detail17trampoline_kernelINS0_14default_configENS1_20scan_config_selectorIfEEZZNS1_9scan_implILNS1_25lookback_scan_determinismE0ELb0ELb0ES3_PKfPffZZZN2at6native31launch_logcumsumexp_cuda_kernelERKNSB_10TensorBaseESF_lENKUlvE_clEvENKUlvE0_clEvEUlffE_fEEDaPvRmT3_T4_T5_mT6_P12ihipStream_tbENKUlT_T0_E_clISt17integral_constantIbLb0EESW_EEDaSR_SS_EUlSR_E_NS1_11comp_targetILNS1_3genE5ELNS1_11target_archE942ELNS1_3gpuE9ELNS1_3repE0EEENS1_30default_config_static_selectorELNS0_4arch9wavefront6targetE0EEEvT1_.num_named_barrier, 0
	.set _ZN7rocprim17ROCPRIM_400000_NS6detail17trampoline_kernelINS0_14default_configENS1_20scan_config_selectorIfEEZZNS1_9scan_implILNS1_25lookback_scan_determinismE0ELb0ELb0ES3_PKfPffZZZN2at6native31launch_logcumsumexp_cuda_kernelERKNSB_10TensorBaseESF_lENKUlvE_clEvENKUlvE0_clEvEUlffE_fEEDaPvRmT3_T4_T5_mT6_P12ihipStream_tbENKUlT_T0_E_clISt17integral_constantIbLb0EESW_EEDaSR_SS_EUlSR_E_NS1_11comp_targetILNS1_3genE5ELNS1_11target_archE942ELNS1_3gpuE9ELNS1_3repE0EEENS1_30default_config_static_selectorELNS0_4arch9wavefront6targetE0EEEvT1_.private_seg_size, 0
	.set _ZN7rocprim17ROCPRIM_400000_NS6detail17trampoline_kernelINS0_14default_configENS1_20scan_config_selectorIfEEZZNS1_9scan_implILNS1_25lookback_scan_determinismE0ELb0ELb0ES3_PKfPffZZZN2at6native31launch_logcumsumexp_cuda_kernelERKNSB_10TensorBaseESF_lENKUlvE_clEvENKUlvE0_clEvEUlffE_fEEDaPvRmT3_T4_T5_mT6_P12ihipStream_tbENKUlT_T0_E_clISt17integral_constantIbLb0EESW_EEDaSR_SS_EUlSR_E_NS1_11comp_targetILNS1_3genE5ELNS1_11target_archE942ELNS1_3gpuE9ELNS1_3repE0EEENS1_30default_config_static_selectorELNS0_4arch9wavefront6targetE0EEEvT1_.uses_vcc, 0
	.set _ZN7rocprim17ROCPRIM_400000_NS6detail17trampoline_kernelINS0_14default_configENS1_20scan_config_selectorIfEEZZNS1_9scan_implILNS1_25lookback_scan_determinismE0ELb0ELb0ES3_PKfPffZZZN2at6native31launch_logcumsumexp_cuda_kernelERKNSB_10TensorBaseESF_lENKUlvE_clEvENKUlvE0_clEvEUlffE_fEEDaPvRmT3_T4_T5_mT6_P12ihipStream_tbENKUlT_T0_E_clISt17integral_constantIbLb0EESW_EEDaSR_SS_EUlSR_E_NS1_11comp_targetILNS1_3genE5ELNS1_11target_archE942ELNS1_3gpuE9ELNS1_3repE0EEENS1_30default_config_static_selectorELNS0_4arch9wavefront6targetE0EEEvT1_.uses_flat_scratch, 0
	.set _ZN7rocprim17ROCPRIM_400000_NS6detail17trampoline_kernelINS0_14default_configENS1_20scan_config_selectorIfEEZZNS1_9scan_implILNS1_25lookback_scan_determinismE0ELb0ELb0ES3_PKfPffZZZN2at6native31launch_logcumsumexp_cuda_kernelERKNSB_10TensorBaseESF_lENKUlvE_clEvENKUlvE0_clEvEUlffE_fEEDaPvRmT3_T4_T5_mT6_P12ihipStream_tbENKUlT_T0_E_clISt17integral_constantIbLb0EESW_EEDaSR_SS_EUlSR_E_NS1_11comp_targetILNS1_3genE5ELNS1_11target_archE942ELNS1_3gpuE9ELNS1_3repE0EEENS1_30default_config_static_selectorELNS0_4arch9wavefront6targetE0EEEvT1_.has_dyn_sized_stack, 0
	.set _ZN7rocprim17ROCPRIM_400000_NS6detail17trampoline_kernelINS0_14default_configENS1_20scan_config_selectorIfEEZZNS1_9scan_implILNS1_25lookback_scan_determinismE0ELb0ELb0ES3_PKfPffZZZN2at6native31launch_logcumsumexp_cuda_kernelERKNSB_10TensorBaseESF_lENKUlvE_clEvENKUlvE0_clEvEUlffE_fEEDaPvRmT3_T4_T5_mT6_P12ihipStream_tbENKUlT_T0_E_clISt17integral_constantIbLb0EESW_EEDaSR_SS_EUlSR_E_NS1_11comp_targetILNS1_3genE5ELNS1_11target_archE942ELNS1_3gpuE9ELNS1_3repE0EEENS1_30default_config_static_selectorELNS0_4arch9wavefront6targetE0EEEvT1_.has_recursion, 0
	.set _ZN7rocprim17ROCPRIM_400000_NS6detail17trampoline_kernelINS0_14default_configENS1_20scan_config_selectorIfEEZZNS1_9scan_implILNS1_25lookback_scan_determinismE0ELb0ELb0ES3_PKfPffZZZN2at6native31launch_logcumsumexp_cuda_kernelERKNSB_10TensorBaseESF_lENKUlvE_clEvENKUlvE0_clEvEUlffE_fEEDaPvRmT3_T4_T5_mT6_P12ihipStream_tbENKUlT_T0_E_clISt17integral_constantIbLb0EESW_EEDaSR_SS_EUlSR_E_NS1_11comp_targetILNS1_3genE5ELNS1_11target_archE942ELNS1_3gpuE9ELNS1_3repE0EEENS1_30default_config_static_selectorELNS0_4arch9wavefront6targetE0EEEvT1_.has_indirect_call, 0
	.section	.AMDGPU.csdata,"",@progbits
; Kernel info:
; codeLenInByte = 0
; TotalNumSgprs: 0
; NumVgprs: 0
; ScratchSize: 0
; MemoryBound: 0
; FloatMode: 240
; IeeeMode: 1
; LDSByteSize: 0 bytes/workgroup (compile time only)
; SGPRBlocks: 0
; VGPRBlocks: 0
; NumSGPRsForWavesPerEU: 1
; NumVGPRsForWavesPerEU: 1
; Occupancy: 16
; WaveLimiterHint : 0
; COMPUTE_PGM_RSRC2:SCRATCH_EN: 0
; COMPUTE_PGM_RSRC2:USER_SGPR: 2
; COMPUTE_PGM_RSRC2:TRAP_HANDLER: 0
; COMPUTE_PGM_RSRC2:TGID_X_EN: 1
; COMPUTE_PGM_RSRC2:TGID_Y_EN: 0
; COMPUTE_PGM_RSRC2:TGID_Z_EN: 0
; COMPUTE_PGM_RSRC2:TIDIG_COMP_CNT: 0
	.section	.text._ZN7rocprim17ROCPRIM_400000_NS6detail17trampoline_kernelINS0_14default_configENS1_20scan_config_selectorIfEEZZNS1_9scan_implILNS1_25lookback_scan_determinismE0ELb0ELb0ES3_PKfPffZZZN2at6native31launch_logcumsumexp_cuda_kernelERKNSB_10TensorBaseESF_lENKUlvE_clEvENKUlvE0_clEvEUlffE_fEEDaPvRmT3_T4_T5_mT6_P12ihipStream_tbENKUlT_T0_E_clISt17integral_constantIbLb0EESW_EEDaSR_SS_EUlSR_E_NS1_11comp_targetILNS1_3genE4ELNS1_11target_archE910ELNS1_3gpuE8ELNS1_3repE0EEENS1_30default_config_static_selectorELNS0_4arch9wavefront6targetE0EEEvT1_,"axG",@progbits,_ZN7rocprim17ROCPRIM_400000_NS6detail17trampoline_kernelINS0_14default_configENS1_20scan_config_selectorIfEEZZNS1_9scan_implILNS1_25lookback_scan_determinismE0ELb0ELb0ES3_PKfPffZZZN2at6native31launch_logcumsumexp_cuda_kernelERKNSB_10TensorBaseESF_lENKUlvE_clEvENKUlvE0_clEvEUlffE_fEEDaPvRmT3_T4_T5_mT6_P12ihipStream_tbENKUlT_T0_E_clISt17integral_constantIbLb0EESW_EEDaSR_SS_EUlSR_E_NS1_11comp_targetILNS1_3genE4ELNS1_11target_archE910ELNS1_3gpuE8ELNS1_3repE0EEENS1_30default_config_static_selectorELNS0_4arch9wavefront6targetE0EEEvT1_,comdat
	.globl	_ZN7rocprim17ROCPRIM_400000_NS6detail17trampoline_kernelINS0_14default_configENS1_20scan_config_selectorIfEEZZNS1_9scan_implILNS1_25lookback_scan_determinismE0ELb0ELb0ES3_PKfPffZZZN2at6native31launch_logcumsumexp_cuda_kernelERKNSB_10TensorBaseESF_lENKUlvE_clEvENKUlvE0_clEvEUlffE_fEEDaPvRmT3_T4_T5_mT6_P12ihipStream_tbENKUlT_T0_E_clISt17integral_constantIbLb0EESW_EEDaSR_SS_EUlSR_E_NS1_11comp_targetILNS1_3genE4ELNS1_11target_archE910ELNS1_3gpuE8ELNS1_3repE0EEENS1_30default_config_static_selectorELNS0_4arch9wavefront6targetE0EEEvT1_ ; -- Begin function _ZN7rocprim17ROCPRIM_400000_NS6detail17trampoline_kernelINS0_14default_configENS1_20scan_config_selectorIfEEZZNS1_9scan_implILNS1_25lookback_scan_determinismE0ELb0ELb0ES3_PKfPffZZZN2at6native31launch_logcumsumexp_cuda_kernelERKNSB_10TensorBaseESF_lENKUlvE_clEvENKUlvE0_clEvEUlffE_fEEDaPvRmT3_T4_T5_mT6_P12ihipStream_tbENKUlT_T0_E_clISt17integral_constantIbLb0EESW_EEDaSR_SS_EUlSR_E_NS1_11comp_targetILNS1_3genE4ELNS1_11target_archE910ELNS1_3gpuE8ELNS1_3repE0EEENS1_30default_config_static_selectorELNS0_4arch9wavefront6targetE0EEEvT1_
	.p2align	8
	.type	_ZN7rocprim17ROCPRIM_400000_NS6detail17trampoline_kernelINS0_14default_configENS1_20scan_config_selectorIfEEZZNS1_9scan_implILNS1_25lookback_scan_determinismE0ELb0ELb0ES3_PKfPffZZZN2at6native31launch_logcumsumexp_cuda_kernelERKNSB_10TensorBaseESF_lENKUlvE_clEvENKUlvE0_clEvEUlffE_fEEDaPvRmT3_T4_T5_mT6_P12ihipStream_tbENKUlT_T0_E_clISt17integral_constantIbLb0EESW_EEDaSR_SS_EUlSR_E_NS1_11comp_targetILNS1_3genE4ELNS1_11target_archE910ELNS1_3gpuE8ELNS1_3repE0EEENS1_30default_config_static_selectorELNS0_4arch9wavefront6targetE0EEEvT1_,@function
_ZN7rocprim17ROCPRIM_400000_NS6detail17trampoline_kernelINS0_14default_configENS1_20scan_config_selectorIfEEZZNS1_9scan_implILNS1_25lookback_scan_determinismE0ELb0ELb0ES3_PKfPffZZZN2at6native31launch_logcumsumexp_cuda_kernelERKNSB_10TensorBaseESF_lENKUlvE_clEvENKUlvE0_clEvEUlffE_fEEDaPvRmT3_T4_T5_mT6_P12ihipStream_tbENKUlT_T0_E_clISt17integral_constantIbLb0EESW_EEDaSR_SS_EUlSR_E_NS1_11comp_targetILNS1_3genE4ELNS1_11target_archE910ELNS1_3gpuE8ELNS1_3repE0EEENS1_30default_config_static_selectorELNS0_4arch9wavefront6targetE0EEEvT1_: ; @_ZN7rocprim17ROCPRIM_400000_NS6detail17trampoline_kernelINS0_14default_configENS1_20scan_config_selectorIfEEZZNS1_9scan_implILNS1_25lookback_scan_determinismE0ELb0ELb0ES3_PKfPffZZZN2at6native31launch_logcumsumexp_cuda_kernelERKNSB_10TensorBaseESF_lENKUlvE_clEvENKUlvE0_clEvEUlffE_fEEDaPvRmT3_T4_T5_mT6_P12ihipStream_tbENKUlT_T0_E_clISt17integral_constantIbLb0EESW_EEDaSR_SS_EUlSR_E_NS1_11comp_targetILNS1_3genE4ELNS1_11target_archE910ELNS1_3gpuE8ELNS1_3repE0EEENS1_30default_config_static_selectorELNS0_4arch9wavefront6targetE0EEEvT1_
; %bb.0:
	.section	.rodata,"a",@progbits
	.p2align	6, 0x0
	.amdhsa_kernel _ZN7rocprim17ROCPRIM_400000_NS6detail17trampoline_kernelINS0_14default_configENS1_20scan_config_selectorIfEEZZNS1_9scan_implILNS1_25lookback_scan_determinismE0ELb0ELb0ES3_PKfPffZZZN2at6native31launch_logcumsumexp_cuda_kernelERKNSB_10TensorBaseESF_lENKUlvE_clEvENKUlvE0_clEvEUlffE_fEEDaPvRmT3_T4_T5_mT6_P12ihipStream_tbENKUlT_T0_E_clISt17integral_constantIbLb0EESW_EEDaSR_SS_EUlSR_E_NS1_11comp_targetILNS1_3genE4ELNS1_11target_archE910ELNS1_3gpuE8ELNS1_3repE0EEENS1_30default_config_static_selectorELNS0_4arch9wavefront6targetE0EEEvT1_
		.amdhsa_group_segment_fixed_size 0
		.amdhsa_private_segment_fixed_size 0
		.amdhsa_kernarg_size 96
		.amdhsa_user_sgpr_count 2
		.amdhsa_user_sgpr_dispatch_ptr 0
		.amdhsa_user_sgpr_queue_ptr 0
		.amdhsa_user_sgpr_kernarg_segment_ptr 1
		.amdhsa_user_sgpr_dispatch_id 0
		.amdhsa_user_sgpr_private_segment_size 0
		.amdhsa_wavefront_size32 1
		.amdhsa_uses_dynamic_stack 0
		.amdhsa_enable_private_segment 0
		.amdhsa_system_sgpr_workgroup_id_x 1
		.amdhsa_system_sgpr_workgroup_id_y 0
		.amdhsa_system_sgpr_workgroup_id_z 0
		.amdhsa_system_sgpr_workgroup_info 0
		.amdhsa_system_vgpr_workitem_id 0
		.amdhsa_next_free_vgpr 1
		.amdhsa_next_free_sgpr 1
		.amdhsa_reserve_vcc 0
		.amdhsa_float_round_mode_32 0
		.amdhsa_float_round_mode_16_64 0
		.amdhsa_float_denorm_mode_32 3
		.amdhsa_float_denorm_mode_16_64 3
		.amdhsa_fp16_overflow 0
		.amdhsa_workgroup_processor_mode 1
		.amdhsa_memory_ordered 1
		.amdhsa_forward_progress 1
		.amdhsa_inst_pref_size 0
		.amdhsa_round_robin_scheduling 0
		.amdhsa_exception_fp_ieee_invalid_op 0
		.amdhsa_exception_fp_denorm_src 0
		.amdhsa_exception_fp_ieee_div_zero 0
		.amdhsa_exception_fp_ieee_overflow 0
		.amdhsa_exception_fp_ieee_underflow 0
		.amdhsa_exception_fp_ieee_inexact 0
		.amdhsa_exception_int_div_zero 0
	.end_amdhsa_kernel
	.section	.text._ZN7rocprim17ROCPRIM_400000_NS6detail17trampoline_kernelINS0_14default_configENS1_20scan_config_selectorIfEEZZNS1_9scan_implILNS1_25lookback_scan_determinismE0ELb0ELb0ES3_PKfPffZZZN2at6native31launch_logcumsumexp_cuda_kernelERKNSB_10TensorBaseESF_lENKUlvE_clEvENKUlvE0_clEvEUlffE_fEEDaPvRmT3_T4_T5_mT6_P12ihipStream_tbENKUlT_T0_E_clISt17integral_constantIbLb0EESW_EEDaSR_SS_EUlSR_E_NS1_11comp_targetILNS1_3genE4ELNS1_11target_archE910ELNS1_3gpuE8ELNS1_3repE0EEENS1_30default_config_static_selectorELNS0_4arch9wavefront6targetE0EEEvT1_,"axG",@progbits,_ZN7rocprim17ROCPRIM_400000_NS6detail17trampoline_kernelINS0_14default_configENS1_20scan_config_selectorIfEEZZNS1_9scan_implILNS1_25lookback_scan_determinismE0ELb0ELb0ES3_PKfPffZZZN2at6native31launch_logcumsumexp_cuda_kernelERKNSB_10TensorBaseESF_lENKUlvE_clEvENKUlvE0_clEvEUlffE_fEEDaPvRmT3_T4_T5_mT6_P12ihipStream_tbENKUlT_T0_E_clISt17integral_constantIbLb0EESW_EEDaSR_SS_EUlSR_E_NS1_11comp_targetILNS1_3genE4ELNS1_11target_archE910ELNS1_3gpuE8ELNS1_3repE0EEENS1_30default_config_static_selectorELNS0_4arch9wavefront6targetE0EEEvT1_,comdat
.Lfunc_end90:
	.size	_ZN7rocprim17ROCPRIM_400000_NS6detail17trampoline_kernelINS0_14default_configENS1_20scan_config_selectorIfEEZZNS1_9scan_implILNS1_25lookback_scan_determinismE0ELb0ELb0ES3_PKfPffZZZN2at6native31launch_logcumsumexp_cuda_kernelERKNSB_10TensorBaseESF_lENKUlvE_clEvENKUlvE0_clEvEUlffE_fEEDaPvRmT3_T4_T5_mT6_P12ihipStream_tbENKUlT_T0_E_clISt17integral_constantIbLb0EESW_EEDaSR_SS_EUlSR_E_NS1_11comp_targetILNS1_3genE4ELNS1_11target_archE910ELNS1_3gpuE8ELNS1_3repE0EEENS1_30default_config_static_selectorELNS0_4arch9wavefront6targetE0EEEvT1_, .Lfunc_end90-_ZN7rocprim17ROCPRIM_400000_NS6detail17trampoline_kernelINS0_14default_configENS1_20scan_config_selectorIfEEZZNS1_9scan_implILNS1_25lookback_scan_determinismE0ELb0ELb0ES3_PKfPffZZZN2at6native31launch_logcumsumexp_cuda_kernelERKNSB_10TensorBaseESF_lENKUlvE_clEvENKUlvE0_clEvEUlffE_fEEDaPvRmT3_T4_T5_mT6_P12ihipStream_tbENKUlT_T0_E_clISt17integral_constantIbLb0EESW_EEDaSR_SS_EUlSR_E_NS1_11comp_targetILNS1_3genE4ELNS1_11target_archE910ELNS1_3gpuE8ELNS1_3repE0EEENS1_30default_config_static_selectorELNS0_4arch9wavefront6targetE0EEEvT1_
                                        ; -- End function
	.set _ZN7rocprim17ROCPRIM_400000_NS6detail17trampoline_kernelINS0_14default_configENS1_20scan_config_selectorIfEEZZNS1_9scan_implILNS1_25lookback_scan_determinismE0ELb0ELb0ES3_PKfPffZZZN2at6native31launch_logcumsumexp_cuda_kernelERKNSB_10TensorBaseESF_lENKUlvE_clEvENKUlvE0_clEvEUlffE_fEEDaPvRmT3_T4_T5_mT6_P12ihipStream_tbENKUlT_T0_E_clISt17integral_constantIbLb0EESW_EEDaSR_SS_EUlSR_E_NS1_11comp_targetILNS1_3genE4ELNS1_11target_archE910ELNS1_3gpuE8ELNS1_3repE0EEENS1_30default_config_static_selectorELNS0_4arch9wavefront6targetE0EEEvT1_.num_vgpr, 0
	.set _ZN7rocprim17ROCPRIM_400000_NS6detail17trampoline_kernelINS0_14default_configENS1_20scan_config_selectorIfEEZZNS1_9scan_implILNS1_25lookback_scan_determinismE0ELb0ELb0ES3_PKfPffZZZN2at6native31launch_logcumsumexp_cuda_kernelERKNSB_10TensorBaseESF_lENKUlvE_clEvENKUlvE0_clEvEUlffE_fEEDaPvRmT3_T4_T5_mT6_P12ihipStream_tbENKUlT_T0_E_clISt17integral_constantIbLb0EESW_EEDaSR_SS_EUlSR_E_NS1_11comp_targetILNS1_3genE4ELNS1_11target_archE910ELNS1_3gpuE8ELNS1_3repE0EEENS1_30default_config_static_selectorELNS0_4arch9wavefront6targetE0EEEvT1_.num_agpr, 0
	.set _ZN7rocprim17ROCPRIM_400000_NS6detail17trampoline_kernelINS0_14default_configENS1_20scan_config_selectorIfEEZZNS1_9scan_implILNS1_25lookback_scan_determinismE0ELb0ELb0ES3_PKfPffZZZN2at6native31launch_logcumsumexp_cuda_kernelERKNSB_10TensorBaseESF_lENKUlvE_clEvENKUlvE0_clEvEUlffE_fEEDaPvRmT3_T4_T5_mT6_P12ihipStream_tbENKUlT_T0_E_clISt17integral_constantIbLb0EESW_EEDaSR_SS_EUlSR_E_NS1_11comp_targetILNS1_3genE4ELNS1_11target_archE910ELNS1_3gpuE8ELNS1_3repE0EEENS1_30default_config_static_selectorELNS0_4arch9wavefront6targetE0EEEvT1_.numbered_sgpr, 0
	.set _ZN7rocprim17ROCPRIM_400000_NS6detail17trampoline_kernelINS0_14default_configENS1_20scan_config_selectorIfEEZZNS1_9scan_implILNS1_25lookback_scan_determinismE0ELb0ELb0ES3_PKfPffZZZN2at6native31launch_logcumsumexp_cuda_kernelERKNSB_10TensorBaseESF_lENKUlvE_clEvENKUlvE0_clEvEUlffE_fEEDaPvRmT3_T4_T5_mT6_P12ihipStream_tbENKUlT_T0_E_clISt17integral_constantIbLb0EESW_EEDaSR_SS_EUlSR_E_NS1_11comp_targetILNS1_3genE4ELNS1_11target_archE910ELNS1_3gpuE8ELNS1_3repE0EEENS1_30default_config_static_selectorELNS0_4arch9wavefront6targetE0EEEvT1_.num_named_barrier, 0
	.set _ZN7rocprim17ROCPRIM_400000_NS6detail17trampoline_kernelINS0_14default_configENS1_20scan_config_selectorIfEEZZNS1_9scan_implILNS1_25lookback_scan_determinismE0ELb0ELb0ES3_PKfPffZZZN2at6native31launch_logcumsumexp_cuda_kernelERKNSB_10TensorBaseESF_lENKUlvE_clEvENKUlvE0_clEvEUlffE_fEEDaPvRmT3_T4_T5_mT6_P12ihipStream_tbENKUlT_T0_E_clISt17integral_constantIbLb0EESW_EEDaSR_SS_EUlSR_E_NS1_11comp_targetILNS1_3genE4ELNS1_11target_archE910ELNS1_3gpuE8ELNS1_3repE0EEENS1_30default_config_static_selectorELNS0_4arch9wavefront6targetE0EEEvT1_.private_seg_size, 0
	.set _ZN7rocprim17ROCPRIM_400000_NS6detail17trampoline_kernelINS0_14default_configENS1_20scan_config_selectorIfEEZZNS1_9scan_implILNS1_25lookback_scan_determinismE0ELb0ELb0ES3_PKfPffZZZN2at6native31launch_logcumsumexp_cuda_kernelERKNSB_10TensorBaseESF_lENKUlvE_clEvENKUlvE0_clEvEUlffE_fEEDaPvRmT3_T4_T5_mT6_P12ihipStream_tbENKUlT_T0_E_clISt17integral_constantIbLb0EESW_EEDaSR_SS_EUlSR_E_NS1_11comp_targetILNS1_3genE4ELNS1_11target_archE910ELNS1_3gpuE8ELNS1_3repE0EEENS1_30default_config_static_selectorELNS0_4arch9wavefront6targetE0EEEvT1_.uses_vcc, 0
	.set _ZN7rocprim17ROCPRIM_400000_NS6detail17trampoline_kernelINS0_14default_configENS1_20scan_config_selectorIfEEZZNS1_9scan_implILNS1_25lookback_scan_determinismE0ELb0ELb0ES3_PKfPffZZZN2at6native31launch_logcumsumexp_cuda_kernelERKNSB_10TensorBaseESF_lENKUlvE_clEvENKUlvE0_clEvEUlffE_fEEDaPvRmT3_T4_T5_mT6_P12ihipStream_tbENKUlT_T0_E_clISt17integral_constantIbLb0EESW_EEDaSR_SS_EUlSR_E_NS1_11comp_targetILNS1_3genE4ELNS1_11target_archE910ELNS1_3gpuE8ELNS1_3repE0EEENS1_30default_config_static_selectorELNS0_4arch9wavefront6targetE0EEEvT1_.uses_flat_scratch, 0
	.set _ZN7rocprim17ROCPRIM_400000_NS6detail17trampoline_kernelINS0_14default_configENS1_20scan_config_selectorIfEEZZNS1_9scan_implILNS1_25lookback_scan_determinismE0ELb0ELb0ES3_PKfPffZZZN2at6native31launch_logcumsumexp_cuda_kernelERKNSB_10TensorBaseESF_lENKUlvE_clEvENKUlvE0_clEvEUlffE_fEEDaPvRmT3_T4_T5_mT6_P12ihipStream_tbENKUlT_T0_E_clISt17integral_constantIbLb0EESW_EEDaSR_SS_EUlSR_E_NS1_11comp_targetILNS1_3genE4ELNS1_11target_archE910ELNS1_3gpuE8ELNS1_3repE0EEENS1_30default_config_static_selectorELNS0_4arch9wavefront6targetE0EEEvT1_.has_dyn_sized_stack, 0
	.set _ZN7rocprim17ROCPRIM_400000_NS6detail17trampoline_kernelINS0_14default_configENS1_20scan_config_selectorIfEEZZNS1_9scan_implILNS1_25lookback_scan_determinismE0ELb0ELb0ES3_PKfPffZZZN2at6native31launch_logcumsumexp_cuda_kernelERKNSB_10TensorBaseESF_lENKUlvE_clEvENKUlvE0_clEvEUlffE_fEEDaPvRmT3_T4_T5_mT6_P12ihipStream_tbENKUlT_T0_E_clISt17integral_constantIbLb0EESW_EEDaSR_SS_EUlSR_E_NS1_11comp_targetILNS1_3genE4ELNS1_11target_archE910ELNS1_3gpuE8ELNS1_3repE0EEENS1_30default_config_static_selectorELNS0_4arch9wavefront6targetE0EEEvT1_.has_recursion, 0
	.set _ZN7rocprim17ROCPRIM_400000_NS6detail17trampoline_kernelINS0_14default_configENS1_20scan_config_selectorIfEEZZNS1_9scan_implILNS1_25lookback_scan_determinismE0ELb0ELb0ES3_PKfPffZZZN2at6native31launch_logcumsumexp_cuda_kernelERKNSB_10TensorBaseESF_lENKUlvE_clEvENKUlvE0_clEvEUlffE_fEEDaPvRmT3_T4_T5_mT6_P12ihipStream_tbENKUlT_T0_E_clISt17integral_constantIbLb0EESW_EEDaSR_SS_EUlSR_E_NS1_11comp_targetILNS1_3genE4ELNS1_11target_archE910ELNS1_3gpuE8ELNS1_3repE0EEENS1_30default_config_static_selectorELNS0_4arch9wavefront6targetE0EEEvT1_.has_indirect_call, 0
	.section	.AMDGPU.csdata,"",@progbits
; Kernel info:
; codeLenInByte = 0
; TotalNumSgprs: 0
; NumVgprs: 0
; ScratchSize: 0
; MemoryBound: 0
; FloatMode: 240
; IeeeMode: 1
; LDSByteSize: 0 bytes/workgroup (compile time only)
; SGPRBlocks: 0
; VGPRBlocks: 0
; NumSGPRsForWavesPerEU: 1
; NumVGPRsForWavesPerEU: 1
; Occupancy: 16
; WaveLimiterHint : 0
; COMPUTE_PGM_RSRC2:SCRATCH_EN: 0
; COMPUTE_PGM_RSRC2:USER_SGPR: 2
; COMPUTE_PGM_RSRC2:TRAP_HANDLER: 0
; COMPUTE_PGM_RSRC2:TGID_X_EN: 1
; COMPUTE_PGM_RSRC2:TGID_Y_EN: 0
; COMPUTE_PGM_RSRC2:TGID_Z_EN: 0
; COMPUTE_PGM_RSRC2:TIDIG_COMP_CNT: 0
	.section	.text._ZN7rocprim17ROCPRIM_400000_NS6detail17trampoline_kernelINS0_14default_configENS1_20scan_config_selectorIfEEZZNS1_9scan_implILNS1_25lookback_scan_determinismE0ELb0ELb0ES3_PKfPffZZZN2at6native31launch_logcumsumexp_cuda_kernelERKNSB_10TensorBaseESF_lENKUlvE_clEvENKUlvE0_clEvEUlffE_fEEDaPvRmT3_T4_T5_mT6_P12ihipStream_tbENKUlT_T0_E_clISt17integral_constantIbLb0EESW_EEDaSR_SS_EUlSR_E_NS1_11comp_targetILNS1_3genE3ELNS1_11target_archE908ELNS1_3gpuE7ELNS1_3repE0EEENS1_30default_config_static_selectorELNS0_4arch9wavefront6targetE0EEEvT1_,"axG",@progbits,_ZN7rocprim17ROCPRIM_400000_NS6detail17trampoline_kernelINS0_14default_configENS1_20scan_config_selectorIfEEZZNS1_9scan_implILNS1_25lookback_scan_determinismE0ELb0ELb0ES3_PKfPffZZZN2at6native31launch_logcumsumexp_cuda_kernelERKNSB_10TensorBaseESF_lENKUlvE_clEvENKUlvE0_clEvEUlffE_fEEDaPvRmT3_T4_T5_mT6_P12ihipStream_tbENKUlT_T0_E_clISt17integral_constantIbLb0EESW_EEDaSR_SS_EUlSR_E_NS1_11comp_targetILNS1_3genE3ELNS1_11target_archE908ELNS1_3gpuE7ELNS1_3repE0EEENS1_30default_config_static_selectorELNS0_4arch9wavefront6targetE0EEEvT1_,comdat
	.globl	_ZN7rocprim17ROCPRIM_400000_NS6detail17trampoline_kernelINS0_14default_configENS1_20scan_config_selectorIfEEZZNS1_9scan_implILNS1_25lookback_scan_determinismE0ELb0ELb0ES3_PKfPffZZZN2at6native31launch_logcumsumexp_cuda_kernelERKNSB_10TensorBaseESF_lENKUlvE_clEvENKUlvE0_clEvEUlffE_fEEDaPvRmT3_T4_T5_mT6_P12ihipStream_tbENKUlT_T0_E_clISt17integral_constantIbLb0EESW_EEDaSR_SS_EUlSR_E_NS1_11comp_targetILNS1_3genE3ELNS1_11target_archE908ELNS1_3gpuE7ELNS1_3repE0EEENS1_30default_config_static_selectorELNS0_4arch9wavefront6targetE0EEEvT1_ ; -- Begin function _ZN7rocprim17ROCPRIM_400000_NS6detail17trampoline_kernelINS0_14default_configENS1_20scan_config_selectorIfEEZZNS1_9scan_implILNS1_25lookback_scan_determinismE0ELb0ELb0ES3_PKfPffZZZN2at6native31launch_logcumsumexp_cuda_kernelERKNSB_10TensorBaseESF_lENKUlvE_clEvENKUlvE0_clEvEUlffE_fEEDaPvRmT3_T4_T5_mT6_P12ihipStream_tbENKUlT_T0_E_clISt17integral_constantIbLb0EESW_EEDaSR_SS_EUlSR_E_NS1_11comp_targetILNS1_3genE3ELNS1_11target_archE908ELNS1_3gpuE7ELNS1_3repE0EEENS1_30default_config_static_selectorELNS0_4arch9wavefront6targetE0EEEvT1_
	.p2align	8
	.type	_ZN7rocprim17ROCPRIM_400000_NS6detail17trampoline_kernelINS0_14default_configENS1_20scan_config_selectorIfEEZZNS1_9scan_implILNS1_25lookback_scan_determinismE0ELb0ELb0ES3_PKfPffZZZN2at6native31launch_logcumsumexp_cuda_kernelERKNSB_10TensorBaseESF_lENKUlvE_clEvENKUlvE0_clEvEUlffE_fEEDaPvRmT3_T4_T5_mT6_P12ihipStream_tbENKUlT_T0_E_clISt17integral_constantIbLb0EESW_EEDaSR_SS_EUlSR_E_NS1_11comp_targetILNS1_3genE3ELNS1_11target_archE908ELNS1_3gpuE7ELNS1_3repE0EEENS1_30default_config_static_selectorELNS0_4arch9wavefront6targetE0EEEvT1_,@function
_ZN7rocprim17ROCPRIM_400000_NS6detail17trampoline_kernelINS0_14default_configENS1_20scan_config_selectorIfEEZZNS1_9scan_implILNS1_25lookback_scan_determinismE0ELb0ELb0ES3_PKfPffZZZN2at6native31launch_logcumsumexp_cuda_kernelERKNSB_10TensorBaseESF_lENKUlvE_clEvENKUlvE0_clEvEUlffE_fEEDaPvRmT3_T4_T5_mT6_P12ihipStream_tbENKUlT_T0_E_clISt17integral_constantIbLb0EESW_EEDaSR_SS_EUlSR_E_NS1_11comp_targetILNS1_3genE3ELNS1_11target_archE908ELNS1_3gpuE7ELNS1_3repE0EEENS1_30default_config_static_selectorELNS0_4arch9wavefront6targetE0EEEvT1_: ; @_ZN7rocprim17ROCPRIM_400000_NS6detail17trampoline_kernelINS0_14default_configENS1_20scan_config_selectorIfEEZZNS1_9scan_implILNS1_25lookback_scan_determinismE0ELb0ELb0ES3_PKfPffZZZN2at6native31launch_logcumsumexp_cuda_kernelERKNSB_10TensorBaseESF_lENKUlvE_clEvENKUlvE0_clEvEUlffE_fEEDaPvRmT3_T4_T5_mT6_P12ihipStream_tbENKUlT_T0_E_clISt17integral_constantIbLb0EESW_EEDaSR_SS_EUlSR_E_NS1_11comp_targetILNS1_3genE3ELNS1_11target_archE908ELNS1_3gpuE7ELNS1_3repE0EEENS1_30default_config_static_selectorELNS0_4arch9wavefront6targetE0EEEvT1_
; %bb.0:
	.section	.rodata,"a",@progbits
	.p2align	6, 0x0
	.amdhsa_kernel _ZN7rocprim17ROCPRIM_400000_NS6detail17trampoline_kernelINS0_14default_configENS1_20scan_config_selectorIfEEZZNS1_9scan_implILNS1_25lookback_scan_determinismE0ELb0ELb0ES3_PKfPffZZZN2at6native31launch_logcumsumexp_cuda_kernelERKNSB_10TensorBaseESF_lENKUlvE_clEvENKUlvE0_clEvEUlffE_fEEDaPvRmT3_T4_T5_mT6_P12ihipStream_tbENKUlT_T0_E_clISt17integral_constantIbLb0EESW_EEDaSR_SS_EUlSR_E_NS1_11comp_targetILNS1_3genE3ELNS1_11target_archE908ELNS1_3gpuE7ELNS1_3repE0EEENS1_30default_config_static_selectorELNS0_4arch9wavefront6targetE0EEEvT1_
		.amdhsa_group_segment_fixed_size 0
		.amdhsa_private_segment_fixed_size 0
		.amdhsa_kernarg_size 96
		.amdhsa_user_sgpr_count 2
		.amdhsa_user_sgpr_dispatch_ptr 0
		.amdhsa_user_sgpr_queue_ptr 0
		.amdhsa_user_sgpr_kernarg_segment_ptr 1
		.amdhsa_user_sgpr_dispatch_id 0
		.amdhsa_user_sgpr_private_segment_size 0
		.amdhsa_wavefront_size32 1
		.amdhsa_uses_dynamic_stack 0
		.amdhsa_enable_private_segment 0
		.amdhsa_system_sgpr_workgroup_id_x 1
		.amdhsa_system_sgpr_workgroup_id_y 0
		.amdhsa_system_sgpr_workgroup_id_z 0
		.amdhsa_system_sgpr_workgroup_info 0
		.amdhsa_system_vgpr_workitem_id 0
		.amdhsa_next_free_vgpr 1
		.amdhsa_next_free_sgpr 1
		.amdhsa_reserve_vcc 0
		.amdhsa_float_round_mode_32 0
		.amdhsa_float_round_mode_16_64 0
		.amdhsa_float_denorm_mode_32 3
		.amdhsa_float_denorm_mode_16_64 3
		.amdhsa_fp16_overflow 0
		.amdhsa_workgroup_processor_mode 1
		.amdhsa_memory_ordered 1
		.amdhsa_forward_progress 1
		.amdhsa_inst_pref_size 0
		.amdhsa_round_robin_scheduling 0
		.amdhsa_exception_fp_ieee_invalid_op 0
		.amdhsa_exception_fp_denorm_src 0
		.amdhsa_exception_fp_ieee_div_zero 0
		.amdhsa_exception_fp_ieee_overflow 0
		.amdhsa_exception_fp_ieee_underflow 0
		.amdhsa_exception_fp_ieee_inexact 0
		.amdhsa_exception_int_div_zero 0
	.end_amdhsa_kernel
	.section	.text._ZN7rocprim17ROCPRIM_400000_NS6detail17trampoline_kernelINS0_14default_configENS1_20scan_config_selectorIfEEZZNS1_9scan_implILNS1_25lookback_scan_determinismE0ELb0ELb0ES3_PKfPffZZZN2at6native31launch_logcumsumexp_cuda_kernelERKNSB_10TensorBaseESF_lENKUlvE_clEvENKUlvE0_clEvEUlffE_fEEDaPvRmT3_T4_T5_mT6_P12ihipStream_tbENKUlT_T0_E_clISt17integral_constantIbLb0EESW_EEDaSR_SS_EUlSR_E_NS1_11comp_targetILNS1_3genE3ELNS1_11target_archE908ELNS1_3gpuE7ELNS1_3repE0EEENS1_30default_config_static_selectorELNS0_4arch9wavefront6targetE0EEEvT1_,"axG",@progbits,_ZN7rocprim17ROCPRIM_400000_NS6detail17trampoline_kernelINS0_14default_configENS1_20scan_config_selectorIfEEZZNS1_9scan_implILNS1_25lookback_scan_determinismE0ELb0ELb0ES3_PKfPffZZZN2at6native31launch_logcumsumexp_cuda_kernelERKNSB_10TensorBaseESF_lENKUlvE_clEvENKUlvE0_clEvEUlffE_fEEDaPvRmT3_T4_T5_mT6_P12ihipStream_tbENKUlT_T0_E_clISt17integral_constantIbLb0EESW_EEDaSR_SS_EUlSR_E_NS1_11comp_targetILNS1_3genE3ELNS1_11target_archE908ELNS1_3gpuE7ELNS1_3repE0EEENS1_30default_config_static_selectorELNS0_4arch9wavefront6targetE0EEEvT1_,comdat
.Lfunc_end91:
	.size	_ZN7rocprim17ROCPRIM_400000_NS6detail17trampoline_kernelINS0_14default_configENS1_20scan_config_selectorIfEEZZNS1_9scan_implILNS1_25lookback_scan_determinismE0ELb0ELb0ES3_PKfPffZZZN2at6native31launch_logcumsumexp_cuda_kernelERKNSB_10TensorBaseESF_lENKUlvE_clEvENKUlvE0_clEvEUlffE_fEEDaPvRmT3_T4_T5_mT6_P12ihipStream_tbENKUlT_T0_E_clISt17integral_constantIbLb0EESW_EEDaSR_SS_EUlSR_E_NS1_11comp_targetILNS1_3genE3ELNS1_11target_archE908ELNS1_3gpuE7ELNS1_3repE0EEENS1_30default_config_static_selectorELNS0_4arch9wavefront6targetE0EEEvT1_, .Lfunc_end91-_ZN7rocprim17ROCPRIM_400000_NS6detail17trampoline_kernelINS0_14default_configENS1_20scan_config_selectorIfEEZZNS1_9scan_implILNS1_25lookback_scan_determinismE0ELb0ELb0ES3_PKfPffZZZN2at6native31launch_logcumsumexp_cuda_kernelERKNSB_10TensorBaseESF_lENKUlvE_clEvENKUlvE0_clEvEUlffE_fEEDaPvRmT3_T4_T5_mT6_P12ihipStream_tbENKUlT_T0_E_clISt17integral_constantIbLb0EESW_EEDaSR_SS_EUlSR_E_NS1_11comp_targetILNS1_3genE3ELNS1_11target_archE908ELNS1_3gpuE7ELNS1_3repE0EEENS1_30default_config_static_selectorELNS0_4arch9wavefront6targetE0EEEvT1_
                                        ; -- End function
	.set _ZN7rocprim17ROCPRIM_400000_NS6detail17trampoline_kernelINS0_14default_configENS1_20scan_config_selectorIfEEZZNS1_9scan_implILNS1_25lookback_scan_determinismE0ELb0ELb0ES3_PKfPffZZZN2at6native31launch_logcumsumexp_cuda_kernelERKNSB_10TensorBaseESF_lENKUlvE_clEvENKUlvE0_clEvEUlffE_fEEDaPvRmT3_T4_T5_mT6_P12ihipStream_tbENKUlT_T0_E_clISt17integral_constantIbLb0EESW_EEDaSR_SS_EUlSR_E_NS1_11comp_targetILNS1_3genE3ELNS1_11target_archE908ELNS1_3gpuE7ELNS1_3repE0EEENS1_30default_config_static_selectorELNS0_4arch9wavefront6targetE0EEEvT1_.num_vgpr, 0
	.set _ZN7rocprim17ROCPRIM_400000_NS6detail17trampoline_kernelINS0_14default_configENS1_20scan_config_selectorIfEEZZNS1_9scan_implILNS1_25lookback_scan_determinismE0ELb0ELb0ES3_PKfPffZZZN2at6native31launch_logcumsumexp_cuda_kernelERKNSB_10TensorBaseESF_lENKUlvE_clEvENKUlvE0_clEvEUlffE_fEEDaPvRmT3_T4_T5_mT6_P12ihipStream_tbENKUlT_T0_E_clISt17integral_constantIbLb0EESW_EEDaSR_SS_EUlSR_E_NS1_11comp_targetILNS1_3genE3ELNS1_11target_archE908ELNS1_3gpuE7ELNS1_3repE0EEENS1_30default_config_static_selectorELNS0_4arch9wavefront6targetE0EEEvT1_.num_agpr, 0
	.set _ZN7rocprim17ROCPRIM_400000_NS6detail17trampoline_kernelINS0_14default_configENS1_20scan_config_selectorIfEEZZNS1_9scan_implILNS1_25lookback_scan_determinismE0ELb0ELb0ES3_PKfPffZZZN2at6native31launch_logcumsumexp_cuda_kernelERKNSB_10TensorBaseESF_lENKUlvE_clEvENKUlvE0_clEvEUlffE_fEEDaPvRmT3_T4_T5_mT6_P12ihipStream_tbENKUlT_T0_E_clISt17integral_constantIbLb0EESW_EEDaSR_SS_EUlSR_E_NS1_11comp_targetILNS1_3genE3ELNS1_11target_archE908ELNS1_3gpuE7ELNS1_3repE0EEENS1_30default_config_static_selectorELNS0_4arch9wavefront6targetE0EEEvT1_.numbered_sgpr, 0
	.set _ZN7rocprim17ROCPRIM_400000_NS6detail17trampoline_kernelINS0_14default_configENS1_20scan_config_selectorIfEEZZNS1_9scan_implILNS1_25lookback_scan_determinismE0ELb0ELb0ES3_PKfPffZZZN2at6native31launch_logcumsumexp_cuda_kernelERKNSB_10TensorBaseESF_lENKUlvE_clEvENKUlvE0_clEvEUlffE_fEEDaPvRmT3_T4_T5_mT6_P12ihipStream_tbENKUlT_T0_E_clISt17integral_constantIbLb0EESW_EEDaSR_SS_EUlSR_E_NS1_11comp_targetILNS1_3genE3ELNS1_11target_archE908ELNS1_3gpuE7ELNS1_3repE0EEENS1_30default_config_static_selectorELNS0_4arch9wavefront6targetE0EEEvT1_.num_named_barrier, 0
	.set _ZN7rocprim17ROCPRIM_400000_NS6detail17trampoline_kernelINS0_14default_configENS1_20scan_config_selectorIfEEZZNS1_9scan_implILNS1_25lookback_scan_determinismE0ELb0ELb0ES3_PKfPffZZZN2at6native31launch_logcumsumexp_cuda_kernelERKNSB_10TensorBaseESF_lENKUlvE_clEvENKUlvE0_clEvEUlffE_fEEDaPvRmT3_T4_T5_mT6_P12ihipStream_tbENKUlT_T0_E_clISt17integral_constantIbLb0EESW_EEDaSR_SS_EUlSR_E_NS1_11comp_targetILNS1_3genE3ELNS1_11target_archE908ELNS1_3gpuE7ELNS1_3repE0EEENS1_30default_config_static_selectorELNS0_4arch9wavefront6targetE0EEEvT1_.private_seg_size, 0
	.set _ZN7rocprim17ROCPRIM_400000_NS6detail17trampoline_kernelINS0_14default_configENS1_20scan_config_selectorIfEEZZNS1_9scan_implILNS1_25lookback_scan_determinismE0ELb0ELb0ES3_PKfPffZZZN2at6native31launch_logcumsumexp_cuda_kernelERKNSB_10TensorBaseESF_lENKUlvE_clEvENKUlvE0_clEvEUlffE_fEEDaPvRmT3_T4_T5_mT6_P12ihipStream_tbENKUlT_T0_E_clISt17integral_constantIbLb0EESW_EEDaSR_SS_EUlSR_E_NS1_11comp_targetILNS1_3genE3ELNS1_11target_archE908ELNS1_3gpuE7ELNS1_3repE0EEENS1_30default_config_static_selectorELNS0_4arch9wavefront6targetE0EEEvT1_.uses_vcc, 0
	.set _ZN7rocprim17ROCPRIM_400000_NS6detail17trampoline_kernelINS0_14default_configENS1_20scan_config_selectorIfEEZZNS1_9scan_implILNS1_25lookback_scan_determinismE0ELb0ELb0ES3_PKfPffZZZN2at6native31launch_logcumsumexp_cuda_kernelERKNSB_10TensorBaseESF_lENKUlvE_clEvENKUlvE0_clEvEUlffE_fEEDaPvRmT3_T4_T5_mT6_P12ihipStream_tbENKUlT_T0_E_clISt17integral_constantIbLb0EESW_EEDaSR_SS_EUlSR_E_NS1_11comp_targetILNS1_3genE3ELNS1_11target_archE908ELNS1_3gpuE7ELNS1_3repE0EEENS1_30default_config_static_selectorELNS0_4arch9wavefront6targetE0EEEvT1_.uses_flat_scratch, 0
	.set _ZN7rocprim17ROCPRIM_400000_NS6detail17trampoline_kernelINS0_14default_configENS1_20scan_config_selectorIfEEZZNS1_9scan_implILNS1_25lookback_scan_determinismE0ELb0ELb0ES3_PKfPffZZZN2at6native31launch_logcumsumexp_cuda_kernelERKNSB_10TensorBaseESF_lENKUlvE_clEvENKUlvE0_clEvEUlffE_fEEDaPvRmT3_T4_T5_mT6_P12ihipStream_tbENKUlT_T0_E_clISt17integral_constantIbLb0EESW_EEDaSR_SS_EUlSR_E_NS1_11comp_targetILNS1_3genE3ELNS1_11target_archE908ELNS1_3gpuE7ELNS1_3repE0EEENS1_30default_config_static_selectorELNS0_4arch9wavefront6targetE0EEEvT1_.has_dyn_sized_stack, 0
	.set _ZN7rocprim17ROCPRIM_400000_NS6detail17trampoline_kernelINS0_14default_configENS1_20scan_config_selectorIfEEZZNS1_9scan_implILNS1_25lookback_scan_determinismE0ELb0ELb0ES3_PKfPffZZZN2at6native31launch_logcumsumexp_cuda_kernelERKNSB_10TensorBaseESF_lENKUlvE_clEvENKUlvE0_clEvEUlffE_fEEDaPvRmT3_T4_T5_mT6_P12ihipStream_tbENKUlT_T0_E_clISt17integral_constantIbLb0EESW_EEDaSR_SS_EUlSR_E_NS1_11comp_targetILNS1_3genE3ELNS1_11target_archE908ELNS1_3gpuE7ELNS1_3repE0EEENS1_30default_config_static_selectorELNS0_4arch9wavefront6targetE0EEEvT1_.has_recursion, 0
	.set _ZN7rocprim17ROCPRIM_400000_NS6detail17trampoline_kernelINS0_14default_configENS1_20scan_config_selectorIfEEZZNS1_9scan_implILNS1_25lookback_scan_determinismE0ELb0ELb0ES3_PKfPffZZZN2at6native31launch_logcumsumexp_cuda_kernelERKNSB_10TensorBaseESF_lENKUlvE_clEvENKUlvE0_clEvEUlffE_fEEDaPvRmT3_T4_T5_mT6_P12ihipStream_tbENKUlT_T0_E_clISt17integral_constantIbLb0EESW_EEDaSR_SS_EUlSR_E_NS1_11comp_targetILNS1_3genE3ELNS1_11target_archE908ELNS1_3gpuE7ELNS1_3repE0EEENS1_30default_config_static_selectorELNS0_4arch9wavefront6targetE0EEEvT1_.has_indirect_call, 0
	.section	.AMDGPU.csdata,"",@progbits
; Kernel info:
; codeLenInByte = 0
; TotalNumSgprs: 0
; NumVgprs: 0
; ScratchSize: 0
; MemoryBound: 0
; FloatMode: 240
; IeeeMode: 1
; LDSByteSize: 0 bytes/workgroup (compile time only)
; SGPRBlocks: 0
; VGPRBlocks: 0
; NumSGPRsForWavesPerEU: 1
; NumVGPRsForWavesPerEU: 1
; Occupancy: 16
; WaveLimiterHint : 0
; COMPUTE_PGM_RSRC2:SCRATCH_EN: 0
; COMPUTE_PGM_RSRC2:USER_SGPR: 2
; COMPUTE_PGM_RSRC2:TRAP_HANDLER: 0
; COMPUTE_PGM_RSRC2:TGID_X_EN: 1
; COMPUTE_PGM_RSRC2:TGID_Y_EN: 0
; COMPUTE_PGM_RSRC2:TGID_Z_EN: 0
; COMPUTE_PGM_RSRC2:TIDIG_COMP_CNT: 0
	.section	.text._ZN7rocprim17ROCPRIM_400000_NS6detail17trampoline_kernelINS0_14default_configENS1_20scan_config_selectorIfEEZZNS1_9scan_implILNS1_25lookback_scan_determinismE0ELb0ELb0ES3_PKfPffZZZN2at6native31launch_logcumsumexp_cuda_kernelERKNSB_10TensorBaseESF_lENKUlvE_clEvENKUlvE0_clEvEUlffE_fEEDaPvRmT3_T4_T5_mT6_P12ihipStream_tbENKUlT_T0_E_clISt17integral_constantIbLb0EESW_EEDaSR_SS_EUlSR_E_NS1_11comp_targetILNS1_3genE2ELNS1_11target_archE906ELNS1_3gpuE6ELNS1_3repE0EEENS1_30default_config_static_selectorELNS0_4arch9wavefront6targetE0EEEvT1_,"axG",@progbits,_ZN7rocprim17ROCPRIM_400000_NS6detail17trampoline_kernelINS0_14default_configENS1_20scan_config_selectorIfEEZZNS1_9scan_implILNS1_25lookback_scan_determinismE0ELb0ELb0ES3_PKfPffZZZN2at6native31launch_logcumsumexp_cuda_kernelERKNSB_10TensorBaseESF_lENKUlvE_clEvENKUlvE0_clEvEUlffE_fEEDaPvRmT3_T4_T5_mT6_P12ihipStream_tbENKUlT_T0_E_clISt17integral_constantIbLb0EESW_EEDaSR_SS_EUlSR_E_NS1_11comp_targetILNS1_3genE2ELNS1_11target_archE906ELNS1_3gpuE6ELNS1_3repE0EEENS1_30default_config_static_selectorELNS0_4arch9wavefront6targetE0EEEvT1_,comdat
	.globl	_ZN7rocprim17ROCPRIM_400000_NS6detail17trampoline_kernelINS0_14default_configENS1_20scan_config_selectorIfEEZZNS1_9scan_implILNS1_25lookback_scan_determinismE0ELb0ELb0ES3_PKfPffZZZN2at6native31launch_logcumsumexp_cuda_kernelERKNSB_10TensorBaseESF_lENKUlvE_clEvENKUlvE0_clEvEUlffE_fEEDaPvRmT3_T4_T5_mT6_P12ihipStream_tbENKUlT_T0_E_clISt17integral_constantIbLb0EESW_EEDaSR_SS_EUlSR_E_NS1_11comp_targetILNS1_3genE2ELNS1_11target_archE906ELNS1_3gpuE6ELNS1_3repE0EEENS1_30default_config_static_selectorELNS0_4arch9wavefront6targetE0EEEvT1_ ; -- Begin function _ZN7rocprim17ROCPRIM_400000_NS6detail17trampoline_kernelINS0_14default_configENS1_20scan_config_selectorIfEEZZNS1_9scan_implILNS1_25lookback_scan_determinismE0ELb0ELb0ES3_PKfPffZZZN2at6native31launch_logcumsumexp_cuda_kernelERKNSB_10TensorBaseESF_lENKUlvE_clEvENKUlvE0_clEvEUlffE_fEEDaPvRmT3_T4_T5_mT6_P12ihipStream_tbENKUlT_T0_E_clISt17integral_constantIbLb0EESW_EEDaSR_SS_EUlSR_E_NS1_11comp_targetILNS1_3genE2ELNS1_11target_archE906ELNS1_3gpuE6ELNS1_3repE0EEENS1_30default_config_static_selectorELNS0_4arch9wavefront6targetE0EEEvT1_
	.p2align	8
	.type	_ZN7rocprim17ROCPRIM_400000_NS6detail17trampoline_kernelINS0_14default_configENS1_20scan_config_selectorIfEEZZNS1_9scan_implILNS1_25lookback_scan_determinismE0ELb0ELb0ES3_PKfPffZZZN2at6native31launch_logcumsumexp_cuda_kernelERKNSB_10TensorBaseESF_lENKUlvE_clEvENKUlvE0_clEvEUlffE_fEEDaPvRmT3_T4_T5_mT6_P12ihipStream_tbENKUlT_T0_E_clISt17integral_constantIbLb0EESW_EEDaSR_SS_EUlSR_E_NS1_11comp_targetILNS1_3genE2ELNS1_11target_archE906ELNS1_3gpuE6ELNS1_3repE0EEENS1_30default_config_static_selectorELNS0_4arch9wavefront6targetE0EEEvT1_,@function
_ZN7rocprim17ROCPRIM_400000_NS6detail17trampoline_kernelINS0_14default_configENS1_20scan_config_selectorIfEEZZNS1_9scan_implILNS1_25lookback_scan_determinismE0ELb0ELb0ES3_PKfPffZZZN2at6native31launch_logcumsumexp_cuda_kernelERKNSB_10TensorBaseESF_lENKUlvE_clEvENKUlvE0_clEvEUlffE_fEEDaPvRmT3_T4_T5_mT6_P12ihipStream_tbENKUlT_T0_E_clISt17integral_constantIbLb0EESW_EEDaSR_SS_EUlSR_E_NS1_11comp_targetILNS1_3genE2ELNS1_11target_archE906ELNS1_3gpuE6ELNS1_3repE0EEENS1_30default_config_static_selectorELNS0_4arch9wavefront6targetE0EEEvT1_: ; @_ZN7rocprim17ROCPRIM_400000_NS6detail17trampoline_kernelINS0_14default_configENS1_20scan_config_selectorIfEEZZNS1_9scan_implILNS1_25lookback_scan_determinismE0ELb0ELb0ES3_PKfPffZZZN2at6native31launch_logcumsumexp_cuda_kernelERKNSB_10TensorBaseESF_lENKUlvE_clEvENKUlvE0_clEvEUlffE_fEEDaPvRmT3_T4_T5_mT6_P12ihipStream_tbENKUlT_T0_E_clISt17integral_constantIbLb0EESW_EEDaSR_SS_EUlSR_E_NS1_11comp_targetILNS1_3genE2ELNS1_11target_archE906ELNS1_3gpuE6ELNS1_3repE0EEENS1_30default_config_static_selectorELNS0_4arch9wavefront6targetE0EEEvT1_
; %bb.0:
	.section	.rodata,"a",@progbits
	.p2align	6, 0x0
	.amdhsa_kernel _ZN7rocprim17ROCPRIM_400000_NS6detail17trampoline_kernelINS0_14default_configENS1_20scan_config_selectorIfEEZZNS1_9scan_implILNS1_25lookback_scan_determinismE0ELb0ELb0ES3_PKfPffZZZN2at6native31launch_logcumsumexp_cuda_kernelERKNSB_10TensorBaseESF_lENKUlvE_clEvENKUlvE0_clEvEUlffE_fEEDaPvRmT3_T4_T5_mT6_P12ihipStream_tbENKUlT_T0_E_clISt17integral_constantIbLb0EESW_EEDaSR_SS_EUlSR_E_NS1_11comp_targetILNS1_3genE2ELNS1_11target_archE906ELNS1_3gpuE6ELNS1_3repE0EEENS1_30default_config_static_selectorELNS0_4arch9wavefront6targetE0EEEvT1_
		.amdhsa_group_segment_fixed_size 0
		.amdhsa_private_segment_fixed_size 0
		.amdhsa_kernarg_size 96
		.amdhsa_user_sgpr_count 2
		.amdhsa_user_sgpr_dispatch_ptr 0
		.amdhsa_user_sgpr_queue_ptr 0
		.amdhsa_user_sgpr_kernarg_segment_ptr 1
		.amdhsa_user_sgpr_dispatch_id 0
		.amdhsa_user_sgpr_private_segment_size 0
		.amdhsa_wavefront_size32 1
		.amdhsa_uses_dynamic_stack 0
		.amdhsa_enable_private_segment 0
		.amdhsa_system_sgpr_workgroup_id_x 1
		.amdhsa_system_sgpr_workgroup_id_y 0
		.amdhsa_system_sgpr_workgroup_id_z 0
		.amdhsa_system_sgpr_workgroup_info 0
		.amdhsa_system_vgpr_workitem_id 0
		.amdhsa_next_free_vgpr 1
		.amdhsa_next_free_sgpr 1
		.amdhsa_reserve_vcc 0
		.amdhsa_float_round_mode_32 0
		.amdhsa_float_round_mode_16_64 0
		.amdhsa_float_denorm_mode_32 3
		.amdhsa_float_denorm_mode_16_64 3
		.amdhsa_fp16_overflow 0
		.amdhsa_workgroup_processor_mode 1
		.amdhsa_memory_ordered 1
		.amdhsa_forward_progress 1
		.amdhsa_inst_pref_size 0
		.amdhsa_round_robin_scheduling 0
		.amdhsa_exception_fp_ieee_invalid_op 0
		.amdhsa_exception_fp_denorm_src 0
		.amdhsa_exception_fp_ieee_div_zero 0
		.amdhsa_exception_fp_ieee_overflow 0
		.amdhsa_exception_fp_ieee_underflow 0
		.amdhsa_exception_fp_ieee_inexact 0
		.amdhsa_exception_int_div_zero 0
	.end_amdhsa_kernel
	.section	.text._ZN7rocprim17ROCPRIM_400000_NS6detail17trampoline_kernelINS0_14default_configENS1_20scan_config_selectorIfEEZZNS1_9scan_implILNS1_25lookback_scan_determinismE0ELb0ELb0ES3_PKfPffZZZN2at6native31launch_logcumsumexp_cuda_kernelERKNSB_10TensorBaseESF_lENKUlvE_clEvENKUlvE0_clEvEUlffE_fEEDaPvRmT3_T4_T5_mT6_P12ihipStream_tbENKUlT_T0_E_clISt17integral_constantIbLb0EESW_EEDaSR_SS_EUlSR_E_NS1_11comp_targetILNS1_3genE2ELNS1_11target_archE906ELNS1_3gpuE6ELNS1_3repE0EEENS1_30default_config_static_selectorELNS0_4arch9wavefront6targetE0EEEvT1_,"axG",@progbits,_ZN7rocprim17ROCPRIM_400000_NS6detail17trampoline_kernelINS0_14default_configENS1_20scan_config_selectorIfEEZZNS1_9scan_implILNS1_25lookback_scan_determinismE0ELb0ELb0ES3_PKfPffZZZN2at6native31launch_logcumsumexp_cuda_kernelERKNSB_10TensorBaseESF_lENKUlvE_clEvENKUlvE0_clEvEUlffE_fEEDaPvRmT3_T4_T5_mT6_P12ihipStream_tbENKUlT_T0_E_clISt17integral_constantIbLb0EESW_EEDaSR_SS_EUlSR_E_NS1_11comp_targetILNS1_3genE2ELNS1_11target_archE906ELNS1_3gpuE6ELNS1_3repE0EEENS1_30default_config_static_selectorELNS0_4arch9wavefront6targetE0EEEvT1_,comdat
.Lfunc_end92:
	.size	_ZN7rocprim17ROCPRIM_400000_NS6detail17trampoline_kernelINS0_14default_configENS1_20scan_config_selectorIfEEZZNS1_9scan_implILNS1_25lookback_scan_determinismE0ELb0ELb0ES3_PKfPffZZZN2at6native31launch_logcumsumexp_cuda_kernelERKNSB_10TensorBaseESF_lENKUlvE_clEvENKUlvE0_clEvEUlffE_fEEDaPvRmT3_T4_T5_mT6_P12ihipStream_tbENKUlT_T0_E_clISt17integral_constantIbLb0EESW_EEDaSR_SS_EUlSR_E_NS1_11comp_targetILNS1_3genE2ELNS1_11target_archE906ELNS1_3gpuE6ELNS1_3repE0EEENS1_30default_config_static_selectorELNS0_4arch9wavefront6targetE0EEEvT1_, .Lfunc_end92-_ZN7rocprim17ROCPRIM_400000_NS6detail17trampoline_kernelINS0_14default_configENS1_20scan_config_selectorIfEEZZNS1_9scan_implILNS1_25lookback_scan_determinismE0ELb0ELb0ES3_PKfPffZZZN2at6native31launch_logcumsumexp_cuda_kernelERKNSB_10TensorBaseESF_lENKUlvE_clEvENKUlvE0_clEvEUlffE_fEEDaPvRmT3_T4_T5_mT6_P12ihipStream_tbENKUlT_T0_E_clISt17integral_constantIbLb0EESW_EEDaSR_SS_EUlSR_E_NS1_11comp_targetILNS1_3genE2ELNS1_11target_archE906ELNS1_3gpuE6ELNS1_3repE0EEENS1_30default_config_static_selectorELNS0_4arch9wavefront6targetE0EEEvT1_
                                        ; -- End function
	.set _ZN7rocprim17ROCPRIM_400000_NS6detail17trampoline_kernelINS0_14default_configENS1_20scan_config_selectorIfEEZZNS1_9scan_implILNS1_25lookback_scan_determinismE0ELb0ELb0ES3_PKfPffZZZN2at6native31launch_logcumsumexp_cuda_kernelERKNSB_10TensorBaseESF_lENKUlvE_clEvENKUlvE0_clEvEUlffE_fEEDaPvRmT3_T4_T5_mT6_P12ihipStream_tbENKUlT_T0_E_clISt17integral_constantIbLb0EESW_EEDaSR_SS_EUlSR_E_NS1_11comp_targetILNS1_3genE2ELNS1_11target_archE906ELNS1_3gpuE6ELNS1_3repE0EEENS1_30default_config_static_selectorELNS0_4arch9wavefront6targetE0EEEvT1_.num_vgpr, 0
	.set _ZN7rocprim17ROCPRIM_400000_NS6detail17trampoline_kernelINS0_14default_configENS1_20scan_config_selectorIfEEZZNS1_9scan_implILNS1_25lookback_scan_determinismE0ELb0ELb0ES3_PKfPffZZZN2at6native31launch_logcumsumexp_cuda_kernelERKNSB_10TensorBaseESF_lENKUlvE_clEvENKUlvE0_clEvEUlffE_fEEDaPvRmT3_T4_T5_mT6_P12ihipStream_tbENKUlT_T0_E_clISt17integral_constantIbLb0EESW_EEDaSR_SS_EUlSR_E_NS1_11comp_targetILNS1_3genE2ELNS1_11target_archE906ELNS1_3gpuE6ELNS1_3repE0EEENS1_30default_config_static_selectorELNS0_4arch9wavefront6targetE0EEEvT1_.num_agpr, 0
	.set _ZN7rocprim17ROCPRIM_400000_NS6detail17trampoline_kernelINS0_14default_configENS1_20scan_config_selectorIfEEZZNS1_9scan_implILNS1_25lookback_scan_determinismE0ELb0ELb0ES3_PKfPffZZZN2at6native31launch_logcumsumexp_cuda_kernelERKNSB_10TensorBaseESF_lENKUlvE_clEvENKUlvE0_clEvEUlffE_fEEDaPvRmT3_T4_T5_mT6_P12ihipStream_tbENKUlT_T0_E_clISt17integral_constantIbLb0EESW_EEDaSR_SS_EUlSR_E_NS1_11comp_targetILNS1_3genE2ELNS1_11target_archE906ELNS1_3gpuE6ELNS1_3repE0EEENS1_30default_config_static_selectorELNS0_4arch9wavefront6targetE0EEEvT1_.numbered_sgpr, 0
	.set _ZN7rocprim17ROCPRIM_400000_NS6detail17trampoline_kernelINS0_14default_configENS1_20scan_config_selectorIfEEZZNS1_9scan_implILNS1_25lookback_scan_determinismE0ELb0ELb0ES3_PKfPffZZZN2at6native31launch_logcumsumexp_cuda_kernelERKNSB_10TensorBaseESF_lENKUlvE_clEvENKUlvE0_clEvEUlffE_fEEDaPvRmT3_T4_T5_mT6_P12ihipStream_tbENKUlT_T0_E_clISt17integral_constantIbLb0EESW_EEDaSR_SS_EUlSR_E_NS1_11comp_targetILNS1_3genE2ELNS1_11target_archE906ELNS1_3gpuE6ELNS1_3repE0EEENS1_30default_config_static_selectorELNS0_4arch9wavefront6targetE0EEEvT1_.num_named_barrier, 0
	.set _ZN7rocprim17ROCPRIM_400000_NS6detail17trampoline_kernelINS0_14default_configENS1_20scan_config_selectorIfEEZZNS1_9scan_implILNS1_25lookback_scan_determinismE0ELb0ELb0ES3_PKfPffZZZN2at6native31launch_logcumsumexp_cuda_kernelERKNSB_10TensorBaseESF_lENKUlvE_clEvENKUlvE0_clEvEUlffE_fEEDaPvRmT3_T4_T5_mT6_P12ihipStream_tbENKUlT_T0_E_clISt17integral_constantIbLb0EESW_EEDaSR_SS_EUlSR_E_NS1_11comp_targetILNS1_3genE2ELNS1_11target_archE906ELNS1_3gpuE6ELNS1_3repE0EEENS1_30default_config_static_selectorELNS0_4arch9wavefront6targetE0EEEvT1_.private_seg_size, 0
	.set _ZN7rocprim17ROCPRIM_400000_NS6detail17trampoline_kernelINS0_14default_configENS1_20scan_config_selectorIfEEZZNS1_9scan_implILNS1_25lookback_scan_determinismE0ELb0ELb0ES3_PKfPffZZZN2at6native31launch_logcumsumexp_cuda_kernelERKNSB_10TensorBaseESF_lENKUlvE_clEvENKUlvE0_clEvEUlffE_fEEDaPvRmT3_T4_T5_mT6_P12ihipStream_tbENKUlT_T0_E_clISt17integral_constantIbLb0EESW_EEDaSR_SS_EUlSR_E_NS1_11comp_targetILNS1_3genE2ELNS1_11target_archE906ELNS1_3gpuE6ELNS1_3repE0EEENS1_30default_config_static_selectorELNS0_4arch9wavefront6targetE0EEEvT1_.uses_vcc, 0
	.set _ZN7rocprim17ROCPRIM_400000_NS6detail17trampoline_kernelINS0_14default_configENS1_20scan_config_selectorIfEEZZNS1_9scan_implILNS1_25lookback_scan_determinismE0ELb0ELb0ES3_PKfPffZZZN2at6native31launch_logcumsumexp_cuda_kernelERKNSB_10TensorBaseESF_lENKUlvE_clEvENKUlvE0_clEvEUlffE_fEEDaPvRmT3_T4_T5_mT6_P12ihipStream_tbENKUlT_T0_E_clISt17integral_constantIbLb0EESW_EEDaSR_SS_EUlSR_E_NS1_11comp_targetILNS1_3genE2ELNS1_11target_archE906ELNS1_3gpuE6ELNS1_3repE0EEENS1_30default_config_static_selectorELNS0_4arch9wavefront6targetE0EEEvT1_.uses_flat_scratch, 0
	.set _ZN7rocprim17ROCPRIM_400000_NS6detail17trampoline_kernelINS0_14default_configENS1_20scan_config_selectorIfEEZZNS1_9scan_implILNS1_25lookback_scan_determinismE0ELb0ELb0ES3_PKfPffZZZN2at6native31launch_logcumsumexp_cuda_kernelERKNSB_10TensorBaseESF_lENKUlvE_clEvENKUlvE0_clEvEUlffE_fEEDaPvRmT3_T4_T5_mT6_P12ihipStream_tbENKUlT_T0_E_clISt17integral_constantIbLb0EESW_EEDaSR_SS_EUlSR_E_NS1_11comp_targetILNS1_3genE2ELNS1_11target_archE906ELNS1_3gpuE6ELNS1_3repE0EEENS1_30default_config_static_selectorELNS0_4arch9wavefront6targetE0EEEvT1_.has_dyn_sized_stack, 0
	.set _ZN7rocprim17ROCPRIM_400000_NS6detail17trampoline_kernelINS0_14default_configENS1_20scan_config_selectorIfEEZZNS1_9scan_implILNS1_25lookback_scan_determinismE0ELb0ELb0ES3_PKfPffZZZN2at6native31launch_logcumsumexp_cuda_kernelERKNSB_10TensorBaseESF_lENKUlvE_clEvENKUlvE0_clEvEUlffE_fEEDaPvRmT3_T4_T5_mT6_P12ihipStream_tbENKUlT_T0_E_clISt17integral_constantIbLb0EESW_EEDaSR_SS_EUlSR_E_NS1_11comp_targetILNS1_3genE2ELNS1_11target_archE906ELNS1_3gpuE6ELNS1_3repE0EEENS1_30default_config_static_selectorELNS0_4arch9wavefront6targetE0EEEvT1_.has_recursion, 0
	.set _ZN7rocprim17ROCPRIM_400000_NS6detail17trampoline_kernelINS0_14default_configENS1_20scan_config_selectorIfEEZZNS1_9scan_implILNS1_25lookback_scan_determinismE0ELb0ELb0ES3_PKfPffZZZN2at6native31launch_logcumsumexp_cuda_kernelERKNSB_10TensorBaseESF_lENKUlvE_clEvENKUlvE0_clEvEUlffE_fEEDaPvRmT3_T4_T5_mT6_P12ihipStream_tbENKUlT_T0_E_clISt17integral_constantIbLb0EESW_EEDaSR_SS_EUlSR_E_NS1_11comp_targetILNS1_3genE2ELNS1_11target_archE906ELNS1_3gpuE6ELNS1_3repE0EEENS1_30default_config_static_selectorELNS0_4arch9wavefront6targetE0EEEvT1_.has_indirect_call, 0
	.section	.AMDGPU.csdata,"",@progbits
; Kernel info:
; codeLenInByte = 0
; TotalNumSgprs: 0
; NumVgprs: 0
; ScratchSize: 0
; MemoryBound: 0
; FloatMode: 240
; IeeeMode: 1
; LDSByteSize: 0 bytes/workgroup (compile time only)
; SGPRBlocks: 0
; VGPRBlocks: 0
; NumSGPRsForWavesPerEU: 1
; NumVGPRsForWavesPerEU: 1
; Occupancy: 16
; WaveLimiterHint : 0
; COMPUTE_PGM_RSRC2:SCRATCH_EN: 0
; COMPUTE_PGM_RSRC2:USER_SGPR: 2
; COMPUTE_PGM_RSRC2:TRAP_HANDLER: 0
; COMPUTE_PGM_RSRC2:TGID_X_EN: 1
; COMPUTE_PGM_RSRC2:TGID_Y_EN: 0
; COMPUTE_PGM_RSRC2:TGID_Z_EN: 0
; COMPUTE_PGM_RSRC2:TIDIG_COMP_CNT: 0
	.section	.text._ZN7rocprim17ROCPRIM_400000_NS6detail17trampoline_kernelINS0_14default_configENS1_20scan_config_selectorIfEEZZNS1_9scan_implILNS1_25lookback_scan_determinismE0ELb0ELb0ES3_PKfPffZZZN2at6native31launch_logcumsumexp_cuda_kernelERKNSB_10TensorBaseESF_lENKUlvE_clEvENKUlvE0_clEvEUlffE_fEEDaPvRmT3_T4_T5_mT6_P12ihipStream_tbENKUlT_T0_E_clISt17integral_constantIbLb0EESW_EEDaSR_SS_EUlSR_E_NS1_11comp_targetILNS1_3genE10ELNS1_11target_archE1201ELNS1_3gpuE5ELNS1_3repE0EEENS1_30default_config_static_selectorELNS0_4arch9wavefront6targetE0EEEvT1_,"axG",@progbits,_ZN7rocprim17ROCPRIM_400000_NS6detail17trampoline_kernelINS0_14default_configENS1_20scan_config_selectorIfEEZZNS1_9scan_implILNS1_25lookback_scan_determinismE0ELb0ELb0ES3_PKfPffZZZN2at6native31launch_logcumsumexp_cuda_kernelERKNSB_10TensorBaseESF_lENKUlvE_clEvENKUlvE0_clEvEUlffE_fEEDaPvRmT3_T4_T5_mT6_P12ihipStream_tbENKUlT_T0_E_clISt17integral_constantIbLb0EESW_EEDaSR_SS_EUlSR_E_NS1_11comp_targetILNS1_3genE10ELNS1_11target_archE1201ELNS1_3gpuE5ELNS1_3repE0EEENS1_30default_config_static_selectorELNS0_4arch9wavefront6targetE0EEEvT1_,comdat
	.globl	_ZN7rocprim17ROCPRIM_400000_NS6detail17trampoline_kernelINS0_14default_configENS1_20scan_config_selectorIfEEZZNS1_9scan_implILNS1_25lookback_scan_determinismE0ELb0ELb0ES3_PKfPffZZZN2at6native31launch_logcumsumexp_cuda_kernelERKNSB_10TensorBaseESF_lENKUlvE_clEvENKUlvE0_clEvEUlffE_fEEDaPvRmT3_T4_T5_mT6_P12ihipStream_tbENKUlT_T0_E_clISt17integral_constantIbLb0EESW_EEDaSR_SS_EUlSR_E_NS1_11comp_targetILNS1_3genE10ELNS1_11target_archE1201ELNS1_3gpuE5ELNS1_3repE0EEENS1_30default_config_static_selectorELNS0_4arch9wavefront6targetE0EEEvT1_ ; -- Begin function _ZN7rocprim17ROCPRIM_400000_NS6detail17trampoline_kernelINS0_14default_configENS1_20scan_config_selectorIfEEZZNS1_9scan_implILNS1_25lookback_scan_determinismE0ELb0ELb0ES3_PKfPffZZZN2at6native31launch_logcumsumexp_cuda_kernelERKNSB_10TensorBaseESF_lENKUlvE_clEvENKUlvE0_clEvEUlffE_fEEDaPvRmT3_T4_T5_mT6_P12ihipStream_tbENKUlT_T0_E_clISt17integral_constantIbLb0EESW_EEDaSR_SS_EUlSR_E_NS1_11comp_targetILNS1_3genE10ELNS1_11target_archE1201ELNS1_3gpuE5ELNS1_3repE0EEENS1_30default_config_static_selectorELNS0_4arch9wavefront6targetE0EEEvT1_
	.p2align	8
	.type	_ZN7rocprim17ROCPRIM_400000_NS6detail17trampoline_kernelINS0_14default_configENS1_20scan_config_selectorIfEEZZNS1_9scan_implILNS1_25lookback_scan_determinismE0ELb0ELb0ES3_PKfPffZZZN2at6native31launch_logcumsumexp_cuda_kernelERKNSB_10TensorBaseESF_lENKUlvE_clEvENKUlvE0_clEvEUlffE_fEEDaPvRmT3_T4_T5_mT6_P12ihipStream_tbENKUlT_T0_E_clISt17integral_constantIbLb0EESW_EEDaSR_SS_EUlSR_E_NS1_11comp_targetILNS1_3genE10ELNS1_11target_archE1201ELNS1_3gpuE5ELNS1_3repE0EEENS1_30default_config_static_selectorELNS0_4arch9wavefront6targetE0EEEvT1_,@function
_ZN7rocprim17ROCPRIM_400000_NS6detail17trampoline_kernelINS0_14default_configENS1_20scan_config_selectorIfEEZZNS1_9scan_implILNS1_25lookback_scan_determinismE0ELb0ELb0ES3_PKfPffZZZN2at6native31launch_logcumsumexp_cuda_kernelERKNSB_10TensorBaseESF_lENKUlvE_clEvENKUlvE0_clEvEUlffE_fEEDaPvRmT3_T4_T5_mT6_P12ihipStream_tbENKUlT_T0_E_clISt17integral_constantIbLb0EESW_EEDaSR_SS_EUlSR_E_NS1_11comp_targetILNS1_3genE10ELNS1_11target_archE1201ELNS1_3gpuE5ELNS1_3repE0EEENS1_30default_config_static_selectorELNS0_4arch9wavefront6targetE0EEEvT1_: ; @_ZN7rocprim17ROCPRIM_400000_NS6detail17trampoline_kernelINS0_14default_configENS1_20scan_config_selectorIfEEZZNS1_9scan_implILNS1_25lookback_scan_determinismE0ELb0ELb0ES3_PKfPffZZZN2at6native31launch_logcumsumexp_cuda_kernelERKNSB_10TensorBaseESF_lENKUlvE_clEvENKUlvE0_clEvEUlffE_fEEDaPvRmT3_T4_T5_mT6_P12ihipStream_tbENKUlT_T0_E_clISt17integral_constantIbLb0EESW_EEDaSR_SS_EUlSR_E_NS1_11comp_targetILNS1_3genE10ELNS1_11target_archE1201ELNS1_3gpuE5ELNS1_3repE0EEENS1_30default_config_static_selectorELNS0_4arch9wavefront6targetE0EEEvT1_
; %bb.0:
	s_clause 0x1
	s_load_b256 s[8:15], s[0:1], 0x0
	s_load_b32 s2, s[0:1], 0x30
	s_mov_b32 s3, 0
	s_mul_i32 s6, ttmp9, 0x600
	s_mov_b32 s7, s3
	v_lshlrev_b32_e32 v15, 2, v0
	s_mov_b32 s4, -1
	s_wait_kmcnt 0x0
	s_lshl_b64 s[24:25], s[10:11], 2
	s_add_co_i32 s2, s2, -1
	s_add_nc_u64 s[8:9], s[8:9], s[24:25]
	s_cmp_lg_u32 ttmp9, s2
	s_mulk_i32 s2, 0x600
	s_cselect_b32 s30, -1, 0
	s_lshl_b64 s[26:27], s[6:7], 2
	s_and_b32 vcc_lo, exec_lo, s30
	s_add_nc_u64 s[16:17], s[8:9], s[26:27]
	s_cbranch_vccz .LBB93_2
; %bb.1:
	s_clause 0x5
	global_load_b32 v1, v15, s[16:17]
	global_load_b32 v2, v15, s[16:17] offset:1024
	global_load_b32 v3, v15, s[16:17] offset:2048
	;; [unrolled: 1-line block ×5, first 2 shown]
	s_mov_b32 s4, s3
	s_wait_loadcnt 0x4
	ds_store_2addr_stride64_b32 v15, v1, v2 offset1:4
	s_wait_loadcnt 0x2
	ds_store_2addr_stride64_b32 v15, v3, v4 offset0:8 offset1:12
	s_wait_loadcnt 0x0
	ds_store_2addr_stride64_b32 v15, v5, v6 offset0:16 offset1:20
	s_wait_dscnt 0x0
	s_barrier_signal -1
	s_barrier_wait -1
.LBB93_2:
	s_load_b64 s[28:29], s[0:1], 0x28
	s_sub_nc_u64 s[10:11], s[14:15], s[2:3]
	s_and_not1_b32 vcc_lo, exec_lo, s4
	v_cmp_gt_u32_e64 s2, s10, v0
	s_cbranch_vccnz .LBB93_16
; %bb.3:
	s_load_b32 s4, s[16:17], 0x0
	s_wait_kmcnt 0x0
	s_mov_b32 s5, s4
	s_mov_b32 s6, s4
	;; [unrolled: 1-line block ×5, first 2 shown]
	v_dual_mov_b32 v1, s4 :: v_dual_mov_b32 v2, s5
	v_dual_mov_b32 v3, s6 :: v_dual_mov_b32 v4, s7
	;; [unrolled: 1-line block ×3, first 2 shown]
	v_mov_b32_e32 v7, s4
	s_and_saveexec_b32 s3, s2
	s_cbranch_execz .LBB93_5
; %bb.4:
	global_load_b32 v7, v15, s[16:17]
	v_dual_mov_b32 v1, s4 :: v_dual_mov_b32 v2, s5
	v_dual_mov_b32 v3, s6 :: v_dual_mov_b32 v4, s7
	;; [unrolled: 1-line block ×3, first 2 shown]
.LBB93_5:
	s_or_b32 exec_lo, exec_lo, s3
	v_or_b32_e32 v1, 0x100, v0
	s_mov_b32 s2, exec_lo
	s_delay_alu instid0(VALU_DEP_1)
	v_cmpx_gt_u32_e64 s10, v1
	s_cbranch_execz .LBB93_7
; %bb.6:
	global_load_b32 v2, v15, s[16:17] offset:1024
.LBB93_7:
	s_or_b32 exec_lo, exec_lo, s2
	v_or_b32_e32 v1, 0x200, v0
	s_mov_b32 s2, exec_lo
	s_delay_alu instid0(VALU_DEP_1)
	v_cmpx_gt_u32_e64 s10, v1
	s_cbranch_execz .LBB93_9
; %bb.8:
	global_load_b32 v3, v15, s[16:17] offset:2048
.LBB93_9:
	;; [unrolled: 9-line block ×5, first 2 shown]
	s_or_b32 exec_lo, exec_lo, s2
	s_wait_loadcnt 0x0
	ds_store_2addr_stride64_b32 v15, v7, v2 offset1:4
	ds_store_2addr_stride64_b32 v15, v3, v4 offset0:8 offset1:12
	ds_store_2addr_stride64_b32 v15, v5, v6 offset0:16 offset1:20
	s_wait_dscnt 0x0
	s_barrier_signal -1
	s_barrier_wait -1
.LBB93_16:
	v_mul_u32_u24_e32 v16, 24, v0
	global_inv scope:SCOPE_SE
	s_cmp_lg_u32 ttmp9, 0
	ds_load_2addr_b64 v[1:4], v16 offset1:1
	ds_load_b64 v[11:12], v16 offset:16
	s_wait_loadcnt_dscnt 0x0
	s_barrier_signal -1
	s_barrier_wait -1
	global_inv scope:SCOPE_SE
	v_cmp_u_f32_e64 s2, v2, v2
	v_max_num_f32_e32 v17, v2, v2
	s_cbranch_scc0 .LBB93_123
; %bb.17:
	v_max_num_f32_e32 v21, v1, v1
	v_cmp_u_f32_e64 s7, v1, v1
	s_delay_alu instid0(VALU_DEP_2) | instskip(SKIP_2) | instid1(VALU_DEP_2)
	v_min_num_f32_e32 v5, v21, v17
	v_max_num_f32_e32 v6, v21, v17
	s_wait_alu 0xf1ff
	v_cndmask_b32_e64 v5, v5, v1, s7
	s_delay_alu instid0(VALU_DEP_2) | instskip(NEXT) | instid1(VALU_DEP_2)
	v_cndmask_b32_e64 v6, v6, v1, s7
	v_cndmask_b32_e64 v7, v5, v2, s2
	s_delay_alu instid0(VALU_DEP_2) | instskip(SKIP_1) | instid1(VALU_DEP_3)
	v_cndmask_b32_e64 v6, v6, v2, s2
	v_mov_b32_e32 v5, v1
	v_cmp_class_f32_e64 s3, v7, 0x1f8
	s_delay_alu instid0(VALU_DEP_3)
	v_cmp_neq_f32_e32 vcc_lo, v7, v6
	s_or_b32 s4, vcc_lo, s3
	s_wait_alu 0xfffe
	s_and_saveexec_b32 s3, s4
	s_cbranch_execz .LBB93_19
; %bb.18:
	v_sub_f32_e32 v5, v7, v6
	s_mov_b32 s4, 0x3e9b6dac
	s_delay_alu instid0(VALU_DEP_1) | instskip(SKIP_1) | instid1(VALU_DEP_2)
	v_mul_f32_e32 v7, 0x3fb8aa3b, v5
	v_cmp_ngt_f32_e32 vcc_lo, 0xc2ce8ed0, v5
	v_fma_f32 v8, 0x3fb8aa3b, v5, -v7
	v_rndne_f32_e32 v9, v7
	s_delay_alu instid0(VALU_DEP_1) | instskip(NEXT) | instid1(VALU_DEP_1)
	v_dual_fmamk_f32 v8, v5, 0x32a5705f, v8 :: v_dual_sub_f32 v7, v7, v9
	v_add_f32_e32 v7, v7, v8
	v_cvt_i32_f32_e32 v8, v9
	s_delay_alu instid0(VALU_DEP_2) | instskip(NEXT) | instid1(TRANS32_DEP_1)
	v_exp_f32_e32 v7, v7
	v_ldexp_f32 v7, v7, v8
	s_delay_alu instid0(VALU_DEP_1) | instskip(SKIP_2) | instid1(VALU_DEP_2)
	v_cndmask_b32_e32 v7, 0, v7, vcc_lo
	v_cmp_nlt_f32_e32 vcc_lo, 0x42b17218, v5
	s_wait_alu 0xfffd
	v_cndmask_b32_e32 v5, 0x7f800000, v7, vcc_lo
	s_delay_alu instid0(VALU_DEP_1) | instskip(NEXT) | instid1(VALU_DEP_1)
	v_add_f32_e32 v9, 1.0, v5
	v_cvt_f64_f32_e32 v[7:8], v9
	s_delay_alu instid0(VALU_DEP_1) | instskip(SKIP_1) | instid1(VALU_DEP_1)
	v_frexp_exp_i32_f64_e32 v7, v[7:8]
	v_frexp_mant_f32_e32 v8, v9
	v_cmp_gt_f32_e32 vcc_lo, 0x3f2aaaab, v8
	v_add_f32_e32 v8, -1.0, v9
	s_delay_alu instid0(VALU_DEP_1) | instskip(NEXT) | instid1(VALU_DEP_1)
	v_dual_sub_f32 v13, v8, v9 :: v_dual_sub_f32 v8, v5, v8
	v_add_f32_e32 v13, 1.0, v13
	s_delay_alu instid0(VALU_DEP_1) | instskip(SKIP_2) | instid1(VALU_DEP_1)
	v_add_f32_e32 v8, v8, v13
	s_wait_alu 0xfffd
	v_subrev_co_ci_u32_e64 v7, null, 0, v7, vcc_lo
	v_sub_nc_u32_e32 v10, 0, v7
	v_cvt_f32_i32_e32 v7, v7
	s_delay_alu instid0(VALU_DEP_2) | instskip(SKIP_1) | instid1(VALU_DEP_2)
	v_ldexp_f32 v9, v9, v10
	v_ldexp_f32 v8, v8, v10
	v_add_f32_e32 v14, 1.0, v9
	v_add_f32_e32 v10, -1.0, v9
	v_cmp_neq_f32_e32 vcc_lo, 0x7f800000, v5
	s_delay_alu instid0(VALU_DEP_3) | instskip(NEXT) | instid1(VALU_DEP_1)
	v_add_f32_e32 v13, -1.0, v14
	v_dual_add_f32 v18, 1.0, v10 :: v_dual_sub_f32 v13, v9, v13
	s_delay_alu instid0(VALU_DEP_1) | instskip(NEXT) | instid1(VALU_DEP_2)
	v_add_f32_e32 v13, v8, v13
	v_sub_f32_e32 v9, v9, v18
	s_delay_alu instid0(VALU_DEP_1) | instskip(NEXT) | instid1(VALU_DEP_1)
	v_add_f32_e32 v8, v8, v9
	v_add_f32_e32 v19, v10, v8
	s_delay_alu instid0(VALU_DEP_1) | instskip(SKIP_1) | instid1(VALU_DEP_2)
	v_sub_f32_e32 v10, v10, v19
	v_add_f32_e32 v18, v14, v13
	v_add_f32_e32 v8, v8, v10
	s_delay_alu instid0(VALU_DEP_2)
	v_rcp_f32_e32 v9, v18
	v_sub_f32_e32 v14, v14, v18
	s_delay_alu instid0(TRANS32_DEP_1) | instid1(VALU_DEP_1)
	v_dual_add_f32 v13, v13, v14 :: v_dual_mul_f32 v20, v19, v9
	s_delay_alu instid0(VALU_DEP_1) | instskip(NEXT) | instid1(VALU_DEP_1)
	v_mul_f32_e32 v22, v18, v20
	v_fma_f32 v14, v20, v18, -v22
	s_delay_alu instid0(VALU_DEP_1) | instskip(NEXT) | instid1(VALU_DEP_1)
	v_fmac_f32_e32 v14, v20, v13
	v_add_f32_e32 v23, v22, v14
	s_delay_alu instid0(VALU_DEP_1) | instskip(NEXT) | instid1(VALU_DEP_1)
	v_sub_f32_e32 v24, v19, v23
	v_sub_f32_e32 v19, v19, v24
	s_delay_alu instid0(VALU_DEP_1) | instskip(NEXT) | instid1(VALU_DEP_1)
	v_sub_f32_e32 v19, v19, v23
	v_add_f32_e32 v8, v8, v19
	v_sub_f32_e32 v10, v23, v22
	s_delay_alu instid0(VALU_DEP_1) | instskip(NEXT) | instid1(VALU_DEP_1)
	v_sub_f32_e32 v10, v10, v14
	v_add_f32_e32 v8, v10, v8
	s_delay_alu instid0(VALU_DEP_1) | instskip(NEXT) | instid1(VALU_DEP_1)
	v_add_f32_e32 v10, v24, v8
	v_mul_f32_e32 v14, v9, v10
	s_delay_alu instid0(VALU_DEP_1) | instskip(SKIP_1) | instid1(VALU_DEP_2)
	v_mul_f32_e32 v19, v18, v14
	v_sub_f32_e32 v23, v24, v10
	v_fma_f32 v18, v14, v18, -v19
	s_delay_alu instid0(VALU_DEP_1) | instskip(NEXT) | instid1(VALU_DEP_1)
	v_fmac_f32_e32 v18, v14, v13
	v_dual_add_f32 v13, v19, v18 :: v_dual_add_f32 v8, v8, v23
	s_delay_alu instid0(VALU_DEP_1) | instskip(NEXT) | instid1(VALU_DEP_1)
	v_dual_sub_f32 v19, v13, v19 :: v_dual_sub_f32 v22, v10, v13
	v_sub_f32_e32 v10, v10, v22
	s_delay_alu instid0(VALU_DEP_1) | instskip(NEXT) | instid1(VALU_DEP_1)
	v_dual_sub_f32 v10, v10, v13 :: v_dual_sub_f32 v13, v19, v18
	v_add_f32_e32 v8, v8, v10
	v_add_f32_e32 v10, v20, v14
	s_delay_alu instid0(VALU_DEP_2) | instskip(NEXT) | instid1(VALU_DEP_2)
	v_add_f32_e32 v8, v13, v8
	v_sub_f32_e32 v13, v10, v20
	s_delay_alu instid0(VALU_DEP_2) | instskip(NEXT) | instid1(VALU_DEP_1)
	v_add_f32_e32 v8, v22, v8
	v_dual_sub_f32 v13, v14, v13 :: v_dual_mul_f32 v8, v9, v8
	s_delay_alu instid0(VALU_DEP_1) | instskip(NEXT) | instid1(VALU_DEP_1)
	v_add_f32_e32 v8, v13, v8
	v_add_f32_e32 v9, v10, v8
	s_delay_alu instid0(VALU_DEP_1) | instskip(SKIP_1) | instid1(VALU_DEP_1)
	v_mul_f32_e32 v13, v9, v9
	s_wait_alu 0xfffe
	v_fmaak_f32 v14, s4, v13, 0x3ecc95a3
	v_mul_f32_e32 v18, v9, v13
	s_delay_alu instid0(VALU_DEP_2) | instskip(SKIP_2) | instid1(VALU_DEP_3)
	v_fmaak_f32 v13, v13, v14, 0x3f2aaada
	v_ldexp_f32 v14, v9, 1
	v_sub_f32_e32 v9, v9, v10
	v_dual_mul_f32 v13, v18, v13 :: v_dual_mul_f32 v18, 0x3f317218, v7
	s_delay_alu instid0(VALU_DEP_2) | instskip(NEXT) | instid1(VALU_DEP_2)
	v_sub_f32_e32 v8, v8, v9
	v_add_f32_e32 v10, v14, v13
	s_delay_alu instid0(VALU_DEP_2) | instskip(NEXT) | instid1(VALU_DEP_2)
	v_ldexp_f32 v8, v8, 1
	v_sub_f32_e32 v9, v10, v14
	v_fma_f32 v14, 0x3f317218, v7, -v18
	s_delay_alu instid0(VALU_DEP_2) | instskip(NEXT) | instid1(VALU_DEP_1)
	v_sub_f32_e32 v9, v13, v9
	v_dual_fmamk_f32 v7, v7, 0xb102e308, v14 :: v_dual_add_f32 v8, v8, v9
	s_delay_alu instid0(VALU_DEP_1) | instskip(NEXT) | instid1(VALU_DEP_1)
	v_add_f32_e32 v9, v18, v7
	v_sub_f32_e32 v18, v9, v18
	s_delay_alu instid0(VALU_DEP_1) | instskip(NEXT) | instid1(VALU_DEP_4)
	v_sub_f32_e32 v7, v7, v18
	v_add_f32_e32 v13, v10, v8
	s_delay_alu instid0(VALU_DEP_1) | instskip(NEXT) | instid1(VALU_DEP_1)
	v_sub_f32_e32 v10, v13, v10
	v_sub_f32_e32 v8, v8, v10
	v_add_f32_e32 v14, v9, v13
	s_delay_alu instid0(VALU_DEP_1) | instskip(NEXT) | instid1(VALU_DEP_1)
	v_sub_f32_e32 v19, v14, v9
	v_dual_sub_f32 v10, v13, v19 :: v_dual_add_f32 v13, v7, v8
	v_sub_f32_e32 v20, v14, v19
	s_delay_alu instid0(VALU_DEP_1) | instskip(NEXT) | instid1(VALU_DEP_1)
	v_sub_f32_e32 v9, v9, v20
	v_dual_add_f32 v9, v10, v9 :: v_dual_sub_f32 v10, v13, v7
	s_delay_alu instid0(VALU_DEP_1) | instskip(NEXT) | instid1(VALU_DEP_2)
	v_add_f32_e32 v9, v13, v9
	v_sub_f32_e32 v13, v13, v10
	s_delay_alu instid0(VALU_DEP_1) | instskip(NEXT) | instid1(VALU_DEP_1)
	v_dual_sub_f32 v8, v8, v10 :: v_dual_sub_f32 v7, v7, v13
	v_dual_add_f32 v18, v14, v9 :: v_dual_add_f32 v7, v8, v7
	s_delay_alu instid0(VALU_DEP_1) | instskip(NEXT) | instid1(VALU_DEP_1)
	v_sub_f32_e32 v10, v18, v14
	v_sub_f32_e32 v8, v9, v10
	s_delay_alu instid0(VALU_DEP_1) | instskip(NEXT) | instid1(VALU_DEP_1)
	v_add_f32_e32 v7, v7, v8
	v_add_f32_e32 v7, v18, v7
	s_wait_alu 0xfffd
	s_delay_alu instid0(VALU_DEP_1) | instskip(SKIP_2) | instid1(VALU_DEP_2)
	v_cndmask_b32_e32 v7, 0x7f800000, v7, vcc_lo
	v_cmp_gt_f32_e64 vcc_lo, 0x33800000, |v5|
	s_wait_alu 0xfffd
	v_cndmask_b32_e32 v5, v7, v5, vcc_lo
	s_delay_alu instid0(VALU_DEP_1)
	v_add_f32_e32 v5, v6, v5
.LBB93_19:
	s_wait_alu 0xfffe
	s_or_b32 exec_lo, exec_lo, s3
	v_max_num_f32_e32 v10, v3, v3
	s_delay_alu instid0(VALU_DEP_2) | instskip(SKIP_2) | instid1(VALU_DEP_3)
	v_max_num_f32_e32 v6, v5, v5
	v_cmp_u_f32_e32 vcc_lo, v5, v5
	v_cmp_u_f32_e64 s3, v3, v3
	v_min_num_f32_e32 v7, v6, v10
	s_wait_alu 0xfffd
	s_delay_alu instid0(VALU_DEP_1) | instskip(NEXT) | instid1(VALU_DEP_1)
	v_dual_max_num_f32 v6, v6, v10 :: v_dual_cndmask_b32 v7, v7, v5
	v_cndmask_b32_e32 v6, v6, v5, vcc_lo
	s_wait_alu 0xf1ff
	s_delay_alu instid0(VALU_DEP_2) | instskip(NEXT) | instid1(VALU_DEP_2)
	v_cndmask_b32_e64 v7, v7, v3, s3
	v_cndmask_b32_e64 v6, v6, v3, s3
	s_delay_alu instid0(VALU_DEP_2) | instskip(NEXT) | instid1(VALU_DEP_2)
	v_cmp_class_f32_e64 s4, v7, 0x1f8
	v_cmp_neq_f32_e32 vcc_lo, v7, v6
	s_or_b32 s5, vcc_lo, s4
	s_wait_alu 0xfffe
	s_and_saveexec_b32 s4, s5
	s_cbranch_execz .LBB93_21
; %bb.20:
	v_sub_f32_e32 v5, v7, v6
	s_mov_b32 s5, 0x3e9b6dac
	s_delay_alu instid0(VALU_DEP_1) | instskip(SKIP_1) | instid1(VALU_DEP_2)
	v_mul_f32_e32 v7, 0x3fb8aa3b, v5
	v_cmp_ngt_f32_e32 vcc_lo, 0xc2ce8ed0, v5
	v_fma_f32 v8, 0x3fb8aa3b, v5, -v7
	v_rndne_f32_e32 v9, v7
	s_delay_alu instid0(VALU_DEP_1) | instskip(NEXT) | instid1(VALU_DEP_1)
	v_dual_fmamk_f32 v8, v5, 0x32a5705f, v8 :: v_dual_sub_f32 v7, v7, v9
	v_add_f32_e32 v7, v7, v8
	v_cvt_i32_f32_e32 v8, v9
	s_delay_alu instid0(VALU_DEP_2) | instskip(NEXT) | instid1(TRANS32_DEP_1)
	v_exp_f32_e32 v7, v7
	v_ldexp_f32 v7, v7, v8
	s_wait_alu 0xfffd
	s_delay_alu instid0(VALU_DEP_1) | instskip(SKIP_2) | instid1(VALU_DEP_2)
	v_cndmask_b32_e32 v7, 0, v7, vcc_lo
	v_cmp_nlt_f32_e32 vcc_lo, 0x42b17218, v5
	s_wait_alu 0xfffd
	v_cndmask_b32_e32 v5, 0x7f800000, v7, vcc_lo
	s_delay_alu instid0(VALU_DEP_1) | instskip(NEXT) | instid1(VALU_DEP_1)
	v_add_f32_e32 v9, 1.0, v5
	v_cvt_f64_f32_e32 v[7:8], v9
	s_delay_alu instid0(VALU_DEP_1) | instskip(SKIP_1) | instid1(VALU_DEP_1)
	v_frexp_exp_i32_f64_e32 v7, v[7:8]
	v_frexp_mant_f32_e32 v8, v9
	v_cmp_gt_f32_e32 vcc_lo, 0x3f2aaaab, v8
	v_add_f32_e32 v8, -1.0, v9
	s_delay_alu instid0(VALU_DEP_1) | instskip(NEXT) | instid1(VALU_DEP_1)
	v_sub_f32_e32 v14, v8, v9
	v_add_f32_e32 v14, 1.0, v14
	s_wait_alu 0xfffd
	v_subrev_co_ci_u32_e64 v7, null, 0, v7, vcc_lo
	s_delay_alu instid0(VALU_DEP_1) | instskip(SKIP_1) | instid1(VALU_DEP_2)
	v_sub_nc_u32_e32 v13, 0, v7
	v_cvt_f32_i32_e32 v7, v7
	v_ldexp_f32 v9, v9, v13
	s_delay_alu instid0(VALU_DEP_1) | instskip(SKIP_2) | instid1(VALU_DEP_2)
	v_add_f32_e32 v18, 1.0, v9
	v_sub_f32_e32 v8, v5, v8
	v_cmp_neq_f32_e32 vcc_lo, 0x7f800000, v5
	v_add_f32_e32 v8, v8, v14
	s_delay_alu instid0(VALU_DEP_4) | instskip(NEXT) | instid1(VALU_DEP_2)
	v_add_f32_e32 v14, -1.0, v18
	v_ldexp_f32 v8, v8, v13
	s_delay_alu instid0(VALU_DEP_2) | instskip(NEXT) | instid1(VALU_DEP_1)
	v_dual_add_f32 v13, -1.0, v9 :: v_dual_sub_f32 v14, v9, v14
	v_dual_add_f32 v19, 1.0, v13 :: v_dual_add_f32 v14, v8, v14
	s_delay_alu instid0(VALU_DEP_1) | instskip(NEXT) | instid1(VALU_DEP_1)
	v_sub_f32_e32 v9, v9, v19
	v_dual_add_f32 v19, v18, v14 :: v_dual_add_f32 v8, v8, v9
	s_delay_alu instid0(VALU_DEP_1) | instskip(NEXT) | instid1(VALU_DEP_1)
	v_rcp_f32_e32 v9, v19
	v_add_f32_e32 v20, v13, v8
	s_delay_alu instid0(TRANS32_DEP_1) | instid1(VALU_DEP_1)
	v_mul_f32_e32 v22, v20, v9
	s_delay_alu instid0(VALU_DEP_1) | instskip(NEXT) | instid1(VALU_DEP_1)
	v_dual_mul_f32 v23, v19, v22 :: v_dual_sub_f32 v18, v18, v19
	v_dual_sub_f32 v13, v13, v20 :: v_dual_add_f32 v14, v14, v18
	s_delay_alu instid0(VALU_DEP_2) | instskip(NEXT) | instid1(VALU_DEP_2)
	v_fma_f32 v18, v22, v19, -v23
	v_add_f32_e32 v8, v8, v13
	s_delay_alu instid0(VALU_DEP_2) | instskip(NEXT) | instid1(VALU_DEP_1)
	v_fmac_f32_e32 v18, v22, v14
	v_add_f32_e32 v24, v23, v18
	s_delay_alu instid0(VALU_DEP_1) | instskip(SKIP_1) | instid1(VALU_DEP_1)
	v_sub_f32_e32 v25, v20, v24
	v_sub_f32_e32 v13, v24, v23
	v_dual_sub_f32 v20, v20, v25 :: v_dual_sub_f32 v13, v13, v18
	s_delay_alu instid0(VALU_DEP_1) | instskip(NEXT) | instid1(VALU_DEP_1)
	v_sub_f32_e32 v20, v20, v24
	v_add_f32_e32 v8, v8, v20
	s_delay_alu instid0(VALU_DEP_1) | instskip(NEXT) | instid1(VALU_DEP_1)
	v_add_f32_e32 v8, v13, v8
	v_add_f32_e32 v13, v25, v8
	s_delay_alu instid0(VALU_DEP_1) | instskip(SKIP_1) | instid1(VALU_DEP_2)
	v_mul_f32_e32 v18, v9, v13
	v_sub_f32_e32 v24, v25, v13
	v_mul_f32_e32 v20, v19, v18
	s_delay_alu instid0(VALU_DEP_2) | instskip(NEXT) | instid1(VALU_DEP_2)
	v_add_f32_e32 v8, v8, v24
	v_fma_f32 v19, v18, v19, -v20
	s_delay_alu instid0(VALU_DEP_1) | instskip(NEXT) | instid1(VALU_DEP_1)
	v_fmac_f32_e32 v19, v18, v14
	v_add_f32_e32 v14, v20, v19
	s_delay_alu instid0(VALU_DEP_1) | instskip(NEXT) | instid1(VALU_DEP_1)
	v_dual_sub_f32 v23, v13, v14 :: v_dual_sub_f32 v20, v14, v20
	v_sub_f32_e32 v13, v13, v23
	s_delay_alu instid0(VALU_DEP_1) | instskip(NEXT) | instid1(VALU_DEP_1)
	v_dual_sub_f32 v13, v13, v14 :: v_dual_sub_f32 v14, v20, v19
	v_dual_add_f32 v8, v8, v13 :: v_dual_add_f32 v13, v22, v18
	s_delay_alu instid0(VALU_DEP_1) | instskip(NEXT) | instid1(VALU_DEP_2)
	v_add_f32_e32 v8, v14, v8
	v_sub_f32_e32 v14, v13, v22
	s_delay_alu instid0(VALU_DEP_2) | instskip(NEXT) | instid1(VALU_DEP_2)
	v_add_f32_e32 v8, v23, v8
	v_sub_f32_e32 v14, v18, v14
	s_delay_alu instid0(VALU_DEP_2) | instskip(NEXT) | instid1(VALU_DEP_1)
	v_mul_f32_e32 v8, v9, v8
	v_add_f32_e32 v8, v14, v8
	s_delay_alu instid0(VALU_DEP_1) | instskip(NEXT) | instid1(VALU_DEP_1)
	v_add_f32_e32 v9, v13, v8
	v_mul_f32_e32 v14, v9, v9
	s_wait_alu 0xfffe
	s_delay_alu instid0(VALU_DEP_1) | instskip(SKIP_1) | instid1(VALU_DEP_2)
	v_fmaak_f32 v18, s5, v14, 0x3ecc95a3
	v_mul_f32_e32 v19, v9, v14
	v_fmaak_f32 v14, v14, v18, 0x3f2aaada
	v_ldexp_f32 v18, v9, 1
	s_delay_alu instid0(VALU_DEP_2) | instskip(NEXT) | instid1(VALU_DEP_1)
	v_dual_sub_f32 v9, v9, v13 :: v_dual_mul_f32 v14, v19, v14
	v_dual_mul_f32 v19, 0x3f317218, v7 :: v_dual_sub_f32 v8, v8, v9
	s_delay_alu instid0(VALU_DEP_2) | instskip(NEXT) | instid1(VALU_DEP_2)
	v_add_f32_e32 v13, v18, v14
	v_ldexp_f32 v8, v8, 1
	s_delay_alu instid0(VALU_DEP_2) | instskip(NEXT) | instid1(VALU_DEP_4)
	v_sub_f32_e32 v9, v13, v18
	v_fma_f32 v18, 0x3f317218, v7, -v19
	s_delay_alu instid0(VALU_DEP_2) | instskip(NEXT) | instid1(VALU_DEP_1)
	v_sub_f32_e32 v9, v14, v9
	v_dual_fmamk_f32 v7, v7, 0xb102e308, v18 :: v_dual_add_f32 v8, v8, v9
	s_delay_alu instid0(VALU_DEP_1) | instskip(NEXT) | instid1(VALU_DEP_1)
	v_dual_add_f32 v9, v19, v7 :: v_dual_add_f32 v14, v13, v8
	v_sub_f32_e32 v19, v9, v19
	s_delay_alu instid0(VALU_DEP_2) | instskip(NEXT) | instid1(VALU_DEP_1)
	v_dual_add_f32 v18, v9, v14 :: v_dual_sub_f32 v13, v14, v13
	v_dual_sub_f32 v7, v7, v19 :: v_dual_sub_f32 v20, v18, v9
	s_delay_alu instid0(VALU_DEP_2) | instskip(NEXT) | instid1(VALU_DEP_2)
	v_sub_f32_e32 v8, v8, v13
	v_sub_f32_e32 v22, v18, v20
	;; [unrolled: 1-line block ×3, first 2 shown]
	s_delay_alu instid0(VALU_DEP_2) | instskip(NEXT) | instid1(VALU_DEP_1)
	v_dual_add_f32 v14, v7, v8 :: v_dual_sub_f32 v9, v9, v22
	v_add_f32_e32 v9, v13, v9
	s_delay_alu instid0(VALU_DEP_2) | instskip(NEXT) | instid1(VALU_DEP_2)
	v_sub_f32_e32 v13, v14, v7
	v_add_f32_e32 v9, v14, v9
	s_delay_alu instid0(VALU_DEP_2) | instskip(SKIP_1) | instid1(VALU_DEP_3)
	v_sub_f32_e32 v14, v14, v13
	v_sub_f32_e32 v8, v8, v13
	v_add_f32_e32 v19, v18, v9
	s_delay_alu instid0(VALU_DEP_3) | instskip(NEXT) | instid1(VALU_DEP_2)
	v_sub_f32_e32 v7, v7, v14
	v_sub_f32_e32 v13, v19, v18
	s_delay_alu instid0(VALU_DEP_1) | instskip(NEXT) | instid1(VALU_DEP_1)
	v_dual_add_f32 v7, v8, v7 :: v_dual_sub_f32 v8, v9, v13
	v_add_f32_e32 v7, v7, v8
	s_delay_alu instid0(VALU_DEP_1) | instskip(SKIP_1) | instid1(VALU_DEP_1)
	v_add_f32_e32 v7, v19, v7
	s_wait_alu 0xfffd
	v_cndmask_b32_e32 v7, 0x7f800000, v7, vcc_lo
	v_cmp_gt_f32_e64 vcc_lo, 0x33800000, |v5|
	s_wait_alu 0xfffd
	s_delay_alu instid0(VALU_DEP_2) | instskip(NEXT) | instid1(VALU_DEP_1)
	v_cndmask_b32_e32 v5, v7, v5, vcc_lo
	v_add_f32_e32 v5, v6, v5
.LBB93_21:
	s_wait_alu 0xfffe
	s_or_b32 exec_lo, exec_lo, s4
	s_delay_alu instid0(VALU_DEP_1) | instskip(SKIP_3) | instid1(VALU_DEP_2)
	v_max_num_f32_e32 v6, v5, v5
	v_cmp_u_f32_e32 vcc_lo, v5, v5
	v_max_num_f32_e32 v18, v4, v4
	v_cmp_u_f32_e64 s4, v4, v4
	v_min_num_f32_e32 v7, v6, v18
	s_wait_alu 0xfffd
	s_delay_alu instid0(VALU_DEP_1) | instskip(SKIP_1) | instid1(VALU_DEP_1)
	v_dual_cndmask_b32 v7, v7, v5 :: v_dual_max_num_f32 v6, v6, v18
	s_wait_alu 0xf1ff
	v_cndmask_b32_e64 v7, v7, v4, s4
	s_delay_alu instid0(VALU_DEP_2) | instskip(NEXT) | instid1(VALU_DEP_2)
	v_cndmask_b32_e32 v6, v6, v5, vcc_lo
	v_cmp_class_f32_e64 s5, v7, 0x1f8
	s_delay_alu instid0(VALU_DEP_2) | instskip(NEXT) | instid1(VALU_DEP_1)
	v_cndmask_b32_e64 v6, v6, v4, s4
	v_cmp_neq_f32_e32 vcc_lo, v7, v6
	s_or_b32 s6, vcc_lo, s5
	s_wait_alu 0xfffe
	s_and_saveexec_b32 s5, s6
	s_cbranch_execz .LBB93_23
; %bb.22:
	v_sub_f32_e32 v5, v7, v6
	s_mov_b32 s6, 0x3e9b6dac
	s_delay_alu instid0(VALU_DEP_1) | instskip(SKIP_1) | instid1(VALU_DEP_2)
	v_mul_f32_e32 v7, 0x3fb8aa3b, v5
	v_cmp_ngt_f32_e32 vcc_lo, 0xc2ce8ed0, v5
	v_fma_f32 v8, 0x3fb8aa3b, v5, -v7
	v_rndne_f32_e32 v9, v7
	s_delay_alu instid0(VALU_DEP_1) | instskip(NEXT) | instid1(VALU_DEP_1)
	v_dual_fmamk_f32 v8, v5, 0x32a5705f, v8 :: v_dual_sub_f32 v7, v7, v9
	v_add_f32_e32 v7, v7, v8
	v_cvt_i32_f32_e32 v8, v9
	s_delay_alu instid0(VALU_DEP_2) | instskip(NEXT) | instid1(TRANS32_DEP_1)
	v_exp_f32_e32 v7, v7
	v_ldexp_f32 v7, v7, v8
	s_wait_alu 0xfffd
	s_delay_alu instid0(VALU_DEP_1) | instskip(SKIP_2) | instid1(VALU_DEP_2)
	v_cndmask_b32_e32 v7, 0, v7, vcc_lo
	v_cmp_nlt_f32_e32 vcc_lo, 0x42b17218, v5
	s_wait_alu 0xfffd
	v_cndmask_b32_e32 v5, 0x7f800000, v7, vcc_lo
	s_delay_alu instid0(VALU_DEP_1) | instskip(NEXT) | instid1(VALU_DEP_1)
	v_add_f32_e32 v9, 1.0, v5
	v_cvt_f64_f32_e32 v[7:8], v9
	s_delay_alu instid0(VALU_DEP_1) | instskip(SKIP_1) | instid1(VALU_DEP_1)
	v_frexp_exp_i32_f64_e32 v7, v[7:8]
	v_frexp_mant_f32_e32 v8, v9
	v_cmp_gt_f32_e32 vcc_lo, 0x3f2aaaab, v8
	v_add_f32_e32 v8, -1.0, v9
	s_delay_alu instid0(VALU_DEP_1) | instskip(SKIP_1) | instid1(VALU_DEP_2)
	v_sub_f32_e32 v14, v8, v9
	v_sub_f32_e32 v8, v5, v8
	v_add_f32_e32 v14, 1.0, v14
	s_delay_alu instid0(VALU_DEP_1) | instskip(SKIP_3) | instid1(VALU_DEP_2)
	v_add_f32_e32 v8, v8, v14
	s_wait_alu 0xfffd
	v_subrev_co_ci_u32_e64 v7, null, 0, v7, vcc_lo
	v_cmp_neq_f32_e32 vcc_lo, 0x7f800000, v5
	v_sub_nc_u32_e32 v13, 0, v7
	v_cvt_f32_i32_e32 v7, v7
	s_delay_alu instid0(VALU_DEP_2) | instskip(SKIP_1) | instid1(VALU_DEP_2)
	v_ldexp_f32 v9, v9, v13
	v_ldexp_f32 v8, v8, v13
	v_add_f32_e32 v19, 1.0, v9
	s_delay_alu instid0(VALU_DEP_1) | instskip(NEXT) | instid1(VALU_DEP_1)
	v_add_f32_e32 v14, -1.0, v19
	v_dual_sub_f32 v14, v9, v14 :: v_dual_add_f32 v13, -1.0, v9
	s_delay_alu instid0(VALU_DEP_1) | instskip(NEXT) | instid1(VALU_DEP_2)
	v_add_f32_e32 v14, v8, v14
	v_add_f32_e32 v20, 1.0, v13
	s_delay_alu instid0(VALU_DEP_1) | instskip(NEXT) | instid1(VALU_DEP_1)
	v_dual_sub_f32 v9, v9, v20 :: v_dual_add_f32 v20, v19, v14
	v_dual_add_f32 v8, v8, v9 :: v_dual_sub_f32 v19, v19, v20
	v_rcp_f32_e32 v9, v20
	s_delay_alu instid0(VALU_DEP_1)
	v_add_f32_e32 v22, v13, v8
	s_delay_alu instid0(TRANS32_DEP_1) | instid1(VALU_DEP_1)
	v_mul_f32_e32 v23, v22, v9
	s_delay_alu instid0(VALU_DEP_1) | instskip(SKIP_1) | instid1(VALU_DEP_2)
	v_mul_f32_e32 v24, v20, v23
	v_add_f32_e32 v14, v14, v19
	v_fma_f32 v19, v23, v20, -v24
	s_delay_alu instid0(VALU_DEP_1) | instskip(NEXT) | instid1(VALU_DEP_1)
	v_fmac_f32_e32 v19, v23, v14
	v_add_f32_e32 v25, v24, v19
	v_sub_f32_e32 v13, v13, v22
	s_delay_alu instid0(VALU_DEP_1) | instskip(NEXT) | instid1(VALU_DEP_1)
	v_dual_add_f32 v8, v8, v13 :: v_dual_sub_f32 v13, v25, v24
	v_dual_sub_f32 v26, v22, v25 :: v_dual_sub_f32 v13, v13, v19
	s_delay_alu instid0(VALU_DEP_1) | instskip(NEXT) | instid1(VALU_DEP_1)
	v_sub_f32_e32 v22, v22, v26
	v_sub_f32_e32 v22, v22, v25
	s_delay_alu instid0(VALU_DEP_1) | instskip(NEXT) | instid1(VALU_DEP_1)
	v_add_f32_e32 v8, v8, v22
	v_add_f32_e32 v8, v13, v8
	s_delay_alu instid0(VALU_DEP_1) | instskip(NEXT) | instid1(VALU_DEP_1)
	v_add_f32_e32 v13, v26, v8
	v_mul_f32_e32 v19, v9, v13
	s_delay_alu instid0(VALU_DEP_1) | instskip(NEXT) | instid1(VALU_DEP_1)
	v_dual_mul_f32 v22, v20, v19 :: v_dual_sub_f32 v25, v26, v13
	v_fma_f32 v20, v19, v20, -v22
	s_delay_alu instid0(VALU_DEP_2) | instskip(NEXT) | instid1(VALU_DEP_2)
	v_add_f32_e32 v8, v8, v25
	v_fmac_f32_e32 v20, v19, v14
	s_delay_alu instid0(VALU_DEP_1) | instskip(NEXT) | instid1(VALU_DEP_1)
	v_add_f32_e32 v14, v22, v20
	v_sub_f32_e32 v24, v13, v14
	s_delay_alu instid0(VALU_DEP_1) | instskip(NEXT) | instid1(VALU_DEP_1)
	v_sub_f32_e32 v13, v13, v24
	v_sub_f32_e32 v13, v13, v14
	s_delay_alu instid0(VALU_DEP_1) | instskip(SKIP_1) | instid1(VALU_DEP_1)
	v_dual_add_f32 v8, v8, v13 :: v_dual_add_f32 v13, v23, v19
	v_sub_f32_e32 v22, v14, v22
	v_sub_f32_e32 v14, v22, v20
	s_delay_alu instid0(VALU_DEP_1) | instskip(NEXT) | instid1(VALU_DEP_4)
	v_add_f32_e32 v8, v14, v8
	v_sub_f32_e32 v14, v13, v23
	s_delay_alu instid0(VALU_DEP_2) | instskip(NEXT) | instid1(VALU_DEP_2)
	v_add_f32_e32 v8, v24, v8
	v_sub_f32_e32 v14, v19, v14
	s_delay_alu instid0(VALU_DEP_2) | instskip(NEXT) | instid1(VALU_DEP_1)
	v_mul_f32_e32 v8, v9, v8
	v_add_f32_e32 v8, v14, v8
	s_delay_alu instid0(VALU_DEP_1) | instskip(NEXT) | instid1(VALU_DEP_1)
	v_add_f32_e32 v9, v13, v8
	v_mul_f32_e32 v14, v9, v9
	s_wait_alu 0xfffe
	s_delay_alu instid0(VALU_DEP_1) | instskip(SKIP_1) | instid1(VALU_DEP_2)
	v_fmaak_f32 v19, s6, v14, 0x3ecc95a3
	v_mul_f32_e32 v20, v9, v14
	v_fmaak_f32 v14, v14, v19, 0x3f2aaada
	v_ldexp_f32 v19, v9, 1
	s_delay_alu instid0(VALU_DEP_2) | instskip(NEXT) | instid1(VALU_DEP_1)
	v_dual_sub_f32 v9, v9, v13 :: v_dual_mul_f32 v14, v20, v14
	v_dual_sub_f32 v8, v8, v9 :: v_dual_add_f32 v13, v19, v14
	s_delay_alu instid0(VALU_DEP_1) | instskip(NEXT) | instid1(VALU_DEP_2)
	v_ldexp_f32 v8, v8, 1
	v_sub_f32_e32 v9, v13, v19
	s_delay_alu instid0(VALU_DEP_1) | instskip(NEXT) | instid1(VALU_DEP_1)
	v_sub_f32_e32 v9, v14, v9
	v_add_f32_e32 v8, v8, v9
	s_delay_alu instid0(VALU_DEP_1) | instskip(NEXT) | instid1(VALU_DEP_1)
	v_add_f32_e32 v14, v13, v8
	v_dual_mul_f32 v20, 0x3f317218, v7 :: v_dual_sub_f32 v13, v14, v13
	s_delay_alu instid0(VALU_DEP_1) | instskip(NEXT) | instid1(VALU_DEP_1)
	v_fma_f32 v19, 0x3f317218, v7, -v20
	v_dual_sub_f32 v8, v8, v13 :: v_dual_fmamk_f32 v7, v7, 0xb102e308, v19
	s_delay_alu instid0(VALU_DEP_1) | instskip(NEXT) | instid1(VALU_DEP_1)
	v_add_f32_e32 v9, v20, v7
	v_add_f32_e32 v19, v9, v14
	s_delay_alu instid0(VALU_DEP_1) | instskip(NEXT) | instid1(VALU_DEP_1)
	v_sub_f32_e32 v22, v19, v9
	v_sub_f32_e32 v23, v19, v22
	v_dual_sub_f32 v13, v14, v22 :: v_dual_sub_f32 v20, v9, v20
	s_delay_alu instid0(VALU_DEP_2) | instskip(NEXT) | instid1(VALU_DEP_2)
	v_sub_f32_e32 v9, v9, v23
	v_sub_f32_e32 v7, v7, v20
	s_delay_alu instid0(VALU_DEP_1) | instskip(NEXT) | instid1(VALU_DEP_1)
	v_dual_add_f32 v9, v13, v9 :: v_dual_add_f32 v14, v7, v8
	v_sub_f32_e32 v13, v14, v7
	s_delay_alu instid0(VALU_DEP_2) | instskip(NEXT) | instid1(VALU_DEP_2)
	v_add_f32_e32 v9, v14, v9
	v_sub_f32_e32 v14, v14, v13
	s_delay_alu instid0(VALU_DEP_2) | instskip(NEXT) | instid1(VALU_DEP_2)
	v_add_f32_e32 v20, v19, v9
	v_dual_sub_f32 v8, v8, v13 :: v_dual_sub_f32 v7, v7, v14
	s_delay_alu instid0(VALU_DEP_2) | instskip(NEXT) | instid1(VALU_DEP_1)
	v_sub_f32_e32 v13, v20, v19
	v_dual_add_f32 v7, v8, v7 :: v_dual_sub_f32 v8, v9, v13
	s_delay_alu instid0(VALU_DEP_1) | instskip(NEXT) | instid1(VALU_DEP_1)
	v_add_f32_e32 v7, v7, v8
	v_add_f32_e32 v7, v20, v7
	s_wait_alu 0xfffd
	s_delay_alu instid0(VALU_DEP_1) | instskip(SKIP_2) | instid1(VALU_DEP_2)
	v_cndmask_b32_e32 v7, 0x7f800000, v7, vcc_lo
	v_cmp_gt_f32_e64 vcc_lo, 0x33800000, |v5|
	s_wait_alu 0xfffd
	v_cndmask_b32_e32 v5, v7, v5, vcc_lo
	s_delay_alu instid0(VALU_DEP_1)
	v_add_f32_e32 v5, v6, v5
.LBB93_23:
	s_wait_alu 0xfffe
	s_or_b32 exec_lo, exec_lo, s5
	s_delay_alu instid0(VALU_DEP_1) | instskip(SKIP_2) | instid1(VALU_DEP_3)
	v_dual_max_num_f32 v19, v11, v11 :: v_dual_max_num_f32 v6, v5, v5
	v_cmp_u_f32_e32 vcc_lo, v5, v5
	v_cmp_u_f32_e64 s5, v11, v11
	v_min_num_f32_e32 v7, v6, v19
	s_wait_alu 0xfffd
	s_delay_alu instid0(VALU_DEP_1) | instskip(NEXT) | instid1(VALU_DEP_1)
	v_dual_max_num_f32 v6, v6, v19 :: v_dual_cndmask_b32 v7, v7, v5
	v_cndmask_b32_e32 v6, v6, v5, vcc_lo
	s_wait_alu 0xf1ff
	s_delay_alu instid0(VALU_DEP_2) | instskip(NEXT) | instid1(VALU_DEP_2)
	v_cndmask_b32_e64 v7, v7, v11, s5
	v_cndmask_b32_e64 v6, v6, v11, s5
	s_delay_alu instid0(VALU_DEP_2) | instskip(NEXT) | instid1(VALU_DEP_2)
	v_cmp_class_f32_e64 s6, v7, 0x1f8
	v_cmp_neq_f32_e32 vcc_lo, v7, v6
	s_or_b32 s8, vcc_lo, s6
	s_wait_alu 0xfffe
	s_and_saveexec_b32 s6, s8
	s_cbranch_execz .LBB93_25
; %bb.24:
	v_sub_f32_e32 v5, v7, v6
	s_mov_b32 s8, 0x3e9b6dac
	s_delay_alu instid0(VALU_DEP_1) | instskip(SKIP_1) | instid1(VALU_DEP_2)
	v_mul_f32_e32 v7, 0x3fb8aa3b, v5
	v_cmp_ngt_f32_e32 vcc_lo, 0xc2ce8ed0, v5
	v_fma_f32 v8, 0x3fb8aa3b, v5, -v7
	v_rndne_f32_e32 v9, v7
	s_delay_alu instid0(VALU_DEP_1) | instskip(NEXT) | instid1(VALU_DEP_1)
	v_dual_fmamk_f32 v8, v5, 0x32a5705f, v8 :: v_dual_sub_f32 v7, v7, v9
	v_add_f32_e32 v7, v7, v8
	v_cvt_i32_f32_e32 v8, v9
	s_delay_alu instid0(VALU_DEP_2) | instskip(NEXT) | instid1(TRANS32_DEP_1)
	v_exp_f32_e32 v7, v7
	v_ldexp_f32 v7, v7, v8
	s_wait_alu 0xfffd
	s_delay_alu instid0(VALU_DEP_1) | instskip(SKIP_2) | instid1(VALU_DEP_2)
	v_cndmask_b32_e32 v7, 0, v7, vcc_lo
	v_cmp_nlt_f32_e32 vcc_lo, 0x42b17218, v5
	s_wait_alu 0xfffd
	v_cndmask_b32_e32 v5, 0x7f800000, v7, vcc_lo
	s_delay_alu instid0(VALU_DEP_1) | instskip(NEXT) | instid1(VALU_DEP_1)
	v_add_f32_e32 v9, 1.0, v5
	v_cvt_f64_f32_e32 v[7:8], v9
	s_delay_alu instid0(VALU_DEP_1) | instskip(SKIP_1) | instid1(VALU_DEP_1)
	v_frexp_exp_i32_f64_e32 v7, v[7:8]
	v_frexp_mant_f32_e32 v8, v9
	v_cmp_gt_f32_e32 vcc_lo, 0x3f2aaaab, v8
	v_add_f32_e32 v8, -1.0, v9
	s_delay_alu instid0(VALU_DEP_1) | instskip(NEXT) | instid1(VALU_DEP_1)
	v_sub_f32_e32 v14, v8, v9
	v_add_f32_e32 v14, 1.0, v14
	s_wait_alu 0xfffd
	v_subrev_co_ci_u32_e64 v7, null, 0, v7, vcc_lo
	s_delay_alu instid0(VALU_DEP_1) | instskip(SKIP_1) | instid1(VALU_DEP_2)
	v_sub_nc_u32_e32 v13, 0, v7
	v_cvt_f32_i32_e32 v7, v7
	v_ldexp_f32 v9, v9, v13
	s_delay_alu instid0(VALU_DEP_1) | instskip(SKIP_2) | instid1(VALU_DEP_2)
	v_add_f32_e32 v20, 1.0, v9
	v_sub_f32_e32 v8, v5, v8
	v_cmp_neq_f32_e32 vcc_lo, 0x7f800000, v5
	v_add_f32_e32 v8, v8, v14
	s_delay_alu instid0(VALU_DEP_4) | instskip(NEXT) | instid1(VALU_DEP_2)
	v_add_f32_e32 v14, -1.0, v20
	v_ldexp_f32 v8, v8, v13
	s_delay_alu instid0(VALU_DEP_2) | instskip(NEXT) | instid1(VALU_DEP_1)
	v_dual_add_f32 v13, -1.0, v9 :: v_dual_sub_f32 v14, v9, v14
	v_add_f32_e32 v22, 1.0, v13
	s_delay_alu instid0(VALU_DEP_2) | instskip(NEXT) | instid1(VALU_DEP_2)
	v_add_f32_e32 v14, v8, v14
	v_sub_f32_e32 v9, v9, v22
	s_delay_alu instid0(VALU_DEP_1) | instskip(NEXT) | instid1(VALU_DEP_1)
	v_add_f32_e32 v8, v8, v9
	v_add_f32_e32 v23, v13, v8
	s_delay_alu instid0(VALU_DEP_1) | instskip(NEXT) | instid1(VALU_DEP_1)
	v_dual_sub_f32 v13, v13, v23 :: v_dual_add_f32 v22, v20, v14
	v_rcp_f32_e32 v9, v22
	s_delay_alu instid0(TRANS32_DEP_1) | instskip(NEXT) | instid1(VALU_DEP_1)
	v_mul_f32_e32 v24, v23, v9
	v_dual_mul_f32 v25, v22, v24 :: v_dual_sub_f32 v20, v20, v22
	s_delay_alu instid0(VALU_DEP_1) | instskip(NEXT) | instid1(VALU_DEP_2)
	v_add_f32_e32 v14, v14, v20
	v_fma_f32 v20, v24, v22, -v25
	s_delay_alu instid0(VALU_DEP_1) | instskip(NEXT) | instid1(VALU_DEP_1)
	v_fmac_f32_e32 v20, v24, v14
	v_add_f32_e32 v26, v25, v20
	s_delay_alu instid0(VALU_DEP_1) | instskip(NEXT) | instid1(VALU_DEP_1)
	v_sub_f32_e32 v27, v23, v26
	v_dual_sub_f32 v23, v23, v27 :: v_dual_add_f32 v8, v8, v13
	v_sub_f32_e32 v13, v26, v25
	s_delay_alu instid0(VALU_DEP_2) | instskip(NEXT) | instid1(VALU_DEP_1)
	v_sub_f32_e32 v23, v23, v26
	v_dual_sub_f32 v13, v13, v20 :: v_dual_add_f32 v8, v8, v23
	s_delay_alu instid0(VALU_DEP_1) | instskip(NEXT) | instid1(VALU_DEP_1)
	v_add_f32_e32 v8, v13, v8
	v_add_f32_e32 v13, v27, v8
	s_delay_alu instid0(VALU_DEP_1) | instskip(NEXT) | instid1(VALU_DEP_1)
	v_mul_f32_e32 v20, v9, v13
	v_dual_sub_f32 v26, v27, v13 :: v_dual_mul_f32 v23, v22, v20
	s_delay_alu instid0(VALU_DEP_1) | instskip(NEXT) | instid1(VALU_DEP_2)
	v_add_f32_e32 v8, v8, v26
	v_fma_f32 v22, v20, v22, -v23
	s_delay_alu instid0(VALU_DEP_1) | instskip(NEXT) | instid1(VALU_DEP_1)
	v_fmac_f32_e32 v22, v20, v14
	v_add_f32_e32 v14, v23, v22
	s_delay_alu instid0(VALU_DEP_1) | instskip(NEXT) | instid1(VALU_DEP_1)
	v_sub_f32_e32 v25, v13, v14
	v_sub_f32_e32 v13, v13, v25
	s_delay_alu instid0(VALU_DEP_1) | instskip(NEXT) | instid1(VALU_DEP_1)
	v_sub_f32_e32 v13, v13, v14
	v_add_f32_e32 v8, v8, v13
	v_add_f32_e32 v13, v24, v20
	v_sub_f32_e32 v23, v14, v23
	s_delay_alu instid0(VALU_DEP_1) | instskip(NEXT) | instid1(VALU_DEP_1)
	v_sub_f32_e32 v14, v23, v22
	v_add_f32_e32 v8, v14, v8
	s_delay_alu instid0(VALU_DEP_4) | instskip(NEXT) | instid1(VALU_DEP_2)
	v_sub_f32_e32 v14, v13, v24
	v_add_f32_e32 v8, v25, v8
	s_delay_alu instid0(VALU_DEP_2) | instskip(NEXT) | instid1(VALU_DEP_2)
	v_sub_f32_e32 v14, v20, v14
	v_mul_f32_e32 v8, v9, v8
	s_delay_alu instid0(VALU_DEP_1) | instskip(NEXT) | instid1(VALU_DEP_1)
	v_add_f32_e32 v8, v14, v8
	v_add_f32_e32 v9, v13, v8
	s_delay_alu instid0(VALU_DEP_1) | instskip(SKIP_1) | instid1(VALU_DEP_1)
	v_mul_f32_e32 v14, v9, v9
	s_wait_alu 0xfffe
	v_fmaak_f32 v20, s8, v14, 0x3ecc95a3
	v_mul_f32_e32 v22, v9, v14
	s_delay_alu instid0(VALU_DEP_2) | instskip(SKIP_1) | instid1(VALU_DEP_2)
	v_fmaak_f32 v14, v14, v20, 0x3f2aaada
	v_ldexp_f32 v20, v9, 1
	v_dual_sub_f32 v9, v9, v13 :: v_dual_mul_f32 v14, v22, v14
	v_mul_f32_e32 v22, 0x3f317218, v7
	s_delay_alu instid0(VALU_DEP_2) | instskip(NEXT) | instid1(VALU_DEP_3)
	v_sub_f32_e32 v8, v8, v9
	v_add_f32_e32 v13, v20, v14
	s_delay_alu instid0(VALU_DEP_2) | instskip(NEXT) | instid1(VALU_DEP_2)
	v_ldexp_f32 v8, v8, 1
	v_sub_f32_e32 v9, v13, v20
	v_fma_f32 v20, 0x3f317218, v7, -v22
	s_delay_alu instid0(VALU_DEP_2) | instskip(NEXT) | instid1(VALU_DEP_1)
	v_sub_f32_e32 v9, v14, v9
	v_dual_fmamk_f32 v7, v7, 0xb102e308, v20 :: v_dual_add_f32 v8, v8, v9
	s_delay_alu instid0(VALU_DEP_1) | instskip(NEXT) | instid1(VALU_DEP_1)
	v_dual_add_f32 v9, v22, v7 :: v_dual_add_f32 v14, v13, v8
	v_sub_f32_e32 v22, v9, v22
	s_delay_alu instid0(VALU_DEP_2) | instskip(NEXT) | instid1(VALU_DEP_2)
	v_dual_add_f32 v20, v9, v14 :: v_dual_sub_f32 v13, v14, v13
	v_sub_f32_e32 v7, v7, v22
	s_delay_alu instid0(VALU_DEP_2) | instskip(NEXT) | instid1(VALU_DEP_3)
	v_sub_f32_e32 v23, v20, v9
	v_sub_f32_e32 v8, v8, v13
	s_delay_alu instid0(VALU_DEP_2) | instskip(NEXT) | instid1(VALU_DEP_2)
	v_sub_f32_e32 v24, v20, v23
	v_dual_sub_f32 v13, v14, v23 :: v_dual_add_f32 v14, v7, v8
	s_delay_alu instid0(VALU_DEP_2) | instskip(NEXT) | instid1(VALU_DEP_1)
	v_sub_f32_e32 v9, v9, v24
	v_add_f32_e32 v9, v13, v9
	s_delay_alu instid0(VALU_DEP_3) | instskip(NEXT) | instid1(VALU_DEP_2)
	v_sub_f32_e32 v13, v14, v7
	v_add_f32_e32 v9, v14, v9
	s_delay_alu instid0(VALU_DEP_2) | instskip(SKIP_1) | instid1(VALU_DEP_2)
	v_sub_f32_e32 v14, v14, v13
	v_sub_f32_e32 v8, v8, v13
	v_dual_add_f32 v22, v20, v9 :: v_dual_sub_f32 v7, v7, v14
	s_delay_alu instid0(VALU_DEP_1) | instskip(NEXT) | instid1(VALU_DEP_1)
	v_sub_f32_e32 v13, v22, v20
	v_dual_add_f32 v7, v8, v7 :: v_dual_sub_f32 v8, v9, v13
	s_delay_alu instid0(VALU_DEP_1) | instskip(NEXT) | instid1(VALU_DEP_1)
	v_add_f32_e32 v7, v7, v8
	v_add_f32_e32 v7, v22, v7
	s_wait_alu 0xfffd
	s_delay_alu instid0(VALU_DEP_1) | instskip(SKIP_2) | instid1(VALU_DEP_2)
	v_cndmask_b32_e32 v7, 0x7f800000, v7, vcc_lo
	v_cmp_gt_f32_e64 vcc_lo, 0x33800000, |v5|
	s_wait_alu 0xfffd
	v_cndmask_b32_e32 v5, v7, v5, vcc_lo
	s_delay_alu instid0(VALU_DEP_1)
	v_add_f32_e32 v5, v6, v5
.LBB93_25:
	s_wait_alu 0xfffe
	s_or_b32 exec_lo, exec_lo, s6
	s_delay_alu instid0(VALU_DEP_1) | instskip(SKIP_3) | instid1(VALU_DEP_2)
	v_max_num_f32_e32 v6, v5, v5
	v_cmp_u_f32_e32 vcc_lo, v5, v5
	v_max_num_f32_e32 v20, v12, v12
	v_cmp_u_f32_e64 s6, v12, v12
	v_min_num_f32_e32 v7, v6, v20
	s_wait_alu 0xfffd
	s_delay_alu instid0(VALU_DEP_1) | instskip(SKIP_1) | instid1(VALU_DEP_1)
	v_dual_cndmask_b32 v7, v7, v5 :: v_dual_max_num_f32 v6, v6, v20
	s_wait_alu 0xf1ff
	v_cndmask_b32_e64 v7, v7, v12, s6
	s_delay_alu instid0(VALU_DEP_2) | instskip(NEXT) | instid1(VALU_DEP_2)
	v_cndmask_b32_e32 v6, v6, v5, vcc_lo
	v_cmp_class_f32_e64 s8, v7, 0x1f8
	s_delay_alu instid0(VALU_DEP_2) | instskip(NEXT) | instid1(VALU_DEP_1)
	v_cndmask_b32_e64 v6, v6, v12, s6
	v_cmp_neq_f32_e32 vcc_lo, v7, v6
	s_or_b32 s9, vcc_lo, s8
	s_wait_alu 0xfffe
	s_and_saveexec_b32 s8, s9
	s_cbranch_execz .LBB93_27
; %bb.26:
	v_sub_f32_e32 v5, v7, v6
	s_mov_b32 s9, 0x3e9b6dac
	s_delay_alu instid0(VALU_DEP_1) | instskip(SKIP_1) | instid1(VALU_DEP_2)
	v_mul_f32_e32 v7, 0x3fb8aa3b, v5
	v_cmp_ngt_f32_e32 vcc_lo, 0xc2ce8ed0, v5
	v_fma_f32 v8, 0x3fb8aa3b, v5, -v7
	v_rndne_f32_e32 v9, v7
	s_delay_alu instid0(VALU_DEP_1) | instskip(NEXT) | instid1(VALU_DEP_1)
	v_dual_fmamk_f32 v8, v5, 0x32a5705f, v8 :: v_dual_sub_f32 v7, v7, v9
	v_add_f32_e32 v7, v7, v8
	v_cvt_i32_f32_e32 v8, v9
	s_delay_alu instid0(VALU_DEP_2) | instskip(NEXT) | instid1(TRANS32_DEP_1)
	v_exp_f32_e32 v7, v7
	v_ldexp_f32 v7, v7, v8
	s_wait_alu 0xfffd
	s_delay_alu instid0(VALU_DEP_1) | instskip(SKIP_2) | instid1(VALU_DEP_2)
	v_cndmask_b32_e32 v7, 0, v7, vcc_lo
	v_cmp_nlt_f32_e32 vcc_lo, 0x42b17218, v5
	s_wait_alu 0xfffd
	v_cndmask_b32_e32 v5, 0x7f800000, v7, vcc_lo
	s_delay_alu instid0(VALU_DEP_1) | instskip(NEXT) | instid1(VALU_DEP_1)
	v_add_f32_e32 v9, 1.0, v5
	v_cvt_f64_f32_e32 v[7:8], v9
	s_delay_alu instid0(VALU_DEP_1) | instskip(SKIP_1) | instid1(VALU_DEP_1)
	v_frexp_exp_i32_f64_e32 v7, v[7:8]
	v_frexp_mant_f32_e32 v8, v9
	v_cmp_gt_f32_e32 vcc_lo, 0x3f2aaaab, v8
	v_add_f32_e32 v8, -1.0, v9
	s_delay_alu instid0(VALU_DEP_1) | instskip(NEXT) | instid1(VALU_DEP_1)
	v_sub_f32_e32 v14, v8, v9
	v_add_f32_e32 v14, 1.0, v14
	s_wait_alu 0xfffd
	v_subrev_co_ci_u32_e64 v7, null, 0, v7, vcc_lo
	s_delay_alu instid0(VALU_DEP_1) | instskip(SKIP_1) | instid1(VALU_DEP_2)
	v_sub_nc_u32_e32 v13, 0, v7
	v_cvt_f32_i32_e32 v7, v7
	v_ldexp_f32 v9, v9, v13
	s_delay_alu instid0(VALU_DEP_1) | instskip(SKIP_2) | instid1(VALU_DEP_2)
	v_add_f32_e32 v22, 1.0, v9
	v_sub_f32_e32 v8, v5, v8
	v_cmp_neq_f32_e32 vcc_lo, 0x7f800000, v5
	v_add_f32_e32 v8, v8, v14
	s_delay_alu instid0(VALU_DEP_4) | instskip(NEXT) | instid1(VALU_DEP_2)
	v_add_f32_e32 v14, -1.0, v22
	v_ldexp_f32 v8, v8, v13
	s_delay_alu instid0(VALU_DEP_2) | instskip(NEXT) | instid1(VALU_DEP_1)
	v_dual_add_f32 v13, -1.0, v9 :: v_dual_sub_f32 v14, v9, v14
	v_dual_add_f32 v23, 1.0, v13 :: v_dual_add_f32 v14, v8, v14
	s_delay_alu instid0(VALU_DEP_1) | instskip(NEXT) | instid1(VALU_DEP_1)
	v_sub_f32_e32 v9, v9, v23
	v_dual_add_f32 v23, v22, v14 :: v_dual_add_f32 v8, v8, v9
	s_delay_alu instid0(VALU_DEP_1) | instskip(SKIP_1) | instid1(VALU_DEP_2)
	v_rcp_f32_e32 v9, v23
	v_sub_f32_e32 v22, v22, v23
	v_add_f32_e32 v24, v13, v8
	s_delay_alu instid0(TRANS32_DEP_1) | instid1(VALU_DEP_1)
	v_dual_add_f32 v14, v14, v22 :: v_dual_mul_f32 v25, v24, v9
	s_delay_alu instid0(VALU_DEP_1) | instskip(NEXT) | instid1(VALU_DEP_1)
	v_mul_f32_e32 v26, v23, v25
	v_fma_f32 v22, v25, v23, -v26
	s_delay_alu instid0(VALU_DEP_1) | instskip(NEXT) | instid1(VALU_DEP_1)
	v_fmac_f32_e32 v22, v25, v14
	v_add_f32_e32 v27, v26, v22
	s_delay_alu instid0(VALU_DEP_1) | instskip(NEXT) | instid1(VALU_DEP_1)
	v_dual_sub_f32 v13, v13, v24 :: v_dual_sub_f32 v28, v24, v27
	v_dual_add_f32 v8, v8, v13 :: v_dual_sub_f32 v13, v27, v26
	s_delay_alu instid0(VALU_DEP_1) | instskip(NEXT) | instid1(VALU_DEP_1)
	v_dual_sub_f32 v24, v24, v28 :: v_dual_sub_f32 v13, v13, v22
	v_sub_f32_e32 v24, v24, v27
	s_delay_alu instid0(VALU_DEP_1) | instskip(NEXT) | instid1(VALU_DEP_1)
	v_add_f32_e32 v8, v8, v24
	v_add_f32_e32 v8, v13, v8
	s_delay_alu instid0(VALU_DEP_1) | instskip(NEXT) | instid1(VALU_DEP_1)
	v_add_f32_e32 v13, v28, v8
	v_mul_f32_e32 v22, v9, v13
	s_delay_alu instid0(VALU_DEP_1) | instskip(NEXT) | instid1(VALU_DEP_1)
	v_dual_sub_f32 v27, v28, v13 :: v_dual_mul_f32 v24, v23, v22
	v_add_f32_e32 v8, v8, v27
	s_delay_alu instid0(VALU_DEP_2) | instskip(NEXT) | instid1(VALU_DEP_1)
	v_fma_f32 v23, v22, v23, -v24
	v_fmac_f32_e32 v23, v22, v14
	s_delay_alu instid0(VALU_DEP_1) | instskip(NEXT) | instid1(VALU_DEP_1)
	v_add_f32_e32 v14, v24, v23
	v_sub_f32_e32 v26, v13, v14
	s_delay_alu instid0(VALU_DEP_1) | instskip(NEXT) | instid1(VALU_DEP_1)
	v_sub_f32_e32 v13, v13, v26
	v_sub_f32_e32 v13, v13, v14
	s_delay_alu instid0(VALU_DEP_1) | instskip(SKIP_1) | instid1(VALU_DEP_1)
	v_dual_add_f32 v8, v8, v13 :: v_dual_add_f32 v13, v25, v22
	v_sub_f32_e32 v24, v14, v24
	v_sub_f32_e32 v14, v24, v23
	s_delay_alu instid0(VALU_DEP_1) | instskip(NEXT) | instid1(VALU_DEP_4)
	v_add_f32_e32 v8, v14, v8
	v_sub_f32_e32 v14, v13, v25
	s_delay_alu instid0(VALU_DEP_2) | instskip(NEXT) | instid1(VALU_DEP_2)
	v_add_f32_e32 v8, v26, v8
	v_sub_f32_e32 v14, v22, v14
	s_delay_alu instid0(VALU_DEP_2) | instskip(NEXT) | instid1(VALU_DEP_1)
	v_mul_f32_e32 v8, v9, v8
	v_add_f32_e32 v8, v14, v8
	s_delay_alu instid0(VALU_DEP_1) | instskip(NEXT) | instid1(VALU_DEP_1)
	v_add_f32_e32 v9, v13, v8
	v_mul_f32_e32 v14, v9, v9
	s_wait_alu 0xfffe
	s_delay_alu instid0(VALU_DEP_1) | instskip(SKIP_1) | instid1(VALU_DEP_2)
	v_fmaak_f32 v22, s9, v14, 0x3ecc95a3
	v_mul_f32_e32 v23, v9, v14
	v_fmaak_f32 v14, v14, v22, 0x3f2aaada
	v_ldexp_f32 v22, v9, 1
	s_delay_alu instid0(VALU_DEP_2) | instskip(NEXT) | instid1(VALU_DEP_1)
	v_dual_sub_f32 v9, v9, v13 :: v_dual_mul_f32 v14, v23, v14
	v_dual_mul_f32 v23, 0x3f317218, v7 :: v_dual_sub_f32 v8, v8, v9
	s_delay_alu instid0(VALU_DEP_2) | instskip(NEXT) | instid1(VALU_DEP_2)
	v_add_f32_e32 v13, v22, v14
	v_ldexp_f32 v8, v8, 1
	s_delay_alu instid0(VALU_DEP_2) | instskip(NEXT) | instid1(VALU_DEP_4)
	v_sub_f32_e32 v9, v13, v22
	v_fma_f32 v22, 0x3f317218, v7, -v23
	s_delay_alu instid0(VALU_DEP_2) | instskip(NEXT) | instid1(VALU_DEP_1)
	v_sub_f32_e32 v9, v14, v9
	v_dual_fmamk_f32 v7, v7, 0xb102e308, v22 :: v_dual_add_f32 v8, v8, v9
	s_delay_alu instid0(VALU_DEP_1) | instskip(NEXT) | instid1(VALU_DEP_1)
	v_dual_add_f32 v9, v23, v7 :: v_dual_add_f32 v14, v13, v8
	v_sub_f32_e32 v23, v9, v23
	s_delay_alu instid0(VALU_DEP_2) | instskip(NEXT) | instid1(VALU_DEP_1)
	v_dual_add_f32 v22, v9, v14 :: v_dual_sub_f32 v13, v14, v13
	v_dual_sub_f32 v7, v7, v23 :: v_dual_sub_f32 v24, v22, v9
	s_delay_alu instid0(VALU_DEP_1) | instskip(SKIP_1) | instid1(VALU_DEP_2)
	v_dual_sub_f32 v8, v8, v13 :: v_dual_sub_f32 v25, v22, v24
	v_sub_f32_e32 v13, v14, v24
	v_dual_add_f32 v14, v7, v8 :: v_dual_sub_f32 v9, v9, v25
	s_delay_alu instid0(VALU_DEP_1) | instskip(NEXT) | instid1(VALU_DEP_2)
	v_add_f32_e32 v9, v13, v9
	v_sub_f32_e32 v13, v14, v7
	s_delay_alu instid0(VALU_DEP_2) | instskip(NEXT) | instid1(VALU_DEP_2)
	v_add_f32_e32 v9, v14, v9
	v_sub_f32_e32 v14, v14, v13
	v_sub_f32_e32 v8, v8, v13
	s_delay_alu instid0(VALU_DEP_3) | instskip(NEXT) | instid1(VALU_DEP_3)
	v_add_f32_e32 v23, v22, v9
	v_sub_f32_e32 v7, v7, v14
	s_delay_alu instid0(VALU_DEP_2) | instskip(NEXT) | instid1(VALU_DEP_1)
	v_sub_f32_e32 v13, v23, v22
	v_dual_add_f32 v7, v8, v7 :: v_dual_sub_f32 v8, v9, v13
	s_delay_alu instid0(VALU_DEP_1) | instskip(NEXT) | instid1(VALU_DEP_1)
	v_add_f32_e32 v7, v7, v8
	v_add_f32_e32 v7, v23, v7
	s_wait_alu 0xfffd
	s_delay_alu instid0(VALU_DEP_1) | instskip(SKIP_2) | instid1(VALU_DEP_2)
	v_cndmask_b32_e32 v7, 0x7f800000, v7, vcc_lo
	v_cmp_gt_f32_e64 vcc_lo, 0x33800000, |v5|
	s_wait_alu 0xfffd
	v_cndmask_b32_e32 v5, v7, v5, vcc_lo
	s_delay_alu instid0(VALU_DEP_1)
	v_add_f32_e32 v5, v6, v5
.LBB93_27:
	s_wait_alu 0xfffe
	s_or_b32 exec_lo, exec_lo, s8
	v_mbcnt_lo_u32_b32 v22, -1, 0
	s_delay_alu instid0(VALU_DEP_2) | instskip(SKIP_1) | instid1(VALU_DEP_2)
	v_mov_b32_dpp v7, v5 row_shr:1 row_mask:0xf bank_mask:0xf
	s_mov_b32 s8, exec_lo
	v_and_b32_e32 v6, 15, v22
	s_delay_alu instid0(VALU_DEP_1)
	v_cmpx_ne_u32_e32 0, v6
	s_cbranch_execz .LBB93_31
; %bb.28:
	v_dual_max_num_f32 v8, v5, v5 :: v_dual_max_num_f32 v9, v7, v7
	v_cmp_u_f32_e32 vcc_lo, v7, v7
	s_delay_alu instid0(VALU_DEP_2) | instskip(SKIP_2) | instid1(VALU_DEP_2)
	v_min_num_f32_e32 v13, v9, v8
	v_max_num_f32_e32 v8, v9, v8
	s_wait_alu 0xfffd
	v_cndmask_b32_e32 v9, v13, v7, vcc_lo
	s_delay_alu instid0(VALU_DEP_2) | instskip(SKIP_2) | instid1(VALU_DEP_3)
	v_cndmask_b32_e32 v13, v8, v7, vcc_lo
	v_cmp_u_f32_e32 vcc_lo, v5, v5
	s_wait_alu 0xfffd
	v_cndmask_b32_e32 v8, v9, v5, vcc_lo
	s_delay_alu instid0(VALU_DEP_3) | instskip(NEXT) | instid1(VALU_DEP_2)
	v_cndmask_b32_e32 v5, v13, v5, vcc_lo
	v_cmp_class_f32_e64 s9, v8, 0x1f8
	s_delay_alu instid0(VALU_DEP_2) | instskip(SKIP_1) | instid1(SALU_CYCLE_1)
	v_cmp_neq_f32_e32 vcc_lo, v8, v5
	s_or_b32 s14, vcc_lo, s9
	s_and_saveexec_b32 s9, s14
	s_cbranch_execz .LBB93_30
; %bb.29:
	v_sub_f32_e32 v7, v8, v5
	s_mov_b32 s14, 0x3e9b6dac
	s_delay_alu instid0(VALU_DEP_1) | instskip(SKIP_1) | instid1(VALU_DEP_2)
	v_mul_f32_e32 v8, 0x3fb8aa3b, v7
	v_cmp_ngt_f32_e32 vcc_lo, 0xc2ce8ed0, v7
	v_fma_f32 v9, 0x3fb8aa3b, v7, -v8
	v_rndne_f32_e32 v13, v8
	s_delay_alu instid0(VALU_DEP_1) | instskip(NEXT) | instid1(VALU_DEP_1)
	v_dual_fmamk_f32 v9, v7, 0x32a5705f, v9 :: v_dual_sub_f32 v8, v8, v13
	v_add_f32_e32 v8, v8, v9
	v_cvt_i32_f32_e32 v9, v13
	s_delay_alu instid0(VALU_DEP_2) | instskip(NEXT) | instid1(TRANS32_DEP_1)
	v_exp_f32_e32 v8, v8
	v_ldexp_f32 v8, v8, v9
	s_wait_alu 0xfffd
	s_delay_alu instid0(VALU_DEP_1) | instskip(SKIP_2) | instid1(VALU_DEP_2)
	v_cndmask_b32_e32 v8, 0, v8, vcc_lo
	v_cmp_nlt_f32_e32 vcc_lo, 0x42b17218, v7
	s_wait_alu 0xfffd
	v_cndmask_b32_e32 v9, 0x7f800000, v8, vcc_lo
	s_delay_alu instid0(VALU_DEP_1) | instskip(NEXT) | instid1(VALU_DEP_1)
	v_add_f32_e32 v13, 1.0, v9
	v_cvt_f64_f32_e32 v[7:8], v13
	s_delay_alu instid0(VALU_DEP_1) | instskip(SKIP_1) | instid1(VALU_DEP_1)
	v_frexp_exp_i32_f64_e32 v7, v[7:8]
	v_frexp_mant_f32_e32 v8, v13
	v_cmp_gt_f32_e32 vcc_lo, 0x3f2aaaab, v8
	v_add_f32_e32 v8, -1.0, v13
	s_delay_alu instid0(VALU_DEP_1) | instskip(NEXT) | instid1(VALU_DEP_1)
	v_dual_sub_f32 v23, v8, v13 :: v_dual_sub_f32 v8, v9, v8
	v_add_f32_e32 v23, 1.0, v23
	s_wait_alu 0xfffd
	v_subrev_co_ci_u32_e64 v7, null, 0, v7, vcc_lo
	v_cmp_neq_f32_e32 vcc_lo, 0x7f800000, v9
	s_delay_alu instid0(VALU_DEP_2) | instskip(SKIP_1) | instid1(VALU_DEP_2)
	v_sub_nc_u32_e32 v14, 0, v7
	v_cvt_f32_i32_e32 v7, v7
	v_ldexp_f32 v13, v13, v14
	s_delay_alu instid0(VALU_DEP_1) | instskip(NEXT) | instid1(VALU_DEP_1)
	v_add_f32_e32 v24, 1.0, v13
	v_dual_add_f32 v8, v8, v23 :: v_dual_add_f32 v23, -1.0, v24
	s_delay_alu instid0(VALU_DEP_1) | instskip(NEXT) | instid1(VALU_DEP_2)
	v_ldexp_f32 v8, v8, v14
	v_dual_sub_f32 v23, v13, v23 :: v_dual_add_f32 v14, -1.0, v13
	s_delay_alu instid0(VALU_DEP_1) | instskip(NEXT) | instid1(VALU_DEP_2)
	v_add_f32_e32 v23, v8, v23
	v_add_f32_e32 v25, 1.0, v14
	s_delay_alu instid0(VALU_DEP_1) | instskip(NEXT) | instid1(VALU_DEP_1)
	v_sub_f32_e32 v13, v13, v25
	v_add_f32_e32 v8, v8, v13
	s_delay_alu instid0(VALU_DEP_1) | instskip(NEXT) | instid1(VALU_DEP_1)
	v_dual_add_f32 v26, v14, v8 :: v_dual_add_f32 v25, v24, v23
	v_sub_f32_e32 v14, v14, v26
	s_delay_alu instid0(VALU_DEP_2) | instskip(SKIP_1) | instid1(VALU_DEP_1)
	v_rcp_f32_e32 v13, v25
	v_sub_f32_e32 v24, v24, v25
	v_dual_add_f32 v8, v8, v14 :: v_dual_add_f32 v23, v23, v24
	s_delay_alu instid0(TRANS32_DEP_1) | instskip(NEXT) | instid1(VALU_DEP_1)
	v_mul_f32_e32 v27, v26, v13
	v_mul_f32_e32 v28, v25, v27
	s_delay_alu instid0(VALU_DEP_1) | instskip(NEXT) | instid1(VALU_DEP_1)
	v_fma_f32 v24, v27, v25, -v28
	v_fmac_f32_e32 v24, v27, v23
	s_delay_alu instid0(VALU_DEP_1) | instskip(NEXT) | instid1(VALU_DEP_1)
	v_add_f32_e32 v29, v28, v24
	v_sub_f32_e32 v30, v26, v29
	s_delay_alu instid0(VALU_DEP_1) | instskip(SKIP_1) | instid1(VALU_DEP_2)
	v_sub_f32_e32 v26, v26, v30
	v_sub_f32_e32 v14, v29, v28
	;; [unrolled: 1-line block ×3, first 2 shown]
	s_delay_alu instid0(VALU_DEP_2) | instskip(NEXT) | instid1(VALU_DEP_2)
	v_sub_f32_e32 v14, v14, v24
	v_add_f32_e32 v8, v8, v26
	s_delay_alu instid0(VALU_DEP_1) | instskip(NEXT) | instid1(VALU_DEP_1)
	v_add_f32_e32 v8, v14, v8
	v_add_f32_e32 v14, v30, v8
	s_delay_alu instid0(VALU_DEP_1) | instskip(NEXT) | instid1(VALU_DEP_1)
	v_mul_f32_e32 v24, v13, v14
	v_dual_sub_f32 v29, v30, v14 :: v_dual_mul_f32 v26, v25, v24
	s_delay_alu instid0(VALU_DEP_1) | instskip(NEXT) | instid1(VALU_DEP_2)
	v_add_f32_e32 v8, v8, v29
	v_fma_f32 v25, v24, v25, -v26
	s_delay_alu instid0(VALU_DEP_1) | instskip(NEXT) | instid1(VALU_DEP_1)
	v_fmac_f32_e32 v25, v24, v23
	v_add_f32_e32 v23, v26, v25
	s_delay_alu instid0(VALU_DEP_1) | instskip(SKIP_1) | instid1(VALU_DEP_2)
	v_sub_f32_e32 v28, v14, v23
	v_sub_f32_e32 v26, v23, v26
	;; [unrolled: 1-line block ×3, first 2 shown]
	s_delay_alu instid0(VALU_DEP_1) | instskip(NEXT) | instid1(VALU_DEP_1)
	v_sub_f32_e32 v14, v14, v23
	v_dual_sub_f32 v23, v26, v25 :: v_dual_add_f32 v8, v8, v14
	v_add_f32_e32 v14, v27, v24
	s_delay_alu instid0(VALU_DEP_1) | instskip(NEXT) | instid1(VALU_DEP_1)
	v_dual_add_f32 v8, v23, v8 :: v_dual_sub_f32 v23, v14, v27
	v_add_f32_e32 v8, v28, v8
	s_delay_alu instid0(VALU_DEP_1) | instskip(NEXT) | instid1(VALU_DEP_1)
	v_dual_sub_f32 v23, v24, v23 :: v_dual_mul_f32 v8, v13, v8
	v_add_f32_e32 v8, v23, v8
	s_delay_alu instid0(VALU_DEP_1) | instskip(NEXT) | instid1(VALU_DEP_1)
	v_add_f32_e32 v13, v14, v8
	v_mul_f32_e32 v23, v13, v13
	s_delay_alu instid0(VALU_DEP_1) | instskip(SKIP_1) | instid1(VALU_DEP_2)
	v_fmaak_f32 v24, s14, v23, 0x3ecc95a3
	v_mul_f32_e32 v25, v13, v23
	v_fmaak_f32 v23, v23, v24, 0x3f2aaada
	v_ldexp_f32 v24, v13, 1
	v_sub_f32_e32 v13, v13, v14
	s_delay_alu instid0(VALU_DEP_3) | instskip(NEXT) | instid1(VALU_DEP_2)
	v_mul_f32_e32 v23, v25, v23
	v_dual_mul_f32 v25, 0x3f317218, v7 :: v_dual_sub_f32 v8, v8, v13
	s_delay_alu instid0(VALU_DEP_2) | instskip(NEXT) | instid1(VALU_DEP_2)
	v_add_f32_e32 v14, v24, v23
	v_ldexp_f32 v8, v8, 1
	s_delay_alu instid0(VALU_DEP_2) | instskip(NEXT) | instid1(VALU_DEP_4)
	v_sub_f32_e32 v13, v14, v24
	v_fma_f32 v24, 0x3f317218, v7, -v25
	s_delay_alu instid0(VALU_DEP_2) | instskip(NEXT) | instid1(VALU_DEP_1)
	v_sub_f32_e32 v13, v23, v13
	v_dual_fmamk_f32 v7, v7, 0xb102e308, v24 :: v_dual_add_f32 v8, v8, v13
	s_delay_alu instid0(VALU_DEP_1) | instskip(NEXT) | instid1(VALU_DEP_2)
	v_add_f32_e32 v13, v25, v7
	v_add_f32_e32 v23, v14, v8
	s_delay_alu instid0(VALU_DEP_2) | instskip(NEXT) | instid1(VALU_DEP_2)
	v_sub_f32_e32 v25, v13, v25
	v_add_f32_e32 v24, v13, v23
	v_sub_f32_e32 v14, v23, v14
	s_delay_alu instid0(VALU_DEP_3) | instskip(NEXT) | instid1(VALU_DEP_3)
	v_sub_f32_e32 v7, v7, v25
	v_sub_f32_e32 v26, v24, v13
	s_delay_alu instid0(VALU_DEP_3) | instskip(NEXT) | instid1(VALU_DEP_2)
	v_sub_f32_e32 v8, v8, v14
	v_sub_f32_e32 v27, v24, v26
	;; [unrolled: 1-line block ×3, first 2 shown]
	s_delay_alu instid0(VALU_DEP_3) | instskip(NEXT) | instid1(VALU_DEP_3)
	v_add_f32_e32 v23, v7, v8
	v_sub_f32_e32 v13, v13, v27
	s_delay_alu instid0(VALU_DEP_1) | instskip(NEXT) | instid1(VALU_DEP_1)
	v_dual_add_f32 v13, v14, v13 :: v_dual_sub_f32 v14, v23, v7
	v_add_f32_e32 v13, v23, v13
	s_delay_alu instid0(VALU_DEP_2) | instskip(SKIP_1) | instid1(VALU_DEP_3)
	v_sub_f32_e32 v23, v23, v14
	v_sub_f32_e32 v8, v8, v14
	v_add_f32_e32 v25, v24, v13
	s_delay_alu instid0(VALU_DEP_1) | instskip(NEXT) | instid1(VALU_DEP_1)
	v_dual_sub_f32 v7, v7, v23 :: v_dual_sub_f32 v14, v25, v24
	v_dual_add_f32 v7, v8, v7 :: v_dual_sub_f32 v8, v13, v14
	s_delay_alu instid0(VALU_DEP_1) | instskip(NEXT) | instid1(VALU_DEP_1)
	v_add_f32_e32 v7, v7, v8
	v_add_f32_e32 v7, v25, v7
	s_wait_alu 0xfffd
	s_delay_alu instid0(VALU_DEP_1) | instskip(SKIP_2) | instid1(VALU_DEP_2)
	v_cndmask_b32_e32 v7, 0x7f800000, v7, vcc_lo
	v_cmp_gt_f32_e64 vcc_lo, 0x33800000, |v9|
	s_wait_alu 0xfffd
	v_cndmask_b32_e32 v7, v7, v9, vcc_lo
	s_delay_alu instid0(VALU_DEP_1)
	v_add_f32_e32 v7, v5, v7
.LBB93_30:
	s_wait_alu 0xfffe
	s_or_b32 exec_lo, exec_lo, s9
	s_delay_alu instid0(VALU_DEP_1)
	v_mov_b32_e32 v5, v7
.LBB93_31:
	s_wait_alu 0xfffe
	s_or_b32 exec_lo, exec_lo, s8
	s_delay_alu instid0(VALU_DEP_1)
	v_mov_b32_dpp v7, v5 row_shr:2 row_mask:0xf bank_mask:0xf
	s_mov_b32 s8, exec_lo
	v_cmpx_lt_u32_e32 1, v6
	s_cbranch_execz .LBB93_35
; %bb.32:
	s_delay_alu instid0(VALU_DEP_2) | instskip(SKIP_1) | instid1(VALU_DEP_2)
	v_dual_max_num_f32 v8, v5, v5 :: v_dual_max_num_f32 v9, v7, v7
	v_cmp_u_f32_e32 vcc_lo, v7, v7
	v_min_num_f32_e32 v13, v9, v8
	v_max_num_f32_e32 v8, v9, v8
	s_wait_alu 0xfffd
	s_delay_alu instid0(VALU_DEP_2) | instskip(NEXT) | instid1(VALU_DEP_2)
	v_cndmask_b32_e32 v9, v13, v7, vcc_lo
	v_cndmask_b32_e32 v13, v8, v7, vcc_lo
	v_cmp_u_f32_e32 vcc_lo, v5, v5
	s_wait_alu 0xfffd
	s_delay_alu instid0(VALU_DEP_3) | instskip(NEXT) | instid1(VALU_DEP_3)
	v_cndmask_b32_e32 v8, v9, v5, vcc_lo
	v_cndmask_b32_e32 v5, v13, v5, vcc_lo
	s_delay_alu instid0(VALU_DEP_2) | instskip(NEXT) | instid1(VALU_DEP_2)
	v_cmp_class_f32_e64 s9, v8, 0x1f8
	v_cmp_neq_f32_e32 vcc_lo, v8, v5
	s_or_b32 s14, vcc_lo, s9
	s_wait_alu 0xfffe
	s_and_saveexec_b32 s9, s14
	s_cbranch_execz .LBB93_34
; %bb.33:
	v_sub_f32_e32 v7, v8, v5
	s_mov_b32 s14, 0x3e9b6dac
	s_delay_alu instid0(VALU_DEP_1) | instskip(SKIP_1) | instid1(VALU_DEP_2)
	v_mul_f32_e32 v8, 0x3fb8aa3b, v7
	v_cmp_ngt_f32_e32 vcc_lo, 0xc2ce8ed0, v7
	v_fma_f32 v9, 0x3fb8aa3b, v7, -v8
	v_rndne_f32_e32 v13, v8
	s_delay_alu instid0(VALU_DEP_1) | instskip(NEXT) | instid1(VALU_DEP_1)
	v_dual_fmamk_f32 v9, v7, 0x32a5705f, v9 :: v_dual_sub_f32 v8, v8, v13
	v_add_f32_e32 v8, v8, v9
	v_cvt_i32_f32_e32 v9, v13
	s_delay_alu instid0(VALU_DEP_2) | instskip(NEXT) | instid1(TRANS32_DEP_1)
	v_exp_f32_e32 v8, v8
	v_ldexp_f32 v8, v8, v9
	s_wait_alu 0xfffd
	s_delay_alu instid0(VALU_DEP_1) | instskip(SKIP_2) | instid1(VALU_DEP_2)
	v_cndmask_b32_e32 v8, 0, v8, vcc_lo
	v_cmp_nlt_f32_e32 vcc_lo, 0x42b17218, v7
	s_wait_alu 0xfffd
	v_cndmask_b32_e32 v9, 0x7f800000, v8, vcc_lo
	s_delay_alu instid0(VALU_DEP_1) | instskip(NEXT) | instid1(VALU_DEP_1)
	v_add_f32_e32 v13, 1.0, v9
	v_cvt_f64_f32_e32 v[7:8], v13
	s_delay_alu instid0(VALU_DEP_1) | instskip(SKIP_1) | instid1(VALU_DEP_1)
	v_frexp_exp_i32_f64_e32 v7, v[7:8]
	v_frexp_mant_f32_e32 v8, v13
	v_cmp_gt_f32_e32 vcc_lo, 0x3f2aaaab, v8
	v_add_f32_e32 v8, -1.0, v13
	s_delay_alu instid0(VALU_DEP_1) | instskip(NEXT) | instid1(VALU_DEP_1)
	v_dual_sub_f32 v23, v8, v13 :: v_dual_sub_f32 v8, v9, v8
	v_add_f32_e32 v23, 1.0, v23
	s_wait_alu 0xfffd
	v_subrev_co_ci_u32_e64 v7, null, 0, v7, vcc_lo
	v_cmp_neq_f32_e32 vcc_lo, 0x7f800000, v9
	s_delay_alu instid0(VALU_DEP_2) | instskip(SKIP_1) | instid1(VALU_DEP_2)
	v_sub_nc_u32_e32 v14, 0, v7
	v_cvt_f32_i32_e32 v7, v7
	v_ldexp_f32 v13, v13, v14
	s_delay_alu instid0(VALU_DEP_1) | instskip(NEXT) | instid1(VALU_DEP_1)
	v_add_f32_e32 v24, 1.0, v13
	v_dual_add_f32 v8, v8, v23 :: v_dual_add_f32 v23, -1.0, v24
	s_delay_alu instid0(VALU_DEP_1) | instskip(NEXT) | instid1(VALU_DEP_2)
	v_ldexp_f32 v8, v8, v14
	v_dual_sub_f32 v23, v13, v23 :: v_dual_add_f32 v14, -1.0, v13
	s_delay_alu instid0(VALU_DEP_1) | instskip(NEXT) | instid1(VALU_DEP_2)
	v_add_f32_e32 v23, v8, v23
	v_add_f32_e32 v25, 1.0, v14
	s_delay_alu instid0(VALU_DEP_1) | instskip(NEXT) | instid1(VALU_DEP_1)
	v_sub_f32_e32 v13, v13, v25
	v_add_f32_e32 v8, v8, v13
	s_delay_alu instid0(VALU_DEP_1) | instskip(NEXT) | instid1(VALU_DEP_1)
	v_dual_add_f32 v26, v14, v8 :: v_dual_add_f32 v25, v24, v23
	v_sub_f32_e32 v14, v14, v26
	s_delay_alu instid0(VALU_DEP_2) | instskip(SKIP_1) | instid1(VALU_DEP_1)
	v_rcp_f32_e32 v13, v25
	v_sub_f32_e32 v24, v24, v25
	v_dual_add_f32 v8, v8, v14 :: v_dual_add_f32 v23, v23, v24
	s_delay_alu instid0(TRANS32_DEP_1) | instskip(NEXT) | instid1(VALU_DEP_1)
	v_mul_f32_e32 v27, v26, v13
	v_mul_f32_e32 v28, v25, v27
	s_delay_alu instid0(VALU_DEP_1) | instskip(NEXT) | instid1(VALU_DEP_1)
	v_fma_f32 v24, v27, v25, -v28
	v_fmac_f32_e32 v24, v27, v23
	s_delay_alu instid0(VALU_DEP_1) | instskip(NEXT) | instid1(VALU_DEP_1)
	v_add_f32_e32 v29, v28, v24
	v_sub_f32_e32 v30, v26, v29
	s_delay_alu instid0(VALU_DEP_1) | instskip(SKIP_1) | instid1(VALU_DEP_2)
	v_sub_f32_e32 v26, v26, v30
	v_sub_f32_e32 v14, v29, v28
	;; [unrolled: 1-line block ×3, first 2 shown]
	s_delay_alu instid0(VALU_DEP_2) | instskip(NEXT) | instid1(VALU_DEP_2)
	v_sub_f32_e32 v14, v14, v24
	v_add_f32_e32 v8, v8, v26
	s_delay_alu instid0(VALU_DEP_1) | instskip(NEXT) | instid1(VALU_DEP_1)
	v_add_f32_e32 v8, v14, v8
	v_add_f32_e32 v14, v30, v8
	s_delay_alu instid0(VALU_DEP_1) | instskip(NEXT) | instid1(VALU_DEP_1)
	v_mul_f32_e32 v24, v13, v14
	v_dual_sub_f32 v29, v30, v14 :: v_dual_mul_f32 v26, v25, v24
	s_delay_alu instid0(VALU_DEP_1) | instskip(NEXT) | instid1(VALU_DEP_2)
	v_add_f32_e32 v8, v8, v29
	v_fma_f32 v25, v24, v25, -v26
	s_delay_alu instid0(VALU_DEP_1) | instskip(NEXT) | instid1(VALU_DEP_1)
	v_fmac_f32_e32 v25, v24, v23
	v_add_f32_e32 v23, v26, v25
	s_delay_alu instid0(VALU_DEP_1) | instskip(SKIP_1) | instid1(VALU_DEP_2)
	v_sub_f32_e32 v28, v14, v23
	v_sub_f32_e32 v26, v23, v26
	;; [unrolled: 1-line block ×3, first 2 shown]
	s_delay_alu instid0(VALU_DEP_1) | instskip(NEXT) | instid1(VALU_DEP_1)
	v_sub_f32_e32 v14, v14, v23
	v_dual_sub_f32 v23, v26, v25 :: v_dual_add_f32 v8, v8, v14
	v_add_f32_e32 v14, v27, v24
	s_delay_alu instid0(VALU_DEP_1) | instskip(NEXT) | instid1(VALU_DEP_1)
	v_dual_add_f32 v8, v23, v8 :: v_dual_sub_f32 v23, v14, v27
	v_add_f32_e32 v8, v28, v8
	s_delay_alu instid0(VALU_DEP_1) | instskip(NEXT) | instid1(VALU_DEP_1)
	v_dual_sub_f32 v23, v24, v23 :: v_dual_mul_f32 v8, v13, v8
	v_add_f32_e32 v8, v23, v8
	s_delay_alu instid0(VALU_DEP_1) | instskip(NEXT) | instid1(VALU_DEP_1)
	v_add_f32_e32 v13, v14, v8
	v_mul_f32_e32 v23, v13, v13
	s_wait_alu 0xfffe
	s_delay_alu instid0(VALU_DEP_1) | instskip(SKIP_1) | instid1(VALU_DEP_2)
	v_fmaak_f32 v24, s14, v23, 0x3ecc95a3
	v_mul_f32_e32 v25, v13, v23
	v_fmaak_f32 v23, v23, v24, 0x3f2aaada
	v_ldexp_f32 v24, v13, 1
	v_sub_f32_e32 v13, v13, v14
	s_delay_alu instid0(VALU_DEP_3) | instskip(NEXT) | instid1(VALU_DEP_2)
	v_mul_f32_e32 v23, v25, v23
	v_dual_mul_f32 v25, 0x3f317218, v7 :: v_dual_sub_f32 v8, v8, v13
	s_delay_alu instid0(VALU_DEP_2) | instskip(NEXT) | instid1(VALU_DEP_2)
	v_add_f32_e32 v14, v24, v23
	v_ldexp_f32 v8, v8, 1
	s_delay_alu instid0(VALU_DEP_2) | instskip(NEXT) | instid1(VALU_DEP_4)
	v_sub_f32_e32 v13, v14, v24
	v_fma_f32 v24, 0x3f317218, v7, -v25
	s_delay_alu instid0(VALU_DEP_2) | instskip(NEXT) | instid1(VALU_DEP_1)
	v_sub_f32_e32 v13, v23, v13
	v_dual_fmamk_f32 v7, v7, 0xb102e308, v24 :: v_dual_add_f32 v8, v8, v13
	s_delay_alu instid0(VALU_DEP_1) | instskip(NEXT) | instid1(VALU_DEP_2)
	v_add_f32_e32 v13, v25, v7
	v_add_f32_e32 v23, v14, v8
	s_delay_alu instid0(VALU_DEP_2) | instskip(NEXT) | instid1(VALU_DEP_2)
	v_sub_f32_e32 v25, v13, v25
	v_add_f32_e32 v24, v13, v23
	v_sub_f32_e32 v14, v23, v14
	s_delay_alu instid0(VALU_DEP_3) | instskip(NEXT) | instid1(VALU_DEP_3)
	v_sub_f32_e32 v7, v7, v25
	v_sub_f32_e32 v26, v24, v13
	s_delay_alu instid0(VALU_DEP_3) | instskip(NEXT) | instid1(VALU_DEP_2)
	v_sub_f32_e32 v8, v8, v14
	v_sub_f32_e32 v27, v24, v26
	v_sub_f32_e32 v14, v23, v26
	s_delay_alu instid0(VALU_DEP_3) | instskip(NEXT) | instid1(VALU_DEP_3)
	v_add_f32_e32 v23, v7, v8
	v_sub_f32_e32 v13, v13, v27
	s_delay_alu instid0(VALU_DEP_1) | instskip(NEXT) | instid1(VALU_DEP_1)
	v_dual_add_f32 v13, v14, v13 :: v_dual_sub_f32 v14, v23, v7
	v_add_f32_e32 v13, v23, v13
	s_delay_alu instid0(VALU_DEP_2) | instskip(SKIP_1) | instid1(VALU_DEP_3)
	v_sub_f32_e32 v23, v23, v14
	v_sub_f32_e32 v8, v8, v14
	v_add_f32_e32 v25, v24, v13
	s_delay_alu instid0(VALU_DEP_1) | instskip(NEXT) | instid1(VALU_DEP_1)
	v_dual_sub_f32 v7, v7, v23 :: v_dual_sub_f32 v14, v25, v24
	v_dual_add_f32 v7, v8, v7 :: v_dual_sub_f32 v8, v13, v14
	s_delay_alu instid0(VALU_DEP_1) | instskip(NEXT) | instid1(VALU_DEP_1)
	v_add_f32_e32 v7, v7, v8
	v_add_f32_e32 v7, v25, v7
	s_wait_alu 0xfffd
	s_delay_alu instid0(VALU_DEP_1) | instskip(SKIP_2) | instid1(VALU_DEP_2)
	v_cndmask_b32_e32 v7, 0x7f800000, v7, vcc_lo
	v_cmp_gt_f32_e64 vcc_lo, 0x33800000, |v9|
	s_wait_alu 0xfffd
	v_cndmask_b32_e32 v7, v7, v9, vcc_lo
	s_delay_alu instid0(VALU_DEP_1)
	v_add_f32_e32 v7, v5, v7
.LBB93_34:
	s_wait_alu 0xfffe
	s_or_b32 exec_lo, exec_lo, s9
	s_delay_alu instid0(VALU_DEP_1)
	v_mov_b32_e32 v5, v7
.LBB93_35:
	s_wait_alu 0xfffe
	s_or_b32 exec_lo, exec_lo, s8
	s_delay_alu instid0(VALU_DEP_1)
	v_mov_b32_dpp v7, v5 row_shr:4 row_mask:0xf bank_mask:0xf
	s_mov_b32 s8, exec_lo
	v_cmpx_lt_u32_e32 3, v6
	s_cbranch_execz .LBB93_39
; %bb.36:
	s_delay_alu instid0(VALU_DEP_2) | instskip(SKIP_1) | instid1(VALU_DEP_2)
	v_dual_max_num_f32 v8, v5, v5 :: v_dual_max_num_f32 v9, v7, v7
	v_cmp_u_f32_e32 vcc_lo, v7, v7
	v_min_num_f32_e32 v13, v9, v8
	v_max_num_f32_e32 v8, v9, v8
	s_wait_alu 0xfffd
	s_delay_alu instid0(VALU_DEP_2) | instskip(NEXT) | instid1(VALU_DEP_2)
	v_cndmask_b32_e32 v9, v13, v7, vcc_lo
	v_cndmask_b32_e32 v13, v8, v7, vcc_lo
	v_cmp_u_f32_e32 vcc_lo, v5, v5
	s_wait_alu 0xfffd
	s_delay_alu instid0(VALU_DEP_3) | instskip(NEXT) | instid1(VALU_DEP_3)
	v_cndmask_b32_e32 v8, v9, v5, vcc_lo
	v_cndmask_b32_e32 v5, v13, v5, vcc_lo
	s_delay_alu instid0(VALU_DEP_2) | instskip(NEXT) | instid1(VALU_DEP_2)
	v_cmp_class_f32_e64 s9, v8, 0x1f8
	v_cmp_neq_f32_e32 vcc_lo, v8, v5
	s_or_b32 s14, vcc_lo, s9
	s_wait_alu 0xfffe
	s_and_saveexec_b32 s9, s14
	s_cbranch_execz .LBB93_38
; %bb.37:
	v_sub_f32_e32 v7, v8, v5
	s_mov_b32 s14, 0x3e9b6dac
	s_delay_alu instid0(VALU_DEP_1) | instskip(SKIP_1) | instid1(VALU_DEP_2)
	v_mul_f32_e32 v8, 0x3fb8aa3b, v7
	v_cmp_ngt_f32_e32 vcc_lo, 0xc2ce8ed0, v7
	v_fma_f32 v9, 0x3fb8aa3b, v7, -v8
	v_rndne_f32_e32 v13, v8
	s_delay_alu instid0(VALU_DEP_1) | instskip(NEXT) | instid1(VALU_DEP_1)
	v_dual_fmamk_f32 v9, v7, 0x32a5705f, v9 :: v_dual_sub_f32 v8, v8, v13
	v_add_f32_e32 v8, v8, v9
	v_cvt_i32_f32_e32 v9, v13
	s_delay_alu instid0(VALU_DEP_2) | instskip(NEXT) | instid1(TRANS32_DEP_1)
	v_exp_f32_e32 v8, v8
	v_ldexp_f32 v8, v8, v9
	s_wait_alu 0xfffd
	s_delay_alu instid0(VALU_DEP_1) | instskip(SKIP_2) | instid1(VALU_DEP_2)
	v_cndmask_b32_e32 v8, 0, v8, vcc_lo
	v_cmp_nlt_f32_e32 vcc_lo, 0x42b17218, v7
	s_wait_alu 0xfffd
	v_cndmask_b32_e32 v9, 0x7f800000, v8, vcc_lo
	s_delay_alu instid0(VALU_DEP_1) | instskip(NEXT) | instid1(VALU_DEP_1)
	v_add_f32_e32 v13, 1.0, v9
	v_cvt_f64_f32_e32 v[7:8], v13
	s_delay_alu instid0(VALU_DEP_1) | instskip(SKIP_1) | instid1(VALU_DEP_1)
	v_frexp_exp_i32_f64_e32 v7, v[7:8]
	v_frexp_mant_f32_e32 v8, v13
	v_cmp_gt_f32_e32 vcc_lo, 0x3f2aaaab, v8
	v_add_f32_e32 v8, -1.0, v13
	s_delay_alu instid0(VALU_DEP_1) | instskip(NEXT) | instid1(VALU_DEP_1)
	v_dual_sub_f32 v23, v8, v13 :: v_dual_sub_f32 v8, v9, v8
	v_add_f32_e32 v23, 1.0, v23
	s_wait_alu 0xfffd
	v_subrev_co_ci_u32_e64 v7, null, 0, v7, vcc_lo
	v_cmp_neq_f32_e32 vcc_lo, 0x7f800000, v9
	s_delay_alu instid0(VALU_DEP_2) | instskip(SKIP_1) | instid1(VALU_DEP_2)
	v_sub_nc_u32_e32 v14, 0, v7
	v_cvt_f32_i32_e32 v7, v7
	v_ldexp_f32 v13, v13, v14
	s_delay_alu instid0(VALU_DEP_1) | instskip(NEXT) | instid1(VALU_DEP_1)
	v_add_f32_e32 v24, 1.0, v13
	v_dual_add_f32 v8, v8, v23 :: v_dual_add_f32 v23, -1.0, v24
	s_delay_alu instid0(VALU_DEP_1) | instskip(NEXT) | instid1(VALU_DEP_2)
	v_ldexp_f32 v8, v8, v14
	v_dual_sub_f32 v23, v13, v23 :: v_dual_add_f32 v14, -1.0, v13
	s_delay_alu instid0(VALU_DEP_1) | instskip(NEXT) | instid1(VALU_DEP_2)
	v_add_f32_e32 v23, v8, v23
	v_add_f32_e32 v25, 1.0, v14
	s_delay_alu instid0(VALU_DEP_1) | instskip(NEXT) | instid1(VALU_DEP_1)
	v_sub_f32_e32 v13, v13, v25
	v_add_f32_e32 v8, v8, v13
	s_delay_alu instid0(VALU_DEP_1) | instskip(NEXT) | instid1(VALU_DEP_1)
	v_dual_add_f32 v26, v14, v8 :: v_dual_add_f32 v25, v24, v23
	v_sub_f32_e32 v14, v14, v26
	s_delay_alu instid0(VALU_DEP_2) | instskip(SKIP_1) | instid1(VALU_DEP_1)
	v_rcp_f32_e32 v13, v25
	v_sub_f32_e32 v24, v24, v25
	v_dual_add_f32 v8, v8, v14 :: v_dual_add_f32 v23, v23, v24
	s_delay_alu instid0(TRANS32_DEP_1) | instskip(NEXT) | instid1(VALU_DEP_1)
	v_mul_f32_e32 v27, v26, v13
	v_mul_f32_e32 v28, v25, v27
	s_delay_alu instid0(VALU_DEP_1) | instskip(NEXT) | instid1(VALU_DEP_1)
	v_fma_f32 v24, v27, v25, -v28
	v_fmac_f32_e32 v24, v27, v23
	s_delay_alu instid0(VALU_DEP_1) | instskip(NEXT) | instid1(VALU_DEP_1)
	v_add_f32_e32 v29, v28, v24
	v_sub_f32_e32 v30, v26, v29
	s_delay_alu instid0(VALU_DEP_1) | instskip(SKIP_1) | instid1(VALU_DEP_2)
	v_sub_f32_e32 v26, v26, v30
	v_sub_f32_e32 v14, v29, v28
	;; [unrolled: 1-line block ×3, first 2 shown]
	s_delay_alu instid0(VALU_DEP_2) | instskip(NEXT) | instid1(VALU_DEP_2)
	v_sub_f32_e32 v14, v14, v24
	v_add_f32_e32 v8, v8, v26
	s_delay_alu instid0(VALU_DEP_1) | instskip(NEXT) | instid1(VALU_DEP_1)
	v_add_f32_e32 v8, v14, v8
	v_add_f32_e32 v14, v30, v8
	s_delay_alu instid0(VALU_DEP_1) | instskip(NEXT) | instid1(VALU_DEP_1)
	v_mul_f32_e32 v24, v13, v14
	v_dual_sub_f32 v29, v30, v14 :: v_dual_mul_f32 v26, v25, v24
	s_delay_alu instid0(VALU_DEP_1) | instskip(NEXT) | instid1(VALU_DEP_2)
	v_add_f32_e32 v8, v8, v29
	v_fma_f32 v25, v24, v25, -v26
	s_delay_alu instid0(VALU_DEP_1) | instskip(NEXT) | instid1(VALU_DEP_1)
	v_fmac_f32_e32 v25, v24, v23
	v_add_f32_e32 v23, v26, v25
	s_delay_alu instid0(VALU_DEP_1) | instskip(SKIP_1) | instid1(VALU_DEP_2)
	v_sub_f32_e32 v28, v14, v23
	v_sub_f32_e32 v26, v23, v26
	v_sub_f32_e32 v14, v14, v28
	s_delay_alu instid0(VALU_DEP_1) | instskip(NEXT) | instid1(VALU_DEP_1)
	v_sub_f32_e32 v14, v14, v23
	v_dual_sub_f32 v23, v26, v25 :: v_dual_add_f32 v8, v8, v14
	v_add_f32_e32 v14, v27, v24
	s_delay_alu instid0(VALU_DEP_1) | instskip(NEXT) | instid1(VALU_DEP_1)
	v_dual_add_f32 v8, v23, v8 :: v_dual_sub_f32 v23, v14, v27
	v_add_f32_e32 v8, v28, v8
	s_delay_alu instid0(VALU_DEP_1) | instskip(NEXT) | instid1(VALU_DEP_1)
	v_dual_sub_f32 v23, v24, v23 :: v_dual_mul_f32 v8, v13, v8
	v_add_f32_e32 v8, v23, v8
	s_delay_alu instid0(VALU_DEP_1) | instskip(NEXT) | instid1(VALU_DEP_1)
	v_add_f32_e32 v13, v14, v8
	v_mul_f32_e32 v23, v13, v13
	s_wait_alu 0xfffe
	s_delay_alu instid0(VALU_DEP_1) | instskip(SKIP_1) | instid1(VALU_DEP_2)
	v_fmaak_f32 v24, s14, v23, 0x3ecc95a3
	v_mul_f32_e32 v25, v13, v23
	v_fmaak_f32 v23, v23, v24, 0x3f2aaada
	v_ldexp_f32 v24, v13, 1
	v_sub_f32_e32 v13, v13, v14
	s_delay_alu instid0(VALU_DEP_3) | instskip(NEXT) | instid1(VALU_DEP_2)
	v_mul_f32_e32 v23, v25, v23
	v_dual_mul_f32 v25, 0x3f317218, v7 :: v_dual_sub_f32 v8, v8, v13
	s_delay_alu instid0(VALU_DEP_2) | instskip(NEXT) | instid1(VALU_DEP_2)
	v_add_f32_e32 v14, v24, v23
	v_ldexp_f32 v8, v8, 1
	s_delay_alu instid0(VALU_DEP_2) | instskip(NEXT) | instid1(VALU_DEP_4)
	v_sub_f32_e32 v13, v14, v24
	v_fma_f32 v24, 0x3f317218, v7, -v25
	s_delay_alu instid0(VALU_DEP_2) | instskip(NEXT) | instid1(VALU_DEP_1)
	v_sub_f32_e32 v13, v23, v13
	v_dual_fmamk_f32 v7, v7, 0xb102e308, v24 :: v_dual_add_f32 v8, v8, v13
	s_delay_alu instid0(VALU_DEP_1) | instskip(NEXT) | instid1(VALU_DEP_2)
	v_add_f32_e32 v13, v25, v7
	v_add_f32_e32 v23, v14, v8
	s_delay_alu instid0(VALU_DEP_2) | instskip(NEXT) | instid1(VALU_DEP_2)
	v_sub_f32_e32 v25, v13, v25
	v_add_f32_e32 v24, v13, v23
	v_sub_f32_e32 v14, v23, v14
	s_delay_alu instid0(VALU_DEP_3) | instskip(NEXT) | instid1(VALU_DEP_3)
	v_sub_f32_e32 v7, v7, v25
	v_sub_f32_e32 v26, v24, v13
	s_delay_alu instid0(VALU_DEP_3) | instskip(NEXT) | instid1(VALU_DEP_2)
	v_sub_f32_e32 v8, v8, v14
	v_sub_f32_e32 v27, v24, v26
	;; [unrolled: 1-line block ×3, first 2 shown]
	s_delay_alu instid0(VALU_DEP_3) | instskip(NEXT) | instid1(VALU_DEP_3)
	v_add_f32_e32 v23, v7, v8
	v_sub_f32_e32 v13, v13, v27
	s_delay_alu instid0(VALU_DEP_1) | instskip(NEXT) | instid1(VALU_DEP_1)
	v_dual_add_f32 v13, v14, v13 :: v_dual_sub_f32 v14, v23, v7
	v_add_f32_e32 v13, v23, v13
	s_delay_alu instid0(VALU_DEP_2) | instskip(SKIP_1) | instid1(VALU_DEP_3)
	v_sub_f32_e32 v23, v23, v14
	v_sub_f32_e32 v8, v8, v14
	v_add_f32_e32 v25, v24, v13
	s_delay_alu instid0(VALU_DEP_1) | instskip(NEXT) | instid1(VALU_DEP_1)
	v_dual_sub_f32 v7, v7, v23 :: v_dual_sub_f32 v14, v25, v24
	v_dual_add_f32 v7, v8, v7 :: v_dual_sub_f32 v8, v13, v14
	s_delay_alu instid0(VALU_DEP_1) | instskip(NEXT) | instid1(VALU_DEP_1)
	v_add_f32_e32 v7, v7, v8
	v_add_f32_e32 v7, v25, v7
	s_wait_alu 0xfffd
	s_delay_alu instid0(VALU_DEP_1) | instskip(SKIP_2) | instid1(VALU_DEP_2)
	v_cndmask_b32_e32 v7, 0x7f800000, v7, vcc_lo
	v_cmp_gt_f32_e64 vcc_lo, 0x33800000, |v9|
	s_wait_alu 0xfffd
	v_cndmask_b32_e32 v7, v7, v9, vcc_lo
	s_delay_alu instid0(VALU_DEP_1)
	v_add_f32_e32 v7, v5, v7
.LBB93_38:
	s_wait_alu 0xfffe
	s_or_b32 exec_lo, exec_lo, s9
	s_delay_alu instid0(VALU_DEP_1)
	v_mov_b32_e32 v5, v7
.LBB93_39:
	s_wait_alu 0xfffe
	s_or_b32 exec_lo, exec_lo, s8
	s_delay_alu instid0(VALU_DEP_1)
	v_mov_b32_dpp v7, v5 row_shr:8 row_mask:0xf bank_mask:0xf
	s_mov_b32 s8, exec_lo
	v_cmpx_lt_u32_e32 7, v6
	s_cbranch_execz .LBB93_43
; %bb.40:
	v_max_num_f32_e32 v6, v5, v5
	v_max_num_f32_e32 v8, v7, v7
	v_cmp_u_f32_e32 vcc_lo, v7, v7
	s_delay_alu instid0(VALU_DEP_2) | instskip(SKIP_2) | instid1(VALU_DEP_2)
	v_min_num_f32_e32 v9, v8, v6
	v_max_num_f32_e32 v6, v8, v6
	s_wait_alu 0xfffd
	v_cndmask_b32_e32 v8, v9, v7, vcc_lo
	s_delay_alu instid0(VALU_DEP_2) | instskip(SKIP_2) | instid1(VALU_DEP_3)
	v_cndmask_b32_e32 v9, v6, v7, vcc_lo
	v_cmp_u_f32_e32 vcc_lo, v5, v5
	s_wait_alu 0xfffd
	v_cndmask_b32_e32 v6, v8, v5, vcc_lo
	s_delay_alu instid0(VALU_DEP_3) | instskip(NEXT) | instid1(VALU_DEP_2)
	v_cndmask_b32_e32 v5, v9, v5, vcc_lo
	v_cmp_class_f32_e64 s9, v6, 0x1f8
	s_delay_alu instid0(VALU_DEP_2)
	v_cmp_neq_f32_e32 vcc_lo, v6, v5
	s_or_b32 s14, vcc_lo, s9
	s_wait_alu 0xfffe
	s_and_saveexec_b32 s9, s14
	s_cbranch_execz .LBB93_42
; %bb.41:
	v_sub_f32_e32 v6, v6, v5
	s_mov_b32 s14, 0x3e9b6dac
	s_delay_alu instid0(VALU_DEP_1) | instskip(NEXT) | instid1(VALU_DEP_1)
	v_mul_f32_e32 v7, 0x3fb8aa3b, v6
	v_fma_f32 v8, 0x3fb8aa3b, v6, -v7
	v_rndne_f32_e32 v9, v7
	s_delay_alu instid0(VALU_DEP_1) | instskip(NEXT) | instid1(VALU_DEP_1)
	v_dual_fmamk_f32 v8, v6, 0x32a5705f, v8 :: v_dual_sub_f32 v7, v7, v9
	v_add_f32_e32 v7, v7, v8
	v_cvt_i32_f32_e32 v8, v9
	v_cmp_ngt_f32_e32 vcc_lo, 0xc2ce8ed0, v6
	s_delay_alu instid0(VALU_DEP_3) | instskip(NEXT) | instid1(TRANS32_DEP_1)
	v_exp_f32_e32 v7, v7
	v_ldexp_f32 v7, v7, v8
	s_wait_alu 0xfffd
	s_delay_alu instid0(VALU_DEP_1) | instskip(SKIP_2) | instid1(VALU_DEP_2)
	v_cndmask_b32_e32 v7, 0, v7, vcc_lo
	v_cmp_nlt_f32_e32 vcc_lo, 0x42b17218, v6
	s_wait_alu 0xfffd
	v_cndmask_b32_e32 v8, 0x7f800000, v7, vcc_lo
	s_delay_alu instid0(VALU_DEP_1) | instskip(NEXT) | instid1(VALU_DEP_1)
	v_add_f32_e32 v9, 1.0, v8
	v_cvt_f64_f32_e32 v[6:7], v9
	s_delay_alu instid0(VALU_DEP_1) | instskip(SKIP_1) | instid1(VALU_DEP_1)
	v_frexp_exp_i32_f64_e32 v6, v[6:7]
	v_frexp_mant_f32_e32 v7, v9
	v_cmp_gt_f32_e32 vcc_lo, 0x3f2aaaab, v7
	v_add_f32_e32 v7, -1.0, v9
	s_delay_alu instid0(VALU_DEP_1) | instskip(NEXT) | instid1(VALU_DEP_1)
	v_dual_sub_f32 v14, v7, v9 :: v_dual_sub_f32 v7, v8, v7
	v_add_f32_e32 v14, 1.0, v14
	s_delay_alu instid0(VALU_DEP_1) | instskip(SKIP_3) | instid1(VALU_DEP_2)
	v_add_f32_e32 v7, v7, v14
	s_wait_alu 0xfffd
	v_subrev_co_ci_u32_e64 v6, null, 0, v6, vcc_lo
	v_cmp_neq_f32_e32 vcc_lo, 0x7f800000, v8
	v_sub_nc_u32_e32 v13, 0, v6
	v_cvt_f32_i32_e32 v6, v6
	s_delay_alu instid0(VALU_DEP_2) | instskip(SKIP_1) | instid1(VALU_DEP_2)
	v_ldexp_f32 v9, v9, v13
	v_ldexp_f32 v7, v7, v13
	v_add_f32_e32 v23, 1.0, v9
	s_delay_alu instid0(VALU_DEP_1) | instskip(NEXT) | instid1(VALU_DEP_1)
	v_add_f32_e32 v14, -1.0, v23
	v_dual_sub_f32 v14, v9, v14 :: v_dual_add_f32 v13, -1.0, v9
	s_delay_alu instid0(VALU_DEP_1) | instskip(NEXT) | instid1(VALU_DEP_2)
	v_add_f32_e32 v14, v7, v14
	v_add_f32_e32 v24, 1.0, v13
	s_delay_alu instid0(VALU_DEP_1) | instskip(NEXT) | instid1(VALU_DEP_1)
	v_dual_sub_f32 v9, v9, v24 :: v_dual_add_f32 v24, v23, v14
	v_sub_f32_e32 v23, v23, v24
	s_delay_alu instid0(VALU_DEP_2) | instskip(SKIP_1) | instid1(VALU_DEP_2)
	v_add_f32_e32 v7, v7, v9
	v_rcp_f32_e32 v9, v24
	v_add_f32_e32 v14, v14, v23
	s_delay_alu instid0(VALU_DEP_2) | instskip(NEXT) | instid1(VALU_DEP_1)
	v_add_f32_e32 v25, v13, v7
	v_sub_f32_e32 v13, v13, v25
	s_delay_alu instid0(TRANS32_DEP_1) | instskip(NEXT) | instid1(VALU_DEP_2)
	v_mul_f32_e32 v26, v25, v9
	v_add_f32_e32 v7, v7, v13
	s_delay_alu instid0(VALU_DEP_2) | instskip(NEXT) | instid1(VALU_DEP_1)
	v_mul_f32_e32 v27, v24, v26
	v_fma_f32 v23, v26, v24, -v27
	s_delay_alu instid0(VALU_DEP_1) | instskip(NEXT) | instid1(VALU_DEP_1)
	v_fmac_f32_e32 v23, v26, v14
	v_add_f32_e32 v28, v27, v23
	s_delay_alu instid0(VALU_DEP_1) | instskip(SKIP_1) | instid1(VALU_DEP_2)
	v_sub_f32_e32 v29, v25, v28
	v_sub_f32_e32 v13, v28, v27
	;; [unrolled: 1-line block ×3, first 2 shown]
	s_delay_alu instid0(VALU_DEP_2) | instskip(NEXT) | instid1(VALU_DEP_2)
	v_sub_f32_e32 v13, v13, v23
	v_sub_f32_e32 v25, v25, v28
	s_delay_alu instid0(VALU_DEP_1) | instskip(NEXT) | instid1(VALU_DEP_1)
	v_add_f32_e32 v7, v7, v25
	v_add_f32_e32 v7, v13, v7
	s_delay_alu instid0(VALU_DEP_1) | instskip(NEXT) | instid1(VALU_DEP_1)
	v_add_f32_e32 v13, v29, v7
	v_mul_f32_e32 v23, v9, v13
	s_delay_alu instid0(VALU_DEP_1) | instskip(NEXT) | instid1(VALU_DEP_1)
	v_dual_sub_f32 v28, v29, v13 :: v_dual_mul_f32 v25, v24, v23
	v_add_f32_e32 v7, v7, v28
	s_delay_alu instid0(VALU_DEP_2) | instskip(NEXT) | instid1(VALU_DEP_1)
	v_fma_f32 v24, v23, v24, -v25
	v_fmac_f32_e32 v24, v23, v14
	s_delay_alu instid0(VALU_DEP_1) | instskip(NEXT) | instid1(VALU_DEP_1)
	v_add_f32_e32 v14, v25, v24
	v_sub_f32_e32 v27, v13, v14
	v_sub_f32_e32 v25, v14, v25
	s_delay_alu instid0(VALU_DEP_2) | instskip(NEXT) | instid1(VALU_DEP_1)
	v_sub_f32_e32 v13, v13, v27
	v_sub_f32_e32 v13, v13, v14
	s_delay_alu instid0(VALU_DEP_1) | instskip(SKIP_1) | instid1(VALU_DEP_1)
	v_dual_sub_f32 v14, v25, v24 :: v_dual_add_f32 v7, v7, v13
	v_add_f32_e32 v13, v26, v23
	v_dual_add_f32 v7, v14, v7 :: v_dual_sub_f32 v14, v13, v26
	s_delay_alu instid0(VALU_DEP_1) | instskip(NEXT) | instid1(VALU_DEP_1)
	v_add_f32_e32 v7, v27, v7
	v_dual_sub_f32 v14, v23, v14 :: v_dual_mul_f32 v7, v9, v7
	s_delay_alu instid0(VALU_DEP_1) | instskip(NEXT) | instid1(VALU_DEP_1)
	v_add_f32_e32 v7, v14, v7
	v_add_f32_e32 v9, v13, v7
	s_delay_alu instid0(VALU_DEP_1) | instskip(SKIP_1) | instid1(VALU_DEP_1)
	v_mul_f32_e32 v14, v9, v9
	s_wait_alu 0xfffe
	v_fmaak_f32 v23, s14, v14, 0x3ecc95a3
	v_mul_f32_e32 v24, v9, v14
	s_delay_alu instid0(VALU_DEP_2) | instskip(SKIP_1) | instid1(VALU_DEP_2)
	v_fmaak_f32 v14, v14, v23, 0x3f2aaada
	v_ldexp_f32 v23, v9, 1
	v_dual_sub_f32 v9, v9, v13 :: v_dual_mul_f32 v14, v24, v14
	s_delay_alu instid0(VALU_DEP_1) | instskip(NEXT) | instid1(VALU_DEP_2)
	v_dual_mul_f32 v24, 0x3f317218, v6 :: v_dual_sub_f32 v7, v7, v9
	v_add_f32_e32 v13, v23, v14
	s_delay_alu instid0(VALU_DEP_2) | instskip(NEXT) | instid1(VALU_DEP_2)
	v_ldexp_f32 v7, v7, 1
	v_sub_f32_e32 v9, v13, v23
	s_delay_alu instid0(VALU_DEP_4) | instskip(NEXT) | instid1(VALU_DEP_2)
	v_fma_f32 v23, 0x3f317218, v6, -v24
	v_sub_f32_e32 v9, v14, v9
	s_delay_alu instid0(VALU_DEP_1) | instskip(NEXT) | instid1(VALU_DEP_1)
	v_dual_fmamk_f32 v6, v6, 0xb102e308, v23 :: v_dual_add_f32 v7, v7, v9
	v_dual_add_f32 v9, v24, v6 :: v_dual_add_f32 v14, v13, v7
	s_delay_alu instid0(VALU_DEP_1) | instskip(NEXT) | instid1(VALU_DEP_2)
	v_sub_f32_e32 v24, v9, v24
	v_add_f32_e32 v23, v9, v14
	v_sub_f32_e32 v13, v14, v13
	s_delay_alu instid0(VALU_DEP_2) | instskip(NEXT) | instid1(VALU_DEP_2)
	v_dual_sub_f32 v6, v6, v24 :: v_dual_sub_f32 v25, v23, v9
	v_sub_f32_e32 v7, v7, v13
	s_delay_alu instid0(VALU_DEP_2) | instskip(SKIP_1) | instid1(VALU_DEP_2)
	v_sub_f32_e32 v26, v23, v25
	v_sub_f32_e32 v13, v14, v25
	v_dual_add_f32 v14, v6, v7 :: v_dual_sub_f32 v9, v9, v26
	s_delay_alu instid0(VALU_DEP_1) | instskip(NEXT) | instid1(VALU_DEP_2)
	v_add_f32_e32 v9, v13, v9
	v_sub_f32_e32 v13, v14, v6
	s_delay_alu instid0(VALU_DEP_2) | instskip(NEXT) | instid1(VALU_DEP_2)
	v_add_f32_e32 v9, v14, v9
	v_sub_f32_e32 v14, v14, v13
	v_sub_f32_e32 v7, v7, v13
	s_delay_alu instid0(VALU_DEP_3) | instskip(NEXT) | instid1(VALU_DEP_1)
	v_add_f32_e32 v24, v23, v9
	v_dual_sub_f32 v6, v6, v14 :: v_dual_sub_f32 v13, v24, v23
	s_delay_alu instid0(VALU_DEP_1) | instskip(NEXT) | instid1(VALU_DEP_1)
	v_dual_add_f32 v6, v7, v6 :: v_dual_sub_f32 v7, v9, v13
	v_add_f32_e32 v6, v6, v7
	s_delay_alu instid0(VALU_DEP_1) | instskip(SKIP_1) | instid1(VALU_DEP_1)
	v_add_f32_e32 v6, v24, v6
	s_wait_alu 0xfffd
	v_cndmask_b32_e32 v6, 0x7f800000, v6, vcc_lo
	v_cmp_gt_f32_e64 vcc_lo, 0x33800000, |v8|
	s_wait_alu 0xfffd
	s_delay_alu instid0(VALU_DEP_2) | instskip(NEXT) | instid1(VALU_DEP_1)
	v_cndmask_b32_e32 v6, v6, v8, vcc_lo
	v_add_f32_e32 v7, v5, v6
.LBB93_42:
	s_wait_alu 0xfffe
	s_or_b32 exec_lo, exec_lo, s9
	s_delay_alu instid0(VALU_DEP_1)
	v_mov_b32_e32 v5, v7
.LBB93_43:
	s_wait_alu 0xfffe
	s_or_b32 exec_lo, exec_lo, s8
	ds_swizzle_b32 v6, v5 offset:swizzle(BROADCAST,32,15)
	v_and_b32_e32 v7, 16, v22
	s_mov_b32 s8, exec_lo
	s_delay_alu instid0(VALU_DEP_1)
	v_cmpx_ne_u32_e32 0, v7
	s_cbranch_execz .LBB93_47
; %bb.44:
	s_wait_dscnt 0x0
	v_dual_max_num_f32 v7, v5, v5 :: v_dual_max_num_f32 v8, v6, v6
	v_cmp_u_f32_e32 vcc_lo, v6, v6
	s_delay_alu instid0(VALU_DEP_2) | instskip(SKIP_1) | instid1(VALU_DEP_1)
	v_min_num_f32_e32 v9, v8, v7
	s_wait_alu 0xfffd
	v_dual_max_num_f32 v7, v8, v7 :: v_dual_cndmask_b32 v8, v9, v6
	s_delay_alu instid0(VALU_DEP_1) | instskip(SKIP_2) | instid1(VALU_DEP_3)
	v_cndmask_b32_e32 v9, v7, v6, vcc_lo
	v_cmp_u_f32_e32 vcc_lo, v5, v5
	s_wait_alu 0xfffd
	v_cndmask_b32_e32 v7, v8, v5, vcc_lo
	s_delay_alu instid0(VALU_DEP_3) | instskip(NEXT) | instid1(VALU_DEP_2)
	v_cndmask_b32_e32 v5, v9, v5, vcc_lo
	v_cmp_class_f32_e64 s9, v7, 0x1f8
	s_delay_alu instid0(VALU_DEP_2)
	v_cmp_neq_f32_e32 vcc_lo, v7, v5
	s_or_b32 s14, vcc_lo, s9
	s_wait_alu 0xfffe
	s_and_saveexec_b32 s9, s14
	s_cbranch_execz .LBB93_46
; %bb.45:
	v_sub_f32_e32 v6, v7, v5
	s_mov_b32 s14, 0x3e9b6dac
	s_delay_alu instid0(VALU_DEP_1) | instskip(SKIP_1) | instid1(VALU_DEP_2)
	v_mul_f32_e32 v7, 0x3fb8aa3b, v6
	v_cmp_ngt_f32_e32 vcc_lo, 0xc2ce8ed0, v6
	v_fma_f32 v8, 0x3fb8aa3b, v6, -v7
	v_rndne_f32_e32 v9, v7
	s_delay_alu instid0(VALU_DEP_1) | instskip(NEXT) | instid1(VALU_DEP_1)
	v_dual_fmamk_f32 v8, v6, 0x32a5705f, v8 :: v_dual_sub_f32 v7, v7, v9
	v_add_f32_e32 v7, v7, v8
	v_cvt_i32_f32_e32 v8, v9
	s_delay_alu instid0(VALU_DEP_2) | instskip(NEXT) | instid1(TRANS32_DEP_1)
	v_exp_f32_e32 v7, v7
	v_ldexp_f32 v7, v7, v8
	s_wait_alu 0xfffd
	s_delay_alu instid0(VALU_DEP_1) | instskip(SKIP_2) | instid1(VALU_DEP_2)
	v_cndmask_b32_e32 v7, 0, v7, vcc_lo
	v_cmp_nlt_f32_e32 vcc_lo, 0x42b17218, v6
	s_wait_alu 0xfffd
	v_cndmask_b32_e32 v8, 0x7f800000, v7, vcc_lo
	s_delay_alu instid0(VALU_DEP_1) | instskip(NEXT) | instid1(VALU_DEP_1)
	v_add_f32_e32 v9, 1.0, v8
	v_cvt_f64_f32_e32 v[6:7], v9
	s_delay_alu instid0(VALU_DEP_1) | instskip(SKIP_1) | instid1(VALU_DEP_1)
	v_frexp_exp_i32_f64_e32 v6, v[6:7]
	v_frexp_mant_f32_e32 v7, v9
	v_cmp_gt_f32_e32 vcc_lo, 0x3f2aaaab, v7
	v_add_f32_e32 v7, -1.0, v9
	s_delay_alu instid0(VALU_DEP_1) | instskip(NEXT) | instid1(VALU_DEP_1)
	v_dual_sub_f32 v14, v7, v9 :: v_dual_sub_f32 v7, v8, v7
	v_add_f32_e32 v14, 1.0, v14
	s_delay_alu instid0(VALU_DEP_1) | instskip(SKIP_3) | instid1(VALU_DEP_2)
	v_add_f32_e32 v7, v7, v14
	s_wait_alu 0xfffd
	v_subrev_co_ci_u32_e64 v6, null, 0, v6, vcc_lo
	v_cmp_neq_f32_e32 vcc_lo, 0x7f800000, v8
	v_sub_nc_u32_e32 v13, 0, v6
	v_cvt_f32_i32_e32 v6, v6
	s_delay_alu instid0(VALU_DEP_2) | instskip(SKIP_1) | instid1(VALU_DEP_2)
	v_ldexp_f32 v9, v9, v13
	v_ldexp_f32 v7, v7, v13
	v_add_f32_e32 v23, 1.0, v9
	s_delay_alu instid0(VALU_DEP_1) | instskip(NEXT) | instid1(VALU_DEP_1)
	v_add_f32_e32 v14, -1.0, v23
	v_dual_sub_f32 v14, v9, v14 :: v_dual_add_f32 v13, -1.0, v9
	s_delay_alu instid0(VALU_DEP_1) | instskip(NEXT) | instid1(VALU_DEP_2)
	v_add_f32_e32 v14, v7, v14
	v_add_f32_e32 v24, 1.0, v13
	s_delay_alu instid0(VALU_DEP_1) | instskip(NEXT) | instid1(VALU_DEP_1)
	v_dual_sub_f32 v9, v9, v24 :: v_dual_add_f32 v24, v23, v14
	v_sub_f32_e32 v23, v23, v24
	s_delay_alu instid0(VALU_DEP_2) | instskip(SKIP_1) | instid1(VALU_DEP_2)
	v_add_f32_e32 v7, v7, v9
	v_rcp_f32_e32 v9, v24
	v_add_f32_e32 v14, v14, v23
	s_delay_alu instid0(VALU_DEP_2) | instskip(NEXT) | instid1(VALU_DEP_1)
	v_add_f32_e32 v25, v13, v7
	v_sub_f32_e32 v13, v13, v25
	s_delay_alu instid0(TRANS32_DEP_1) | instskip(NEXT) | instid1(VALU_DEP_2)
	v_mul_f32_e32 v26, v25, v9
	v_add_f32_e32 v7, v7, v13
	s_delay_alu instid0(VALU_DEP_2) | instskip(NEXT) | instid1(VALU_DEP_1)
	v_mul_f32_e32 v27, v24, v26
	v_fma_f32 v23, v26, v24, -v27
	s_delay_alu instid0(VALU_DEP_1) | instskip(NEXT) | instid1(VALU_DEP_1)
	v_fmac_f32_e32 v23, v26, v14
	v_add_f32_e32 v28, v27, v23
	s_delay_alu instid0(VALU_DEP_1) | instskip(SKIP_1) | instid1(VALU_DEP_2)
	v_sub_f32_e32 v29, v25, v28
	v_sub_f32_e32 v13, v28, v27
	;; [unrolled: 1-line block ×3, first 2 shown]
	s_delay_alu instid0(VALU_DEP_2) | instskip(NEXT) | instid1(VALU_DEP_2)
	v_sub_f32_e32 v13, v13, v23
	v_sub_f32_e32 v25, v25, v28
	s_delay_alu instid0(VALU_DEP_1) | instskip(NEXT) | instid1(VALU_DEP_1)
	v_add_f32_e32 v7, v7, v25
	v_add_f32_e32 v7, v13, v7
	s_delay_alu instid0(VALU_DEP_1) | instskip(NEXT) | instid1(VALU_DEP_1)
	v_add_f32_e32 v13, v29, v7
	v_mul_f32_e32 v23, v9, v13
	s_delay_alu instid0(VALU_DEP_1) | instskip(NEXT) | instid1(VALU_DEP_1)
	v_dual_sub_f32 v28, v29, v13 :: v_dual_mul_f32 v25, v24, v23
	v_add_f32_e32 v7, v7, v28
	s_delay_alu instid0(VALU_DEP_2) | instskip(NEXT) | instid1(VALU_DEP_1)
	v_fma_f32 v24, v23, v24, -v25
	v_fmac_f32_e32 v24, v23, v14
	s_delay_alu instid0(VALU_DEP_1) | instskip(NEXT) | instid1(VALU_DEP_1)
	v_add_f32_e32 v14, v25, v24
	v_sub_f32_e32 v27, v13, v14
	v_sub_f32_e32 v25, v14, v25
	s_delay_alu instid0(VALU_DEP_2) | instskip(NEXT) | instid1(VALU_DEP_1)
	v_sub_f32_e32 v13, v13, v27
	v_sub_f32_e32 v13, v13, v14
	s_delay_alu instid0(VALU_DEP_1) | instskip(SKIP_1) | instid1(VALU_DEP_1)
	v_dual_sub_f32 v14, v25, v24 :: v_dual_add_f32 v7, v7, v13
	v_add_f32_e32 v13, v26, v23
	v_dual_add_f32 v7, v14, v7 :: v_dual_sub_f32 v14, v13, v26
	s_delay_alu instid0(VALU_DEP_1) | instskip(NEXT) | instid1(VALU_DEP_1)
	v_add_f32_e32 v7, v27, v7
	v_dual_sub_f32 v14, v23, v14 :: v_dual_mul_f32 v7, v9, v7
	s_delay_alu instid0(VALU_DEP_1) | instskip(NEXT) | instid1(VALU_DEP_1)
	v_add_f32_e32 v7, v14, v7
	v_add_f32_e32 v9, v13, v7
	s_delay_alu instid0(VALU_DEP_1) | instskip(SKIP_1) | instid1(VALU_DEP_1)
	v_mul_f32_e32 v14, v9, v9
	s_wait_alu 0xfffe
	v_fmaak_f32 v23, s14, v14, 0x3ecc95a3
	v_mul_f32_e32 v24, v9, v14
	s_delay_alu instid0(VALU_DEP_2) | instskip(SKIP_1) | instid1(VALU_DEP_2)
	v_fmaak_f32 v14, v14, v23, 0x3f2aaada
	v_ldexp_f32 v23, v9, 1
	v_dual_sub_f32 v9, v9, v13 :: v_dual_mul_f32 v14, v24, v14
	s_delay_alu instid0(VALU_DEP_1) | instskip(NEXT) | instid1(VALU_DEP_2)
	v_dual_mul_f32 v24, 0x3f317218, v6 :: v_dual_sub_f32 v7, v7, v9
	v_add_f32_e32 v13, v23, v14
	s_delay_alu instid0(VALU_DEP_2) | instskip(NEXT) | instid1(VALU_DEP_2)
	v_ldexp_f32 v7, v7, 1
	v_sub_f32_e32 v9, v13, v23
	s_delay_alu instid0(VALU_DEP_4) | instskip(NEXT) | instid1(VALU_DEP_2)
	v_fma_f32 v23, 0x3f317218, v6, -v24
	v_sub_f32_e32 v9, v14, v9
	s_delay_alu instid0(VALU_DEP_1) | instskip(NEXT) | instid1(VALU_DEP_1)
	v_dual_fmamk_f32 v6, v6, 0xb102e308, v23 :: v_dual_add_f32 v7, v7, v9
	v_dual_add_f32 v9, v24, v6 :: v_dual_add_f32 v14, v13, v7
	s_delay_alu instid0(VALU_DEP_1) | instskip(NEXT) | instid1(VALU_DEP_2)
	v_sub_f32_e32 v24, v9, v24
	v_add_f32_e32 v23, v9, v14
	v_sub_f32_e32 v13, v14, v13
	s_delay_alu instid0(VALU_DEP_2) | instskip(NEXT) | instid1(VALU_DEP_2)
	v_dual_sub_f32 v6, v6, v24 :: v_dual_sub_f32 v25, v23, v9
	v_sub_f32_e32 v7, v7, v13
	s_delay_alu instid0(VALU_DEP_2) | instskip(SKIP_1) | instid1(VALU_DEP_2)
	v_sub_f32_e32 v26, v23, v25
	v_sub_f32_e32 v13, v14, v25
	v_dual_add_f32 v14, v6, v7 :: v_dual_sub_f32 v9, v9, v26
	s_delay_alu instid0(VALU_DEP_1) | instskip(NEXT) | instid1(VALU_DEP_2)
	v_add_f32_e32 v9, v13, v9
	v_sub_f32_e32 v13, v14, v6
	s_delay_alu instid0(VALU_DEP_2) | instskip(NEXT) | instid1(VALU_DEP_2)
	v_add_f32_e32 v9, v14, v9
	v_sub_f32_e32 v14, v14, v13
	v_sub_f32_e32 v7, v7, v13
	s_delay_alu instid0(VALU_DEP_3) | instskip(NEXT) | instid1(VALU_DEP_1)
	v_add_f32_e32 v24, v23, v9
	v_dual_sub_f32 v6, v6, v14 :: v_dual_sub_f32 v13, v24, v23
	s_delay_alu instid0(VALU_DEP_1) | instskip(NEXT) | instid1(VALU_DEP_1)
	v_dual_add_f32 v6, v7, v6 :: v_dual_sub_f32 v7, v9, v13
	v_add_f32_e32 v6, v6, v7
	s_delay_alu instid0(VALU_DEP_1) | instskip(SKIP_1) | instid1(VALU_DEP_1)
	v_add_f32_e32 v6, v24, v6
	s_wait_alu 0xfffd
	v_cndmask_b32_e32 v6, 0x7f800000, v6, vcc_lo
	v_cmp_gt_f32_e64 vcc_lo, 0x33800000, |v8|
	s_wait_alu 0xfffd
	s_delay_alu instid0(VALU_DEP_2) | instskip(NEXT) | instid1(VALU_DEP_1)
	v_cndmask_b32_e32 v6, v6, v8, vcc_lo
	v_add_f32_e32 v6, v5, v6
.LBB93_46:
	s_wait_alu 0xfffe
	s_or_b32 exec_lo, exec_lo, s9
	s_delay_alu instid0(VALU_DEP_1)
	v_mov_b32_e32 v5, v6
.LBB93_47:
	s_wait_alu 0xfffe
	s_or_b32 exec_lo, exec_lo, s8
	v_or_b32_e32 v7, 31, v0
	s_wait_dscnt 0x0
	v_lshrrev_b32_e32 v6, 5, v0
	s_mov_b32 s8, exec_lo
	s_delay_alu instid0(VALU_DEP_2)
	v_cmpx_eq_u32_e64 v0, v7
; %bb.48:
	s_delay_alu instid0(VALU_DEP_2)
	v_lshlrev_b32_e32 v7, 2, v6
	ds_store_b32 v7, v5
; %bb.49:
	s_wait_alu 0xfffe
	s_or_b32 exec_lo, exec_lo, s8
	s_delay_alu instid0(SALU_CYCLE_1)
	s_mov_b32 s8, exec_lo
	s_wait_loadcnt_dscnt 0x0
	s_barrier_signal -1
	s_barrier_wait -1
	global_inv scope:SCOPE_SE
	v_cmpx_gt_u32_e32 8, v0
	s_cbranch_execz .LBB93_63
; %bb.50:
	ds_load_b32 v8, v15
	v_and_b32_e32 v7, 7, v22
	s_mov_b32 s9, exec_lo
	s_wait_dscnt 0x0
	v_mov_b32_dpp v9, v8 row_shr:1 row_mask:0xf bank_mask:0xf
	s_delay_alu instid0(VALU_DEP_2)
	v_cmpx_ne_u32_e32 0, v7
	s_cbranch_execz .LBB93_54
; %bb.51:
	s_delay_alu instid0(VALU_DEP_2) | instskip(SKIP_1) | instid1(VALU_DEP_2)
	v_dual_max_num_f32 v13, v8, v8 :: v_dual_max_num_f32 v14, v9, v9
	v_cmp_u_f32_e32 vcc_lo, v9, v9
	v_min_num_f32_e32 v23, v14, v13
	v_max_num_f32_e32 v13, v14, v13
	s_wait_alu 0xfffd
	s_delay_alu instid0(VALU_DEP_2) | instskip(NEXT) | instid1(VALU_DEP_2)
	v_cndmask_b32_e32 v14, v23, v9, vcc_lo
	v_cndmask_b32_e32 v23, v13, v9, vcc_lo
	v_cmp_u_f32_e32 vcc_lo, v8, v8
	s_wait_alu 0xfffd
	s_delay_alu instid0(VALU_DEP_3) | instskip(NEXT) | instid1(VALU_DEP_3)
	v_cndmask_b32_e32 v13, v14, v8, vcc_lo
	v_cndmask_b32_e32 v8, v23, v8, vcc_lo
	s_delay_alu instid0(VALU_DEP_2) | instskip(NEXT) | instid1(VALU_DEP_2)
	v_cmp_class_f32_e64 s14, v13, 0x1f8
	v_cmp_neq_f32_e32 vcc_lo, v13, v8
	s_or_b32 s15, vcc_lo, s14
	s_wait_alu 0xfffe
	s_and_saveexec_b32 s14, s15
	s_cbranch_execz .LBB93_53
; %bb.52:
	v_sub_f32_e32 v9, v13, v8
	s_mov_b32 s15, 0x3e9b6dac
	s_delay_alu instid0(VALU_DEP_1) | instskip(SKIP_1) | instid1(VALU_DEP_2)
	v_mul_f32_e32 v13, 0x3fb8aa3b, v9
	v_cmp_ngt_f32_e32 vcc_lo, 0xc2ce8ed0, v9
	v_fma_f32 v14, 0x3fb8aa3b, v9, -v13
	v_rndne_f32_e32 v23, v13
	s_delay_alu instid0(VALU_DEP_2) | instskip(NEXT) | instid1(VALU_DEP_2)
	v_fmamk_f32 v14, v9, 0x32a5705f, v14
	v_sub_f32_e32 v13, v13, v23
	s_delay_alu instid0(VALU_DEP_1) | instskip(SKIP_1) | instid1(VALU_DEP_2)
	v_add_f32_e32 v13, v13, v14
	v_cvt_i32_f32_e32 v14, v23
	v_exp_f32_e32 v13, v13
	s_delay_alu instid0(TRANS32_DEP_1) | instskip(SKIP_1) | instid1(VALU_DEP_1)
	v_ldexp_f32 v13, v13, v14
	s_wait_alu 0xfffd
	v_cndmask_b32_e32 v13, 0, v13, vcc_lo
	v_cmp_nlt_f32_e32 vcc_lo, 0x42b17218, v9
	s_wait_alu 0xfffd
	s_delay_alu instid0(VALU_DEP_2) | instskip(NEXT) | instid1(VALU_DEP_1)
	v_cndmask_b32_e32 v9, 0x7f800000, v13, vcc_lo
	v_add_f32_e32 v23, 1.0, v9
	s_delay_alu instid0(VALU_DEP_1) | instskip(NEXT) | instid1(VALU_DEP_1)
	v_cvt_f64_f32_e32 v[13:14], v23
	v_frexp_exp_i32_f64_e32 v13, v[13:14]
	v_frexp_mant_f32_e32 v14, v23
	s_delay_alu instid0(VALU_DEP_1) | instskip(SKIP_1) | instid1(VALU_DEP_1)
	v_cmp_gt_f32_e32 vcc_lo, 0x3f2aaaab, v14
	v_add_f32_e32 v14, -1.0, v23
	v_dual_sub_f32 v25, v14, v23 :: v_dual_sub_f32 v14, v9, v14
	s_delay_alu instid0(VALU_DEP_1) | instskip(NEXT) | instid1(VALU_DEP_1)
	v_add_f32_e32 v25, 1.0, v25
	v_add_f32_e32 v14, v14, v25
	s_wait_alu 0xfffd
	v_subrev_co_ci_u32_e64 v13, null, 0, v13, vcc_lo
	s_delay_alu instid0(VALU_DEP_1) | instskip(SKIP_1) | instid1(VALU_DEP_2)
	v_sub_nc_u32_e32 v24, 0, v13
	v_cvt_f32_i32_e32 v13, v13
	v_ldexp_f32 v23, v23, v24
	v_ldexp_f32 v14, v14, v24
	s_delay_alu instid0(VALU_DEP_2) | instskip(SKIP_2) | instid1(VALU_DEP_3)
	v_add_f32_e32 v26, 1.0, v23
	v_add_f32_e32 v24, -1.0, v23
	v_cmp_neq_f32_e32 vcc_lo, 0x7f800000, v9
	v_add_f32_e32 v25, -1.0, v26
	s_delay_alu instid0(VALU_DEP_3) | instskip(NEXT) | instid1(VALU_DEP_2)
	v_add_f32_e32 v27, 1.0, v24
	v_sub_f32_e32 v25, v23, v25
	s_delay_alu instid0(VALU_DEP_2) | instskip(NEXT) | instid1(VALU_DEP_2)
	v_sub_f32_e32 v23, v23, v27
	v_add_f32_e32 v25, v14, v25
	s_delay_alu instid0(VALU_DEP_2) | instskip(NEXT) | instid1(VALU_DEP_1)
	v_add_f32_e32 v14, v14, v23
	v_add_f32_e32 v28, v24, v14
	s_delay_alu instid0(VALU_DEP_1) | instskip(NEXT) | instid1(VALU_DEP_1)
	v_dual_sub_f32 v24, v24, v28 :: v_dual_add_f32 v27, v26, v25
	v_add_f32_e32 v14, v14, v24
	s_delay_alu instid0(VALU_DEP_2) | instskip(SKIP_1) | instid1(VALU_DEP_1)
	v_rcp_f32_e32 v23, v27
	v_sub_f32_e32 v26, v26, v27
	v_add_f32_e32 v25, v25, v26
	s_delay_alu instid0(TRANS32_DEP_1) | instskip(NEXT) | instid1(VALU_DEP_1)
	v_mul_f32_e32 v29, v28, v23
	v_mul_f32_e32 v30, v27, v29
	s_delay_alu instid0(VALU_DEP_1) | instskip(NEXT) | instid1(VALU_DEP_1)
	v_fma_f32 v26, v29, v27, -v30
	v_fmac_f32_e32 v26, v29, v25
	s_delay_alu instid0(VALU_DEP_1) | instskip(NEXT) | instid1(VALU_DEP_1)
	v_add_f32_e32 v31, v30, v26
	v_sub_f32_e32 v32, v28, v31
	v_sub_f32_e32 v24, v31, v30
	s_delay_alu instid0(VALU_DEP_2) | instskip(NEXT) | instid1(VALU_DEP_1)
	v_sub_f32_e32 v28, v28, v32
	v_sub_f32_e32 v28, v28, v31
	s_delay_alu instid0(VALU_DEP_3) | instskip(NEXT) | instid1(VALU_DEP_2)
	v_sub_f32_e32 v24, v24, v26
	v_add_f32_e32 v14, v14, v28
	s_delay_alu instid0(VALU_DEP_1) | instskip(NEXT) | instid1(VALU_DEP_1)
	v_add_f32_e32 v14, v24, v14
	v_add_f32_e32 v24, v32, v14
	s_delay_alu instid0(VALU_DEP_1) | instskip(NEXT) | instid1(VALU_DEP_1)
	v_mul_f32_e32 v26, v23, v24
	v_dual_sub_f32 v31, v32, v24 :: v_dual_mul_f32 v28, v27, v26
	s_delay_alu instid0(VALU_DEP_1) | instskip(NEXT) | instid1(VALU_DEP_2)
	v_add_f32_e32 v14, v14, v31
	v_fma_f32 v27, v26, v27, -v28
	s_delay_alu instid0(VALU_DEP_1) | instskip(NEXT) | instid1(VALU_DEP_1)
	v_fmac_f32_e32 v27, v26, v25
	v_add_f32_e32 v25, v28, v27
	s_delay_alu instid0(VALU_DEP_1) | instskip(NEXT) | instid1(VALU_DEP_1)
	v_sub_f32_e32 v30, v24, v25
	v_sub_f32_e32 v24, v24, v30
	s_delay_alu instid0(VALU_DEP_1) | instskip(NEXT) | instid1(VALU_DEP_1)
	v_sub_f32_e32 v24, v24, v25
	v_add_f32_e32 v14, v14, v24
	v_add_f32_e32 v24, v29, v26
	v_sub_f32_e32 v28, v25, v28
	s_delay_alu instid0(VALU_DEP_1) | instskip(NEXT) | instid1(VALU_DEP_1)
	v_sub_f32_e32 v25, v28, v27
	v_dual_add_f32 v14, v25, v14 :: v_dual_sub_f32 v25, v24, v29
	s_delay_alu instid0(VALU_DEP_1) | instskip(NEXT) | instid1(VALU_DEP_1)
	v_add_f32_e32 v14, v30, v14
	v_dual_sub_f32 v25, v26, v25 :: v_dual_mul_f32 v14, v23, v14
	s_delay_alu instid0(VALU_DEP_1) | instskip(NEXT) | instid1(VALU_DEP_1)
	v_add_f32_e32 v14, v25, v14
	v_add_f32_e32 v23, v24, v14
	s_delay_alu instid0(VALU_DEP_1) | instskip(SKIP_1) | instid1(VALU_DEP_1)
	v_mul_f32_e32 v25, v23, v23
	s_wait_alu 0xfffe
	v_fmaak_f32 v26, s15, v25, 0x3ecc95a3
	v_mul_f32_e32 v27, v23, v25
	s_delay_alu instid0(VALU_DEP_2) | instskip(SKIP_1) | instid1(VALU_DEP_2)
	v_fmaak_f32 v25, v25, v26, 0x3f2aaada
	v_ldexp_f32 v26, v23, 1
	v_mul_f32_e32 v25, v27, v25
	v_mul_f32_e32 v27, 0x3f317218, v13
	s_delay_alu instid0(VALU_DEP_2) | instskip(NEXT) | instid1(VALU_DEP_1)
	v_dual_sub_f32 v23, v23, v24 :: v_dual_add_f32 v24, v26, v25
	v_dual_sub_f32 v14, v14, v23 :: v_dual_sub_f32 v23, v24, v26
	s_delay_alu instid0(VALU_DEP_3) | instskip(NEXT) | instid1(VALU_DEP_2)
	v_fma_f32 v26, 0x3f317218, v13, -v27
	v_ldexp_f32 v14, v14, 1
	s_delay_alu instid0(VALU_DEP_3) | instskip(NEXT) | instid1(VALU_DEP_1)
	v_sub_f32_e32 v23, v25, v23
	v_dual_fmamk_f32 v13, v13, 0xb102e308, v26 :: v_dual_add_f32 v14, v14, v23
	s_delay_alu instid0(VALU_DEP_1) | instskip(NEXT) | instid1(VALU_DEP_1)
	v_add_f32_e32 v23, v27, v13
	v_sub_f32_e32 v27, v23, v27
	s_delay_alu instid0(VALU_DEP_3) | instskip(NEXT) | instid1(VALU_DEP_1)
	v_add_f32_e32 v25, v24, v14
	v_dual_sub_f32 v13, v13, v27 :: v_dual_add_f32 v26, v23, v25
	v_sub_f32_e32 v24, v25, v24
	s_delay_alu instid0(VALU_DEP_2) | instskip(NEXT) | instid1(VALU_DEP_1)
	v_sub_f32_e32 v28, v26, v23
	v_sub_f32_e32 v29, v26, v28
	s_delay_alu instid0(VALU_DEP_1) | instskip(SKIP_1) | instid1(VALU_DEP_1)
	v_dual_sub_f32 v23, v23, v29 :: v_dual_sub_f32 v14, v14, v24
	v_sub_f32_e32 v24, v25, v28
	v_add_f32_e32 v23, v24, v23
	s_delay_alu instid0(VALU_DEP_3) | instskip(NEXT) | instid1(VALU_DEP_1)
	v_add_f32_e32 v25, v13, v14
	v_sub_f32_e32 v24, v25, v13
	s_delay_alu instid0(VALU_DEP_1) | instskip(NEXT) | instid1(VALU_DEP_1)
	v_dual_add_f32 v23, v25, v23 :: v_dual_sub_f32 v14, v14, v24
	v_add_f32_e32 v27, v26, v23
	s_delay_alu instid0(VALU_DEP_1) | instskip(NEXT) | instid1(VALU_DEP_1)
	v_dual_sub_f32 v25, v25, v24 :: v_dual_sub_f32 v24, v27, v26
	v_sub_f32_e32 v13, v13, v25
	s_delay_alu instid0(VALU_DEP_1) | instskip(NEXT) | instid1(VALU_DEP_1)
	v_dual_add_f32 v13, v14, v13 :: v_dual_sub_f32 v14, v23, v24
	v_add_f32_e32 v13, v13, v14
	s_delay_alu instid0(VALU_DEP_1) | instskip(SKIP_1) | instid1(VALU_DEP_1)
	v_add_f32_e32 v13, v27, v13
	s_wait_alu 0xfffd
	v_cndmask_b32_e32 v13, 0x7f800000, v13, vcc_lo
	v_cmp_gt_f32_e64 vcc_lo, 0x33800000, |v9|
	s_wait_alu 0xfffd
	s_delay_alu instid0(VALU_DEP_2) | instskip(NEXT) | instid1(VALU_DEP_1)
	v_cndmask_b32_e32 v9, v13, v9, vcc_lo
	v_add_f32_e32 v9, v8, v9
.LBB93_53:
	s_wait_alu 0xfffe
	s_or_b32 exec_lo, exec_lo, s14
	s_delay_alu instid0(VALU_DEP_1)
	v_mov_b32_e32 v8, v9
.LBB93_54:
	s_wait_alu 0xfffe
	s_or_b32 exec_lo, exec_lo, s9
	s_delay_alu instid0(VALU_DEP_1)
	v_mov_b32_dpp v9, v8 row_shr:2 row_mask:0xf bank_mask:0xf
	s_mov_b32 s9, exec_lo
	v_cmpx_lt_u32_e32 1, v7
	s_cbranch_execz .LBB93_58
; %bb.55:
	s_delay_alu instid0(VALU_DEP_2) | instskip(SKIP_1) | instid1(VALU_DEP_2)
	v_dual_max_num_f32 v13, v8, v8 :: v_dual_max_num_f32 v14, v9, v9
	v_cmp_u_f32_e32 vcc_lo, v9, v9
	v_min_num_f32_e32 v23, v14, v13
	v_max_num_f32_e32 v13, v14, v13
	s_wait_alu 0xfffd
	s_delay_alu instid0(VALU_DEP_2) | instskip(NEXT) | instid1(VALU_DEP_2)
	v_cndmask_b32_e32 v14, v23, v9, vcc_lo
	v_cndmask_b32_e32 v23, v13, v9, vcc_lo
	v_cmp_u_f32_e32 vcc_lo, v8, v8
	s_wait_alu 0xfffd
	s_delay_alu instid0(VALU_DEP_3) | instskip(NEXT) | instid1(VALU_DEP_3)
	v_cndmask_b32_e32 v13, v14, v8, vcc_lo
	v_cndmask_b32_e32 v8, v23, v8, vcc_lo
	s_delay_alu instid0(VALU_DEP_2) | instskip(NEXT) | instid1(VALU_DEP_2)
	v_cmp_class_f32_e64 s14, v13, 0x1f8
	v_cmp_neq_f32_e32 vcc_lo, v13, v8
	s_or_b32 s15, vcc_lo, s14
	s_wait_alu 0xfffe
	s_and_saveexec_b32 s14, s15
	s_cbranch_execz .LBB93_57
; %bb.56:
	v_sub_f32_e32 v9, v13, v8
	s_mov_b32 s15, 0x3e9b6dac
	s_delay_alu instid0(VALU_DEP_1) | instskip(SKIP_1) | instid1(VALU_DEP_2)
	v_mul_f32_e32 v13, 0x3fb8aa3b, v9
	v_cmp_ngt_f32_e32 vcc_lo, 0xc2ce8ed0, v9
	v_fma_f32 v14, 0x3fb8aa3b, v9, -v13
	v_rndne_f32_e32 v23, v13
	s_delay_alu instid0(VALU_DEP_2) | instskip(NEXT) | instid1(VALU_DEP_2)
	v_fmamk_f32 v14, v9, 0x32a5705f, v14
	v_sub_f32_e32 v13, v13, v23
	s_delay_alu instid0(VALU_DEP_1) | instskip(SKIP_1) | instid1(VALU_DEP_2)
	v_add_f32_e32 v13, v13, v14
	v_cvt_i32_f32_e32 v14, v23
	v_exp_f32_e32 v13, v13
	s_delay_alu instid0(TRANS32_DEP_1) | instskip(SKIP_1) | instid1(VALU_DEP_1)
	v_ldexp_f32 v13, v13, v14
	s_wait_alu 0xfffd
	v_cndmask_b32_e32 v13, 0, v13, vcc_lo
	v_cmp_nlt_f32_e32 vcc_lo, 0x42b17218, v9
	s_wait_alu 0xfffd
	s_delay_alu instid0(VALU_DEP_2) | instskip(NEXT) | instid1(VALU_DEP_1)
	v_cndmask_b32_e32 v9, 0x7f800000, v13, vcc_lo
	v_add_f32_e32 v23, 1.0, v9
	s_delay_alu instid0(VALU_DEP_1) | instskip(NEXT) | instid1(VALU_DEP_1)
	v_cvt_f64_f32_e32 v[13:14], v23
	v_frexp_exp_i32_f64_e32 v13, v[13:14]
	v_frexp_mant_f32_e32 v14, v23
	s_delay_alu instid0(VALU_DEP_1) | instskip(SKIP_1) | instid1(VALU_DEP_1)
	v_cmp_gt_f32_e32 vcc_lo, 0x3f2aaaab, v14
	v_add_f32_e32 v14, -1.0, v23
	v_dual_sub_f32 v25, v14, v23 :: v_dual_sub_f32 v14, v9, v14
	s_delay_alu instid0(VALU_DEP_1) | instskip(NEXT) | instid1(VALU_DEP_1)
	v_add_f32_e32 v25, 1.0, v25
	v_add_f32_e32 v14, v14, v25
	s_wait_alu 0xfffd
	v_subrev_co_ci_u32_e64 v13, null, 0, v13, vcc_lo
	s_delay_alu instid0(VALU_DEP_1) | instskip(SKIP_1) | instid1(VALU_DEP_2)
	v_sub_nc_u32_e32 v24, 0, v13
	v_cvt_f32_i32_e32 v13, v13
	v_ldexp_f32 v23, v23, v24
	v_ldexp_f32 v14, v14, v24
	s_delay_alu instid0(VALU_DEP_2) | instskip(SKIP_2) | instid1(VALU_DEP_3)
	v_add_f32_e32 v26, 1.0, v23
	v_add_f32_e32 v24, -1.0, v23
	v_cmp_neq_f32_e32 vcc_lo, 0x7f800000, v9
	v_add_f32_e32 v25, -1.0, v26
	s_delay_alu instid0(VALU_DEP_3) | instskip(NEXT) | instid1(VALU_DEP_2)
	v_add_f32_e32 v27, 1.0, v24
	v_sub_f32_e32 v25, v23, v25
	s_delay_alu instid0(VALU_DEP_2) | instskip(NEXT) | instid1(VALU_DEP_2)
	v_sub_f32_e32 v23, v23, v27
	v_add_f32_e32 v25, v14, v25
	s_delay_alu instid0(VALU_DEP_2) | instskip(NEXT) | instid1(VALU_DEP_1)
	v_add_f32_e32 v14, v14, v23
	v_add_f32_e32 v28, v24, v14
	s_delay_alu instid0(VALU_DEP_1) | instskip(NEXT) | instid1(VALU_DEP_1)
	v_dual_sub_f32 v24, v24, v28 :: v_dual_add_f32 v27, v26, v25
	v_add_f32_e32 v14, v14, v24
	s_delay_alu instid0(VALU_DEP_2) | instskip(SKIP_1) | instid1(VALU_DEP_1)
	v_rcp_f32_e32 v23, v27
	v_sub_f32_e32 v26, v26, v27
	v_add_f32_e32 v25, v25, v26
	s_delay_alu instid0(TRANS32_DEP_1) | instskip(NEXT) | instid1(VALU_DEP_1)
	v_mul_f32_e32 v29, v28, v23
	v_mul_f32_e32 v30, v27, v29
	s_delay_alu instid0(VALU_DEP_1) | instskip(NEXT) | instid1(VALU_DEP_1)
	v_fma_f32 v26, v29, v27, -v30
	v_fmac_f32_e32 v26, v29, v25
	s_delay_alu instid0(VALU_DEP_1) | instskip(NEXT) | instid1(VALU_DEP_1)
	v_add_f32_e32 v31, v30, v26
	v_sub_f32_e32 v32, v28, v31
	v_sub_f32_e32 v24, v31, v30
	s_delay_alu instid0(VALU_DEP_2) | instskip(NEXT) | instid1(VALU_DEP_1)
	v_sub_f32_e32 v28, v28, v32
	v_sub_f32_e32 v28, v28, v31
	s_delay_alu instid0(VALU_DEP_3) | instskip(NEXT) | instid1(VALU_DEP_2)
	v_sub_f32_e32 v24, v24, v26
	v_add_f32_e32 v14, v14, v28
	s_delay_alu instid0(VALU_DEP_1) | instskip(NEXT) | instid1(VALU_DEP_1)
	v_add_f32_e32 v14, v24, v14
	v_add_f32_e32 v24, v32, v14
	s_delay_alu instid0(VALU_DEP_1) | instskip(NEXT) | instid1(VALU_DEP_1)
	v_mul_f32_e32 v26, v23, v24
	v_dual_sub_f32 v31, v32, v24 :: v_dual_mul_f32 v28, v27, v26
	s_delay_alu instid0(VALU_DEP_1) | instskip(NEXT) | instid1(VALU_DEP_2)
	v_add_f32_e32 v14, v14, v31
	v_fma_f32 v27, v26, v27, -v28
	s_delay_alu instid0(VALU_DEP_1) | instskip(NEXT) | instid1(VALU_DEP_1)
	v_fmac_f32_e32 v27, v26, v25
	v_add_f32_e32 v25, v28, v27
	s_delay_alu instid0(VALU_DEP_1) | instskip(NEXT) | instid1(VALU_DEP_1)
	v_sub_f32_e32 v30, v24, v25
	v_sub_f32_e32 v24, v24, v30
	s_delay_alu instid0(VALU_DEP_1) | instskip(NEXT) | instid1(VALU_DEP_1)
	v_sub_f32_e32 v24, v24, v25
	v_add_f32_e32 v14, v14, v24
	v_add_f32_e32 v24, v29, v26
	v_sub_f32_e32 v28, v25, v28
	s_delay_alu instid0(VALU_DEP_1) | instskip(NEXT) | instid1(VALU_DEP_1)
	v_sub_f32_e32 v25, v28, v27
	v_dual_add_f32 v14, v25, v14 :: v_dual_sub_f32 v25, v24, v29
	s_delay_alu instid0(VALU_DEP_1) | instskip(NEXT) | instid1(VALU_DEP_1)
	v_add_f32_e32 v14, v30, v14
	v_dual_sub_f32 v25, v26, v25 :: v_dual_mul_f32 v14, v23, v14
	s_delay_alu instid0(VALU_DEP_1) | instskip(NEXT) | instid1(VALU_DEP_1)
	v_add_f32_e32 v14, v25, v14
	v_add_f32_e32 v23, v24, v14
	s_delay_alu instid0(VALU_DEP_1) | instskip(SKIP_1) | instid1(VALU_DEP_1)
	v_mul_f32_e32 v25, v23, v23
	s_wait_alu 0xfffe
	v_fmaak_f32 v26, s15, v25, 0x3ecc95a3
	v_mul_f32_e32 v27, v23, v25
	s_delay_alu instid0(VALU_DEP_2) | instskip(SKIP_1) | instid1(VALU_DEP_2)
	v_fmaak_f32 v25, v25, v26, 0x3f2aaada
	v_ldexp_f32 v26, v23, 1
	v_mul_f32_e32 v25, v27, v25
	v_mul_f32_e32 v27, 0x3f317218, v13
	s_delay_alu instid0(VALU_DEP_2) | instskip(NEXT) | instid1(VALU_DEP_1)
	v_dual_sub_f32 v23, v23, v24 :: v_dual_add_f32 v24, v26, v25
	v_dual_sub_f32 v14, v14, v23 :: v_dual_sub_f32 v23, v24, v26
	s_delay_alu instid0(VALU_DEP_3) | instskip(NEXT) | instid1(VALU_DEP_2)
	v_fma_f32 v26, 0x3f317218, v13, -v27
	v_ldexp_f32 v14, v14, 1
	s_delay_alu instid0(VALU_DEP_3) | instskip(NEXT) | instid1(VALU_DEP_1)
	v_sub_f32_e32 v23, v25, v23
	v_dual_fmamk_f32 v13, v13, 0xb102e308, v26 :: v_dual_add_f32 v14, v14, v23
	s_delay_alu instid0(VALU_DEP_1) | instskip(NEXT) | instid1(VALU_DEP_1)
	v_add_f32_e32 v23, v27, v13
	v_sub_f32_e32 v27, v23, v27
	s_delay_alu instid0(VALU_DEP_3) | instskip(NEXT) | instid1(VALU_DEP_1)
	v_add_f32_e32 v25, v24, v14
	v_dual_sub_f32 v13, v13, v27 :: v_dual_add_f32 v26, v23, v25
	v_sub_f32_e32 v24, v25, v24
	s_delay_alu instid0(VALU_DEP_2) | instskip(NEXT) | instid1(VALU_DEP_1)
	v_sub_f32_e32 v28, v26, v23
	v_sub_f32_e32 v29, v26, v28
	s_delay_alu instid0(VALU_DEP_1) | instskip(SKIP_1) | instid1(VALU_DEP_1)
	v_dual_sub_f32 v23, v23, v29 :: v_dual_sub_f32 v14, v14, v24
	v_sub_f32_e32 v24, v25, v28
	v_add_f32_e32 v23, v24, v23
	s_delay_alu instid0(VALU_DEP_3) | instskip(NEXT) | instid1(VALU_DEP_1)
	v_add_f32_e32 v25, v13, v14
	v_sub_f32_e32 v24, v25, v13
	s_delay_alu instid0(VALU_DEP_1) | instskip(NEXT) | instid1(VALU_DEP_1)
	v_dual_add_f32 v23, v25, v23 :: v_dual_sub_f32 v14, v14, v24
	v_add_f32_e32 v27, v26, v23
	s_delay_alu instid0(VALU_DEP_1) | instskip(NEXT) | instid1(VALU_DEP_1)
	v_dual_sub_f32 v25, v25, v24 :: v_dual_sub_f32 v24, v27, v26
	v_sub_f32_e32 v13, v13, v25
	s_delay_alu instid0(VALU_DEP_1) | instskip(NEXT) | instid1(VALU_DEP_1)
	v_dual_add_f32 v13, v14, v13 :: v_dual_sub_f32 v14, v23, v24
	v_add_f32_e32 v13, v13, v14
	s_delay_alu instid0(VALU_DEP_1) | instskip(SKIP_1) | instid1(VALU_DEP_1)
	v_add_f32_e32 v13, v27, v13
	s_wait_alu 0xfffd
	v_cndmask_b32_e32 v13, 0x7f800000, v13, vcc_lo
	v_cmp_gt_f32_e64 vcc_lo, 0x33800000, |v9|
	s_wait_alu 0xfffd
	s_delay_alu instid0(VALU_DEP_2) | instskip(NEXT) | instid1(VALU_DEP_1)
	v_cndmask_b32_e32 v9, v13, v9, vcc_lo
	v_add_f32_e32 v9, v8, v9
.LBB93_57:
	s_wait_alu 0xfffe
	s_or_b32 exec_lo, exec_lo, s14
	s_delay_alu instid0(VALU_DEP_1)
	v_mov_b32_e32 v8, v9
.LBB93_58:
	s_wait_alu 0xfffe
	s_or_b32 exec_lo, exec_lo, s9
	s_delay_alu instid0(VALU_DEP_1)
	v_mov_b32_dpp v9, v8 row_shr:4 row_mask:0xf bank_mask:0xf
	s_mov_b32 s9, exec_lo
	v_cmpx_lt_u32_e32 3, v7
	s_cbranch_execz .LBB93_62
; %bb.59:
	v_max_num_f32_e32 v7, v8, v8
	v_max_num_f32_e32 v13, v9, v9
	v_cmp_u_f32_e32 vcc_lo, v9, v9
	s_delay_alu instid0(VALU_DEP_2) | instskip(SKIP_2) | instid1(VALU_DEP_1)
	v_min_num_f32_e32 v14, v13, v7
	v_max_num_f32_e32 v7, v13, v7
	s_wait_alu 0xfffd
	v_cndmask_b32_e32 v7, v7, v9, vcc_lo
	s_delay_alu instid0(VALU_DEP_3) | instskip(SKIP_2) | instid1(VALU_DEP_2)
	v_cndmask_b32_e32 v13, v14, v9, vcc_lo
	v_cmp_u_f32_e32 vcc_lo, v8, v8
	s_wait_alu 0xfffd
	v_cndmask_b32_e32 v13, v13, v8, vcc_lo
	v_cndmask_b32_e32 v7, v7, v8, vcc_lo
	s_delay_alu instid0(VALU_DEP_2) | instskip(NEXT) | instid1(VALU_DEP_2)
	v_cmp_class_f32_e64 s14, v13, 0x1f8
	v_cmp_neq_f32_e32 vcc_lo, v13, v7
	s_or_b32 s15, vcc_lo, s14
	s_wait_alu 0xfffe
	s_and_saveexec_b32 s14, s15
	s_cbranch_execz .LBB93_61
; %bb.60:
	v_sub_f32_e32 v8, v13, v7
	s_mov_b32 s15, 0x3e9b6dac
	s_delay_alu instid0(VALU_DEP_1) | instskip(SKIP_1) | instid1(VALU_DEP_2)
	v_mul_f32_e32 v9, 0x3fb8aa3b, v8
	v_cmp_ngt_f32_e32 vcc_lo, 0xc2ce8ed0, v8
	v_fma_f32 v13, 0x3fb8aa3b, v8, -v9
	v_rndne_f32_e32 v14, v9
	s_delay_alu instid0(VALU_DEP_2) | instskip(NEXT) | instid1(VALU_DEP_2)
	v_fmamk_f32 v13, v8, 0x32a5705f, v13
	v_sub_f32_e32 v9, v9, v14
	s_delay_alu instid0(VALU_DEP_1) | instskip(SKIP_1) | instid1(VALU_DEP_2)
	v_add_f32_e32 v9, v9, v13
	v_cvt_i32_f32_e32 v13, v14
	v_exp_f32_e32 v9, v9
	s_delay_alu instid0(TRANS32_DEP_1) | instskip(SKIP_1) | instid1(VALU_DEP_1)
	v_ldexp_f32 v9, v9, v13
	s_wait_alu 0xfffd
	v_cndmask_b32_e32 v9, 0, v9, vcc_lo
	v_cmp_nlt_f32_e32 vcc_lo, 0x42b17218, v8
	s_wait_alu 0xfffd
	s_delay_alu instid0(VALU_DEP_2) | instskip(NEXT) | instid1(VALU_DEP_1)
	v_cndmask_b32_e32 v13, 0x7f800000, v9, vcc_lo
	v_add_f32_e32 v14, 1.0, v13
	s_delay_alu instid0(VALU_DEP_1) | instskip(NEXT) | instid1(VALU_DEP_1)
	v_cvt_f64_f32_e32 v[8:9], v14
	v_frexp_exp_i32_f64_e32 v8, v[8:9]
	v_frexp_mant_f32_e32 v9, v14
	s_delay_alu instid0(VALU_DEP_1) | instskip(SKIP_1) | instid1(VALU_DEP_1)
	v_cmp_gt_f32_e32 vcc_lo, 0x3f2aaaab, v9
	v_add_f32_e32 v9, -1.0, v14
	v_sub_f32_e32 v24, v9, v14
	s_delay_alu instid0(VALU_DEP_1) | instskip(SKIP_2) | instid1(VALU_DEP_1)
	v_add_f32_e32 v24, 1.0, v24
	s_wait_alu 0xfffd
	v_subrev_co_ci_u32_e64 v8, null, 0, v8, vcc_lo
	v_sub_nc_u32_e32 v23, 0, v8
	v_cvt_f32_i32_e32 v8, v8
	s_delay_alu instid0(VALU_DEP_2) | instskip(SKIP_1) | instid1(VALU_DEP_1)
	v_ldexp_f32 v14, v14, v23
	v_sub_f32_e32 v9, v13, v9
	v_add_f32_e32 v9, v9, v24
	s_delay_alu instid0(VALU_DEP_1) | instskip(NEXT) | instid1(VALU_DEP_4)
	v_ldexp_f32 v9, v9, v23
	v_add_f32_e32 v25, 1.0, v14
	s_delay_alu instid0(VALU_DEP_1) | instskip(NEXT) | instid1(VALU_DEP_1)
	v_add_f32_e32 v24, -1.0, v25
	v_sub_f32_e32 v24, v14, v24
	s_delay_alu instid0(VALU_DEP_1) | instskip(NEXT) | instid1(VALU_DEP_1)
	v_dual_add_f32 v24, v9, v24 :: v_dual_add_f32 v23, -1.0, v14
	v_add_f32_e32 v26, 1.0, v23
	v_cmp_neq_f32_e32 vcc_lo, 0x7f800000, v13
	s_delay_alu instid0(VALU_DEP_2) | instskip(NEXT) | instid1(VALU_DEP_4)
	v_sub_f32_e32 v14, v14, v26
	v_add_f32_e32 v26, v25, v24
	s_delay_alu instid0(VALU_DEP_1) | instskip(NEXT) | instid1(VALU_DEP_3)
	v_sub_f32_e32 v25, v25, v26
	v_add_f32_e32 v9, v9, v14
	v_rcp_f32_e32 v14, v26
	s_delay_alu instid0(VALU_DEP_2) | instskip(NEXT) | instid1(VALU_DEP_2)
	v_add_f32_e32 v24, v24, v25
	v_add_f32_e32 v27, v23, v9
	s_delay_alu instid0(VALU_DEP_1)
	v_sub_f32_e32 v23, v23, v27
	s_delay_alu instid0(TRANS32_DEP_1) | instid1(VALU_DEP_1)
	v_dual_mul_f32 v28, v27, v14 :: v_dual_add_f32 v9, v9, v23
	s_delay_alu instid0(VALU_DEP_1) | instskip(NEXT) | instid1(VALU_DEP_1)
	v_mul_f32_e32 v29, v26, v28
	v_fma_f32 v25, v28, v26, -v29
	s_delay_alu instid0(VALU_DEP_1) | instskip(NEXT) | instid1(VALU_DEP_1)
	v_fmac_f32_e32 v25, v28, v24
	v_add_f32_e32 v30, v29, v25
	s_delay_alu instid0(VALU_DEP_1) | instskip(SKIP_1) | instid1(VALU_DEP_2)
	v_sub_f32_e32 v31, v27, v30
	v_sub_f32_e32 v23, v30, v29
	;; [unrolled: 1-line block ×3, first 2 shown]
	s_delay_alu instid0(VALU_DEP_2) | instskip(NEXT) | instid1(VALU_DEP_2)
	v_sub_f32_e32 v23, v23, v25
	v_sub_f32_e32 v27, v27, v30
	s_delay_alu instid0(VALU_DEP_1) | instskip(NEXT) | instid1(VALU_DEP_1)
	v_add_f32_e32 v9, v9, v27
	v_add_f32_e32 v9, v23, v9
	s_delay_alu instid0(VALU_DEP_1) | instskip(NEXT) | instid1(VALU_DEP_1)
	v_add_f32_e32 v23, v31, v9
	v_mul_f32_e32 v25, v14, v23
	s_delay_alu instid0(VALU_DEP_1) | instskip(NEXT) | instid1(VALU_DEP_1)
	v_dual_sub_f32 v30, v31, v23 :: v_dual_mul_f32 v27, v26, v25
	v_add_f32_e32 v9, v9, v30
	s_delay_alu instid0(VALU_DEP_2) | instskip(NEXT) | instid1(VALU_DEP_1)
	v_fma_f32 v26, v25, v26, -v27
	v_fmac_f32_e32 v26, v25, v24
	s_delay_alu instid0(VALU_DEP_1) | instskip(NEXT) | instid1(VALU_DEP_1)
	v_add_f32_e32 v24, v27, v26
	v_sub_f32_e32 v29, v23, v24
	v_sub_f32_e32 v27, v24, v27
	s_delay_alu instid0(VALU_DEP_2) | instskip(NEXT) | instid1(VALU_DEP_1)
	v_sub_f32_e32 v23, v23, v29
	v_sub_f32_e32 v23, v23, v24
	s_delay_alu instid0(VALU_DEP_1) | instskip(SKIP_1) | instid1(VALU_DEP_1)
	v_dual_sub_f32 v24, v27, v26 :: v_dual_add_f32 v9, v9, v23
	v_add_f32_e32 v23, v28, v25
	v_dual_add_f32 v9, v24, v9 :: v_dual_sub_f32 v24, v23, v28
	s_delay_alu instid0(VALU_DEP_1) | instskip(NEXT) | instid1(VALU_DEP_1)
	v_add_f32_e32 v9, v29, v9
	v_dual_sub_f32 v24, v25, v24 :: v_dual_mul_f32 v9, v14, v9
	s_delay_alu instid0(VALU_DEP_1) | instskip(NEXT) | instid1(VALU_DEP_1)
	v_add_f32_e32 v9, v24, v9
	v_add_f32_e32 v14, v23, v9
	s_delay_alu instid0(VALU_DEP_1) | instskip(SKIP_1) | instid1(VALU_DEP_1)
	v_mul_f32_e32 v24, v14, v14
	s_wait_alu 0xfffe
	v_fmaak_f32 v25, s15, v24, 0x3ecc95a3
	v_mul_f32_e32 v26, v14, v24
	s_delay_alu instid0(VALU_DEP_2) | instskip(SKIP_2) | instid1(VALU_DEP_3)
	v_fmaak_f32 v24, v24, v25, 0x3f2aaada
	v_ldexp_f32 v25, v14, 1
	v_sub_f32_e32 v14, v14, v23
	v_mul_f32_e32 v24, v26, v24
	s_delay_alu instid0(VALU_DEP_2) | instskip(NEXT) | instid1(VALU_DEP_2)
	v_dual_mul_f32 v26, 0x3f317218, v8 :: v_dual_sub_f32 v9, v9, v14
	v_add_f32_e32 v23, v25, v24
	s_delay_alu instid0(VALU_DEP_2) | instskip(NEXT) | instid1(VALU_DEP_2)
	v_ldexp_f32 v9, v9, 1
	v_sub_f32_e32 v14, v23, v25
	s_delay_alu instid0(VALU_DEP_4) | instskip(NEXT) | instid1(VALU_DEP_2)
	v_fma_f32 v25, 0x3f317218, v8, -v26
	v_sub_f32_e32 v14, v24, v14
	s_delay_alu instid0(VALU_DEP_1) | instskip(NEXT) | instid1(VALU_DEP_1)
	v_dual_fmamk_f32 v8, v8, 0xb102e308, v25 :: v_dual_add_f32 v9, v9, v14
	v_add_f32_e32 v14, v26, v8
	s_delay_alu instid0(VALU_DEP_2) | instskip(NEXT) | instid1(VALU_DEP_2)
	v_add_f32_e32 v24, v23, v9
	v_sub_f32_e32 v26, v14, v26
	s_delay_alu instid0(VALU_DEP_2) | instskip(SKIP_1) | instid1(VALU_DEP_3)
	v_add_f32_e32 v25, v14, v24
	v_sub_f32_e32 v23, v24, v23
	v_sub_f32_e32 v8, v8, v26
	s_delay_alu instid0(VALU_DEP_3) | instskip(NEXT) | instid1(VALU_DEP_3)
	v_sub_f32_e32 v27, v25, v14
	v_sub_f32_e32 v9, v9, v23
	s_delay_alu instid0(VALU_DEP_2) | instskip(SKIP_1) | instid1(VALU_DEP_3)
	v_sub_f32_e32 v28, v25, v27
	v_sub_f32_e32 v23, v24, v27
	v_add_f32_e32 v24, v8, v9
	s_delay_alu instid0(VALU_DEP_3) | instskip(NEXT) | instid1(VALU_DEP_1)
	v_sub_f32_e32 v14, v14, v28
	v_dual_add_f32 v14, v23, v14 :: v_dual_sub_f32 v23, v24, v8
	s_delay_alu instid0(VALU_DEP_1) | instskip(NEXT) | instid1(VALU_DEP_2)
	v_add_f32_e32 v14, v24, v14
	v_sub_f32_e32 v24, v24, v23
	v_sub_f32_e32 v9, v9, v23
	s_delay_alu instid0(VALU_DEP_3) | instskip(NEXT) | instid1(VALU_DEP_1)
	v_add_f32_e32 v26, v25, v14
	v_dual_sub_f32 v8, v8, v24 :: v_dual_sub_f32 v23, v26, v25
	s_delay_alu instid0(VALU_DEP_1) | instskip(NEXT) | instid1(VALU_DEP_1)
	v_dual_add_f32 v8, v9, v8 :: v_dual_sub_f32 v9, v14, v23
	v_add_f32_e32 v8, v8, v9
	s_delay_alu instid0(VALU_DEP_1) | instskip(SKIP_1) | instid1(VALU_DEP_1)
	v_add_f32_e32 v8, v26, v8
	s_wait_alu 0xfffd
	v_cndmask_b32_e32 v8, 0x7f800000, v8, vcc_lo
	v_cmp_gt_f32_e64 vcc_lo, 0x33800000, |v13|
	s_wait_alu 0xfffd
	s_delay_alu instid0(VALU_DEP_2) | instskip(NEXT) | instid1(VALU_DEP_1)
	v_cndmask_b32_e32 v8, v8, v13, vcc_lo
	v_add_f32_e32 v9, v7, v8
.LBB93_61:
	s_wait_alu 0xfffe
	s_or_b32 exec_lo, exec_lo, s14
	s_delay_alu instid0(VALU_DEP_1)
	v_mov_b32_e32 v8, v9
.LBB93_62:
	s_wait_alu 0xfffe
	s_or_b32 exec_lo, exec_lo, s9
	ds_store_b32 v15, v8
.LBB93_63:
	s_wait_alu 0xfffe
	s_or_b32 exec_lo, exec_lo, s8
	s_delay_alu instid0(SALU_CYCLE_1)
	s_mov_b32 s9, exec_lo
	v_cmp_gt_u32_e32 vcc_lo, 32, v0
	s_wait_loadcnt_dscnt 0x0
	s_barrier_signal -1
	s_barrier_wait -1
	global_inv scope:SCOPE_SE
                                        ; implicit-def: $vgpr23
	v_cmpx_lt_u32_e32 31, v0
	s_cbranch_execz .LBB93_67
; %bb.64:
	v_lshl_add_u32 v6, v6, 2, -4
	ds_load_b32 v23, v6
	s_wait_dscnt 0x0
	v_dual_max_num_f32 v6, v5, v5 :: v_dual_max_num_f32 v7, v23, v23
	v_cmp_u_f32_e64 s8, v23, v23
	s_delay_alu instid0(VALU_DEP_2) | instskip(SKIP_2) | instid1(VALU_DEP_2)
	v_min_num_f32_e32 v8, v7, v6
	v_max_num_f32_e32 v6, v7, v6
	s_wait_alu 0xf1ff
	v_cndmask_b32_e64 v7, v8, v23, s8
	s_delay_alu instid0(VALU_DEP_2) | instskip(SKIP_2) | instid1(VALU_DEP_1)
	v_cndmask_b32_e64 v6, v6, v23, s8
	v_cmp_u_f32_e64 s8, v5, v5
	s_wait_alu 0xf1ff
	v_cndmask_b32_e64 v7, v7, v5, s8
	s_delay_alu instid0(VALU_DEP_3) | instskip(SKIP_1) | instid1(VALU_DEP_3)
	v_cndmask_b32_e64 v6, v6, v5, s8
	v_mov_b32_e32 v5, v23
	v_cmp_class_f32_e64 s14, v7, 0x1f8
	s_delay_alu instid0(VALU_DEP_3)
	v_cmp_neq_f32_e64 s8, v7, v6
	s_or_b32 s8, s8, s14
	s_wait_alu 0xfffe
	s_and_saveexec_b32 s14, s8
	s_cbranch_execz .LBB93_66
; %bb.65:
	v_sub_f32_e32 v5, v7, v6
	s_delay_alu instid0(VALU_DEP_1) | instskip(SKIP_1) | instid1(VALU_DEP_2)
	v_mul_f32_e32 v7, 0x3fb8aa3b, v5
	v_cmp_ngt_f32_e64 s8, 0xc2ce8ed0, v5
	v_fma_f32 v8, 0x3fb8aa3b, v5, -v7
	v_rndne_f32_e32 v9, v7
	s_delay_alu instid0(VALU_DEP_1) | instskip(NEXT) | instid1(VALU_DEP_1)
	v_dual_fmamk_f32 v8, v5, 0x32a5705f, v8 :: v_dual_sub_f32 v7, v7, v9
	v_add_f32_e32 v7, v7, v8
	v_cvt_i32_f32_e32 v8, v9
	s_delay_alu instid0(VALU_DEP_2) | instskip(NEXT) | instid1(TRANS32_DEP_1)
	v_exp_f32_e32 v7, v7
	v_ldexp_f32 v7, v7, v8
	s_wait_alu 0xf1ff
	s_delay_alu instid0(VALU_DEP_1) | instskip(SKIP_2) | instid1(VALU_DEP_1)
	v_cndmask_b32_e64 v7, 0, v7, s8
	v_cmp_nlt_f32_e64 s8, 0x42b17218, v5
	s_wait_alu 0xf1ff
	v_cndmask_b32_e64 v5, 0x7f800000, v7, s8
	s_delay_alu instid0(VALU_DEP_1) | instskip(NEXT) | instid1(VALU_DEP_1)
	v_add_f32_e32 v9, 1.0, v5
	v_cvt_f64_f32_e32 v[7:8], v9
	s_delay_alu instid0(VALU_DEP_1) | instskip(SKIP_1) | instid1(VALU_DEP_1)
	v_frexp_exp_i32_f64_e32 v7, v[7:8]
	v_frexp_mant_f32_e32 v8, v9
	v_cmp_gt_f32_e64 s8, 0x3f2aaaab, v8
	v_add_f32_e32 v8, -1.0, v9
	s_delay_alu instid0(VALU_DEP_1) | instskip(SKIP_1) | instid1(VALU_DEP_2)
	v_sub_f32_e32 v14, v8, v9
	v_sub_f32_e32 v8, v5, v8
	v_add_f32_e32 v14, 1.0, v14
	s_wait_alu 0xf1ff
	v_subrev_co_ci_u32_e64 v7, null, 0, v7, s8
	s_mov_b32 s8, 0x3e9b6dac
	v_sub_nc_u32_e32 v13, 0, v7
	v_cvt_f32_i32_e32 v7, v7
	s_delay_alu instid0(VALU_DEP_2) | instskip(SKIP_1) | instid1(VALU_DEP_1)
	v_ldexp_f32 v9, v9, v13
	v_add_f32_e32 v8, v8, v14
	v_ldexp_f32 v8, v8, v13
	s_delay_alu instid0(VALU_DEP_3) | instskip(SKIP_1) | instid1(VALU_DEP_1)
	v_add_f32_e32 v13, -1.0, v9
	v_add_f32_e32 v24, 1.0, v9
	v_dual_add_f32 v25, 1.0, v13 :: v_dual_add_f32 v14, -1.0, v24
	s_delay_alu instid0(VALU_DEP_1) | instskip(NEXT) | instid1(VALU_DEP_1)
	v_sub_f32_e32 v14, v9, v14
	v_dual_sub_f32 v9, v9, v25 :: v_dual_add_f32 v14, v8, v14
	s_delay_alu instid0(VALU_DEP_1) | instskip(NEXT) | instid1(VALU_DEP_1)
	v_add_f32_e32 v8, v8, v9
	v_add_f32_e32 v26, v13, v8
	s_delay_alu instid0(VALU_DEP_1) | instskip(NEXT) | instid1(VALU_DEP_4)
	v_sub_f32_e32 v13, v13, v26
	v_add_f32_e32 v25, v24, v14
	s_delay_alu instid0(VALU_DEP_2) | instskip(NEXT) | instid1(VALU_DEP_2)
	v_add_f32_e32 v8, v8, v13
	v_sub_f32_e32 v24, v24, v25
	s_delay_alu instid0(VALU_DEP_1) | instskip(SKIP_1) | instid1(TRANS32_DEP_1)
	v_add_f32_e32 v14, v14, v24
	v_rcp_f32_e32 v9, v25
	v_mul_f32_e32 v27, v26, v9
	s_delay_alu instid0(VALU_DEP_1) | instskip(NEXT) | instid1(VALU_DEP_1)
	v_mul_f32_e32 v28, v25, v27
	v_fma_f32 v24, v27, v25, -v28
	s_delay_alu instid0(VALU_DEP_1) | instskip(NEXT) | instid1(VALU_DEP_1)
	v_fmac_f32_e32 v24, v27, v14
	v_add_f32_e32 v29, v28, v24
	s_delay_alu instid0(VALU_DEP_1) | instskip(NEXT) | instid1(VALU_DEP_1)
	v_sub_f32_e32 v30, v26, v29
	v_dual_sub_f32 v26, v26, v30 :: v_dual_sub_f32 v13, v29, v28
	s_delay_alu instid0(VALU_DEP_1) | instskip(NEXT) | instid1(VALU_DEP_1)
	v_dual_sub_f32 v26, v26, v29 :: v_dual_sub_f32 v13, v13, v24
	v_add_f32_e32 v8, v8, v26
	s_delay_alu instid0(VALU_DEP_1) | instskip(NEXT) | instid1(VALU_DEP_1)
	v_add_f32_e32 v8, v13, v8
	v_add_f32_e32 v13, v30, v8
	s_delay_alu instid0(VALU_DEP_1) | instskip(NEXT) | instid1(VALU_DEP_1)
	v_mul_f32_e32 v24, v9, v13
	v_dual_sub_f32 v29, v30, v13 :: v_dual_mul_f32 v26, v25, v24
	s_delay_alu instid0(VALU_DEP_1) | instskip(NEXT) | instid1(VALU_DEP_2)
	v_add_f32_e32 v8, v8, v29
	v_fma_f32 v25, v24, v25, -v26
	s_delay_alu instid0(VALU_DEP_1) | instskip(NEXT) | instid1(VALU_DEP_1)
	v_fmac_f32_e32 v25, v24, v14
	v_add_f32_e32 v14, v26, v25
	s_delay_alu instid0(VALU_DEP_1) | instskip(NEXT) | instid1(VALU_DEP_1)
	v_sub_f32_e32 v28, v13, v14
	v_dual_sub_f32 v26, v14, v26 :: v_dual_sub_f32 v13, v13, v28
	s_delay_alu instid0(VALU_DEP_1) | instskip(NEXT) | instid1(VALU_DEP_1)
	v_dual_sub_f32 v13, v13, v14 :: v_dual_sub_f32 v14, v26, v25
	v_dual_add_f32 v8, v8, v13 :: v_dual_add_f32 v13, v27, v24
	s_delay_alu instid0(VALU_DEP_1) | instskip(NEXT) | instid1(VALU_DEP_2)
	v_add_f32_e32 v8, v14, v8
	v_sub_f32_e32 v14, v13, v27
	s_delay_alu instid0(VALU_DEP_2) | instskip(NEXT) | instid1(VALU_DEP_2)
	v_add_f32_e32 v8, v28, v8
	v_sub_f32_e32 v14, v24, v14
	s_delay_alu instid0(VALU_DEP_2) | instskip(NEXT) | instid1(VALU_DEP_1)
	v_mul_f32_e32 v8, v9, v8
	v_add_f32_e32 v8, v14, v8
	s_delay_alu instid0(VALU_DEP_1) | instskip(NEXT) | instid1(VALU_DEP_1)
	v_add_f32_e32 v9, v13, v8
	v_mul_f32_e32 v14, v9, v9
	s_wait_alu 0xfffe
	s_delay_alu instid0(VALU_DEP_1) | instskip(SKIP_2) | instid1(VALU_DEP_3)
	v_fmaak_f32 v24, s8, v14, 0x3ecc95a3
	v_mul_f32_e32 v25, v9, v14
	v_cmp_neq_f32_e64 s8, 0x7f800000, v5
	v_fmaak_f32 v14, v14, v24, 0x3f2aaada
	v_ldexp_f32 v24, v9, 1
	v_sub_f32_e32 v9, v9, v13
	s_delay_alu instid0(VALU_DEP_3) | instskip(NEXT) | instid1(VALU_DEP_2)
	v_dual_mul_f32 v14, v25, v14 :: v_dual_mul_f32 v25, 0x3f317218, v7
	v_sub_f32_e32 v8, v8, v9
	s_delay_alu instid0(VALU_DEP_2) | instskip(NEXT) | instid1(VALU_DEP_2)
	v_add_f32_e32 v13, v24, v14
	v_ldexp_f32 v8, v8, 1
	s_delay_alu instid0(VALU_DEP_2) | instskip(SKIP_1) | instid1(VALU_DEP_2)
	v_sub_f32_e32 v9, v13, v24
	v_fma_f32 v24, 0x3f317218, v7, -v25
	v_sub_f32_e32 v9, v14, v9
	s_delay_alu instid0(VALU_DEP_1) | instskip(NEXT) | instid1(VALU_DEP_1)
	v_dual_fmamk_f32 v7, v7, 0xb102e308, v24 :: v_dual_add_f32 v8, v8, v9
	v_add_f32_e32 v9, v25, v7
	s_delay_alu instid0(VALU_DEP_2) | instskip(NEXT) | instid1(VALU_DEP_2)
	v_add_f32_e32 v14, v13, v8
	v_sub_f32_e32 v25, v9, v25
	s_delay_alu instid0(VALU_DEP_2) | instskip(NEXT) | instid1(VALU_DEP_2)
	v_dual_add_f32 v24, v9, v14 :: v_dual_sub_f32 v13, v14, v13
	v_sub_f32_e32 v7, v7, v25
	s_delay_alu instid0(VALU_DEP_2) | instskip(NEXT) | instid1(VALU_DEP_3)
	v_sub_f32_e32 v26, v24, v9
	v_sub_f32_e32 v8, v8, v13
	s_delay_alu instid0(VALU_DEP_2) | instskip(NEXT) | instid1(VALU_DEP_2)
	v_sub_f32_e32 v27, v24, v26
	v_dual_sub_f32 v13, v14, v26 :: v_dual_add_f32 v14, v7, v8
	s_delay_alu instid0(VALU_DEP_2) | instskip(NEXT) | instid1(VALU_DEP_1)
	v_sub_f32_e32 v9, v9, v27
	v_add_f32_e32 v9, v13, v9
	s_delay_alu instid0(VALU_DEP_3) | instskip(NEXT) | instid1(VALU_DEP_2)
	v_sub_f32_e32 v13, v14, v7
	v_add_f32_e32 v9, v14, v9
	s_delay_alu instid0(VALU_DEP_2) | instskip(SKIP_1) | instid1(VALU_DEP_3)
	v_sub_f32_e32 v14, v14, v13
	v_sub_f32_e32 v8, v8, v13
	v_add_f32_e32 v25, v24, v9
	s_delay_alu instid0(VALU_DEP_3) | instskip(NEXT) | instid1(VALU_DEP_2)
	v_sub_f32_e32 v7, v7, v14
	v_sub_f32_e32 v13, v25, v24
	s_delay_alu instid0(VALU_DEP_1) | instskip(NEXT) | instid1(VALU_DEP_1)
	v_dual_add_f32 v7, v8, v7 :: v_dual_sub_f32 v8, v9, v13
	v_add_f32_e32 v7, v7, v8
	s_delay_alu instid0(VALU_DEP_1) | instskip(SKIP_1) | instid1(VALU_DEP_1)
	v_add_f32_e32 v7, v25, v7
	s_wait_alu 0xf1ff
	v_cndmask_b32_e64 v7, 0x7f800000, v7, s8
	v_cmp_gt_f32_e64 s8, 0x33800000, |v5|
	s_wait_alu 0xf1ff
	s_delay_alu instid0(VALU_DEP_1) | instskip(NEXT) | instid1(VALU_DEP_1)
	v_cndmask_b32_e64 v5, v7, v5, s8
	v_add_f32_e32 v5, v6, v5
.LBB93_66:
	s_wait_alu 0xfffe
	s_or_b32 exec_lo, exec_lo, s14
.LBB93_67:
	s_wait_alu 0xfffe
	s_or_b32 exec_lo, exec_lo, s9
	v_sub_co_u32 v6, s8, v22, 1
	s_delay_alu instid0(VALU_DEP_1) | instskip(SKIP_1) | instid1(VALU_DEP_1)
	v_cmp_gt_i32_e64 s9, 0, v6
	s_wait_alu 0xf1ff
	v_cndmask_b32_e64 v6, v6, v22, s9
	s_delay_alu instid0(VALU_DEP_1)
	v_lshlrev_b32_e32 v6, 2, v6
	ds_bpermute_b32 v24, v6, v5
	s_and_saveexec_b32 s9, vcc_lo
	s_cbranch_execz .LBB93_130
; %bb.68:
	v_mov_b32_e32 v8, 0
	ds_load_b32 v5, v8 offset:28
	s_and_saveexec_b32 s14, s8
	s_cbranch_execz .LBB93_70
; %bb.69:
	s_add_co_i32 s16, ttmp9, 32
	s_mov_b32 s17, 0
	v_mov_b32_e32 v6, 1
	s_lshl_b64 s[16:17], s[16:17], 3
	s_wait_kmcnt 0x0
	s_add_nc_u64 s[16:17], s[28:29], s[16:17]
	s_wait_dscnt 0x0
	global_store_b64 v8, v[5:6], s[16:17] scope:SCOPE_DEV
.LBB93_70:
	s_wait_alu 0xfffe
	s_or_b32 exec_lo, exec_lo, s14
	v_xad_u32 v6, v22, -1, ttmp9
	s_mov_b32 s15, 0
	s_mov_b32 s14, exec_lo
	s_delay_alu instid0(VALU_DEP_1) | instskip(NEXT) | instid1(VALU_DEP_1)
	v_add_nc_u32_e32 v7, 32, v6
	v_lshlrev_b64_e32 v[7:8], 3, v[7:8]
	s_wait_kmcnt 0x0
	s_delay_alu instid0(VALU_DEP_1) | instskip(SKIP_1) | instid1(VALU_DEP_2)
	v_add_co_u32 v13, vcc_lo, s28, v7
	s_wait_alu 0xfffd
	v_add_co_ci_u32_e64 v14, null, s29, v8, vcc_lo
	global_load_b64 v[8:9], v[13:14], off scope:SCOPE_DEV
	s_wait_loadcnt 0x0
	v_and_b32_e32 v7, 0xff, v9
	s_delay_alu instid0(VALU_DEP_1)
	v_cmpx_eq_u16_e32 0, v7
	s_cbranch_execz .LBB93_73
.LBB93_71:                              ; =>This Inner Loop Header: Depth=1
	global_load_b64 v[8:9], v[13:14], off scope:SCOPE_DEV
	s_wait_loadcnt 0x0
	v_and_b32_e32 v7, 0xff, v9
	s_delay_alu instid0(VALU_DEP_1)
	v_cmp_ne_u16_e32 vcc_lo, 0, v7
	s_wait_alu 0xfffe
	s_or_b32 s15, vcc_lo, s15
	s_wait_alu 0xfffe
	s_and_not1_b32 exec_lo, exec_lo, s15
	s_cbranch_execnz .LBB93_71
; %bb.72:
	s_or_b32 exec_lo, exec_lo, s15
.LBB93_73:
	s_wait_alu 0xfffe
	s_or_b32 exec_lo, exec_lo, s14
	v_cmp_ne_u32_e32 vcc_lo, 31, v22
	v_dual_mov_b32 v14, v8 :: v_dual_and_b32 v13, 0xff, v9
	v_lshlrev_b32_e64 v26, v22, -1
	s_mov_b32 s14, exec_lo
	s_wait_alu 0xfffd
	v_add_co_ci_u32_e64 v7, null, 0, v22, vcc_lo
	v_cmp_eq_u16_e32 vcc_lo, 2, v13
	s_delay_alu instid0(VALU_DEP_2) | instskip(SKIP_4) | instid1(VALU_DEP_1)
	v_lshlrev_b32_e32 v25, 2, v7
	s_wait_alu 0xfffd
	v_and_or_b32 v7, vcc_lo, v26, 0x80000000
	ds_bpermute_b32 v13, v25, v8
	v_ctz_i32_b32_e32 v7, v7
	v_cmpx_lt_u32_e64 v22, v7
	s_cbranch_execz .LBB93_77
; %bb.74:
	s_wait_dscnt 0x0
	v_dual_max_num_f32 v14, v8, v8 :: v_dual_max_num_f32 v27, v13, v13
	v_cmp_u_f32_e32 vcc_lo, v13, v13
	s_delay_alu instid0(VALU_DEP_2) | instskip(SKIP_1) | instid1(VALU_DEP_1)
	v_min_num_f32_e32 v28, v27, v14
	s_wait_alu 0xfffd
	v_dual_max_num_f32 v14, v27, v14 :: v_dual_cndmask_b32 v27, v28, v13
	s_delay_alu instid0(VALU_DEP_1) | instskip(SKIP_2) | instid1(VALU_DEP_3)
	v_cndmask_b32_e32 v28, v14, v13, vcc_lo
	v_cmp_u_f32_e32 vcc_lo, v8, v8
	s_wait_alu 0xfffd
	v_cndmask_b32_e32 v14, v27, v8, vcc_lo
	s_delay_alu instid0(VALU_DEP_3) | instskip(NEXT) | instid1(VALU_DEP_2)
	v_cndmask_b32_e32 v8, v28, v8, vcc_lo
	v_cmp_class_f32_e64 s15, v14, 0x1f8
	s_delay_alu instid0(VALU_DEP_2) | instskip(SKIP_1) | instid1(SALU_CYCLE_1)
	v_cmp_neq_f32_e32 vcc_lo, v14, v8
	s_or_b32 s16, vcc_lo, s15
	s_and_saveexec_b32 s15, s16
	s_cbranch_execz .LBB93_76
; %bb.75:
	v_sub_f32_e32 v13, v14, v8
	s_mov_b32 s16, 0x3e9b6dac
	s_delay_alu instid0(VALU_DEP_1) | instskip(SKIP_1) | instid1(VALU_DEP_2)
	v_mul_f32_e32 v14, 0x3fb8aa3b, v13
	v_cmp_ngt_f32_e32 vcc_lo, 0xc2ce8ed0, v13
	v_fma_f32 v27, 0x3fb8aa3b, v13, -v14
	v_rndne_f32_e32 v28, v14
	s_delay_alu instid0(VALU_DEP_1) | instskip(NEXT) | instid1(VALU_DEP_1)
	v_dual_fmamk_f32 v27, v13, 0x32a5705f, v27 :: v_dual_sub_f32 v14, v14, v28
	v_add_f32_e32 v14, v14, v27
	v_cvt_i32_f32_e32 v27, v28
	s_delay_alu instid0(VALU_DEP_2) | instskip(NEXT) | instid1(TRANS32_DEP_1)
	v_exp_f32_e32 v14, v14
	v_ldexp_f32 v14, v14, v27
	s_wait_alu 0xfffd
	s_delay_alu instid0(VALU_DEP_1) | instskip(SKIP_2) | instid1(VALU_DEP_2)
	v_cndmask_b32_e32 v14, 0, v14, vcc_lo
	v_cmp_nlt_f32_e32 vcc_lo, 0x42b17218, v13
	s_wait_alu 0xfffd
	v_cndmask_b32_e32 v27, 0x7f800000, v14, vcc_lo
	s_delay_alu instid0(VALU_DEP_1) | instskip(NEXT) | instid1(VALU_DEP_1)
	v_add_f32_e32 v28, 1.0, v27
	v_cvt_f64_f32_e32 v[13:14], v28
	s_delay_alu instid0(VALU_DEP_1) | instskip(SKIP_1) | instid1(VALU_DEP_1)
	v_frexp_exp_i32_f64_e32 v13, v[13:14]
	v_frexp_mant_f32_e32 v14, v28
	v_cmp_gt_f32_e32 vcc_lo, 0x3f2aaaab, v14
	v_add_f32_e32 v14, -1.0, v28
	s_delay_alu instid0(VALU_DEP_1) | instskip(SKIP_4) | instid1(VALU_DEP_2)
	v_sub_f32_e32 v30, v14, v28
	v_sub_f32_e32 v14, v27, v14
	s_wait_alu 0xfffd
	v_subrev_co_ci_u32_e64 v13, null, 0, v13, vcc_lo
	v_cmp_neq_f32_e32 vcc_lo, 0x7f800000, v27
	v_sub_nc_u32_e32 v29, 0, v13
	v_cvt_f32_i32_e32 v13, v13
	s_delay_alu instid0(VALU_DEP_2) | instskip(NEXT) | instid1(VALU_DEP_1)
	v_ldexp_f32 v28, v28, v29
	v_dual_add_f32 v31, 1.0, v28 :: v_dual_add_f32 v30, 1.0, v30
	s_delay_alu instid0(VALU_DEP_1) | instskip(NEXT) | instid1(VALU_DEP_2)
	v_add_f32_e32 v14, v14, v30
	v_add_f32_e32 v30, -1.0, v31
	s_delay_alu instid0(VALU_DEP_2) | instskip(NEXT) | instid1(VALU_DEP_2)
	v_ldexp_f32 v14, v14, v29
	v_dual_add_f32 v29, -1.0, v28 :: v_dual_sub_f32 v30, v28, v30
	s_delay_alu instid0(VALU_DEP_1) | instskip(NEXT) | instid1(VALU_DEP_2)
	v_add_f32_e32 v32, 1.0, v29
	v_add_f32_e32 v30, v14, v30
	s_delay_alu instid0(VALU_DEP_2) | instskip(NEXT) | instid1(VALU_DEP_2)
	v_sub_f32_e32 v28, v28, v32
	v_add_f32_e32 v32, v31, v30
	s_delay_alu instid0(VALU_DEP_2) | instskip(NEXT) | instid1(VALU_DEP_2)
	v_add_f32_e32 v14, v14, v28
	v_rcp_f32_e32 v28, v32
	v_sub_f32_e32 v31, v31, v32
	s_delay_alu instid0(VALU_DEP_1) | instskip(NEXT) | instid1(VALU_DEP_1)
	v_dual_add_f32 v33, v29, v14 :: v_dual_add_f32 v30, v30, v31
	v_sub_f32_e32 v29, v29, v33
	s_delay_alu instid0(TRANS32_DEP_1) | instskip(NEXT) | instid1(VALU_DEP_1)
	v_mul_f32_e32 v34, v33, v28
	v_dual_add_f32 v14, v14, v29 :: v_dual_mul_f32 v35, v32, v34
	s_delay_alu instid0(VALU_DEP_1) | instskip(NEXT) | instid1(VALU_DEP_1)
	v_fma_f32 v31, v34, v32, -v35
	v_fmac_f32_e32 v31, v34, v30
	s_delay_alu instid0(VALU_DEP_1) | instskip(NEXT) | instid1(VALU_DEP_1)
	v_add_f32_e32 v36, v35, v31
	v_sub_f32_e32 v37, v33, v36
	v_sub_f32_e32 v29, v36, v35
	s_delay_alu instid0(VALU_DEP_2) | instskip(NEXT) | instid1(VALU_DEP_2)
	v_sub_f32_e32 v33, v33, v37
	v_sub_f32_e32 v29, v29, v31
	s_delay_alu instid0(VALU_DEP_2) | instskip(NEXT) | instid1(VALU_DEP_1)
	v_sub_f32_e32 v33, v33, v36
	v_add_f32_e32 v14, v14, v33
	s_delay_alu instid0(VALU_DEP_1) | instskip(NEXT) | instid1(VALU_DEP_1)
	v_add_f32_e32 v14, v29, v14
	v_add_f32_e32 v29, v37, v14
	s_delay_alu instid0(VALU_DEP_1) | instskip(NEXT) | instid1(VALU_DEP_1)
	v_mul_f32_e32 v31, v28, v29
	v_dual_sub_f32 v36, v37, v29 :: v_dual_mul_f32 v33, v32, v31
	s_delay_alu instid0(VALU_DEP_1) | instskip(NEXT) | instid1(VALU_DEP_2)
	v_add_f32_e32 v14, v14, v36
	v_fma_f32 v32, v31, v32, -v33
	s_delay_alu instid0(VALU_DEP_1) | instskip(NEXT) | instid1(VALU_DEP_1)
	v_fmac_f32_e32 v32, v31, v30
	v_add_f32_e32 v30, v33, v32
	s_delay_alu instid0(VALU_DEP_1) | instskip(SKIP_1) | instid1(VALU_DEP_2)
	v_sub_f32_e32 v35, v29, v30
	v_sub_f32_e32 v33, v30, v33
	;; [unrolled: 1-line block ×3, first 2 shown]
	s_delay_alu instid0(VALU_DEP_1) | instskip(NEXT) | instid1(VALU_DEP_3)
	v_sub_f32_e32 v29, v29, v30
	v_sub_f32_e32 v30, v33, v32
	s_delay_alu instid0(VALU_DEP_2) | instskip(SKIP_1) | instid1(VALU_DEP_2)
	v_add_f32_e32 v14, v14, v29
	v_add_f32_e32 v29, v34, v31
	;; [unrolled: 1-line block ×3, first 2 shown]
	s_delay_alu instid0(VALU_DEP_2) | instskip(NEXT) | instid1(VALU_DEP_2)
	v_sub_f32_e32 v30, v29, v34
	v_add_f32_e32 v14, v35, v14
	s_delay_alu instid0(VALU_DEP_2) | instskip(NEXT) | instid1(VALU_DEP_2)
	v_sub_f32_e32 v30, v31, v30
	v_mul_f32_e32 v14, v28, v14
	s_delay_alu instid0(VALU_DEP_1) | instskip(NEXT) | instid1(VALU_DEP_1)
	v_add_f32_e32 v14, v30, v14
	v_add_f32_e32 v28, v29, v14
	s_delay_alu instid0(VALU_DEP_1) | instskip(NEXT) | instid1(VALU_DEP_1)
	v_mul_f32_e32 v30, v28, v28
	v_fmaak_f32 v31, s16, v30, 0x3ecc95a3
	v_mul_f32_e32 v32, v28, v30
	s_delay_alu instid0(VALU_DEP_2) | instskip(SKIP_2) | instid1(VALU_DEP_3)
	v_fmaak_f32 v30, v30, v31, 0x3f2aaada
	v_ldexp_f32 v31, v28, 1
	v_sub_f32_e32 v28, v28, v29
	v_mul_f32_e32 v30, v32, v30
	v_mul_f32_e32 v32, 0x3f317218, v13
	s_delay_alu instid0(VALU_DEP_2) | instskip(NEXT) | instid1(VALU_DEP_1)
	v_dual_sub_f32 v14, v14, v28 :: v_dual_add_f32 v29, v31, v30
	v_ldexp_f32 v14, v14, 1
	s_delay_alu instid0(VALU_DEP_2) | instskip(NEXT) | instid1(VALU_DEP_4)
	v_sub_f32_e32 v28, v29, v31
	v_fma_f32 v31, 0x3f317218, v13, -v32
	s_delay_alu instid0(VALU_DEP_1) | instskip(NEXT) | instid1(VALU_DEP_1)
	v_dual_sub_f32 v28, v30, v28 :: v_dual_fmamk_f32 v13, v13, 0xb102e308, v31
	v_add_f32_e32 v14, v14, v28
	s_delay_alu instid0(VALU_DEP_2) | instskip(NEXT) | instid1(VALU_DEP_2)
	v_add_f32_e32 v28, v32, v13
	v_add_f32_e32 v30, v29, v14
	s_delay_alu instid0(VALU_DEP_2) | instskip(NEXT) | instid1(VALU_DEP_2)
	v_sub_f32_e32 v32, v28, v32
	v_add_f32_e32 v31, v28, v30
	v_sub_f32_e32 v29, v30, v29
	s_delay_alu instid0(VALU_DEP_3) | instskip(NEXT) | instid1(VALU_DEP_2)
	v_sub_f32_e32 v13, v13, v32
	v_dual_sub_f32 v33, v31, v28 :: v_dual_sub_f32 v14, v14, v29
	s_delay_alu instid0(VALU_DEP_1) | instskip(NEXT) | instid1(VALU_DEP_2)
	v_sub_f32_e32 v34, v31, v33
	v_dual_sub_f32 v29, v30, v33 :: v_dual_add_f32 v30, v13, v14
	s_delay_alu instid0(VALU_DEP_2) | instskip(NEXT) | instid1(VALU_DEP_1)
	v_sub_f32_e32 v28, v28, v34
	v_dual_add_f32 v28, v29, v28 :: v_dual_sub_f32 v29, v30, v13
	s_delay_alu instid0(VALU_DEP_1) | instskip(NEXT) | instid1(VALU_DEP_2)
	v_add_f32_e32 v28, v30, v28
	v_sub_f32_e32 v30, v30, v29
	v_sub_f32_e32 v14, v14, v29
	s_delay_alu instid0(VALU_DEP_2) | instskip(NEXT) | instid1(VALU_DEP_1)
	v_dual_add_f32 v32, v31, v28 :: v_dual_sub_f32 v13, v13, v30
	v_sub_f32_e32 v29, v32, v31
	s_delay_alu instid0(VALU_DEP_2) | instskip(NEXT) | instid1(VALU_DEP_2)
	v_add_f32_e32 v13, v14, v13
	v_sub_f32_e32 v14, v28, v29
	s_delay_alu instid0(VALU_DEP_1) | instskip(NEXT) | instid1(VALU_DEP_1)
	v_add_f32_e32 v13, v13, v14
	v_add_f32_e32 v13, v32, v13
	s_wait_alu 0xfffd
	s_delay_alu instid0(VALU_DEP_1) | instskip(SKIP_2) | instid1(VALU_DEP_2)
	v_cndmask_b32_e32 v13, 0x7f800000, v13, vcc_lo
	v_cmp_gt_f32_e64 vcc_lo, 0x33800000, |v27|
	s_wait_alu 0xfffd
	v_cndmask_b32_e32 v13, v13, v27, vcc_lo
	s_delay_alu instid0(VALU_DEP_1)
	v_add_f32_e32 v13, v8, v13
.LBB93_76:
	s_wait_alu 0xfffe
	s_or_b32 exec_lo, exec_lo, s15
	s_delay_alu instid0(VALU_DEP_1)
	v_mov_b32_e32 v8, v13
	v_mov_b32_e32 v14, v13
.LBB93_77:
	s_wait_alu 0xfffe
	s_or_b32 exec_lo, exec_lo, s14
	v_cmp_gt_u32_e32 vcc_lo, 30, v22
	v_add_nc_u32_e32 v28, 2, v22
	s_mov_b32 s14, exec_lo
	s_wait_dscnt 0x0
	s_wait_alu 0xfffd
	v_cndmask_b32_e64 v13, 0, 2, vcc_lo
	s_delay_alu instid0(VALU_DEP_1)
	v_add_lshl_u32 v27, v13, v22, 2
	ds_bpermute_b32 v13, v27, v8
	v_cmpx_le_u32_e64 v28, v7
	s_cbranch_execz .LBB93_81
; %bb.78:
	s_wait_dscnt 0x0
	v_dual_max_num_f32 v8, v14, v14 :: v_dual_max_num_f32 v29, v13, v13
	v_cmp_u_f32_e32 vcc_lo, v13, v13
	s_delay_alu instid0(VALU_DEP_2) | instskip(SKIP_1) | instid1(VALU_DEP_1)
	v_min_num_f32_e32 v30, v29, v8
	s_wait_alu 0xfffd
	v_dual_max_num_f32 v8, v29, v8 :: v_dual_cndmask_b32 v29, v30, v13
	s_delay_alu instid0(VALU_DEP_1) | instskip(SKIP_2) | instid1(VALU_DEP_3)
	v_cndmask_b32_e32 v8, v8, v13, vcc_lo
	v_cmp_u_f32_e32 vcc_lo, v14, v14
	s_wait_alu 0xfffd
	v_cndmask_b32_e32 v29, v29, v14, vcc_lo
	s_delay_alu instid0(VALU_DEP_3) | instskip(NEXT) | instid1(VALU_DEP_2)
	v_cndmask_b32_e32 v8, v8, v14, vcc_lo
	v_cmp_class_f32_e64 s15, v29, 0x1f8
	s_delay_alu instid0(VALU_DEP_2)
	v_cmp_neq_f32_e32 vcc_lo, v29, v8
	s_or_b32 s16, vcc_lo, s15
	s_wait_alu 0xfffe
	s_and_saveexec_b32 s15, s16
	s_cbranch_execz .LBB93_80
; %bb.79:
	v_sub_f32_e32 v13, v29, v8
	s_mov_b32 s16, 0x3e9b6dac
	s_delay_alu instid0(VALU_DEP_1) | instskip(NEXT) | instid1(VALU_DEP_1)
	v_mul_f32_e32 v14, 0x3fb8aa3b, v13
	v_fma_f32 v29, 0x3fb8aa3b, v13, -v14
	v_rndne_f32_e32 v30, v14
	s_delay_alu instid0(VALU_DEP_1) | instskip(SKIP_1) | instid1(VALU_DEP_4)
	v_sub_f32_e32 v14, v14, v30
	v_cmp_ngt_f32_e32 vcc_lo, 0xc2ce8ed0, v13
	v_fmamk_f32 v29, v13, 0x32a5705f, v29
	s_delay_alu instid0(VALU_DEP_1) | instskip(SKIP_1) | instid1(VALU_DEP_2)
	v_add_f32_e32 v14, v14, v29
	v_cvt_i32_f32_e32 v29, v30
	v_exp_f32_e32 v14, v14
	s_delay_alu instid0(TRANS32_DEP_1) | instskip(SKIP_1) | instid1(VALU_DEP_1)
	v_ldexp_f32 v14, v14, v29
	s_wait_alu 0xfffd
	v_cndmask_b32_e32 v14, 0, v14, vcc_lo
	v_cmp_nlt_f32_e32 vcc_lo, 0x42b17218, v13
	s_wait_alu 0xfffd
	s_delay_alu instid0(VALU_DEP_2) | instskip(NEXT) | instid1(VALU_DEP_1)
	v_cndmask_b32_e32 v29, 0x7f800000, v14, vcc_lo
	v_add_f32_e32 v30, 1.0, v29
	s_delay_alu instid0(VALU_DEP_1) | instskip(NEXT) | instid1(VALU_DEP_1)
	v_cvt_f64_f32_e32 v[13:14], v30
	v_frexp_exp_i32_f64_e32 v13, v[13:14]
	v_frexp_mant_f32_e32 v14, v30
	s_delay_alu instid0(VALU_DEP_1) | instskip(SKIP_1) | instid1(VALU_DEP_1)
	v_cmp_gt_f32_e32 vcc_lo, 0x3f2aaaab, v14
	v_add_f32_e32 v14, -1.0, v30
	v_sub_f32_e32 v32, v14, v30
	s_delay_alu instid0(VALU_DEP_1) | instskip(SKIP_4) | instid1(VALU_DEP_2)
	v_add_f32_e32 v32, 1.0, v32
	v_sub_f32_e32 v14, v29, v14
	s_wait_alu 0xfffd
	v_subrev_co_ci_u32_e64 v13, null, 0, v13, vcc_lo
	v_cmp_neq_f32_e32 vcc_lo, 0x7f800000, v29
	v_sub_nc_u32_e32 v31, 0, v13
	v_cvt_f32_i32_e32 v13, v13
	s_delay_alu instid0(VALU_DEP_2) | instskip(NEXT) | instid1(VALU_DEP_1)
	v_ldexp_f32 v30, v30, v31
	v_dual_add_f32 v33, 1.0, v30 :: v_dual_add_f32 v14, v14, v32
	s_delay_alu instid0(VALU_DEP_1) | instskip(NEXT) | instid1(VALU_DEP_2)
	v_add_f32_e32 v32, -1.0, v33
	v_ldexp_f32 v14, v14, v31
	s_delay_alu instid0(VALU_DEP_2) | instskip(NEXT) | instid1(VALU_DEP_1)
	v_dual_add_f32 v31, -1.0, v30 :: v_dual_sub_f32 v32, v30, v32
	v_add_f32_e32 v34, 1.0, v31
	s_delay_alu instid0(VALU_DEP_2) | instskip(NEXT) | instid1(VALU_DEP_2)
	v_add_f32_e32 v32, v14, v32
	v_sub_f32_e32 v30, v30, v34
	s_delay_alu instid0(VALU_DEP_2) | instskip(NEXT) | instid1(VALU_DEP_2)
	v_add_f32_e32 v34, v33, v32
	v_add_f32_e32 v14, v14, v30
	s_delay_alu instid0(VALU_DEP_2) | instskip(SKIP_1) | instid1(VALU_DEP_1)
	v_rcp_f32_e32 v30, v34
	v_sub_f32_e32 v33, v33, v34
	v_dual_add_f32 v35, v31, v14 :: v_dual_add_f32 v32, v32, v33
	s_delay_alu instid0(VALU_DEP_1) | instskip(NEXT) | instid1(TRANS32_DEP_1)
	v_sub_f32_e32 v31, v31, v35
	v_mul_f32_e32 v36, v35, v30
	s_delay_alu instid0(VALU_DEP_2) | instskip(NEXT) | instid1(VALU_DEP_2)
	v_add_f32_e32 v14, v14, v31
	v_mul_f32_e32 v37, v34, v36
	s_delay_alu instid0(VALU_DEP_1) | instskip(NEXT) | instid1(VALU_DEP_1)
	v_fma_f32 v33, v36, v34, -v37
	v_fmac_f32_e32 v33, v36, v32
	s_delay_alu instid0(VALU_DEP_1) | instskip(NEXT) | instid1(VALU_DEP_1)
	v_add_f32_e32 v38, v37, v33
	v_sub_f32_e32 v39, v35, v38
	v_sub_f32_e32 v31, v38, v37
	s_delay_alu instid0(VALU_DEP_2) | instskip(NEXT) | instid1(VALU_DEP_2)
	v_sub_f32_e32 v35, v35, v39
	v_sub_f32_e32 v31, v31, v33
	s_delay_alu instid0(VALU_DEP_2) | instskip(NEXT) | instid1(VALU_DEP_1)
	v_sub_f32_e32 v35, v35, v38
	v_add_f32_e32 v14, v14, v35
	s_delay_alu instid0(VALU_DEP_1) | instskip(NEXT) | instid1(VALU_DEP_1)
	v_add_f32_e32 v14, v31, v14
	v_add_f32_e32 v31, v39, v14
	s_delay_alu instid0(VALU_DEP_1) | instskip(NEXT) | instid1(VALU_DEP_1)
	v_mul_f32_e32 v33, v30, v31
	v_dual_sub_f32 v38, v39, v31 :: v_dual_mul_f32 v35, v34, v33
	s_delay_alu instid0(VALU_DEP_1) | instskip(NEXT) | instid1(VALU_DEP_2)
	v_add_f32_e32 v14, v14, v38
	v_fma_f32 v34, v33, v34, -v35
	s_delay_alu instid0(VALU_DEP_1) | instskip(NEXT) | instid1(VALU_DEP_1)
	v_fmac_f32_e32 v34, v33, v32
	v_add_f32_e32 v32, v35, v34
	s_delay_alu instid0(VALU_DEP_1) | instskip(SKIP_1) | instid1(VALU_DEP_2)
	v_sub_f32_e32 v37, v31, v32
	v_sub_f32_e32 v35, v32, v35
	;; [unrolled: 1-line block ×3, first 2 shown]
	s_delay_alu instid0(VALU_DEP_1) | instskip(NEXT) | instid1(VALU_DEP_1)
	v_sub_f32_e32 v31, v31, v32
	v_dual_add_f32 v14, v14, v31 :: v_dual_add_f32 v31, v36, v33
	s_delay_alu instid0(VALU_DEP_4) | instskip(NEXT) | instid1(VALU_DEP_1)
	v_sub_f32_e32 v32, v35, v34
	v_add_f32_e32 v14, v32, v14
	s_delay_alu instid0(VALU_DEP_3) | instskip(NEXT) | instid1(VALU_DEP_2)
	v_sub_f32_e32 v32, v31, v36
	v_add_f32_e32 v14, v37, v14
	s_delay_alu instid0(VALU_DEP_2) | instskip(NEXT) | instid1(VALU_DEP_2)
	v_sub_f32_e32 v32, v33, v32
	v_mul_f32_e32 v14, v30, v14
	s_delay_alu instid0(VALU_DEP_1) | instskip(NEXT) | instid1(VALU_DEP_1)
	v_add_f32_e32 v14, v32, v14
	v_add_f32_e32 v30, v31, v14
	s_delay_alu instid0(VALU_DEP_1) | instskip(SKIP_1) | instid1(VALU_DEP_1)
	v_mul_f32_e32 v32, v30, v30
	s_wait_alu 0xfffe
	v_fmaak_f32 v33, s16, v32, 0x3ecc95a3
	v_mul_f32_e32 v34, v30, v32
	s_delay_alu instid0(VALU_DEP_2) | instskip(SKIP_2) | instid1(VALU_DEP_3)
	v_fmaak_f32 v32, v32, v33, 0x3f2aaada
	v_ldexp_f32 v33, v30, 1
	v_sub_f32_e32 v30, v30, v31
	v_mul_f32_e32 v32, v34, v32
	v_mul_f32_e32 v34, 0x3f317218, v13
	s_delay_alu instid0(VALU_DEP_2) | instskip(NEXT) | instid1(VALU_DEP_1)
	v_dual_sub_f32 v14, v14, v30 :: v_dual_add_f32 v31, v33, v32
	v_ldexp_f32 v14, v14, 1
	s_delay_alu instid0(VALU_DEP_2) | instskip(NEXT) | instid1(VALU_DEP_4)
	v_sub_f32_e32 v30, v31, v33
	v_fma_f32 v33, 0x3f317218, v13, -v34
	s_delay_alu instid0(VALU_DEP_1) | instskip(NEXT) | instid1(VALU_DEP_1)
	v_dual_sub_f32 v30, v32, v30 :: v_dual_fmamk_f32 v13, v13, 0xb102e308, v33
	v_add_f32_e32 v14, v14, v30
	s_delay_alu instid0(VALU_DEP_2) | instskip(NEXT) | instid1(VALU_DEP_2)
	v_add_f32_e32 v30, v34, v13
	v_add_f32_e32 v32, v31, v14
	s_delay_alu instid0(VALU_DEP_2) | instskip(NEXT) | instid1(VALU_DEP_2)
	v_sub_f32_e32 v34, v30, v34
	v_add_f32_e32 v33, v30, v32
	v_sub_f32_e32 v31, v32, v31
	s_delay_alu instid0(VALU_DEP_3) | instskip(NEXT) | instid1(VALU_DEP_2)
	v_sub_f32_e32 v13, v13, v34
	v_dual_sub_f32 v35, v33, v30 :: v_dual_sub_f32 v14, v14, v31
	s_delay_alu instid0(VALU_DEP_1) | instskip(NEXT) | instid1(VALU_DEP_2)
	v_sub_f32_e32 v36, v33, v35
	v_dual_sub_f32 v31, v32, v35 :: v_dual_add_f32 v32, v13, v14
	s_delay_alu instid0(VALU_DEP_2) | instskip(NEXT) | instid1(VALU_DEP_1)
	v_sub_f32_e32 v30, v30, v36
	v_dual_add_f32 v30, v31, v30 :: v_dual_sub_f32 v31, v32, v13
	s_delay_alu instid0(VALU_DEP_1) | instskip(NEXT) | instid1(VALU_DEP_2)
	v_add_f32_e32 v30, v32, v30
	v_sub_f32_e32 v32, v32, v31
	v_sub_f32_e32 v14, v14, v31
	s_delay_alu instid0(VALU_DEP_3) | instskip(NEXT) | instid1(VALU_DEP_3)
	v_add_f32_e32 v34, v33, v30
	v_sub_f32_e32 v13, v13, v32
	s_delay_alu instid0(VALU_DEP_2) | instskip(NEXT) | instid1(VALU_DEP_2)
	v_sub_f32_e32 v31, v34, v33
	v_add_f32_e32 v13, v14, v13
	s_delay_alu instid0(VALU_DEP_2) | instskip(NEXT) | instid1(VALU_DEP_1)
	v_sub_f32_e32 v14, v30, v31
	v_add_f32_e32 v13, v13, v14
	s_delay_alu instid0(VALU_DEP_1) | instskip(SKIP_1) | instid1(VALU_DEP_1)
	v_add_f32_e32 v13, v34, v13
	s_wait_alu 0xfffd
	v_cndmask_b32_e32 v13, 0x7f800000, v13, vcc_lo
	v_cmp_gt_f32_e64 vcc_lo, 0x33800000, |v29|
	s_wait_alu 0xfffd
	s_delay_alu instid0(VALU_DEP_2) | instskip(NEXT) | instid1(VALU_DEP_1)
	v_cndmask_b32_e32 v13, v13, v29, vcc_lo
	v_add_f32_e32 v13, v8, v13
.LBB93_80:
	s_wait_alu 0xfffe
	s_or_b32 exec_lo, exec_lo, s15
	s_delay_alu instid0(VALU_DEP_1)
	v_mov_b32_e32 v8, v13
	v_mov_b32_e32 v14, v13
.LBB93_81:
	s_wait_alu 0xfffe
	s_or_b32 exec_lo, exec_lo, s14
	v_cmp_gt_u32_e32 vcc_lo, 28, v22
	v_add_nc_u32_e32 v30, 4, v22
	s_mov_b32 s14, exec_lo
	s_wait_dscnt 0x0
	s_wait_alu 0xfffd
	v_cndmask_b32_e64 v13, 0, 4, vcc_lo
	s_delay_alu instid0(VALU_DEP_1)
	v_add_lshl_u32 v29, v13, v22, 2
	ds_bpermute_b32 v13, v29, v8
	v_cmpx_le_u32_e64 v30, v7
	s_cbranch_execz .LBB93_85
; %bb.82:
	s_wait_dscnt 0x0
	v_dual_max_num_f32 v8, v14, v14 :: v_dual_max_num_f32 v31, v13, v13
	v_cmp_u_f32_e32 vcc_lo, v13, v13
	s_delay_alu instid0(VALU_DEP_2) | instskip(SKIP_1) | instid1(VALU_DEP_1)
	v_min_num_f32_e32 v32, v31, v8
	s_wait_alu 0xfffd
	v_dual_max_num_f32 v8, v31, v8 :: v_dual_cndmask_b32 v31, v32, v13
	s_delay_alu instid0(VALU_DEP_1) | instskip(SKIP_2) | instid1(VALU_DEP_3)
	v_cndmask_b32_e32 v8, v8, v13, vcc_lo
	v_cmp_u_f32_e32 vcc_lo, v14, v14
	s_wait_alu 0xfffd
	v_cndmask_b32_e32 v31, v31, v14, vcc_lo
	s_delay_alu instid0(VALU_DEP_3) | instskip(NEXT) | instid1(VALU_DEP_2)
	v_cndmask_b32_e32 v8, v8, v14, vcc_lo
	v_cmp_class_f32_e64 s15, v31, 0x1f8
	s_delay_alu instid0(VALU_DEP_2)
	v_cmp_neq_f32_e32 vcc_lo, v31, v8
	s_or_b32 s16, vcc_lo, s15
	s_wait_alu 0xfffe
	s_and_saveexec_b32 s15, s16
	s_cbranch_execz .LBB93_84
; %bb.83:
	v_sub_f32_e32 v13, v31, v8
	s_mov_b32 s16, 0x3e9b6dac
	s_delay_alu instid0(VALU_DEP_1) | instskip(NEXT) | instid1(VALU_DEP_1)
	v_mul_f32_e32 v14, 0x3fb8aa3b, v13
	v_fma_f32 v31, 0x3fb8aa3b, v13, -v14
	v_rndne_f32_e32 v32, v14
	s_delay_alu instid0(VALU_DEP_1) | instskip(NEXT) | instid1(VALU_DEP_1)
	v_dual_fmamk_f32 v31, v13, 0x32a5705f, v31 :: v_dual_sub_f32 v14, v14, v32
	v_add_f32_e32 v14, v14, v31
	v_cvt_i32_f32_e32 v31, v32
	v_cmp_ngt_f32_e32 vcc_lo, 0xc2ce8ed0, v13
	s_delay_alu instid0(VALU_DEP_3) | instskip(NEXT) | instid1(TRANS32_DEP_1)
	v_exp_f32_e32 v14, v14
	v_ldexp_f32 v14, v14, v31
	s_wait_alu 0xfffd
	s_delay_alu instid0(VALU_DEP_1) | instskip(SKIP_2) | instid1(VALU_DEP_2)
	v_cndmask_b32_e32 v14, 0, v14, vcc_lo
	v_cmp_nlt_f32_e32 vcc_lo, 0x42b17218, v13
	s_wait_alu 0xfffd
	v_cndmask_b32_e32 v31, 0x7f800000, v14, vcc_lo
	s_delay_alu instid0(VALU_DEP_1) | instskip(NEXT) | instid1(VALU_DEP_1)
	v_add_f32_e32 v32, 1.0, v31
	v_cvt_f64_f32_e32 v[13:14], v32
	s_delay_alu instid0(VALU_DEP_1) | instskip(SKIP_1) | instid1(VALU_DEP_1)
	v_frexp_exp_i32_f64_e32 v13, v[13:14]
	v_frexp_mant_f32_e32 v14, v32
	v_cmp_gt_f32_e32 vcc_lo, 0x3f2aaaab, v14
	v_add_f32_e32 v14, -1.0, v32
	s_delay_alu instid0(VALU_DEP_1) | instskip(SKIP_4) | instid1(VALU_DEP_2)
	v_sub_f32_e32 v34, v14, v32
	v_sub_f32_e32 v14, v31, v14
	s_wait_alu 0xfffd
	v_subrev_co_ci_u32_e64 v13, null, 0, v13, vcc_lo
	v_cmp_neq_f32_e32 vcc_lo, 0x7f800000, v31
	v_sub_nc_u32_e32 v33, 0, v13
	v_cvt_f32_i32_e32 v13, v13
	s_delay_alu instid0(VALU_DEP_2) | instskip(NEXT) | instid1(VALU_DEP_1)
	v_ldexp_f32 v32, v32, v33
	v_dual_add_f32 v35, 1.0, v32 :: v_dual_add_f32 v34, 1.0, v34
	s_delay_alu instid0(VALU_DEP_1) | instskip(NEXT) | instid1(VALU_DEP_2)
	v_add_f32_e32 v14, v14, v34
	v_add_f32_e32 v34, -1.0, v35
	s_delay_alu instid0(VALU_DEP_2) | instskip(NEXT) | instid1(VALU_DEP_2)
	v_ldexp_f32 v14, v14, v33
	v_dual_add_f32 v33, -1.0, v32 :: v_dual_sub_f32 v34, v32, v34
	s_delay_alu instid0(VALU_DEP_1) | instskip(NEXT) | instid1(VALU_DEP_2)
	v_add_f32_e32 v36, 1.0, v33
	v_add_f32_e32 v34, v14, v34
	s_delay_alu instid0(VALU_DEP_2) | instskip(NEXT) | instid1(VALU_DEP_2)
	v_sub_f32_e32 v32, v32, v36
	v_add_f32_e32 v36, v35, v34
	s_delay_alu instid0(VALU_DEP_2) | instskip(NEXT) | instid1(VALU_DEP_2)
	v_add_f32_e32 v14, v14, v32
	v_rcp_f32_e32 v32, v36
	v_sub_f32_e32 v35, v35, v36
	s_delay_alu instid0(VALU_DEP_1) | instskip(NEXT) | instid1(VALU_DEP_1)
	v_dual_add_f32 v37, v33, v14 :: v_dual_add_f32 v34, v34, v35
	v_sub_f32_e32 v33, v33, v37
	s_delay_alu instid0(TRANS32_DEP_1) | instskip(NEXT) | instid1(VALU_DEP_1)
	v_mul_f32_e32 v38, v37, v32
	v_dual_add_f32 v14, v14, v33 :: v_dual_mul_f32 v39, v36, v38
	s_delay_alu instid0(VALU_DEP_1) | instskip(NEXT) | instid1(VALU_DEP_1)
	v_fma_f32 v35, v38, v36, -v39
	v_fmac_f32_e32 v35, v38, v34
	s_delay_alu instid0(VALU_DEP_1) | instskip(NEXT) | instid1(VALU_DEP_1)
	v_add_f32_e32 v40, v39, v35
	v_sub_f32_e32 v41, v37, v40
	v_sub_f32_e32 v33, v40, v39
	s_delay_alu instid0(VALU_DEP_2) | instskip(NEXT) | instid1(VALU_DEP_2)
	v_sub_f32_e32 v37, v37, v41
	v_sub_f32_e32 v33, v33, v35
	s_delay_alu instid0(VALU_DEP_2) | instskip(NEXT) | instid1(VALU_DEP_1)
	v_sub_f32_e32 v37, v37, v40
	v_add_f32_e32 v14, v14, v37
	s_delay_alu instid0(VALU_DEP_1) | instskip(NEXT) | instid1(VALU_DEP_1)
	v_add_f32_e32 v14, v33, v14
	v_add_f32_e32 v33, v41, v14
	s_delay_alu instid0(VALU_DEP_1) | instskip(NEXT) | instid1(VALU_DEP_1)
	v_mul_f32_e32 v35, v32, v33
	v_dual_sub_f32 v40, v41, v33 :: v_dual_mul_f32 v37, v36, v35
	s_delay_alu instid0(VALU_DEP_1) | instskip(NEXT) | instid1(VALU_DEP_2)
	v_add_f32_e32 v14, v14, v40
	v_fma_f32 v36, v35, v36, -v37
	s_delay_alu instid0(VALU_DEP_1) | instskip(NEXT) | instid1(VALU_DEP_1)
	v_fmac_f32_e32 v36, v35, v34
	v_add_f32_e32 v34, v37, v36
	s_delay_alu instid0(VALU_DEP_1) | instskip(SKIP_1) | instid1(VALU_DEP_2)
	v_sub_f32_e32 v39, v33, v34
	v_sub_f32_e32 v37, v34, v37
	;; [unrolled: 1-line block ×3, first 2 shown]
	s_delay_alu instid0(VALU_DEP_1) | instskip(NEXT) | instid1(VALU_DEP_3)
	v_sub_f32_e32 v33, v33, v34
	v_sub_f32_e32 v34, v37, v36
	s_delay_alu instid0(VALU_DEP_2) | instskip(SKIP_1) | instid1(VALU_DEP_2)
	v_add_f32_e32 v14, v14, v33
	v_add_f32_e32 v33, v38, v35
	;; [unrolled: 1-line block ×3, first 2 shown]
	s_delay_alu instid0(VALU_DEP_2) | instskip(NEXT) | instid1(VALU_DEP_2)
	v_sub_f32_e32 v34, v33, v38
	v_add_f32_e32 v14, v39, v14
	s_delay_alu instid0(VALU_DEP_2) | instskip(NEXT) | instid1(VALU_DEP_2)
	v_sub_f32_e32 v34, v35, v34
	v_mul_f32_e32 v14, v32, v14
	s_delay_alu instid0(VALU_DEP_1) | instskip(NEXT) | instid1(VALU_DEP_1)
	v_add_f32_e32 v14, v34, v14
	v_add_f32_e32 v32, v33, v14
	s_delay_alu instid0(VALU_DEP_1) | instskip(SKIP_1) | instid1(VALU_DEP_1)
	v_mul_f32_e32 v34, v32, v32
	s_wait_alu 0xfffe
	v_fmaak_f32 v35, s16, v34, 0x3ecc95a3
	v_mul_f32_e32 v36, v32, v34
	s_delay_alu instid0(VALU_DEP_2) | instskip(SKIP_2) | instid1(VALU_DEP_3)
	v_fmaak_f32 v34, v34, v35, 0x3f2aaada
	v_ldexp_f32 v35, v32, 1
	v_sub_f32_e32 v32, v32, v33
	v_mul_f32_e32 v34, v36, v34
	v_mul_f32_e32 v36, 0x3f317218, v13
	s_delay_alu instid0(VALU_DEP_2) | instskip(NEXT) | instid1(VALU_DEP_1)
	v_dual_sub_f32 v14, v14, v32 :: v_dual_add_f32 v33, v35, v34
	v_ldexp_f32 v14, v14, 1
	s_delay_alu instid0(VALU_DEP_2) | instskip(NEXT) | instid1(VALU_DEP_4)
	v_sub_f32_e32 v32, v33, v35
	v_fma_f32 v35, 0x3f317218, v13, -v36
	s_delay_alu instid0(VALU_DEP_1) | instskip(NEXT) | instid1(VALU_DEP_1)
	v_dual_sub_f32 v32, v34, v32 :: v_dual_fmamk_f32 v13, v13, 0xb102e308, v35
	v_add_f32_e32 v14, v14, v32
	s_delay_alu instid0(VALU_DEP_2) | instskip(NEXT) | instid1(VALU_DEP_2)
	v_add_f32_e32 v32, v36, v13
	v_add_f32_e32 v34, v33, v14
	s_delay_alu instid0(VALU_DEP_2) | instskip(NEXT) | instid1(VALU_DEP_2)
	v_sub_f32_e32 v36, v32, v36
	v_add_f32_e32 v35, v32, v34
	v_sub_f32_e32 v33, v34, v33
	s_delay_alu instid0(VALU_DEP_3) | instskip(NEXT) | instid1(VALU_DEP_2)
	v_sub_f32_e32 v13, v13, v36
	v_dual_sub_f32 v37, v35, v32 :: v_dual_sub_f32 v14, v14, v33
	s_delay_alu instid0(VALU_DEP_1) | instskip(NEXT) | instid1(VALU_DEP_2)
	v_sub_f32_e32 v38, v35, v37
	v_dual_sub_f32 v33, v34, v37 :: v_dual_add_f32 v34, v13, v14
	s_delay_alu instid0(VALU_DEP_2) | instskip(NEXT) | instid1(VALU_DEP_1)
	v_sub_f32_e32 v32, v32, v38
	v_dual_add_f32 v32, v33, v32 :: v_dual_sub_f32 v33, v34, v13
	s_delay_alu instid0(VALU_DEP_1) | instskip(NEXT) | instid1(VALU_DEP_2)
	v_add_f32_e32 v32, v34, v32
	v_sub_f32_e32 v34, v34, v33
	v_sub_f32_e32 v14, v14, v33
	s_delay_alu instid0(VALU_DEP_2) | instskip(NEXT) | instid1(VALU_DEP_1)
	v_dual_add_f32 v36, v35, v32 :: v_dual_sub_f32 v13, v13, v34
	v_sub_f32_e32 v33, v36, v35
	s_delay_alu instid0(VALU_DEP_2) | instskip(NEXT) | instid1(VALU_DEP_2)
	v_add_f32_e32 v13, v14, v13
	v_sub_f32_e32 v14, v32, v33
	s_delay_alu instid0(VALU_DEP_1) | instskip(NEXT) | instid1(VALU_DEP_1)
	v_add_f32_e32 v13, v13, v14
	v_add_f32_e32 v13, v36, v13
	s_wait_alu 0xfffd
	s_delay_alu instid0(VALU_DEP_1) | instskip(SKIP_2) | instid1(VALU_DEP_2)
	v_cndmask_b32_e32 v13, 0x7f800000, v13, vcc_lo
	v_cmp_gt_f32_e64 vcc_lo, 0x33800000, |v31|
	s_wait_alu 0xfffd
	v_cndmask_b32_e32 v13, v13, v31, vcc_lo
	s_delay_alu instid0(VALU_DEP_1)
	v_add_f32_e32 v13, v8, v13
.LBB93_84:
	s_wait_alu 0xfffe
	s_or_b32 exec_lo, exec_lo, s15
	s_delay_alu instid0(VALU_DEP_1)
	v_mov_b32_e32 v8, v13
	v_mov_b32_e32 v14, v13
.LBB93_85:
	s_wait_alu 0xfffe
	s_or_b32 exec_lo, exec_lo, s14
	v_cmp_gt_u32_e32 vcc_lo, 24, v22
	v_add_nc_u32_e32 v32, 8, v22
	s_mov_b32 s14, exec_lo
	s_wait_dscnt 0x0
	s_wait_alu 0xfffd
	v_cndmask_b32_e64 v13, 0, 8, vcc_lo
	s_delay_alu instid0(VALU_DEP_1)
	v_add_lshl_u32 v31, v13, v22, 2
	ds_bpermute_b32 v13, v31, v8
	v_cmpx_le_u32_e64 v32, v7
	s_cbranch_execz .LBB93_89
; %bb.86:
	s_wait_dscnt 0x0
	v_dual_max_num_f32 v8, v14, v14 :: v_dual_max_num_f32 v33, v13, v13
	v_cmp_u_f32_e32 vcc_lo, v13, v13
	s_delay_alu instid0(VALU_DEP_2) | instskip(SKIP_1) | instid1(VALU_DEP_1)
	v_min_num_f32_e32 v34, v33, v8
	s_wait_alu 0xfffd
	v_dual_max_num_f32 v8, v33, v8 :: v_dual_cndmask_b32 v33, v34, v13
	s_delay_alu instid0(VALU_DEP_1) | instskip(SKIP_2) | instid1(VALU_DEP_3)
	v_cndmask_b32_e32 v8, v8, v13, vcc_lo
	v_cmp_u_f32_e32 vcc_lo, v14, v14
	s_wait_alu 0xfffd
	v_cndmask_b32_e32 v33, v33, v14, vcc_lo
	s_delay_alu instid0(VALU_DEP_3) | instskip(NEXT) | instid1(VALU_DEP_2)
	v_cndmask_b32_e32 v8, v8, v14, vcc_lo
	v_cmp_class_f32_e64 s15, v33, 0x1f8
	s_delay_alu instid0(VALU_DEP_2)
	v_cmp_neq_f32_e32 vcc_lo, v33, v8
	s_or_b32 s16, vcc_lo, s15
	s_wait_alu 0xfffe
	s_and_saveexec_b32 s15, s16
	s_cbranch_execz .LBB93_88
; %bb.87:
	v_sub_f32_e32 v13, v33, v8
	s_mov_b32 s16, 0x3e9b6dac
	s_delay_alu instid0(VALU_DEP_1) | instskip(NEXT) | instid1(VALU_DEP_1)
	v_mul_f32_e32 v14, 0x3fb8aa3b, v13
	v_fma_f32 v33, 0x3fb8aa3b, v13, -v14
	v_rndne_f32_e32 v34, v14
	s_delay_alu instid0(VALU_DEP_1) | instskip(SKIP_1) | instid1(VALU_DEP_4)
	v_sub_f32_e32 v14, v14, v34
	v_cmp_ngt_f32_e32 vcc_lo, 0xc2ce8ed0, v13
	v_fmamk_f32 v33, v13, 0x32a5705f, v33
	s_delay_alu instid0(VALU_DEP_1) | instskip(SKIP_1) | instid1(VALU_DEP_2)
	v_add_f32_e32 v14, v14, v33
	v_cvt_i32_f32_e32 v33, v34
	v_exp_f32_e32 v14, v14
	s_delay_alu instid0(TRANS32_DEP_1) | instskip(SKIP_1) | instid1(VALU_DEP_1)
	v_ldexp_f32 v14, v14, v33
	s_wait_alu 0xfffd
	v_cndmask_b32_e32 v14, 0, v14, vcc_lo
	v_cmp_nlt_f32_e32 vcc_lo, 0x42b17218, v13
	s_wait_alu 0xfffd
	s_delay_alu instid0(VALU_DEP_2) | instskip(NEXT) | instid1(VALU_DEP_1)
	v_cndmask_b32_e32 v33, 0x7f800000, v14, vcc_lo
	v_add_f32_e32 v34, 1.0, v33
	s_delay_alu instid0(VALU_DEP_1) | instskip(NEXT) | instid1(VALU_DEP_1)
	v_cvt_f64_f32_e32 v[13:14], v34
	v_frexp_exp_i32_f64_e32 v13, v[13:14]
	v_frexp_mant_f32_e32 v14, v34
	s_delay_alu instid0(VALU_DEP_1) | instskip(SKIP_1) | instid1(VALU_DEP_1)
	v_cmp_gt_f32_e32 vcc_lo, 0x3f2aaaab, v14
	v_add_f32_e32 v14, -1.0, v34
	v_sub_f32_e32 v36, v14, v34
	s_delay_alu instid0(VALU_DEP_1) | instskip(SKIP_4) | instid1(VALU_DEP_2)
	v_add_f32_e32 v36, 1.0, v36
	v_sub_f32_e32 v14, v33, v14
	s_wait_alu 0xfffd
	v_subrev_co_ci_u32_e64 v13, null, 0, v13, vcc_lo
	v_cmp_neq_f32_e32 vcc_lo, 0x7f800000, v33
	v_sub_nc_u32_e32 v35, 0, v13
	v_cvt_f32_i32_e32 v13, v13
	s_delay_alu instid0(VALU_DEP_2) | instskip(NEXT) | instid1(VALU_DEP_1)
	v_ldexp_f32 v34, v34, v35
	v_dual_add_f32 v37, 1.0, v34 :: v_dual_add_f32 v14, v14, v36
	s_delay_alu instid0(VALU_DEP_1) | instskip(NEXT) | instid1(VALU_DEP_2)
	v_add_f32_e32 v36, -1.0, v37
	v_ldexp_f32 v14, v14, v35
	s_delay_alu instid0(VALU_DEP_2) | instskip(NEXT) | instid1(VALU_DEP_1)
	v_dual_add_f32 v35, -1.0, v34 :: v_dual_sub_f32 v36, v34, v36
	v_add_f32_e32 v38, 1.0, v35
	s_delay_alu instid0(VALU_DEP_2) | instskip(NEXT) | instid1(VALU_DEP_2)
	v_add_f32_e32 v36, v14, v36
	v_sub_f32_e32 v34, v34, v38
	s_delay_alu instid0(VALU_DEP_2) | instskip(NEXT) | instid1(VALU_DEP_2)
	v_add_f32_e32 v38, v37, v36
	v_add_f32_e32 v14, v14, v34
	s_delay_alu instid0(VALU_DEP_2) | instskip(SKIP_1) | instid1(VALU_DEP_1)
	v_rcp_f32_e32 v34, v38
	v_sub_f32_e32 v37, v37, v38
	v_dual_add_f32 v39, v35, v14 :: v_dual_add_f32 v36, v36, v37
	s_delay_alu instid0(VALU_DEP_1) | instskip(NEXT) | instid1(TRANS32_DEP_1)
	v_sub_f32_e32 v35, v35, v39
	v_mul_f32_e32 v40, v39, v34
	s_delay_alu instid0(VALU_DEP_2) | instskip(NEXT) | instid1(VALU_DEP_2)
	v_add_f32_e32 v14, v14, v35
	v_mul_f32_e32 v41, v38, v40
	s_delay_alu instid0(VALU_DEP_1) | instskip(NEXT) | instid1(VALU_DEP_1)
	v_fma_f32 v37, v40, v38, -v41
	v_fmac_f32_e32 v37, v40, v36
	s_delay_alu instid0(VALU_DEP_1) | instskip(NEXT) | instid1(VALU_DEP_1)
	v_add_f32_e32 v42, v41, v37
	v_sub_f32_e32 v43, v39, v42
	v_sub_f32_e32 v35, v42, v41
	s_delay_alu instid0(VALU_DEP_2) | instskip(NEXT) | instid1(VALU_DEP_2)
	v_sub_f32_e32 v39, v39, v43
	v_sub_f32_e32 v35, v35, v37
	s_delay_alu instid0(VALU_DEP_2) | instskip(NEXT) | instid1(VALU_DEP_1)
	v_sub_f32_e32 v39, v39, v42
	v_add_f32_e32 v14, v14, v39
	s_delay_alu instid0(VALU_DEP_1) | instskip(NEXT) | instid1(VALU_DEP_1)
	v_add_f32_e32 v14, v35, v14
	v_add_f32_e32 v35, v43, v14
	s_delay_alu instid0(VALU_DEP_1) | instskip(NEXT) | instid1(VALU_DEP_1)
	v_mul_f32_e32 v37, v34, v35
	v_dual_sub_f32 v42, v43, v35 :: v_dual_mul_f32 v39, v38, v37
	s_delay_alu instid0(VALU_DEP_1) | instskip(NEXT) | instid1(VALU_DEP_2)
	v_add_f32_e32 v14, v14, v42
	v_fma_f32 v38, v37, v38, -v39
	s_delay_alu instid0(VALU_DEP_1) | instskip(NEXT) | instid1(VALU_DEP_1)
	v_fmac_f32_e32 v38, v37, v36
	v_add_f32_e32 v36, v39, v38
	s_delay_alu instid0(VALU_DEP_1) | instskip(SKIP_1) | instid1(VALU_DEP_2)
	v_sub_f32_e32 v41, v35, v36
	v_sub_f32_e32 v39, v36, v39
	;; [unrolled: 1-line block ×3, first 2 shown]
	s_delay_alu instid0(VALU_DEP_1) | instskip(NEXT) | instid1(VALU_DEP_1)
	v_sub_f32_e32 v35, v35, v36
	v_dual_add_f32 v14, v14, v35 :: v_dual_add_f32 v35, v40, v37
	s_delay_alu instid0(VALU_DEP_4) | instskip(NEXT) | instid1(VALU_DEP_1)
	v_sub_f32_e32 v36, v39, v38
	v_add_f32_e32 v14, v36, v14
	s_delay_alu instid0(VALU_DEP_3) | instskip(NEXT) | instid1(VALU_DEP_2)
	v_sub_f32_e32 v36, v35, v40
	v_add_f32_e32 v14, v41, v14
	s_delay_alu instid0(VALU_DEP_2) | instskip(NEXT) | instid1(VALU_DEP_2)
	v_sub_f32_e32 v36, v37, v36
	v_mul_f32_e32 v14, v34, v14
	s_delay_alu instid0(VALU_DEP_1) | instskip(NEXT) | instid1(VALU_DEP_1)
	v_add_f32_e32 v14, v36, v14
	v_add_f32_e32 v34, v35, v14
	s_delay_alu instid0(VALU_DEP_1) | instskip(SKIP_1) | instid1(VALU_DEP_1)
	v_mul_f32_e32 v36, v34, v34
	s_wait_alu 0xfffe
	v_fmaak_f32 v37, s16, v36, 0x3ecc95a3
	v_mul_f32_e32 v38, v34, v36
	s_delay_alu instid0(VALU_DEP_2) | instskip(SKIP_2) | instid1(VALU_DEP_3)
	v_fmaak_f32 v36, v36, v37, 0x3f2aaada
	v_ldexp_f32 v37, v34, 1
	v_sub_f32_e32 v34, v34, v35
	v_mul_f32_e32 v36, v38, v36
	v_mul_f32_e32 v38, 0x3f317218, v13
	s_delay_alu instid0(VALU_DEP_2) | instskip(NEXT) | instid1(VALU_DEP_1)
	v_dual_sub_f32 v14, v14, v34 :: v_dual_add_f32 v35, v37, v36
	v_ldexp_f32 v14, v14, 1
	s_delay_alu instid0(VALU_DEP_2) | instskip(NEXT) | instid1(VALU_DEP_4)
	v_sub_f32_e32 v34, v35, v37
	v_fma_f32 v37, 0x3f317218, v13, -v38
	s_delay_alu instid0(VALU_DEP_1) | instskip(NEXT) | instid1(VALU_DEP_1)
	v_dual_sub_f32 v34, v36, v34 :: v_dual_fmamk_f32 v13, v13, 0xb102e308, v37
	v_add_f32_e32 v14, v14, v34
	s_delay_alu instid0(VALU_DEP_2) | instskip(NEXT) | instid1(VALU_DEP_2)
	v_add_f32_e32 v34, v38, v13
	v_add_f32_e32 v36, v35, v14
	s_delay_alu instid0(VALU_DEP_2) | instskip(NEXT) | instid1(VALU_DEP_2)
	v_sub_f32_e32 v38, v34, v38
	v_add_f32_e32 v37, v34, v36
	v_sub_f32_e32 v35, v36, v35
	s_delay_alu instid0(VALU_DEP_3) | instskip(NEXT) | instid1(VALU_DEP_2)
	v_sub_f32_e32 v13, v13, v38
	v_dual_sub_f32 v39, v37, v34 :: v_dual_sub_f32 v14, v14, v35
	s_delay_alu instid0(VALU_DEP_1) | instskip(NEXT) | instid1(VALU_DEP_2)
	v_sub_f32_e32 v40, v37, v39
	v_dual_sub_f32 v35, v36, v39 :: v_dual_add_f32 v36, v13, v14
	s_delay_alu instid0(VALU_DEP_2) | instskip(NEXT) | instid1(VALU_DEP_1)
	v_sub_f32_e32 v34, v34, v40
	v_dual_add_f32 v34, v35, v34 :: v_dual_sub_f32 v35, v36, v13
	s_delay_alu instid0(VALU_DEP_1) | instskip(NEXT) | instid1(VALU_DEP_2)
	v_add_f32_e32 v34, v36, v34
	v_sub_f32_e32 v36, v36, v35
	v_sub_f32_e32 v14, v14, v35
	s_delay_alu instid0(VALU_DEP_3) | instskip(NEXT) | instid1(VALU_DEP_3)
	v_add_f32_e32 v38, v37, v34
	v_sub_f32_e32 v13, v13, v36
	s_delay_alu instid0(VALU_DEP_2) | instskip(NEXT) | instid1(VALU_DEP_2)
	v_sub_f32_e32 v35, v38, v37
	v_add_f32_e32 v13, v14, v13
	s_delay_alu instid0(VALU_DEP_2) | instskip(NEXT) | instid1(VALU_DEP_1)
	v_sub_f32_e32 v14, v34, v35
	v_add_f32_e32 v13, v13, v14
	s_delay_alu instid0(VALU_DEP_1) | instskip(SKIP_1) | instid1(VALU_DEP_1)
	v_add_f32_e32 v13, v38, v13
	s_wait_alu 0xfffd
	v_cndmask_b32_e32 v13, 0x7f800000, v13, vcc_lo
	v_cmp_gt_f32_e64 vcc_lo, 0x33800000, |v33|
	s_wait_alu 0xfffd
	s_delay_alu instid0(VALU_DEP_2) | instskip(NEXT) | instid1(VALU_DEP_1)
	v_cndmask_b32_e32 v13, v13, v33, vcc_lo
	v_add_f32_e32 v13, v8, v13
.LBB93_88:
	s_wait_alu 0xfffe
	s_or_b32 exec_lo, exec_lo, s15
	s_delay_alu instid0(VALU_DEP_1)
	v_mov_b32_e32 v8, v13
	v_mov_b32_e32 v14, v13
.LBB93_89:
	s_wait_alu 0xfffe
	s_or_b32 exec_lo, exec_lo, s14
	v_lshl_or_b32 v34, v22, 2, 64
	v_add_nc_u32_e32 v35, 16, v22
	s_mov_b32 s14, exec_lo
	ds_bpermute_b32 v8, v34, v8
	v_cmpx_le_u32_e64 v35, v7
	s_cbranch_execz .LBB93_93
; %bb.90:
	v_max_num_f32_e32 v7, v14, v14
	s_wait_dscnt 0x0
	v_max_num_f32_e32 v13, v8, v8
	v_cmp_u_f32_e32 vcc_lo, v8, v8
	s_delay_alu instid0(VALU_DEP_2) | instskip(SKIP_2) | instid1(VALU_DEP_2)
	v_min_num_f32_e32 v33, v13, v7
	v_max_num_f32_e32 v7, v13, v7
	s_wait_alu 0xfffd
	v_cndmask_b32_e32 v13, v33, v8, vcc_lo
	s_delay_alu instid0(VALU_DEP_2) | instskip(SKIP_2) | instid1(VALU_DEP_3)
	v_cndmask_b32_e32 v7, v7, v8, vcc_lo
	v_cmp_u_f32_e32 vcc_lo, v14, v14
	s_wait_alu 0xfffd
	v_cndmask_b32_e32 v13, v13, v14, vcc_lo
	s_delay_alu instid0(VALU_DEP_3) | instskip(NEXT) | instid1(VALU_DEP_2)
	v_cndmask_b32_e32 v7, v7, v14, vcc_lo
	v_cmp_class_f32_e64 s15, v13, 0x1f8
	s_delay_alu instid0(VALU_DEP_2)
	v_cmp_neq_f32_e32 vcc_lo, v13, v7
	s_or_b32 s16, vcc_lo, s15
	s_wait_alu 0xfffe
	s_and_saveexec_b32 s15, s16
	s_cbranch_execz .LBB93_92
; %bb.91:
	v_sub_f32_e32 v8, v13, v7
	s_mov_b32 s16, 0x3e9b6dac
	s_delay_alu instid0(VALU_DEP_1) | instskip(SKIP_1) | instid1(VALU_DEP_2)
	v_mul_f32_e32 v13, 0x3fb8aa3b, v8
	v_cmp_ngt_f32_e32 vcc_lo, 0xc2ce8ed0, v8
	v_fma_f32 v14, 0x3fb8aa3b, v8, -v13
	v_rndne_f32_e32 v33, v13
	s_delay_alu instid0(VALU_DEP_1) | instskip(NEXT) | instid1(VALU_DEP_1)
	v_dual_fmamk_f32 v14, v8, 0x32a5705f, v14 :: v_dual_sub_f32 v13, v13, v33
	v_add_f32_e32 v13, v13, v14
	v_cvt_i32_f32_e32 v14, v33
	s_delay_alu instid0(VALU_DEP_2) | instskip(NEXT) | instid1(TRANS32_DEP_1)
	v_exp_f32_e32 v13, v13
	v_ldexp_f32 v13, v13, v14
	s_wait_alu 0xfffd
	s_delay_alu instid0(VALU_DEP_1) | instskip(SKIP_2) | instid1(VALU_DEP_2)
	v_cndmask_b32_e32 v13, 0, v13, vcc_lo
	v_cmp_nlt_f32_e32 vcc_lo, 0x42b17218, v8
	s_wait_alu 0xfffd
	v_cndmask_b32_e32 v8, 0x7f800000, v13, vcc_lo
	s_delay_alu instid0(VALU_DEP_1) | instskip(NEXT) | instid1(VALU_DEP_1)
	v_add_f32_e32 v33, 1.0, v8
	v_cvt_f64_f32_e32 v[13:14], v33
	s_delay_alu instid0(VALU_DEP_1) | instskip(SKIP_1) | instid1(VALU_DEP_1)
	v_frexp_exp_i32_f64_e32 v13, v[13:14]
	v_frexp_mant_f32_e32 v14, v33
	v_cmp_gt_f32_e32 vcc_lo, 0x3f2aaaab, v14
	v_add_f32_e32 v14, -1.0, v33
	s_delay_alu instid0(VALU_DEP_1) | instskip(SKIP_2) | instid1(VALU_DEP_1)
	v_dual_sub_f32 v37, v14, v33 :: v_dual_sub_f32 v14, v8, v14
	s_wait_alu 0xfffd
	v_subrev_co_ci_u32_e64 v13, null, 0, v13, vcc_lo
	v_sub_nc_u32_e32 v36, 0, v13
	v_cvt_f32_i32_e32 v13, v13
	s_delay_alu instid0(VALU_DEP_2) | instskip(NEXT) | instid1(VALU_DEP_1)
	v_ldexp_f32 v33, v33, v36
	v_add_f32_e32 v38, 1.0, v33
	v_add_f32_e32 v37, 1.0, v37
	s_delay_alu instid0(VALU_DEP_1) | instskip(SKIP_1) | instid1(VALU_DEP_2)
	v_dual_add_f32 v14, v14, v37 :: v_dual_add_f32 v37, -1.0, v38
	v_cmp_neq_f32_e32 vcc_lo, 0x7f800000, v8
	v_ldexp_f32 v14, v14, v36
	v_add_f32_e32 v36, -1.0, v33
	s_delay_alu instid0(VALU_DEP_4) | instskip(NEXT) | instid1(VALU_DEP_2)
	v_sub_f32_e32 v37, v33, v37
	v_add_f32_e32 v39, 1.0, v36
	s_delay_alu instid0(VALU_DEP_1) | instskip(NEXT) | instid1(VALU_DEP_3)
	v_sub_f32_e32 v33, v33, v39
	v_add_f32_e32 v37, v14, v37
	s_delay_alu instid0(VALU_DEP_2) | instskip(NEXT) | instid1(VALU_DEP_1)
	v_add_f32_e32 v14, v14, v33
	v_add_f32_e32 v40, v36, v14
	s_delay_alu instid0(VALU_DEP_1) | instskip(NEXT) | instid1(VALU_DEP_1)
	v_dual_sub_f32 v36, v36, v40 :: v_dual_add_f32 v39, v38, v37
	v_rcp_f32_e32 v33, v39
	v_sub_f32_e32 v38, v38, v39
	s_delay_alu instid0(VALU_DEP_1) | instskip(NEXT) | instid1(TRANS32_DEP_1)
	v_dual_add_f32 v37, v37, v38 :: v_dual_add_f32 v14, v14, v36
	v_mul_f32_e32 v41, v40, v33
	s_delay_alu instid0(VALU_DEP_1) | instskip(NEXT) | instid1(VALU_DEP_1)
	v_mul_f32_e32 v42, v39, v41
	v_fma_f32 v38, v41, v39, -v42
	s_delay_alu instid0(VALU_DEP_1) | instskip(NEXT) | instid1(VALU_DEP_1)
	v_fmac_f32_e32 v38, v41, v37
	v_add_f32_e32 v43, v42, v38
	s_delay_alu instid0(VALU_DEP_1) | instskip(SKIP_1) | instid1(VALU_DEP_2)
	v_sub_f32_e32 v44, v40, v43
	v_sub_f32_e32 v36, v43, v42
	;; [unrolled: 1-line block ×3, first 2 shown]
	s_delay_alu instid0(VALU_DEP_2) | instskip(NEXT) | instid1(VALU_DEP_2)
	v_sub_f32_e32 v36, v36, v38
	v_sub_f32_e32 v40, v40, v43
	s_delay_alu instid0(VALU_DEP_1) | instskip(NEXT) | instid1(VALU_DEP_1)
	v_add_f32_e32 v14, v14, v40
	v_add_f32_e32 v14, v36, v14
	s_delay_alu instid0(VALU_DEP_1) | instskip(NEXT) | instid1(VALU_DEP_1)
	v_add_f32_e32 v36, v44, v14
	v_mul_f32_e32 v38, v33, v36
	s_delay_alu instid0(VALU_DEP_1) | instskip(NEXT) | instid1(VALU_DEP_1)
	v_dual_sub_f32 v43, v44, v36 :: v_dual_mul_f32 v40, v39, v38
	v_add_f32_e32 v14, v14, v43
	s_delay_alu instid0(VALU_DEP_2) | instskip(NEXT) | instid1(VALU_DEP_1)
	v_fma_f32 v39, v38, v39, -v40
	v_fmac_f32_e32 v39, v38, v37
	s_delay_alu instid0(VALU_DEP_1) | instskip(NEXT) | instid1(VALU_DEP_1)
	v_add_f32_e32 v37, v40, v39
	v_sub_f32_e32 v42, v36, v37
	s_delay_alu instid0(VALU_DEP_1) | instskip(NEXT) | instid1(VALU_DEP_1)
	v_sub_f32_e32 v36, v36, v42
	v_sub_f32_e32 v36, v36, v37
	s_delay_alu instid0(VALU_DEP_1) | instskip(SKIP_2) | instid1(VALU_DEP_1)
	v_add_f32_e32 v14, v14, v36
	v_add_f32_e32 v36, v41, v38
	v_sub_f32_e32 v40, v37, v40
	v_sub_f32_e32 v37, v40, v39
	s_delay_alu instid0(VALU_DEP_1) | instskip(NEXT) | instid1(VALU_DEP_1)
	v_dual_add_f32 v14, v37, v14 :: v_dual_sub_f32 v37, v36, v41
	v_add_f32_e32 v14, v42, v14
	s_delay_alu instid0(VALU_DEP_1) | instskip(NEXT) | instid1(VALU_DEP_1)
	v_dual_sub_f32 v37, v38, v37 :: v_dual_mul_f32 v14, v33, v14
	v_add_f32_e32 v14, v37, v14
	s_delay_alu instid0(VALU_DEP_1) | instskip(NEXT) | instid1(VALU_DEP_1)
	v_add_f32_e32 v33, v36, v14
	v_mul_f32_e32 v37, v33, v33
	s_wait_alu 0xfffe
	s_delay_alu instid0(VALU_DEP_1) | instskip(SKIP_1) | instid1(VALU_DEP_2)
	v_fmaak_f32 v38, s16, v37, 0x3ecc95a3
	v_mul_f32_e32 v39, v33, v37
	v_fmaak_f32 v37, v37, v38, 0x3f2aaada
	v_ldexp_f32 v38, v33, 1
	v_sub_f32_e32 v33, v33, v36
	s_delay_alu instid0(VALU_DEP_3) | instskip(SKIP_1) | instid1(VALU_DEP_3)
	v_mul_f32_e32 v37, v39, v37
	v_mul_f32_e32 v39, 0x3f317218, v13
	v_sub_f32_e32 v14, v14, v33
	s_delay_alu instid0(VALU_DEP_3) | instskip(NEXT) | instid1(VALU_DEP_2)
	v_add_f32_e32 v36, v38, v37
	v_ldexp_f32 v14, v14, 1
	s_delay_alu instid0(VALU_DEP_2) | instskip(SKIP_1) | instid1(VALU_DEP_2)
	v_sub_f32_e32 v33, v36, v38
	v_fma_f32 v38, 0x3f317218, v13, -v39
	v_sub_f32_e32 v33, v37, v33
	s_delay_alu instid0(VALU_DEP_1) | instskip(NEXT) | instid1(VALU_DEP_1)
	v_dual_fmamk_f32 v13, v13, 0xb102e308, v38 :: v_dual_add_f32 v14, v14, v33
	v_add_f32_e32 v33, v39, v13
	s_delay_alu instid0(VALU_DEP_1) | instskip(NEXT) | instid1(VALU_DEP_3)
	v_sub_f32_e32 v39, v33, v39
	v_add_f32_e32 v37, v36, v14
	s_delay_alu instid0(VALU_DEP_2) | instskip(NEXT) | instid1(VALU_DEP_2)
	v_sub_f32_e32 v13, v13, v39
	v_add_f32_e32 v38, v33, v37
	v_sub_f32_e32 v36, v37, v36
	s_delay_alu instid0(VALU_DEP_1) | instskip(NEXT) | instid1(VALU_DEP_3)
	v_sub_f32_e32 v14, v14, v36
	v_sub_f32_e32 v40, v38, v33
	s_delay_alu instid0(VALU_DEP_1) | instskip(NEXT) | instid1(VALU_DEP_3)
	v_sub_f32_e32 v36, v37, v40
	v_add_f32_e32 v37, v13, v14
	v_sub_f32_e32 v41, v38, v40
	s_delay_alu instid0(VALU_DEP_1) | instskip(NEXT) | instid1(VALU_DEP_1)
	v_sub_f32_e32 v33, v33, v41
	v_add_f32_e32 v33, v36, v33
	s_delay_alu instid0(VALU_DEP_4) | instskip(NEXT) | instid1(VALU_DEP_1)
	v_sub_f32_e32 v36, v37, v13
	v_dual_add_f32 v33, v37, v33 :: v_dual_sub_f32 v14, v14, v36
	v_sub_f32_e32 v37, v37, v36
	s_delay_alu instid0(VALU_DEP_2) | instskip(NEXT) | instid1(VALU_DEP_1)
	v_add_f32_e32 v39, v38, v33
	v_dual_sub_f32 v13, v13, v37 :: v_dual_sub_f32 v36, v39, v38
	s_delay_alu instid0(VALU_DEP_1) | instskip(NEXT) | instid1(VALU_DEP_1)
	v_dual_add_f32 v13, v14, v13 :: v_dual_sub_f32 v14, v33, v36
	v_add_f32_e32 v13, v13, v14
	s_delay_alu instid0(VALU_DEP_1) | instskip(SKIP_1) | instid1(VALU_DEP_1)
	v_add_f32_e32 v13, v39, v13
	s_wait_alu 0xfffd
	v_cndmask_b32_e32 v13, 0x7f800000, v13, vcc_lo
	v_cmp_gt_f32_e64 vcc_lo, 0x33800000, |v8|
	s_wait_alu 0xfffd
	s_delay_alu instid0(VALU_DEP_2) | instskip(NEXT) | instid1(VALU_DEP_1)
	v_cndmask_b32_e32 v8, v13, v8, vcc_lo
	v_add_f32_e32 v8, v7, v8
.LBB93_92:
	s_wait_alu 0xfffe
	s_or_b32 exec_lo, exec_lo, s15
	s_delay_alu instid0(VALU_DEP_1)
	v_mov_b32_e32 v14, v8
.LBB93_93:
	s_wait_alu 0xfffe
	s_or_b32 exec_lo, exec_lo, s14
	v_mov_b32_e32 v7, 0
	s_mov_b32 s14, 0x3e9b6dac
	s_branch .LBB93_96
.LBB93_94:                              ;   in Loop: Header=BB93_96 Depth=1
	s_wait_alu 0xfffe
	s_or_b32 exec_lo, exec_lo, s15
	v_subrev_nc_u32_e32 v6, 32, v6
	s_mov_b32 s15, 0
.LBB93_95:                              ;   in Loop: Header=BB93_96 Depth=1
	s_wait_alu 0xfffe
	s_and_b32 vcc_lo, exec_lo, s15
	s_wait_alu 0xfffe
	s_cbranch_vccnz .LBB93_124
.LBB93_96:                              ; =>This Loop Header: Depth=1
                                        ;     Child Loop BB93_99 Depth 2
	s_wait_dscnt 0x0
	v_dual_mov_b32 v33, v14 :: v_dual_and_b32 v8, 0xff, v9
	s_mov_b32 s15, -1
                                        ; implicit-def: $vgpr14
                                        ; implicit-def: $vgpr9
	s_delay_alu instid0(VALU_DEP_1)
	v_cmp_ne_u16_e32 vcc_lo, 2, v8
	s_cmp_lg_u32 vcc_lo, exec_lo
	s_cbranch_scc1 .LBB93_95
; %bb.97:                               ;   in Loop: Header=BB93_96 Depth=1
	v_lshlrev_b64_e32 v[8:9], 3, v[6:7]
	s_mov_b32 s15, exec_lo
	s_delay_alu instid0(VALU_DEP_1) | instskip(SKIP_1) | instid1(VALU_DEP_2)
	v_add_co_u32 v13, vcc_lo, s28, v8
	s_wait_alu 0xfffd
	v_add_co_ci_u32_e64 v14, null, s29, v9, vcc_lo
	global_load_b64 v[8:9], v[13:14], off scope:SCOPE_DEV
	s_wait_loadcnt 0x0
	v_and_b32_e32 v36, 0xff, v9
	s_delay_alu instid0(VALU_DEP_1)
	v_cmpx_eq_u16_e32 0, v36
	s_cbranch_execz .LBB93_101
; %bb.98:                               ;   in Loop: Header=BB93_96 Depth=1
	s_mov_b32 s16, 0
.LBB93_99:                              ;   Parent Loop BB93_96 Depth=1
                                        ; =>  This Inner Loop Header: Depth=2
	global_load_b64 v[8:9], v[13:14], off scope:SCOPE_DEV
	s_wait_loadcnt 0x0
	v_and_b32_e32 v36, 0xff, v9
	s_delay_alu instid0(VALU_DEP_1)
	v_cmp_ne_u16_e32 vcc_lo, 0, v36
	s_wait_alu 0xfffe
	s_or_b32 s16, vcc_lo, s16
	s_wait_alu 0xfffe
	s_and_not1_b32 exec_lo, exec_lo, s16
	s_cbranch_execnz .LBB93_99
; %bb.100:                              ;   in Loop: Header=BB93_96 Depth=1
	s_or_b32 exec_lo, exec_lo, s16
.LBB93_101:                             ;   in Loop: Header=BB93_96 Depth=1
	s_wait_alu 0xfffe
	s_or_b32 exec_lo, exec_lo, s15
	v_dual_mov_b32 v14, v8 :: v_dual_and_b32 v13, 0xff, v9
	ds_bpermute_b32 v36, v25, v8
	s_mov_b32 s15, exec_lo
	v_cmp_eq_u16_e32 vcc_lo, 2, v13
	s_wait_alu 0xfffd
	v_and_or_b32 v13, vcc_lo, v26, 0x80000000
	s_delay_alu instid0(VALU_DEP_1) | instskip(NEXT) | instid1(VALU_DEP_1)
	v_ctz_i32_b32_e32 v13, v13
	v_cmpx_lt_u32_e64 v22, v13
	s_cbranch_execz .LBB93_105
; %bb.102:                              ;   in Loop: Header=BB93_96 Depth=1
	v_max_num_f32_e32 v14, v8, v8
	s_wait_dscnt 0x0
	v_max_num_f32_e32 v37, v36, v36
	v_cmp_u_f32_e32 vcc_lo, v36, v36
	s_delay_alu instid0(VALU_DEP_2) | instskip(SKIP_1) | instid1(VALU_DEP_1)
	v_min_num_f32_e32 v38, v37, v14
	s_wait_alu 0xfffd
	v_dual_max_num_f32 v14, v37, v14 :: v_dual_cndmask_b32 v37, v38, v36
	s_delay_alu instid0(VALU_DEP_1) | instskip(SKIP_2) | instid1(VALU_DEP_3)
	v_cndmask_b32_e32 v38, v14, v36, vcc_lo
	v_cmp_u_f32_e32 vcc_lo, v8, v8
	s_wait_alu 0xfffd
	v_cndmask_b32_e32 v14, v37, v8, vcc_lo
	s_delay_alu instid0(VALU_DEP_3) | instskip(NEXT) | instid1(VALU_DEP_2)
	v_cndmask_b32_e32 v8, v38, v8, vcc_lo
	v_cmp_class_f32_e64 s16, v14, 0x1f8
	s_delay_alu instid0(VALU_DEP_2)
	v_cmp_neq_f32_e32 vcc_lo, v14, v8
	s_or_b32 s17, vcc_lo, s16
	s_wait_alu 0xfffe
	s_and_saveexec_b32 s16, s17
	s_cbranch_execz .LBB93_104
; %bb.103:                              ;   in Loop: Header=BB93_96 Depth=1
	v_sub_f32_e32 v14, v14, v8
	s_delay_alu instid0(VALU_DEP_1) | instskip(SKIP_1) | instid1(VALU_DEP_2)
	v_mul_f32_e32 v36, 0x3fb8aa3b, v14
	v_cmp_ngt_f32_e32 vcc_lo, 0xc2ce8ed0, v14
	v_fma_f32 v37, 0x3fb8aa3b, v14, -v36
	v_rndne_f32_e32 v38, v36
	s_delay_alu instid0(VALU_DEP_2) | instskip(NEXT) | instid1(VALU_DEP_2)
	v_fmac_f32_e32 v37, 0x32a5705f, v14
	v_sub_f32_e32 v36, v36, v38
	s_delay_alu instid0(VALU_DEP_1) | instskip(SKIP_1) | instid1(VALU_DEP_2)
	v_add_f32_e32 v36, v36, v37
	v_cvt_i32_f32_e32 v37, v38
	v_exp_f32_e32 v36, v36
	s_delay_alu instid0(TRANS32_DEP_1) | instskip(SKIP_1) | instid1(VALU_DEP_1)
	v_ldexp_f32 v36, v36, v37
	s_wait_alu 0xfffd
	v_cndmask_b32_e32 v36, 0, v36, vcc_lo
	v_cmp_nlt_f32_e32 vcc_lo, 0x42b17218, v14
	s_wait_alu 0xfffd
	s_delay_alu instid0(VALU_DEP_2) | instskip(NEXT) | instid1(VALU_DEP_1)
	v_cndmask_b32_e32 v14, 0x7f800000, v36, vcc_lo
	v_add_f32_e32 v38, 1.0, v14
	s_delay_alu instid0(VALU_DEP_1) | instskip(NEXT) | instid1(VALU_DEP_1)
	v_cvt_f64_f32_e32 v[36:37], v38
	v_frexp_exp_i32_f64_e32 v36, v[36:37]
	v_frexp_mant_f32_e32 v37, v38
	s_delay_alu instid0(VALU_DEP_1) | instskip(SKIP_1) | instid1(VALU_DEP_1)
	v_cmp_gt_f32_e32 vcc_lo, 0x3f2aaaab, v37
	v_add_f32_e32 v37, -1.0, v38
	v_dual_sub_f32 v40, v37, v38 :: v_dual_sub_f32 v37, v14, v37
	s_delay_alu instid0(VALU_DEP_1) | instskip(NEXT) | instid1(VALU_DEP_1)
	v_add_f32_e32 v40, 1.0, v40
	v_add_f32_e32 v37, v37, v40
	s_wait_alu 0xfffd
	v_subrev_co_ci_u32_e64 v36, null, 0, v36, vcc_lo
	s_delay_alu instid0(VALU_DEP_1) | instskip(SKIP_1) | instid1(VALU_DEP_2)
	v_sub_nc_u32_e32 v39, 0, v36
	v_cvt_f32_i32_e32 v36, v36
	v_ldexp_f32 v38, v38, v39
	v_ldexp_f32 v37, v37, v39
	s_delay_alu instid0(VALU_DEP_2) | instskip(SKIP_2) | instid1(VALU_DEP_3)
	v_add_f32_e32 v41, 1.0, v38
	v_add_f32_e32 v39, -1.0, v38
	v_cmp_neq_f32_e32 vcc_lo, 0x7f800000, v14
	v_add_f32_e32 v40, -1.0, v41
	s_delay_alu instid0(VALU_DEP_3) | instskip(NEXT) | instid1(VALU_DEP_2)
	v_add_f32_e32 v42, 1.0, v39
	v_sub_f32_e32 v40, v38, v40
	s_delay_alu instid0(VALU_DEP_2) | instskip(NEXT) | instid1(VALU_DEP_2)
	v_sub_f32_e32 v38, v38, v42
	v_add_f32_e32 v40, v37, v40
	s_delay_alu instid0(VALU_DEP_2) | instskip(NEXT) | instid1(VALU_DEP_1)
	v_add_f32_e32 v37, v37, v38
	v_add_f32_e32 v43, v39, v37
	s_delay_alu instid0(VALU_DEP_1) | instskip(NEXT) | instid1(VALU_DEP_1)
	v_dual_sub_f32 v39, v39, v43 :: v_dual_add_f32 v42, v41, v40
	v_add_f32_e32 v37, v37, v39
	s_delay_alu instid0(VALU_DEP_2) | instskip(SKIP_1) | instid1(VALU_DEP_1)
	v_rcp_f32_e32 v38, v42
	v_sub_f32_e32 v41, v41, v42
	v_add_f32_e32 v40, v40, v41
	s_delay_alu instid0(TRANS32_DEP_1) | instskip(NEXT) | instid1(VALU_DEP_1)
	v_mul_f32_e32 v44, v43, v38
	v_mul_f32_e32 v45, v42, v44
	s_delay_alu instid0(VALU_DEP_1) | instskip(NEXT) | instid1(VALU_DEP_1)
	v_fma_f32 v41, v44, v42, -v45
	v_fmac_f32_e32 v41, v44, v40
	s_delay_alu instid0(VALU_DEP_1) | instskip(NEXT) | instid1(VALU_DEP_1)
	v_add_f32_e32 v46, v45, v41
	v_sub_f32_e32 v47, v43, v46
	v_sub_f32_e32 v39, v46, v45
	s_delay_alu instid0(VALU_DEP_2) | instskip(NEXT) | instid1(VALU_DEP_1)
	v_sub_f32_e32 v43, v43, v47
	v_sub_f32_e32 v43, v43, v46
	s_delay_alu instid0(VALU_DEP_3) | instskip(NEXT) | instid1(VALU_DEP_2)
	v_sub_f32_e32 v39, v39, v41
	v_add_f32_e32 v37, v37, v43
	s_delay_alu instid0(VALU_DEP_1) | instskip(NEXT) | instid1(VALU_DEP_1)
	v_add_f32_e32 v37, v39, v37
	v_add_f32_e32 v39, v47, v37
	s_delay_alu instid0(VALU_DEP_1) | instskip(NEXT) | instid1(VALU_DEP_1)
	v_mul_f32_e32 v41, v38, v39
	v_dual_sub_f32 v46, v47, v39 :: v_dual_mul_f32 v43, v42, v41
	s_delay_alu instid0(VALU_DEP_1) | instskip(NEXT) | instid1(VALU_DEP_2)
	v_add_f32_e32 v37, v37, v46
	v_fma_f32 v42, v41, v42, -v43
	s_delay_alu instid0(VALU_DEP_1) | instskip(NEXT) | instid1(VALU_DEP_1)
	v_fmac_f32_e32 v42, v41, v40
	v_add_f32_e32 v40, v43, v42
	s_delay_alu instid0(VALU_DEP_1) | instskip(NEXT) | instid1(VALU_DEP_1)
	v_sub_f32_e32 v45, v39, v40
	v_sub_f32_e32 v39, v39, v45
	s_delay_alu instid0(VALU_DEP_1) | instskip(NEXT) | instid1(VALU_DEP_1)
	v_sub_f32_e32 v39, v39, v40
	v_add_f32_e32 v37, v37, v39
	v_add_f32_e32 v39, v44, v41
	v_sub_f32_e32 v43, v40, v43
	s_delay_alu instid0(VALU_DEP_1) | instskip(NEXT) | instid1(VALU_DEP_1)
	v_sub_f32_e32 v40, v43, v42
	v_dual_add_f32 v37, v40, v37 :: v_dual_sub_f32 v40, v39, v44
	s_delay_alu instid0(VALU_DEP_1) | instskip(NEXT) | instid1(VALU_DEP_1)
	v_add_f32_e32 v37, v45, v37
	v_dual_sub_f32 v40, v41, v40 :: v_dual_mul_f32 v37, v38, v37
	s_delay_alu instid0(VALU_DEP_1) | instskip(NEXT) | instid1(VALU_DEP_1)
	v_add_f32_e32 v37, v40, v37
	v_add_f32_e32 v38, v39, v37
	s_delay_alu instid0(VALU_DEP_1) | instskip(NEXT) | instid1(VALU_DEP_1)
	v_mul_f32_e32 v40, v38, v38
	v_fmaak_f32 v41, s14, v40, 0x3ecc95a3
	v_mul_f32_e32 v42, v38, v40
	s_delay_alu instid0(VALU_DEP_2) | instskip(SKIP_1) | instid1(VALU_DEP_2)
	v_fmaak_f32 v40, v40, v41, 0x3f2aaada
	v_ldexp_f32 v41, v38, 1
	v_mul_f32_e32 v40, v42, v40
	v_mul_f32_e32 v42, 0x3f317218, v36
	s_delay_alu instid0(VALU_DEP_2) | instskip(NEXT) | instid1(VALU_DEP_1)
	v_dual_sub_f32 v38, v38, v39 :: v_dual_add_f32 v39, v41, v40
	v_dual_sub_f32 v37, v37, v38 :: v_dual_sub_f32 v38, v39, v41
	s_delay_alu instid0(VALU_DEP_3) | instskip(NEXT) | instid1(VALU_DEP_2)
	v_fma_f32 v41, 0x3f317218, v36, -v42
	v_ldexp_f32 v37, v37, 1
	s_delay_alu instid0(VALU_DEP_2) | instskip(NEXT) | instid1(VALU_DEP_1)
	v_dual_sub_f32 v38, v40, v38 :: v_dual_fmac_f32 v41, 0xb102e308, v36
	v_dual_add_f32 v36, v37, v38 :: v_dual_add_f32 v37, v42, v41
	s_delay_alu instid0(VALU_DEP_1) | instskip(NEXT) | instid1(VALU_DEP_1)
	v_add_f32_e32 v38, v39, v36
	v_add_f32_e32 v40, v37, v38
	s_delay_alu instid0(VALU_DEP_1) | instskip(NEXT) | instid1(VALU_DEP_1)
	v_sub_f32_e32 v43, v40, v37
	v_sub_f32_e32 v44, v40, v43
	;; [unrolled: 1-line block ×3, first 2 shown]
	s_delay_alu instid0(VALU_DEP_1) | instskip(SKIP_1) | instid1(VALU_DEP_1)
	v_sub_f32_e32 v36, v36, v39
	v_sub_f32_e32 v42, v37, v42
	v_dual_sub_f32 v38, v38, v43 :: v_dual_sub_f32 v41, v41, v42
	s_delay_alu instid0(VALU_DEP_1) | instskip(SKIP_1) | instid1(VALU_DEP_1)
	v_add_f32_e32 v39, v41, v36
	v_sub_f32_e32 v37, v37, v44
	v_add_f32_e32 v37, v38, v37
	s_delay_alu instid0(VALU_DEP_3) | instskip(NEXT) | instid1(VALU_DEP_1)
	v_sub_f32_e32 v38, v39, v41
	v_dual_sub_f32 v36, v36, v38 :: v_dual_add_f32 v37, v39, v37
	s_delay_alu instid0(VALU_DEP_1) | instskip(NEXT) | instid1(VALU_DEP_1)
	v_dual_sub_f32 v39, v39, v38 :: v_dual_add_f32 v42, v40, v37
	v_dual_sub_f32 v38, v42, v40 :: v_dual_sub_f32 v39, v41, v39
	s_delay_alu instid0(VALU_DEP_1) | instskip(NEXT) | instid1(VALU_DEP_1)
	v_dual_sub_f32 v37, v37, v38 :: v_dual_add_f32 v36, v36, v39
	v_add_f32_e32 v36, v36, v37
	s_delay_alu instid0(VALU_DEP_1) | instskip(SKIP_1) | instid1(VALU_DEP_1)
	v_add_f32_e32 v36, v42, v36
	s_wait_alu 0xfffd
	v_cndmask_b32_e32 v36, 0x7f800000, v36, vcc_lo
	v_cmp_gt_f32_e64 vcc_lo, 0x33800000, |v14|
	s_wait_alu 0xfffd
	s_delay_alu instid0(VALU_DEP_2) | instskip(NEXT) | instid1(VALU_DEP_1)
	v_cndmask_b32_e32 v14, v36, v14, vcc_lo
	v_add_f32_e32 v36, v8, v14
.LBB93_104:                             ;   in Loop: Header=BB93_96 Depth=1
	s_wait_alu 0xfffe
	s_or_b32 exec_lo, exec_lo, s16
	s_delay_alu instid0(VALU_DEP_1)
	v_mov_b32_e32 v8, v36
	v_mov_b32_e32 v14, v36
.LBB93_105:                             ;   in Loop: Header=BB93_96 Depth=1
	s_wait_alu 0xfffe
	s_or_b32 exec_lo, exec_lo, s15
	s_wait_dscnt 0x0
	ds_bpermute_b32 v36, v27, v8
	s_mov_b32 s15, exec_lo
	v_cmpx_le_u32_e64 v28, v13
	s_cbranch_execz .LBB93_109
; %bb.106:                              ;   in Loop: Header=BB93_96 Depth=1
	s_wait_dscnt 0x0
	v_dual_max_num_f32 v8, v14, v14 :: v_dual_max_num_f32 v37, v36, v36
	v_cmp_u_f32_e32 vcc_lo, v36, v36
	s_delay_alu instid0(VALU_DEP_2) | instskip(SKIP_2) | instid1(VALU_DEP_1)
	v_min_num_f32_e32 v38, v37, v8
	v_max_num_f32_e32 v8, v37, v8
	s_wait_alu 0xfffd
	v_cndmask_b32_e32 v8, v8, v36, vcc_lo
	s_delay_alu instid0(VALU_DEP_3) | instskip(SKIP_2) | instid1(VALU_DEP_3)
	v_cndmask_b32_e32 v37, v38, v36, vcc_lo
	v_cmp_u_f32_e32 vcc_lo, v14, v14
	s_wait_alu 0xfffd
	v_cndmask_b32_e32 v8, v8, v14, vcc_lo
	s_delay_alu instid0(VALU_DEP_3) | instskip(NEXT) | instid1(VALU_DEP_1)
	v_cndmask_b32_e32 v37, v37, v14, vcc_lo
	v_cmp_neq_f32_e32 vcc_lo, v37, v8
	v_cmp_class_f32_e64 s16, v37, 0x1f8
	s_or_b32 s17, vcc_lo, s16
	s_wait_alu 0xfffe
	s_and_saveexec_b32 s16, s17
	s_cbranch_execz .LBB93_108
; %bb.107:                              ;   in Loop: Header=BB93_96 Depth=1
	v_sub_f32_e32 v14, v37, v8
	s_delay_alu instid0(VALU_DEP_1) | instskip(SKIP_1) | instid1(VALU_DEP_2)
	v_mul_f32_e32 v36, 0x3fb8aa3b, v14
	v_cmp_ngt_f32_e32 vcc_lo, 0xc2ce8ed0, v14
	v_fma_f32 v37, 0x3fb8aa3b, v14, -v36
	v_rndne_f32_e32 v38, v36
	s_delay_alu instid0(VALU_DEP_2) | instskip(NEXT) | instid1(VALU_DEP_2)
	v_fmac_f32_e32 v37, 0x32a5705f, v14
	v_sub_f32_e32 v36, v36, v38
	s_delay_alu instid0(VALU_DEP_1) | instskip(SKIP_1) | instid1(VALU_DEP_2)
	v_add_f32_e32 v36, v36, v37
	v_cvt_i32_f32_e32 v37, v38
	v_exp_f32_e32 v36, v36
	s_delay_alu instid0(TRANS32_DEP_1) | instskip(SKIP_1) | instid1(VALU_DEP_1)
	v_ldexp_f32 v36, v36, v37
	s_wait_alu 0xfffd
	v_cndmask_b32_e32 v36, 0, v36, vcc_lo
	v_cmp_nlt_f32_e32 vcc_lo, 0x42b17218, v14
	s_wait_alu 0xfffd
	s_delay_alu instid0(VALU_DEP_2) | instskip(NEXT) | instid1(VALU_DEP_1)
	v_cndmask_b32_e32 v14, 0x7f800000, v36, vcc_lo
	v_add_f32_e32 v38, 1.0, v14
	s_delay_alu instid0(VALU_DEP_1) | instskip(NEXT) | instid1(VALU_DEP_1)
	v_cvt_f64_f32_e32 v[36:37], v38
	v_frexp_exp_i32_f64_e32 v36, v[36:37]
	v_frexp_mant_f32_e32 v37, v38
	s_delay_alu instid0(VALU_DEP_1) | instskip(SKIP_1) | instid1(VALU_DEP_1)
	v_cmp_gt_f32_e32 vcc_lo, 0x3f2aaaab, v37
	v_add_f32_e32 v37, -1.0, v38
	v_dual_sub_f32 v40, v37, v38 :: v_dual_sub_f32 v37, v14, v37
	s_delay_alu instid0(VALU_DEP_1) | instskip(NEXT) | instid1(VALU_DEP_1)
	v_add_f32_e32 v40, 1.0, v40
	v_add_f32_e32 v37, v37, v40
	s_wait_alu 0xfffd
	v_subrev_co_ci_u32_e64 v36, null, 0, v36, vcc_lo
	s_delay_alu instid0(VALU_DEP_1) | instskip(SKIP_1) | instid1(VALU_DEP_2)
	v_sub_nc_u32_e32 v39, 0, v36
	v_cvt_f32_i32_e32 v36, v36
	v_ldexp_f32 v38, v38, v39
	v_ldexp_f32 v37, v37, v39
	s_delay_alu instid0(VALU_DEP_2) | instskip(SKIP_2) | instid1(VALU_DEP_3)
	v_add_f32_e32 v41, 1.0, v38
	v_add_f32_e32 v39, -1.0, v38
	v_cmp_neq_f32_e32 vcc_lo, 0x7f800000, v14
	v_add_f32_e32 v40, -1.0, v41
	s_delay_alu instid0(VALU_DEP_3) | instskip(NEXT) | instid1(VALU_DEP_2)
	v_add_f32_e32 v42, 1.0, v39
	v_sub_f32_e32 v40, v38, v40
	s_delay_alu instid0(VALU_DEP_2) | instskip(NEXT) | instid1(VALU_DEP_2)
	v_sub_f32_e32 v38, v38, v42
	v_add_f32_e32 v40, v37, v40
	s_delay_alu instid0(VALU_DEP_2) | instskip(NEXT) | instid1(VALU_DEP_1)
	v_add_f32_e32 v37, v37, v38
	v_add_f32_e32 v43, v39, v37
	s_delay_alu instid0(VALU_DEP_1) | instskip(NEXT) | instid1(VALU_DEP_1)
	v_dual_sub_f32 v39, v39, v43 :: v_dual_add_f32 v42, v41, v40
	v_add_f32_e32 v37, v37, v39
	s_delay_alu instid0(VALU_DEP_2) | instskip(SKIP_1) | instid1(VALU_DEP_1)
	v_rcp_f32_e32 v38, v42
	v_sub_f32_e32 v41, v41, v42
	v_add_f32_e32 v40, v40, v41
	s_delay_alu instid0(TRANS32_DEP_1) | instskip(NEXT) | instid1(VALU_DEP_1)
	v_mul_f32_e32 v44, v43, v38
	v_mul_f32_e32 v45, v42, v44
	s_delay_alu instid0(VALU_DEP_1) | instskip(NEXT) | instid1(VALU_DEP_1)
	v_fma_f32 v41, v44, v42, -v45
	v_fmac_f32_e32 v41, v44, v40
	s_delay_alu instid0(VALU_DEP_1) | instskip(NEXT) | instid1(VALU_DEP_1)
	v_add_f32_e32 v46, v45, v41
	v_sub_f32_e32 v47, v43, v46
	v_sub_f32_e32 v39, v46, v45
	s_delay_alu instid0(VALU_DEP_2) | instskip(NEXT) | instid1(VALU_DEP_1)
	v_sub_f32_e32 v43, v43, v47
	v_sub_f32_e32 v43, v43, v46
	s_delay_alu instid0(VALU_DEP_3) | instskip(NEXT) | instid1(VALU_DEP_2)
	v_sub_f32_e32 v39, v39, v41
	v_add_f32_e32 v37, v37, v43
	s_delay_alu instid0(VALU_DEP_1) | instskip(NEXT) | instid1(VALU_DEP_1)
	v_add_f32_e32 v37, v39, v37
	v_add_f32_e32 v39, v47, v37
	s_delay_alu instid0(VALU_DEP_1) | instskip(NEXT) | instid1(VALU_DEP_1)
	v_mul_f32_e32 v41, v38, v39
	v_dual_sub_f32 v46, v47, v39 :: v_dual_mul_f32 v43, v42, v41
	s_delay_alu instid0(VALU_DEP_1) | instskip(NEXT) | instid1(VALU_DEP_2)
	v_add_f32_e32 v37, v37, v46
	v_fma_f32 v42, v41, v42, -v43
	s_delay_alu instid0(VALU_DEP_1) | instskip(NEXT) | instid1(VALU_DEP_1)
	v_fmac_f32_e32 v42, v41, v40
	v_add_f32_e32 v40, v43, v42
	s_delay_alu instid0(VALU_DEP_1) | instskip(NEXT) | instid1(VALU_DEP_1)
	v_sub_f32_e32 v45, v39, v40
	v_sub_f32_e32 v39, v39, v45
	s_delay_alu instid0(VALU_DEP_1) | instskip(NEXT) | instid1(VALU_DEP_1)
	v_sub_f32_e32 v39, v39, v40
	v_add_f32_e32 v37, v37, v39
	v_add_f32_e32 v39, v44, v41
	v_sub_f32_e32 v43, v40, v43
	s_delay_alu instid0(VALU_DEP_1) | instskip(NEXT) | instid1(VALU_DEP_1)
	v_sub_f32_e32 v40, v43, v42
	v_dual_add_f32 v37, v40, v37 :: v_dual_sub_f32 v40, v39, v44
	s_delay_alu instid0(VALU_DEP_1) | instskip(NEXT) | instid1(VALU_DEP_1)
	v_add_f32_e32 v37, v45, v37
	v_dual_sub_f32 v40, v41, v40 :: v_dual_mul_f32 v37, v38, v37
	s_delay_alu instid0(VALU_DEP_1) | instskip(NEXT) | instid1(VALU_DEP_1)
	v_add_f32_e32 v37, v40, v37
	v_add_f32_e32 v38, v39, v37
	s_delay_alu instid0(VALU_DEP_1) | instskip(NEXT) | instid1(VALU_DEP_1)
	v_mul_f32_e32 v40, v38, v38
	v_fmaak_f32 v41, s14, v40, 0x3ecc95a3
	v_mul_f32_e32 v42, v38, v40
	s_delay_alu instid0(VALU_DEP_2) | instskip(SKIP_1) | instid1(VALU_DEP_2)
	v_fmaak_f32 v40, v40, v41, 0x3f2aaada
	v_ldexp_f32 v41, v38, 1
	v_mul_f32_e32 v40, v42, v40
	v_mul_f32_e32 v42, 0x3f317218, v36
	s_delay_alu instid0(VALU_DEP_2) | instskip(NEXT) | instid1(VALU_DEP_1)
	v_dual_sub_f32 v38, v38, v39 :: v_dual_add_f32 v39, v41, v40
	v_dual_sub_f32 v37, v37, v38 :: v_dual_sub_f32 v38, v39, v41
	s_delay_alu instid0(VALU_DEP_3) | instskip(NEXT) | instid1(VALU_DEP_2)
	v_fma_f32 v41, 0x3f317218, v36, -v42
	v_ldexp_f32 v37, v37, 1
	s_delay_alu instid0(VALU_DEP_2) | instskip(NEXT) | instid1(VALU_DEP_1)
	v_dual_sub_f32 v38, v40, v38 :: v_dual_fmac_f32 v41, 0xb102e308, v36
	v_dual_add_f32 v36, v37, v38 :: v_dual_add_f32 v37, v42, v41
	s_delay_alu instid0(VALU_DEP_1) | instskip(NEXT) | instid1(VALU_DEP_1)
	v_add_f32_e32 v38, v39, v36
	v_add_f32_e32 v40, v37, v38
	s_delay_alu instid0(VALU_DEP_1) | instskip(NEXT) | instid1(VALU_DEP_1)
	v_sub_f32_e32 v43, v40, v37
	v_sub_f32_e32 v44, v40, v43
	;; [unrolled: 1-line block ×3, first 2 shown]
	s_delay_alu instid0(VALU_DEP_1) | instskip(SKIP_1) | instid1(VALU_DEP_1)
	v_sub_f32_e32 v36, v36, v39
	v_sub_f32_e32 v42, v37, v42
	v_dual_sub_f32 v38, v38, v43 :: v_dual_sub_f32 v41, v41, v42
	s_delay_alu instid0(VALU_DEP_1) | instskip(SKIP_1) | instid1(VALU_DEP_1)
	v_add_f32_e32 v39, v41, v36
	v_sub_f32_e32 v37, v37, v44
	v_add_f32_e32 v37, v38, v37
	s_delay_alu instid0(VALU_DEP_3) | instskip(NEXT) | instid1(VALU_DEP_1)
	v_sub_f32_e32 v38, v39, v41
	v_dual_sub_f32 v36, v36, v38 :: v_dual_add_f32 v37, v39, v37
	s_delay_alu instid0(VALU_DEP_1) | instskip(NEXT) | instid1(VALU_DEP_1)
	v_dual_sub_f32 v39, v39, v38 :: v_dual_add_f32 v42, v40, v37
	v_dual_sub_f32 v38, v42, v40 :: v_dual_sub_f32 v39, v41, v39
	s_delay_alu instid0(VALU_DEP_1) | instskip(NEXT) | instid1(VALU_DEP_1)
	v_dual_sub_f32 v37, v37, v38 :: v_dual_add_f32 v36, v36, v39
	v_add_f32_e32 v36, v36, v37
	s_delay_alu instid0(VALU_DEP_1) | instskip(SKIP_1) | instid1(VALU_DEP_1)
	v_add_f32_e32 v36, v42, v36
	s_wait_alu 0xfffd
	v_cndmask_b32_e32 v36, 0x7f800000, v36, vcc_lo
	v_cmp_gt_f32_e64 vcc_lo, 0x33800000, |v14|
	s_wait_alu 0xfffd
	s_delay_alu instid0(VALU_DEP_2) | instskip(NEXT) | instid1(VALU_DEP_1)
	v_cndmask_b32_e32 v14, v36, v14, vcc_lo
	v_add_f32_e32 v36, v8, v14
.LBB93_108:                             ;   in Loop: Header=BB93_96 Depth=1
	s_wait_alu 0xfffe
	s_or_b32 exec_lo, exec_lo, s16
	s_delay_alu instid0(VALU_DEP_1)
	v_mov_b32_e32 v8, v36
	v_mov_b32_e32 v14, v36
.LBB93_109:                             ;   in Loop: Header=BB93_96 Depth=1
	s_wait_alu 0xfffe
	s_or_b32 exec_lo, exec_lo, s15
	s_wait_dscnt 0x0
	ds_bpermute_b32 v36, v29, v8
	s_mov_b32 s15, exec_lo
	v_cmpx_le_u32_e64 v30, v13
	s_cbranch_execz .LBB93_113
; %bb.110:                              ;   in Loop: Header=BB93_96 Depth=1
	s_wait_dscnt 0x0
	v_dual_max_num_f32 v8, v14, v14 :: v_dual_max_num_f32 v37, v36, v36
	v_cmp_u_f32_e32 vcc_lo, v36, v36
	s_delay_alu instid0(VALU_DEP_2) | instskip(SKIP_2) | instid1(VALU_DEP_1)
	v_min_num_f32_e32 v38, v37, v8
	v_max_num_f32_e32 v8, v37, v8
	s_wait_alu 0xfffd
	v_cndmask_b32_e32 v8, v8, v36, vcc_lo
	s_delay_alu instid0(VALU_DEP_3) | instskip(SKIP_2) | instid1(VALU_DEP_3)
	v_cndmask_b32_e32 v37, v38, v36, vcc_lo
	v_cmp_u_f32_e32 vcc_lo, v14, v14
	s_wait_alu 0xfffd
	v_cndmask_b32_e32 v8, v8, v14, vcc_lo
	s_delay_alu instid0(VALU_DEP_3) | instskip(NEXT) | instid1(VALU_DEP_1)
	v_cndmask_b32_e32 v37, v37, v14, vcc_lo
	v_cmp_neq_f32_e32 vcc_lo, v37, v8
	v_cmp_class_f32_e64 s16, v37, 0x1f8
	s_or_b32 s17, vcc_lo, s16
	s_wait_alu 0xfffe
	s_and_saveexec_b32 s16, s17
	s_cbranch_execz .LBB93_112
; %bb.111:                              ;   in Loop: Header=BB93_96 Depth=1
	v_sub_f32_e32 v14, v37, v8
	s_delay_alu instid0(VALU_DEP_1) | instskip(SKIP_1) | instid1(VALU_DEP_2)
	v_mul_f32_e32 v36, 0x3fb8aa3b, v14
	v_cmp_ngt_f32_e32 vcc_lo, 0xc2ce8ed0, v14
	v_fma_f32 v37, 0x3fb8aa3b, v14, -v36
	v_rndne_f32_e32 v38, v36
	s_delay_alu instid0(VALU_DEP_2) | instskip(NEXT) | instid1(VALU_DEP_2)
	v_fmac_f32_e32 v37, 0x32a5705f, v14
	v_sub_f32_e32 v36, v36, v38
	s_delay_alu instid0(VALU_DEP_1) | instskip(SKIP_1) | instid1(VALU_DEP_2)
	v_add_f32_e32 v36, v36, v37
	v_cvt_i32_f32_e32 v37, v38
	v_exp_f32_e32 v36, v36
	s_delay_alu instid0(TRANS32_DEP_1) | instskip(SKIP_1) | instid1(VALU_DEP_1)
	v_ldexp_f32 v36, v36, v37
	s_wait_alu 0xfffd
	v_cndmask_b32_e32 v36, 0, v36, vcc_lo
	v_cmp_nlt_f32_e32 vcc_lo, 0x42b17218, v14
	s_wait_alu 0xfffd
	s_delay_alu instid0(VALU_DEP_2) | instskip(NEXT) | instid1(VALU_DEP_1)
	v_cndmask_b32_e32 v14, 0x7f800000, v36, vcc_lo
	v_add_f32_e32 v38, 1.0, v14
	s_delay_alu instid0(VALU_DEP_1) | instskip(NEXT) | instid1(VALU_DEP_1)
	v_cvt_f64_f32_e32 v[36:37], v38
	v_frexp_exp_i32_f64_e32 v36, v[36:37]
	v_frexp_mant_f32_e32 v37, v38
	s_delay_alu instid0(VALU_DEP_1) | instskip(SKIP_1) | instid1(VALU_DEP_1)
	v_cmp_gt_f32_e32 vcc_lo, 0x3f2aaaab, v37
	v_add_f32_e32 v37, -1.0, v38
	v_dual_sub_f32 v40, v37, v38 :: v_dual_sub_f32 v37, v14, v37
	s_delay_alu instid0(VALU_DEP_1) | instskip(NEXT) | instid1(VALU_DEP_1)
	v_add_f32_e32 v40, 1.0, v40
	v_add_f32_e32 v37, v37, v40
	s_wait_alu 0xfffd
	v_subrev_co_ci_u32_e64 v36, null, 0, v36, vcc_lo
	s_delay_alu instid0(VALU_DEP_1) | instskip(SKIP_1) | instid1(VALU_DEP_2)
	v_sub_nc_u32_e32 v39, 0, v36
	v_cvt_f32_i32_e32 v36, v36
	v_ldexp_f32 v38, v38, v39
	v_ldexp_f32 v37, v37, v39
	s_delay_alu instid0(VALU_DEP_2) | instskip(SKIP_2) | instid1(VALU_DEP_3)
	v_add_f32_e32 v41, 1.0, v38
	v_add_f32_e32 v39, -1.0, v38
	v_cmp_neq_f32_e32 vcc_lo, 0x7f800000, v14
	v_add_f32_e32 v40, -1.0, v41
	s_delay_alu instid0(VALU_DEP_3) | instskip(NEXT) | instid1(VALU_DEP_2)
	v_add_f32_e32 v42, 1.0, v39
	v_sub_f32_e32 v40, v38, v40
	s_delay_alu instid0(VALU_DEP_2) | instskip(NEXT) | instid1(VALU_DEP_2)
	v_sub_f32_e32 v38, v38, v42
	v_add_f32_e32 v40, v37, v40
	s_delay_alu instid0(VALU_DEP_2) | instskip(NEXT) | instid1(VALU_DEP_1)
	v_add_f32_e32 v37, v37, v38
	v_add_f32_e32 v43, v39, v37
	s_delay_alu instid0(VALU_DEP_1) | instskip(NEXT) | instid1(VALU_DEP_1)
	v_dual_sub_f32 v39, v39, v43 :: v_dual_add_f32 v42, v41, v40
	v_add_f32_e32 v37, v37, v39
	s_delay_alu instid0(VALU_DEP_2) | instskip(SKIP_1) | instid1(VALU_DEP_1)
	v_rcp_f32_e32 v38, v42
	v_sub_f32_e32 v41, v41, v42
	v_add_f32_e32 v40, v40, v41
	s_delay_alu instid0(TRANS32_DEP_1) | instskip(NEXT) | instid1(VALU_DEP_1)
	v_mul_f32_e32 v44, v43, v38
	v_mul_f32_e32 v45, v42, v44
	s_delay_alu instid0(VALU_DEP_1) | instskip(NEXT) | instid1(VALU_DEP_1)
	v_fma_f32 v41, v44, v42, -v45
	v_fmac_f32_e32 v41, v44, v40
	s_delay_alu instid0(VALU_DEP_1) | instskip(NEXT) | instid1(VALU_DEP_1)
	v_add_f32_e32 v46, v45, v41
	v_sub_f32_e32 v47, v43, v46
	v_sub_f32_e32 v39, v46, v45
	s_delay_alu instid0(VALU_DEP_2) | instskip(NEXT) | instid1(VALU_DEP_1)
	v_sub_f32_e32 v43, v43, v47
	v_sub_f32_e32 v43, v43, v46
	s_delay_alu instid0(VALU_DEP_3) | instskip(NEXT) | instid1(VALU_DEP_2)
	v_sub_f32_e32 v39, v39, v41
	v_add_f32_e32 v37, v37, v43
	s_delay_alu instid0(VALU_DEP_1) | instskip(NEXT) | instid1(VALU_DEP_1)
	v_add_f32_e32 v37, v39, v37
	v_add_f32_e32 v39, v47, v37
	s_delay_alu instid0(VALU_DEP_1) | instskip(NEXT) | instid1(VALU_DEP_1)
	v_mul_f32_e32 v41, v38, v39
	v_dual_sub_f32 v46, v47, v39 :: v_dual_mul_f32 v43, v42, v41
	s_delay_alu instid0(VALU_DEP_1) | instskip(NEXT) | instid1(VALU_DEP_2)
	v_add_f32_e32 v37, v37, v46
	v_fma_f32 v42, v41, v42, -v43
	s_delay_alu instid0(VALU_DEP_1) | instskip(NEXT) | instid1(VALU_DEP_1)
	v_fmac_f32_e32 v42, v41, v40
	v_add_f32_e32 v40, v43, v42
	s_delay_alu instid0(VALU_DEP_1) | instskip(NEXT) | instid1(VALU_DEP_1)
	v_sub_f32_e32 v45, v39, v40
	v_sub_f32_e32 v39, v39, v45
	s_delay_alu instid0(VALU_DEP_1) | instskip(NEXT) | instid1(VALU_DEP_1)
	v_sub_f32_e32 v39, v39, v40
	v_add_f32_e32 v37, v37, v39
	v_add_f32_e32 v39, v44, v41
	v_sub_f32_e32 v43, v40, v43
	s_delay_alu instid0(VALU_DEP_1) | instskip(NEXT) | instid1(VALU_DEP_1)
	v_sub_f32_e32 v40, v43, v42
	v_dual_add_f32 v37, v40, v37 :: v_dual_sub_f32 v40, v39, v44
	s_delay_alu instid0(VALU_DEP_1) | instskip(NEXT) | instid1(VALU_DEP_1)
	v_add_f32_e32 v37, v45, v37
	v_dual_sub_f32 v40, v41, v40 :: v_dual_mul_f32 v37, v38, v37
	s_delay_alu instid0(VALU_DEP_1) | instskip(NEXT) | instid1(VALU_DEP_1)
	v_add_f32_e32 v37, v40, v37
	v_add_f32_e32 v38, v39, v37
	s_delay_alu instid0(VALU_DEP_1) | instskip(NEXT) | instid1(VALU_DEP_1)
	v_mul_f32_e32 v40, v38, v38
	v_fmaak_f32 v41, s14, v40, 0x3ecc95a3
	v_mul_f32_e32 v42, v38, v40
	s_delay_alu instid0(VALU_DEP_2) | instskip(SKIP_1) | instid1(VALU_DEP_2)
	v_fmaak_f32 v40, v40, v41, 0x3f2aaada
	v_ldexp_f32 v41, v38, 1
	v_mul_f32_e32 v40, v42, v40
	v_mul_f32_e32 v42, 0x3f317218, v36
	s_delay_alu instid0(VALU_DEP_2) | instskip(NEXT) | instid1(VALU_DEP_1)
	v_dual_sub_f32 v38, v38, v39 :: v_dual_add_f32 v39, v41, v40
	v_dual_sub_f32 v37, v37, v38 :: v_dual_sub_f32 v38, v39, v41
	s_delay_alu instid0(VALU_DEP_3) | instskip(NEXT) | instid1(VALU_DEP_2)
	v_fma_f32 v41, 0x3f317218, v36, -v42
	v_ldexp_f32 v37, v37, 1
	s_delay_alu instid0(VALU_DEP_2) | instskip(NEXT) | instid1(VALU_DEP_1)
	v_dual_sub_f32 v38, v40, v38 :: v_dual_fmac_f32 v41, 0xb102e308, v36
	v_dual_add_f32 v36, v37, v38 :: v_dual_add_f32 v37, v42, v41
	s_delay_alu instid0(VALU_DEP_1) | instskip(NEXT) | instid1(VALU_DEP_1)
	v_add_f32_e32 v38, v39, v36
	v_add_f32_e32 v40, v37, v38
	s_delay_alu instid0(VALU_DEP_1) | instskip(NEXT) | instid1(VALU_DEP_1)
	v_sub_f32_e32 v43, v40, v37
	v_sub_f32_e32 v44, v40, v43
	v_sub_f32_e32 v39, v38, v39
	s_delay_alu instid0(VALU_DEP_1) | instskip(SKIP_1) | instid1(VALU_DEP_1)
	v_sub_f32_e32 v36, v36, v39
	v_sub_f32_e32 v42, v37, v42
	v_dual_sub_f32 v38, v38, v43 :: v_dual_sub_f32 v41, v41, v42
	s_delay_alu instid0(VALU_DEP_1) | instskip(SKIP_1) | instid1(VALU_DEP_1)
	v_add_f32_e32 v39, v41, v36
	v_sub_f32_e32 v37, v37, v44
	v_add_f32_e32 v37, v38, v37
	s_delay_alu instid0(VALU_DEP_3) | instskip(NEXT) | instid1(VALU_DEP_1)
	v_sub_f32_e32 v38, v39, v41
	v_dual_sub_f32 v36, v36, v38 :: v_dual_add_f32 v37, v39, v37
	s_delay_alu instid0(VALU_DEP_1) | instskip(NEXT) | instid1(VALU_DEP_1)
	v_dual_sub_f32 v39, v39, v38 :: v_dual_add_f32 v42, v40, v37
	v_dual_sub_f32 v38, v42, v40 :: v_dual_sub_f32 v39, v41, v39
	s_delay_alu instid0(VALU_DEP_1) | instskip(NEXT) | instid1(VALU_DEP_1)
	v_dual_sub_f32 v37, v37, v38 :: v_dual_add_f32 v36, v36, v39
	v_add_f32_e32 v36, v36, v37
	s_delay_alu instid0(VALU_DEP_1) | instskip(SKIP_1) | instid1(VALU_DEP_1)
	v_add_f32_e32 v36, v42, v36
	s_wait_alu 0xfffd
	v_cndmask_b32_e32 v36, 0x7f800000, v36, vcc_lo
	v_cmp_gt_f32_e64 vcc_lo, 0x33800000, |v14|
	s_wait_alu 0xfffd
	s_delay_alu instid0(VALU_DEP_2) | instskip(NEXT) | instid1(VALU_DEP_1)
	v_cndmask_b32_e32 v14, v36, v14, vcc_lo
	v_add_f32_e32 v36, v8, v14
.LBB93_112:                             ;   in Loop: Header=BB93_96 Depth=1
	s_wait_alu 0xfffe
	s_or_b32 exec_lo, exec_lo, s16
	s_delay_alu instid0(VALU_DEP_1)
	v_mov_b32_e32 v8, v36
	v_mov_b32_e32 v14, v36
.LBB93_113:                             ;   in Loop: Header=BB93_96 Depth=1
	s_wait_alu 0xfffe
	s_or_b32 exec_lo, exec_lo, s15
	s_wait_dscnt 0x0
	ds_bpermute_b32 v36, v31, v8
	s_mov_b32 s15, exec_lo
	v_cmpx_le_u32_e64 v32, v13
	s_cbranch_execz .LBB93_117
; %bb.114:                              ;   in Loop: Header=BB93_96 Depth=1
	s_wait_dscnt 0x0
	v_dual_max_num_f32 v8, v14, v14 :: v_dual_max_num_f32 v37, v36, v36
	v_cmp_u_f32_e32 vcc_lo, v36, v36
	s_delay_alu instid0(VALU_DEP_2) | instskip(SKIP_2) | instid1(VALU_DEP_1)
	v_min_num_f32_e32 v38, v37, v8
	v_max_num_f32_e32 v8, v37, v8
	s_wait_alu 0xfffd
	v_cndmask_b32_e32 v8, v8, v36, vcc_lo
	s_delay_alu instid0(VALU_DEP_3) | instskip(SKIP_2) | instid1(VALU_DEP_3)
	v_cndmask_b32_e32 v37, v38, v36, vcc_lo
	v_cmp_u_f32_e32 vcc_lo, v14, v14
	s_wait_alu 0xfffd
	v_cndmask_b32_e32 v8, v8, v14, vcc_lo
	s_delay_alu instid0(VALU_DEP_3) | instskip(NEXT) | instid1(VALU_DEP_1)
	v_cndmask_b32_e32 v37, v37, v14, vcc_lo
	v_cmp_neq_f32_e32 vcc_lo, v37, v8
	v_cmp_class_f32_e64 s16, v37, 0x1f8
	s_or_b32 s17, vcc_lo, s16
	s_wait_alu 0xfffe
	s_and_saveexec_b32 s16, s17
	s_cbranch_execz .LBB93_116
; %bb.115:                              ;   in Loop: Header=BB93_96 Depth=1
	v_sub_f32_e32 v14, v37, v8
	s_delay_alu instid0(VALU_DEP_1) | instskip(SKIP_1) | instid1(VALU_DEP_2)
	v_mul_f32_e32 v36, 0x3fb8aa3b, v14
	v_cmp_ngt_f32_e32 vcc_lo, 0xc2ce8ed0, v14
	v_fma_f32 v37, 0x3fb8aa3b, v14, -v36
	v_rndne_f32_e32 v38, v36
	s_delay_alu instid0(VALU_DEP_2) | instskip(NEXT) | instid1(VALU_DEP_2)
	v_fmac_f32_e32 v37, 0x32a5705f, v14
	v_sub_f32_e32 v36, v36, v38
	s_delay_alu instid0(VALU_DEP_1) | instskip(SKIP_1) | instid1(VALU_DEP_2)
	v_add_f32_e32 v36, v36, v37
	v_cvt_i32_f32_e32 v37, v38
	v_exp_f32_e32 v36, v36
	s_delay_alu instid0(TRANS32_DEP_1) | instskip(SKIP_1) | instid1(VALU_DEP_1)
	v_ldexp_f32 v36, v36, v37
	s_wait_alu 0xfffd
	v_cndmask_b32_e32 v36, 0, v36, vcc_lo
	v_cmp_nlt_f32_e32 vcc_lo, 0x42b17218, v14
	s_wait_alu 0xfffd
	s_delay_alu instid0(VALU_DEP_2) | instskip(NEXT) | instid1(VALU_DEP_1)
	v_cndmask_b32_e32 v14, 0x7f800000, v36, vcc_lo
	v_add_f32_e32 v38, 1.0, v14
	s_delay_alu instid0(VALU_DEP_1) | instskip(NEXT) | instid1(VALU_DEP_1)
	v_cvt_f64_f32_e32 v[36:37], v38
	v_frexp_exp_i32_f64_e32 v36, v[36:37]
	v_frexp_mant_f32_e32 v37, v38
	s_delay_alu instid0(VALU_DEP_1) | instskip(SKIP_1) | instid1(VALU_DEP_1)
	v_cmp_gt_f32_e32 vcc_lo, 0x3f2aaaab, v37
	v_add_f32_e32 v37, -1.0, v38
	v_dual_sub_f32 v40, v37, v38 :: v_dual_sub_f32 v37, v14, v37
	s_delay_alu instid0(VALU_DEP_1) | instskip(NEXT) | instid1(VALU_DEP_1)
	v_add_f32_e32 v40, 1.0, v40
	v_add_f32_e32 v37, v37, v40
	s_wait_alu 0xfffd
	v_subrev_co_ci_u32_e64 v36, null, 0, v36, vcc_lo
	s_delay_alu instid0(VALU_DEP_1) | instskip(SKIP_1) | instid1(VALU_DEP_2)
	v_sub_nc_u32_e32 v39, 0, v36
	v_cvt_f32_i32_e32 v36, v36
	v_ldexp_f32 v38, v38, v39
	v_ldexp_f32 v37, v37, v39
	s_delay_alu instid0(VALU_DEP_2) | instskip(SKIP_2) | instid1(VALU_DEP_3)
	v_add_f32_e32 v41, 1.0, v38
	v_add_f32_e32 v39, -1.0, v38
	v_cmp_neq_f32_e32 vcc_lo, 0x7f800000, v14
	v_add_f32_e32 v40, -1.0, v41
	s_delay_alu instid0(VALU_DEP_3) | instskip(NEXT) | instid1(VALU_DEP_2)
	v_add_f32_e32 v42, 1.0, v39
	v_sub_f32_e32 v40, v38, v40
	s_delay_alu instid0(VALU_DEP_2) | instskip(NEXT) | instid1(VALU_DEP_2)
	v_sub_f32_e32 v38, v38, v42
	v_add_f32_e32 v40, v37, v40
	s_delay_alu instid0(VALU_DEP_2) | instskip(NEXT) | instid1(VALU_DEP_1)
	v_add_f32_e32 v37, v37, v38
	v_add_f32_e32 v43, v39, v37
	s_delay_alu instid0(VALU_DEP_1) | instskip(NEXT) | instid1(VALU_DEP_1)
	v_dual_sub_f32 v39, v39, v43 :: v_dual_add_f32 v42, v41, v40
	v_add_f32_e32 v37, v37, v39
	s_delay_alu instid0(VALU_DEP_2) | instskip(SKIP_1) | instid1(VALU_DEP_1)
	v_rcp_f32_e32 v38, v42
	v_sub_f32_e32 v41, v41, v42
	v_add_f32_e32 v40, v40, v41
	s_delay_alu instid0(TRANS32_DEP_1) | instskip(NEXT) | instid1(VALU_DEP_1)
	v_mul_f32_e32 v44, v43, v38
	v_mul_f32_e32 v45, v42, v44
	s_delay_alu instid0(VALU_DEP_1) | instskip(NEXT) | instid1(VALU_DEP_1)
	v_fma_f32 v41, v44, v42, -v45
	v_fmac_f32_e32 v41, v44, v40
	s_delay_alu instid0(VALU_DEP_1) | instskip(NEXT) | instid1(VALU_DEP_1)
	v_add_f32_e32 v46, v45, v41
	v_sub_f32_e32 v47, v43, v46
	v_sub_f32_e32 v39, v46, v45
	s_delay_alu instid0(VALU_DEP_2) | instskip(NEXT) | instid1(VALU_DEP_1)
	v_sub_f32_e32 v43, v43, v47
	v_sub_f32_e32 v43, v43, v46
	s_delay_alu instid0(VALU_DEP_3) | instskip(NEXT) | instid1(VALU_DEP_2)
	v_sub_f32_e32 v39, v39, v41
	v_add_f32_e32 v37, v37, v43
	s_delay_alu instid0(VALU_DEP_1) | instskip(NEXT) | instid1(VALU_DEP_1)
	v_add_f32_e32 v37, v39, v37
	v_add_f32_e32 v39, v47, v37
	s_delay_alu instid0(VALU_DEP_1) | instskip(NEXT) | instid1(VALU_DEP_1)
	v_mul_f32_e32 v41, v38, v39
	v_dual_sub_f32 v46, v47, v39 :: v_dual_mul_f32 v43, v42, v41
	s_delay_alu instid0(VALU_DEP_1) | instskip(NEXT) | instid1(VALU_DEP_2)
	v_add_f32_e32 v37, v37, v46
	v_fma_f32 v42, v41, v42, -v43
	s_delay_alu instid0(VALU_DEP_1) | instskip(NEXT) | instid1(VALU_DEP_1)
	v_fmac_f32_e32 v42, v41, v40
	v_add_f32_e32 v40, v43, v42
	s_delay_alu instid0(VALU_DEP_1) | instskip(NEXT) | instid1(VALU_DEP_1)
	v_sub_f32_e32 v45, v39, v40
	v_sub_f32_e32 v39, v39, v45
	s_delay_alu instid0(VALU_DEP_1) | instskip(NEXT) | instid1(VALU_DEP_1)
	v_sub_f32_e32 v39, v39, v40
	v_add_f32_e32 v37, v37, v39
	v_add_f32_e32 v39, v44, v41
	v_sub_f32_e32 v43, v40, v43
	s_delay_alu instid0(VALU_DEP_1) | instskip(NEXT) | instid1(VALU_DEP_1)
	v_sub_f32_e32 v40, v43, v42
	v_dual_add_f32 v37, v40, v37 :: v_dual_sub_f32 v40, v39, v44
	s_delay_alu instid0(VALU_DEP_1) | instskip(NEXT) | instid1(VALU_DEP_1)
	v_add_f32_e32 v37, v45, v37
	v_dual_sub_f32 v40, v41, v40 :: v_dual_mul_f32 v37, v38, v37
	s_delay_alu instid0(VALU_DEP_1) | instskip(NEXT) | instid1(VALU_DEP_1)
	v_add_f32_e32 v37, v40, v37
	v_add_f32_e32 v38, v39, v37
	s_delay_alu instid0(VALU_DEP_1) | instskip(NEXT) | instid1(VALU_DEP_1)
	v_mul_f32_e32 v40, v38, v38
	v_fmaak_f32 v41, s14, v40, 0x3ecc95a3
	v_mul_f32_e32 v42, v38, v40
	s_delay_alu instid0(VALU_DEP_2) | instskip(SKIP_1) | instid1(VALU_DEP_2)
	v_fmaak_f32 v40, v40, v41, 0x3f2aaada
	v_ldexp_f32 v41, v38, 1
	v_mul_f32_e32 v40, v42, v40
	v_mul_f32_e32 v42, 0x3f317218, v36
	s_delay_alu instid0(VALU_DEP_2) | instskip(NEXT) | instid1(VALU_DEP_1)
	v_dual_sub_f32 v38, v38, v39 :: v_dual_add_f32 v39, v41, v40
	v_dual_sub_f32 v37, v37, v38 :: v_dual_sub_f32 v38, v39, v41
	s_delay_alu instid0(VALU_DEP_3) | instskip(NEXT) | instid1(VALU_DEP_2)
	v_fma_f32 v41, 0x3f317218, v36, -v42
	v_ldexp_f32 v37, v37, 1
	s_delay_alu instid0(VALU_DEP_2) | instskip(NEXT) | instid1(VALU_DEP_1)
	v_dual_sub_f32 v38, v40, v38 :: v_dual_fmac_f32 v41, 0xb102e308, v36
	v_dual_add_f32 v36, v37, v38 :: v_dual_add_f32 v37, v42, v41
	s_delay_alu instid0(VALU_DEP_1) | instskip(NEXT) | instid1(VALU_DEP_1)
	v_add_f32_e32 v38, v39, v36
	v_add_f32_e32 v40, v37, v38
	s_delay_alu instid0(VALU_DEP_1) | instskip(NEXT) | instid1(VALU_DEP_1)
	v_sub_f32_e32 v43, v40, v37
	v_sub_f32_e32 v44, v40, v43
	;; [unrolled: 1-line block ×3, first 2 shown]
	s_delay_alu instid0(VALU_DEP_1) | instskip(SKIP_1) | instid1(VALU_DEP_1)
	v_sub_f32_e32 v36, v36, v39
	v_sub_f32_e32 v42, v37, v42
	v_dual_sub_f32 v38, v38, v43 :: v_dual_sub_f32 v41, v41, v42
	s_delay_alu instid0(VALU_DEP_1) | instskip(SKIP_1) | instid1(VALU_DEP_1)
	v_add_f32_e32 v39, v41, v36
	v_sub_f32_e32 v37, v37, v44
	v_add_f32_e32 v37, v38, v37
	s_delay_alu instid0(VALU_DEP_3) | instskip(NEXT) | instid1(VALU_DEP_1)
	v_sub_f32_e32 v38, v39, v41
	v_dual_sub_f32 v36, v36, v38 :: v_dual_add_f32 v37, v39, v37
	s_delay_alu instid0(VALU_DEP_1) | instskip(NEXT) | instid1(VALU_DEP_1)
	v_dual_sub_f32 v39, v39, v38 :: v_dual_add_f32 v42, v40, v37
	v_dual_sub_f32 v38, v42, v40 :: v_dual_sub_f32 v39, v41, v39
	s_delay_alu instid0(VALU_DEP_1) | instskip(NEXT) | instid1(VALU_DEP_1)
	v_dual_sub_f32 v37, v37, v38 :: v_dual_add_f32 v36, v36, v39
	v_add_f32_e32 v36, v36, v37
	s_delay_alu instid0(VALU_DEP_1) | instskip(SKIP_1) | instid1(VALU_DEP_1)
	v_add_f32_e32 v36, v42, v36
	s_wait_alu 0xfffd
	v_cndmask_b32_e32 v36, 0x7f800000, v36, vcc_lo
	v_cmp_gt_f32_e64 vcc_lo, 0x33800000, |v14|
	s_wait_alu 0xfffd
	s_delay_alu instid0(VALU_DEP_2) | instskip(NEXT) | instid1(VALU_DEP_1)
	v_cndmask_b32_e32 v14, v36, v14, vcc_lo
	v_add_f32_e32 v36, v8, v14
.LBB93_116:                             ;   in Loop: Header=BB93_96 Depth=1
	s_wait_alu 0xfffe
	s_or_b32 exec_lo, exec_lo, s16
	s_delay_alu instid0(VALU_DEP_1)
	v_mov_b32_e32 v8, v36
	v_mov_b32_e32 v14, v36
.LBB93_117:                             ;   in Loop: Header=BB93_96 Depth=1
	s_wait_alu 0xfffe
	s_or_b32 exec_lo, exec_lo, s15
	s_wait_dscnt 0x0
	ds_bpermute_b32 v36, v34, v8
	s_mov_b32 s15, exec_lo
	v_cmpx_le_u32_e64 v35, v13
	s_cbranch_execz .LBB93_121
; %bb.118:                              ;   in Loop: Header=BB93_96 Depth=1
	s_wait_dscnt 0x0
	v_dual_max_num_f32 v8, v14, v14 :: v_dual_max_num_f32 v13, v36, v36
	v_cmp_u_f32_e32 vcc_lo, v36, v36
	s_delay_alu instid0(VALU_DEP_2) | instskip(SKIP_2) | instid1(VALU_DEP_2)
	v_min_num_f32_e32 v37, v13, v8
	v_max_num_f32_e32 v8, v13, v8
	s_wait_alu 0xfffd
	v_cndmask_b32_e32 v13, v37, v36, vcc_lo
	s_delay_alu instid0(VALU_DEP_2) | instskip(SKIP_2) | instid1(VALU_DEP_3)
	v_cndmask_b32_e32 v8, v8, v36, vcc_lo
	v_cmp_u_f32_e32 vcc_lo, v14, v14
	s_wait_alu 0xfffd
	v_cndmask_b32_e32 v13, v13, v14, vcc_lo
	s_delay_alu instid0(VALU_DEP_3) | instskip(NEXT) | instid1(VALU_DEP_2)
	v_cndmask_b32_e32 v8, v8, v14, vcc_lo
	v_cmp_class_f32_e64 s16, v13, 0x1f8
	s_delay_alu instid0(VALU_DEP_2)
	v_cmp_neq_f32_e32 vcc_lo, v13, v8
	s_or_b32 s17, vcc_lo, s16
	s_wait_alu 0xfffe
	s_and_saveexec_b32 s16, s17
	s_cbranch_execz .LBB93_120
; %bb.119:                              ;   in Loop: Header=BB93_96 Depth=1
	v_sub_f32_e32 v13, v13, v8
	s_delay_alu instid0(VALU_DEP_1) | instskip(NEXT) | instid1(VALU_DEP_1)
	v_mul_f32_e32 v14, 0x3fb8aa3b, v13
	v_fma_f32 v36, 0x3fb8aa3b, v13, -v14
	v_rndne_f32_e32 v37, v14
	s_delay_alu instid0(VALU_DEP_1) | instskip(NEXT) | instid1(VALU_DEP_3)
	v_sub_f32_e32 v14, v14, v37
	v_fmac_f32_e32 v36, 0x32a5705f, v13
	v_cmp_ngt_f32_e32 vcc_lo, 0xc2ce8ed0, v13
	s_delay_alu instid0(VALU_DEP_2) | instskip(SKIP_1) | instid1(VALU_DEP_2)
	v_add_f32_e32 v14, v14, v36
	v_cvt_i32_f32_e32 v36, v37
	v_exp_f32_e32 v14, v14
	s_delay_alu instid0(TRANS32_DEP_1) | instskip(SKIP_1) | instid1(VALU_DEP_1)
	v_ldexp_f32 v14, v14, v36
	s_wait_alu 0xfffd
	v_cndmask_b32_e32 v14, 0, v14, vcc_lo
	v_cmp_nlt_f32_e32 vcc_lo, 0x42b17218, v13
	s_wait_alu 0xfffd
	s_delay_alu instid0(VALU_DEP_2) | instskip(NEXT) | instid1(VALU_DEP_1)
	v_cndmask_b32_e32 v36, 0x7f800000, v14, vcc_lo
	v_add_f32_e32 v37, 1.0, v36
	s_delay_alu instid0(VALU_DEP_1) | instskip(NEXT) | instid1(VALU_DEP_1)
	v_cvt_f64_f32_e32 v[13:14], v37
	v_frexp_exp_i32_f64_e32 v13, v[13:14]
	v_frexp_mant_f32_e32 v14, v37
	s_delay_alu instid0(VALU_DEP_1) | instskip(SKIP_1) | instid1(VALU_DEP_1)
	v_cmp_gt_f32_e32 vcc_lo, 0x3f2aaaab, v14
	v_add_f32_e32 v14, -1.0, v37
	v_sub_f32_e32 v39, v14, v37
	s_delay_alu instid0(VALU_DEP_1) | instskip(SKIP_3) | instid1(VALU_DEP_2)
	v_add_f32_e32 v39, 1.0, v39
	s_wait_alu 0xfffd
	v_subrev_co_ci_u32_e64 v13, null, 0, v13, vcc_lo
	v_cmp_neq_f32_e32 vcc_lo, 0x7f800000, v36
	v_sub_nc_u32_e32 v38, 0, v13
	v_cvt_f32_i32_e32 v13, v13
	s_delay_alu instid0(VALU_DEP_2) | instskip(SKIP_1) | instid1(VALU_DEP_1)
	v_ldexp_f32 v37, v37, v38
	v_sub_f32_e32 v14, v36, v14
	v_add_f32_e32 v14, v14, v39
	s_delay_alu instid0(VALU_DEP_1) | instskip(NEXT) | instid1(VALU_DEP_4)
	v_ldexp_f32 v14, v14, v38
	v_add_f32_e32 v40, 1.0, v37
	s_delay_alu instid0(VALU_DEP_1) | instskip(NEXT) | instid1(VALU_DEP_1)
	v_add_f32_e32 v39, -1.0, v40
	v_sub_f32_e32 v39, v37, v39
	s_delay_alu instid0(VALU_DEP_1) | instskip(NEXT) | instid1(VALU_DEP_1)
	v_dual_add_f32 v39, v14, v39 :: v_dual_add_f32 v38, -1.0, v37
	v_add_f32_e32 v41, 1.0, v38
	s_delay_alu instid0(VALU_DEP_1) | instskip(NEXT) | instid1(VALU_DEP_1)
	v_sub_f32_e32 v37, v37, v41
	v_dual_add_f32 v41, v40, v39 :: v_dual_add_f32 v14, v14, v37
	s_delay_alu instid0(VALU_DEP_1) | instskip(SKIP_1) | instid1(VALU_DEP_1)
	v_rcp_f32_e32 v37, v41
	v_sub_f32_e32 v40, v40, v41
	v_dual_add_f32 v39, v39, v40 :: v_dual_add_f32 v42, v38, v14
	s_delay_alu instid0(TRANS32_DEP_1) | instid1(VALU_DEP_1)
	v_mul_f32_e32 v43, v42, v37
	v_sub_f32_e32 v38, v38, v42
	s_delay_alu instid0(VALU_DEP_2) | instskip(NEXT) | instid1(VALU_DEP_1)
	v_mul_f32_e32 v44, v41, v43
	v_fma_f32 v40, v43, v41, -v44
	s_delay_alu instid0(VALU_DEP_1) | instskip(NEXT) | instid1(VALU_DEP_1)
	v_fmac_f32_e32 v40, v43, v39
	v_dual_add_f32 v45, v44, v40 :: v_dual_add_f32 v14, v14, v38
	s_delay_alu instid0(VALU_DEP_1) | instskip(SKIP_1) | instid1(VALU_DEP_2)
	v_sub_f32_e32 v46, v42, v45
	v_sub_f32_e32 v38, v45, v44
	v_sub_f32_e32 v42, v42, v46
	s_delay_alu instid0(VALU_DEP_2) | instskip(NEXT) | instid1(VALU_DEP_2)
	v_sub_f32_e32 v38, v38, v40
	v_sub_f32_e32 v42, v42, v45
	s_delay_alu instid0(VALU_DEP_1) | instskip(NEXT) | instid1(VALU_DEP_1)
	v_add_f32_e32 v14, v14, v42
	v_add_f32_e32 v14, v38, v14
	s_delay_alu instid0(VALU_DEP_1) | instskip(NEXT) | instid1(VALU_DEP_1)
	v_add_f32_e32 v38, v46, v14
	v_mul_f32_e32 v40, v37, v38
	s_delay_alu instid0(VALU_DEP_1) | instskip(NEXT) | instid1(VALU_DEP_1)
	v_dual_sub_f32 v45, v46, v38 :: v_dual_mul_f32 v42, v41, v40
	v_add_f32_e32 v14, v14, v45
	s_delay_alu instid0(VALU_DEP_2) | instskip(NEXT) | instid1(VALU_DEP_1)
	v_fma_f32 v41, v40, v41, -v42
	v_fmac_f32_e32 v41, v40, v39
	s_delay_alu instid0(VALU_DEP_1) | instskip(NEXT) | instid1(VALU_DEP_1)
	v_add_f32_e32 v39, v42, v41
	v_sub_f32_e32 v44, v38, v39
	v_sub_f32_e32 v42, v39, v42
	s_delay_alu instid0(VALU_DEP_2) | instskip(NEXT) | instid1(VALU_DEP_1)
	v_sub_f32_e32 v38, v38, v44
	v_sub_f32_e32 v38, v38, v39
	s_delay_alu instid0(VALU_DEP_3) | instskip(NEXT) | instid1(VALU_DEP_2)
	v_sub_f32_e32 v39, v42, v41
	v_add_f32_e32 v14, v14, v38
	v_add_f32_e32 v38, v43, v40
	s_delay_alu instid0(VALU_DEP_1) | instskip(NEXT) | instid1(VALU_DEP_1)
	v_dual_add_f32 v14, v39, v14 :: v_dual_sub_f32 v39, v38, v43
	v_add_f32_e32 v14, v44, v14
	s_delay_alu instid0(VALU_DEP_1) | instskip(NEXT) | instid1(VALU_DEP_1)
	v_dual_sub_f32 v39, v40, v39 :: v_dual_mul_f32 v14, v37, v14
	v_add_f32_e32 v14, v39, v14
	s_delay_alu instid0(VALU_DEP_1) | instskip(NEXT) | instid1(VALU_DEP_1)
	v_add_f32_e32 v37, v38, v14
	v_mul_f32_e32 v39, v37, v37
	s_delay_alu instid0(VALU_DEP_1) | instskip(SKIP_1) | instid1(VALU_DEP_2)
	v_fmaak_f32 v40, s14, v39, 0x3ecc95a3
	v_mul_f32_e32 v41, v37, v39
	v_fmaak_f32 v39, v39, v40, 0x3f2aaada
	v_ldexp_f32 v40, v37, 1
	v_sub_f32_e32 v37, v37, v38
	s_delay_alu instid0(VALU_DEP_3) | instskip(SKIP_1) | instid1(VALU_DEP_3)
	v_mul_f32_e32 v39, v41, v39
	v_mul_f32_e32 v41, 0x3f317218, v13
	v_sub_f32_e32 v14, v14, v37
	s_delay_alu instid0(VALU_DEP_3) | instskip(NEXT) | instid1(VALU_DEP_2)
	v_add_f32_e32 v38, v40, v39
	v_ldexp_f32 v14, v14, 1
	s_delay_alu instid0(VALU_DEP_2) | instskip(SKIP_1) | instid1(VALU_DEP_2)
	v_sub_f32_e32 v37, v38, v40
	v_fma_f32 v40, 0x3f317218, v13, -v41
	v_sub_f32_e32 v37, v39, v37
	s_delay_alu instid0(VALU_DEP_2) | instskip(NEXT) | instid1(VALU_DEP_1)
	v_fmac_f32_e32 v40, 0xb102e308, v13
	v_dual_add_f32 v13, v14, v37 :: v_dual_add_f32 v14, v41, v40
	s_delay_alu instid0(VALU_DEP_1) | instskip(NEXT) | instid1(VALU_DEP_2)
	v_sub_f32_e32 v41, v14, v41
	v_add_f32_e32 v37, v38, v13
	s_delay_alu instid0(VALU_DEP_2) | instskip(NEXT) | instid1(VALU_DEP_2)
	v_sub_f32_e32 v40, v40, v41
	v_dual_add_f32 v39, v14, v37 :: v_dual_sub_f32 v38, v37, v38
	s_delay_alu instid0(VALU_DEP_1) | instskip(NEXT) | instid1(VALU_DEP_2)
	v_sub_f32_e32 v42, v39, v14
	v_sub_f32_e32 v13, v13, v38
	s_delay_alu instid0(VALU_DEP_2) | instskip(NEXT) | instid1(VALU_DEP_2)
	v_sub_f32_e32 v43, v39, v42
	v_dual_sub_f32 v37, v37, v42 :: v_dual_add_f32 v38, v40, v13
	s_delay_alu instid0(VALU_DEP_2) | instskip(NEXT) | instid1(VALU_DEP_1)
	v_sub_f32_e32 v14, v14, v43
	v_dual_add_f32 v14, v37, v14 :: v_dual_sub_f32 v37, v38, v40
	s_delay_alu instid0(VALU_DEP_1) | instskip(NEXT) | instid1(VALU_DEP_2)
	v_add_f32_e32 v14, v38, v14
	v_sub_f32_e32 v38, v38, v37
	v_sub_f32_e32 v13, v13, v37
	s_delay_alu instid0(VALU_DEP_3) | instskip(NEXT) | instid1(VALU_DEP_1)
	v_add_f32_e32 v41, v39, v14
	v_dual_sub_f32 v38, v40, v38 :: v_dual_sub_f32 v37, v41, v39
	s_delay_alu instid0(VALU_DEP_1) | instskip(NEXT) | instid1(VALU_DEP_1)
	v_dual_add_f32 v13, v13, v38 :: v_dual_sub_f32 v14, v14, v37
	v_add_f32_e32 v13, v13, v14
	s_delay_alu instid0(VALU_DEP_1) | instskip(SKIP_1) | instid1(VALU_DEP_1)
	v_add_f32_e32 v13, v41, v13
	s_wait_alu 0xfffd
	v_cndmask_b32_e32 v13, 0x7f800000, v13, vcc_lo
	v_cmp_gt_f32_e64 vcc_lo, 0x33800000, |v36|
	s_wait_alu 0xfffd
	s_delay_alu instid0(VALU_DEP_2) | instskip(NEXT) | instid1(VALU_DEP_1)
	v_cndmask_b32_e32 v13, v13, v36, vcc_lo
	v_add_f32_e32 v36, v8, v13
.LBB93_120:                             ;   in Loop: Header=BB93_96 Depth=1
	s_wait_alu 0xfffe
	s_or_b32 exec_lo, exec_lo, s16
	s_delay_alu instid0(VALU_DEP_1)
	v_mov_b32_e32 v14, v36
.LBB93_121:                             ;   in Loop: Header=BB93_96 Depth=1
	s_wait_alu 0xfffe
	s_or_b32 exec_lo, exec_lo, s15
	s_delay_alu instid0(VALU_DEP_1) | instskip(SKIP_2) | instid1(VALU_DEP_2)
	v_dual_max_num_f32 v8, v33, v33 :: v_dual_max_num_f32 v13, v14, v14
	v_cmp_u_f32_e32 vcc_lo, v14, v14
	s_wait_dscnt 0x0
	v_min_num_f32_e32 v36, v13, v8
	s_wait_alu 0xfffd
	s_delay_alu instid0(VALU_DEP_1) | instskip(NEXT) | instid1(VALU_DEP_1)
	v_dual_max_num_f32 v8, v13, v8 :: v_dual_cndmask_b32 v13, v36, v14
	v_cndmask_b32_e32 v8, v8, v14, vcc_lo
	v_cmp_u_f32_e32 vcc_lo, v33, v33
	s_wait_alu 0xfffd
	s_delay_alu instid0(VALU_DEP_3) | instskip(NEXT) | instid1(VALU_DEP_3)
	v_cndmask_b32_e32 v13, v13, v33, vcc_lo
	v_cndmask_b32_e32 v8, v8, v33, vcc_lo
	s_delay_alu instid0(VALU_DEP_2) | instskip(NEXT) | instid1(VALU_DEP_2)
	v_cmp_class_f32_e64 s15, v13, 0x1f8
	v_cmp_neq_f32_e32 vcc_lo, v13, v8
	s_or_b32 s15, vcc_lo, s15
	s_wait_alu 0xfffe
	s_and_saveexec_b32 s16, s15
	s_wait_alu 0xfffe
	s_xor_b32 s15, exec_lo, s16
	s_cbranch_execz .LBB93_94
; %bb.122:                              ;   in Loop: Header=BB93_96 Depth=1
	v_sub_f32_e32 v13, v13, v8
	s_delay_alu instid0(VALU_DEP_1) | instskip(NEXT) | instid1(VALU_DEP_1)
	v_mul_f32_e32 v14, 0x3fb8aa3b, v13
	v_fma_f32 v36, 0x3fb8aa3b, v13, -v14
	v_rndne_f32_e32 v37, v14
	s_delay_alu instid0(VALU_DEP_1) | instskip(NEXT) | instid1(VALU_DEP_3)
	v_sub_f32_e32 v14, v14, v37
	v_fmac_f32_e32 v36, 0x32a5705f, v13
	v_cmp_ngt_f32_e32 vcc_lo, 0xc2ce8ed0, v13
	s_delay_alu instid0(VALU_DEP_2) | instskip(SKIP_1) | instid1(VALU_DEP_2)
	v_add_f32_e32 v14, v14, v36
	v_cvt_i32_f32_e32 v36, v37
	v_exp_f32_e32 v14, v14
	s_delay_alu instid0(TRANS32_DEP_1) | instskip(SKIP_1) | instid1(VALU_DEP_1)
	v_ldexp_f32 v14, v14, v36
	s_wait_alu 0xfffd
	v_cndmask_b32_e32 v14, 0, v14, vcc_lo
	v_cmp_nlt_f32_e32 vcc_lo, 0x42b17218, v13
	s_wait_alu 0xfffd
	s_delay_alu instid0(VALU_DEP_2) | instskip(NEXT) | instid1(VALU_DEP_1)
	v_cndmask_b32_e32 v36, 0x7f800000, v14, vcc_lo
	v_add_f32_e32 v37, 1.0, v36
	s_delay_alu instid0(VALU_DEP_1) | instskip(NEXT) | instid1(VALU_DEP_1)
	v_cvt_f64_f32_e32 v[13:14], v37
	v_frexp_exp_i32_f64_e32 v13, v[13:14]
	v_frexp_mant_f32_e32 v14, v37
	s_delay_alu instid0(VALU_DEP_1) | instskip(SKIP_1) | instid1(VALU_DEP_1)
	v_cmp_gt_f32_e32 vcc_lo, 0x3f2aaaab, v14
	v_add_f32_e32 v14, -1.0, v37
	v_sub_f32_e32 v39, v14, v37
	s_delay_alu instid0(VALU_DEP_1) | instskip(SKIP_3) | instid1(VALU_DEP_2)
	v_add_f32_e32 v39, 1.0, v39
	s_wait_alu 0xfffd
	v_subrev_co_ci_u32_e64 v13, null, 0, v13, vcc_lo
	v_cmp_neq_f32_e32 vcc_lo, 0x7f800000, v36
	v_sub_nc_u32_e32 v38, 0, v13
	v_cvt_f32_i32_e32 v13, v13
	s_delay_alu instid0(VALU_DEP_2) | instskip(SKIP_1) | instid1(VALU_DEP_1)
	v_ldexp_f32 v37, v37, v38
	v_sub_f32_e32 v14, v36, v14
	v_add_f32_e32 v14, v14, v39
	s_delay_alu instid0(VALU_DEP_1) | instskip(NEXT) | instid1(VALU_DEP_4)
	v_ldexp_f32 v14, v14, v38
	v_add_f32_e32 v40, 1.0, v37
	s_delay_alu instid0(VALU_DEP_1) | instskip(NEXT) | instid1(VALU_DEP_1)
	v_add_f32_e32 v39, -1.0, v40
	v_sub_f32_e32 v39, v37, v39
	s_delay_alu instid0(VALU_DEP_1) | instskip(NEXT) | instid1(VALU_DEP_1)
	v_dual_add_f32 v39, v14, v39 :: v_dual_add_f32 v38, -1.0, v37
	v_add_f32_e32 v41, 1.0, v38
	s_delay_alu instid0(VALU_DEP_1) | instskip(NEXT) | instid1(VALU_DEP_1)
	v_sub_f32_e32 v37, v37, v41
	v_dual_add_f32 v41, v40, v39 :: v_dual_add_f32 v14, v14, v37
	s_delay_alu instid0(VALU_DEP_1) | instskip(SKIP_1) | instid1(VALU_DEP_1)
	v_rcp_f32_e32 v37, v41
	v_sub_f32_e32 v40, v40, v41
	v_dual_add_f32 v39, v39, v40 :: v_dual_add_f32 v42, v38, v14
	s_delay_alu instid0(TRANS32_DEP_1) | instid1(VALU_DEP_1)
	v_mul_f32_e32 v43, v42, v37
	v_sub_f32_e32 v38, v38, v42
	s_delay_alu instid0(VALU_DEP_2) | instskip(NEXT) | instid1(VALU_DEP_1)
	v_mul_f32_e32 v44, v41, v43
	v_fma_f32 v40, v43, v41, -v44
	s_delay_alu instid0(VALU_DEP_1) | instskip(NEXT) | instid1(VALU_DEP_1)
	v_fmac_f32_e32 v40, v43, v39
	v_dual_add_f32 v45, v44, v40 :: v_dual_add_f32 v14, v14, v38
	s_delay_alu instid0(VALU_DEP_1) | instskip(SKIP_1) | instid1(VALU_DEP_2)
	v_sub_f32_e32 v46, v42, v45
	v_sub_f32_e32 v38, v45, v44
	;; [unrolled: 1-line block ×3, first 2 shown]
	s_delay_alu instid0(VALU_DEP_2) | instskip(NEXT) | instid1(VALU_DEP_2)
	v_sub_f32_e32 v38, v38, v40
	v_sub_f32_e32 v42, v42, v45
	s_delay_alu instid0(VALU_DEP_1) | instskip(NEXT) | instid1(VALU_DEP_1)
	v_add_f32_e32 v14, v14, v42
	v_add_f32_e32 v14, v38, v14
	s_delay_alu instid0(VALU_DEP_1) | instskip(NEXT) | instid1(VALU_DEP_1)
	v_add_f32_e32 v38, v46, v14
	v_mul_f32_e32 v40, v37, v38
	s_delay_alu instid0(VALU_DEP_1) | instskip(NEXT) | instid1(VALU_DEP_1)
	v_dual_sub_f32 v45, v46, v38 :: v_dual_mul_f32 v42, v41, v40
	v_add_f32_e32 v14, v14, v45
	s_delay_alu instid0(VALU_DEP_2) | instskip(NEXT) | instid1(VALU_DEP_1)
	v_fma_f32 v41, v40, v41, -v42
	v_fmac_f32_e32 v41, v40, v39
	s_delay_alu instid0(VALU_DEP_1) | instskip(NEXT) | instid1(VALU_DEP_1)
	v_add_f32_e32 v39, v42, v41
	v_sub_f32_e32 v44, v38, v39
	v_sub_f32_e32 v42, v39, v42
	s_delay_alu instid0(VALU_DEP_2) | instskip(NEXT) | instid1(VALU_DEP_1)
	v_sub_f32_e32 v38, v38, v44
	v_sub_f32_e32 v38, v38, v39
	s_delay_alu instid0(VALU_DEP_3) | instskip(NEXT) | instid1(VALU_DEP_2)
	v_sub_f32_e32 v39, v42, v41
	v_add_f32_e32 v14, v14, v38
	v_add_f32_e32 v38, v43, v40
	s_delay_alu instid0(VALU_DEP_1) | instskip(NEXT) | instid1(VALU_DEP_1)
	v_dual_add_f32 v14, v39, v14 :: v_dual_sub_f32 v39, v38, v43
	v_add_f32_e32 v14, v44, v14
	s_delay_alu instid0(VALU_DEP_1) | instskip(NEXT) | instid1(VALU_DEP_1)
	v_dual_sub_f32 v39, v40, v39 :: v_dual_mul_f32 v14, v37, v14
	v_add_f32_e32 v14, v39, v14
	s_delay_alu instid0(VALU_DEP_1) | instskip(NEXT) | instid1(VALU_DEP_1)
	v_add_f32_e32 v37, v38, v14
	v_mul_f32_e32 v39, v37, v37
	s_delay_alu instid0(VALU_DEP_1) | instskip(SKIP_1) | instid1(VALU_DEP_2)
	v_fmaak_f32 v40, s14, v39, 0x3ecc95a3
	v_mul_f32_e32 v41, v37, v39
	v_fmaak_f32 v39, v39, v40, 0x3f2aaada
	v_ldexp_f32 v40, v37, 1
	v_sub_f32_e32 v37, v37, v38
	s_delay_alu instid0(VALU_DEP_3) | instskip(SKIP_1) | instid1(VALU_DEP_3)
	v_mul_f32_e32 v39, v41, v39
	v_mul_f32_e32 v41, 0x3f317218, v13
	v_sub_f32_e32 v14, v14, v37
	s_delay_alu instid0(VALU_DEP_3) | instskip(NEXT) | instid1(VALU_DEP_2)
	v_add_f32_e32 v38, v40, v39
	v_ldexp_f32 v14, v14, 1
	s_delay_alu instid0(VALU_DEP_2) | instskip(SKIP_1) | instid1(VALU_DEP_2)
	v_sub_f32_e32 v37, v38, v40
	v_fma_f32 v40, 0x3f317218, v13, -v41
	v_sub_f32_e32 v37, v39, v37
	s_delay_alu instid0(VALU_DEP_2) | instskip(NEXT) | instid1(VALU_DEP_1)
	v_fmac_f32_e32 v40, 0xb102e308, v13
	v_dual_add_f32 v13, v14, v37 :: v_dual_add_f32 v14, v41, v40
	s_delay_alu instid0(VALU_DEP_1) | instskip(NEXT) | instid1(VALU_DEP_2)
	v_sub_f32_e32 v41, v14, v41
	v_add_f32_e32 v37, v38, v13
	s_delay_alu instid0(VALU_DEP_2) | instskip(NEXT) | instid1(VALU_DEP_2)
	v_sub_f32_e32 v40, v40, v41
	v_dual_add_f32 v39, v14, v37 :: v_dual_sub_f32 v38, v37, v38
	s_delay_alu instid0(VALU_DEP_1) | instskip(NEXT) | instid1(VALU_DEP_2)
	v_sub_f32_e32 v42, v39, v14
	v_sub_f32_e32 v13, v13, v38
	s_delay_alu instid0(VALU_DEP_2) | instskip(NEXT) | instid1(VALU_DEP_2)
	v_sub_f32_e32 v43, v39, v42
	v_dual_sub_f32 v37, v37, v42 :: v_dual_add_f32 v38, v40, v13
	s_delay_alu instid0(VALU_DEP_2) | instskip(NEXT) | instid1(VALU_DEP_1)
	v_sub_f32_e32 v14, v14, v43
	v_dual_add_f32 v14, v37, v14 :: v_dual_sub_f32 v37, v38, v40
	s_delay_alu instid0(VALU_DEP_1) | instskip(NEXT) | instid1(VALU_DEP_2)
	v_add_f32_e32 v14, v38, v14
	v_sub_f32_e32 v38, v38, v37
	v_sub_f32_e32 v13, v13, v37
	s_delay_alu instid0(VALU_DEP_3) | instskip(NEXT) | instid1(VALU_DEP_1)
	v_add_f32_e32 v41, v39, v14
	v_dual_sub_f32 v38, v40, v38 :: v_dual_sub_f32 v37, v41, v39
	s_delay_alu instid0(VALU_DEP_1) | instskip(NEXT) | instid1(VALU_DEP_1)
	v_dual_add_f32 v13, v13, v38 :: v_dual_sub_f32 v14, v14, v37
	v_add_f32_e32 v13, v13, v14
	s_delay_alu instid0(VALU_DEP_1) | instskip(SKIP_1) | instid1(VALU_DEP_1)
	v_add_f32_e32 v13, v41, v13
	s_wait_alu 0xfffd
	v_cndmask_b32_e32 v13, 0x7f800000, v13, vcc_lo
	v_cmp_gt_f32_e64 vcc_lo, 0x33800000, |v36|
	s_wait_alu 0xfffd
	s_delay_alu instid0(VALU_DEP_2) | instskip(NEXT) | instid1(VALU_DEP_1)
	v_cndmask_b32_e32 v13, v13, v36, vcc_lo
	v_add_f32_e32 v14, v8, v13
	s_branch .LBB93_94
.LBB93_123:
                                        ; implicit-def: $vgpr5_vgpr6_vgpr7_vgpr8_vgpr9_vgpr10
	s_load_b256 s[16:23], s[0:1], 0x38
	s_cbranch_execnz .LBB93_147
	s_branch .LBB93_218
.LBB93_124:
	s_and_saveexec_b32 s14, s8
	s_cbranch_execz .LBB93_128
; %bb.125:
	v_max_num_f32_e32 v6, v5, v5
	v_max_num_f32_e32 v7, v33, v33
	v_cmp_u_f32_e32 vcc_lo, v33, v33
	s_delay_alu instid0(VALU_DEP_2) | instskip(SKIP_1) | instid1(VALU_DEP_1)
	v_min_num_f32_e32 v8, v7, v6
	s_wait_alu 0xfffd
	v_dual_max_num_f32 v6, v7, v6 :: v_dual_cndmask_b32 v7, v8, v33
	s_delay_alu instid0(VALU_DEP_1) | instskip(SKIP_2) | instid1(VALU_DEP_3)
	v_cndmask_b32_e32 v6, v6, v33, vcc_lo
	v_cmp_u_f32_e32 vcc_lo, v5, v5
	s_wait_alu 0xfffd
	v_cndmask_b32_e32 v7, v7, v5, vcc_lo
	s_delay_alu instid0(VALU_DEP_3) | instskip(NEXT) | instid1(VALU_DEP_2)
	v_dual_cndmask_b32 v6, v6, v5 :: v_dual_mov_b32 v5, v33
	v_cmp_class_f32_e64 s15, v7, 0x1f8
	s_delay_alu instid0(VALU_DEP_2)
	v_cmp_neq_f32_e32 vcc_lo, v7, v6
	s_or_b32 s16, vcc_lo, s15
	s_wait_alu 0xfffe
	s_and_saveexec_b32 s15, s16
	s_cbranch_execz .LBB93_127
; %bb.126:
	v_sub_f32_e32 v5, v7, v6
	s_mov_b32 s16, 0x3e9b6dac
	s_delay_alu instid0(VALU_DEP_1) | instskip(SKIP_1) | instid1(VALU_DEP_2)
	v_mul_f32_e32 v7, 0x3fb8aa3b, v5
	v_cmp_ngt_f32_e32 vcc_lo, 0xc2ce8ed0, v5
	v_fma_f32 v8, 0x3fb8aa3b, v5, -v7
	v_rndne_f32_e32 v9, v7
	s_delay_alu instid0(VALU_DEP_1) | instskip(NEXT) | instid1(VALU_DEP_1)
	v_dual_fmamk_f32 v8, v5, 0x32a5705f, v8 :: v_dual_sub_f32 v7, v7, v9
	v_add_f32_e32 v7, v7, v8
	v_cvt_i32_f32_e32 v8, v9
	s_delay_alu instid0(VALU_DEP_2) | instskip(NEXT) | instid1(TRANS32_DEP_1)
	v_exp_f32_e32 v7, v7
	v_ldexp_f32 v7, v7, v8
	s_wait_alu 0xfffd
	s_delay_alu instid0(VALU_DEP_1) | instskip(SKIP_2) | instid1(VALU_DEP_2)
	v_cndmask_b32_e32 v7, 0, v7, vcc_lo
	v_cmp_nlt_f32_e32 vcc_lo, 0x42b17218, v5
	s_wait_alu 0xfffd
	v_cndmask_b32_e32 v5, 0x7f800000, v7, vcc_lo
	s_delay_alu instid0(VALU_DEP_1) | instskip(NEXT) | instid1(VALU_DEP_1)
	v_add_f32_e32 v9, 1.0, v5
	v_cvt_f64_f32_e32 v[7:8], v9
	s_delay_alu instid0(VALU_DEP_1) | instskip(SKIP_1) | instid1(VALU_DEP_1)
	v_frexp_exp_i32_f64_e32 v7, v[7:8]
	v_frexp_mant_f32_e32 v8, v9
	v_cmp_gt_f32_e32 vcc_lo, 0x3f2aaaab, v8
	v_add_f32_e32 v8, -1.0, v9
	s_delay_alu instid0(VALU_DEP_1) | instskip(NEXT) | instid1(VALU_DEP_1)
	v_sub_f32_e32 v14, v8, v9
	v_add_f32_e32 v14, 1.0, v14
	s_wait_alu 0xfffd
	v_subrev_co_ci_u32_e64 v7, null, 0, v7, vcc_lo
	s_delay_alu instid0(VALU_DEP_1) | instskip(SKIP_1) | instid1(VALU_DEP_2)
	v_sub_nc_u32_e32 v13, 0, v7
	v_cvt_f32_i32_e32 v7, v7
	v_ldexp_f32 v9, v9, v13
	s_delay_alu instid0(VALU_DEP_1) | instskip(SKIP_2) | instid1(VALU_DEP_2)
	v_add_f32_e32 v22, 1.0, v9
	v_sub_f32_e32 v8, v5, v8
	v_cmp_neq_f32_e32 vcc_lo, 0x7f800000, v5
	v_add_f32_e32 v8, v8, v14
	s_delay_alu instid0(VALU_DEP_4) | instskip(NEXT) | instid1(VALU_DEP_2)
	v_add_f32_e32 v14, -1.0, v22
	v_ldexp_f32 v8, v8, v13
	s_delay_alu instid0(VALU_DEP_2) | instskip(NEXT) | instid1(VALU_DEP_1)
	v_dual_add_f32 v13, -1.0, v9 :: v_dual_sub_f32 v14, v9, v14
	v_dual_add_f32 v25, 1.0, v13 :: v_dual_add_f32 v14, v8, v14
	s_delay_alu instid0(VALU_DEP_1) | instskip(NEXT) | instid1(VALU_DEP_1)
	v_sub_f32_e32 v9, v9, v25
	v_dual_add_f32 v25, v22, v14 :: v_dual_add_f32 v8, v8, v9
	s_delay_alu instid0(VALU_DEP_1) | instskip(NEXT) | instid1(VALU_DEP_1)
	v_rcp_f32_e32 v9, v25
	v_add_f32_e32 v26, v13, v8
	v_sub_f32_e32 v22, v22, v25
	s_delay_alu instid0(TRANS32_DEP_1) | instid1(VALU_DEP_2)
	v_mul_f32_e32 v27, v26, v9
	s_delay_alu instid0(VALU_DEP_1) | instskip(NEXT) | instid1(VALU_DEP_3)
	v_mul_f32_e32 v28, v25, v27
	v_add_f32_e32 v14, v14, v22
	s_delay_alu instid0(VALU_DEP_2) | instskip(NEXT) | instid1(VALU_DEP_1)
	v_fma_f32 v22, v27, v25, -v28
	v_fmac_f32_e32 v22, v27, v14
	s_delay_alu instid0(VALU_DEP_1) | instskip(SKIP_1) | instid1(VALU_DEP_1)
	v_add_f32_e32 v29, v28, v22
	v_sub_f32_e32 v13, v13, v26
	v_dual_add_f32 v8, v8, v13 :: v_dual_sub_f32 v13, v29, v28
	s_delay_alu instid0(VALU_DEP_1) | instskip(NEXT) | instid1(VALU_DEP_1)
	v_dual_sub_f32 v30, v26, v29 :: v_dual_sub_f32 v13, v13, v22
	v_sub_f32_e32 v26, v26, v30
	s_delay_alu instid0(VALU_DEP_1) | instskip(NEXT) | instid1(VALU_DEP_1)
	v_sub_f32_e32 v26, v26, v29
	v_add_f32_e32 v8, v8, v26
	s_delay_alu instid0(VALU_DEP_1) | instskip(NEXT) | instid1(VALU_DEP_1)
	v_add_f32_e32 v8, v13, v8
	v_add_f32_e32 v13, v30, v8
	s_delay_alu instid0(VALU_DEP_1) | instskip(NEXT) | instid1(VALU_DEP_1)
	v_mul_f32_e32 v22, v9, v13
	v_dual_sub_f32 v29, v30, v13 :: v_dual_mul_f32 v26, v25, v22
	s_delay_alu instid0(VALU_DEP_1) | instskip(NEXT) | instid1(VALU_DEP_2)
	v_add_f32_e32 v8, v8, v29
	v_fma_f32 v25, v22, v25, -v26
	s_delay_alu instid0(VALU_DEP_1) | instskip(NEXT) | instid1(VALU_DEP_1)
	v_fmac_f32_e32 v25, v22, v14
	v_add_f32_e32 v14, v26, v25
	s_delay_alu instid0(VALU_DEP_1) | instskip(NEXT) | instid1(VALU_DEP_1)
	v_sub_f32_e32 v28, v13, v14
	v_sub_f32_e32 v13, v13, v28
	s_delay_alu instid0(VALU_DEP_1) | instskip(NEXT) | instid1(VALU_DEP_1)
	v_sub_f32_e32 v13, v13, v14
	v_dual_add_f32 v8, v8, v13 :: v_dual_add_f32 v13, v27, v22
	v_sub_f32_e32 v26, v14, v26
	s_delay_alu instid0(VALU_DEP_1) | instskip(NEXT) | instid1(VALU_DEP_1)
	v_sub_f32_e32 v14, v26, v25
	v_add_f32_e32 v8, v14, v8
	s_delay_alu instid0(VALU_DEP_4) | instskip(NEXT) | instid1(VALU_DEP_2)
	v_sub_f32_e32 v14, v13, v27
	v_add_f32_e32 v8, v28, v8
	s_delay_alu instid0(VALU_DEP_2) | instskip(NEXT) | instid1(VALU_DEP_2)
	v_sub_f32_e32 v14, v22, v14
	v_mul_f32_e32 v8, v9, v8
	s_delay_alu instid0(VALU_DEP_1) | instskip(NEXT) | instid1(VALU_DEP_1)
	v_add_f32_e32 v8, v14, v8
	v_add_f32_e32 v9, v13, v8
	s_delay_alu instid0(VALU_DEP_1) | instskip(SKIP_1) | instid1(VALU_DEP_1)
	v_mul_f32_e32 v14, v9, v9
	s_wait_alu 0xfffe
	v_fmaak_f32 v22, s16, v14, 0x3ecc95a3
	v_mul_f32_e32 v25, v9, v14
	s_delay_alu instid0(VALU_DEP_2) | instskip(SKIP_2) | instid1(VALU_DEP_3)
	v_fmaak_f32 v14, v14, v22, 0x3f2aaada
	v_ldexp_f32 v22, v9, 1
	v_sub_f32_e32 v9, v9, v13
	v_dual_mul_f32 v14, v25, v14 :: v_dual_mul_f32 v25, 0x3f317218, v7
	s_delay_alu instid0(VALU_DEP_1) | instskip(NEXT) | instid1(VALU_DEP_1)
	v_dual_sub_f32 v8, v8, v9 :: v_dual_add_f32 v13, v22, v14
	v_ldexp_f32 v8, v8, 1
	s_delay_alu instid0(VALU_DEP_2) | instskip(NEXT) | instid1(VALU_DEP_4)
	v_sub_f32_e32 v9, v13, v22
	v_fma_f32 v22, 0x3f317218, v7, -v25
	s_delay_alu instid0(VALU_DEP_2) | instskip(NEXT) | instid1(VALU_DEP_1)
	v_sub_f32_e32 v9, v14, v9
	v_dual_fmamk_f32 v7, v7, 0xb102e308, v22 :: v_dual_add_f32 v8, v8, v9
	s_delay_alu instid0(VALU_DEP_1) | instskip(NEXT) | instid1(VALU_DEP_2)
	v_add_f32_e32 v9, v25, v7
	v_add_f32_e32 v14, v13, v8
	s_delay_alu instid0(VALU_DEP_2) | instskip(NEXT) | instid1(VALU_DEP_1)
	v_sub_f32_e32 v25, v9, v25
	v_dual_add_f32 v22, v9, v14 :: v_dual_sub_f32 v7, v7, v25
	v_sub_f32_e32 v13, v14, v13
	s_delay_alu instid0(VALU_DEP_2) | instskip(NEXT) | instid1(VALU_DEP_1)
	v_sub_f32_e32 v26, v22, v9
	v_dual_sub_f32 v8, v8, v13 :: v_dual_sub_f32 v27, v22, v26
	s_delay_alu instid0(VALU_DEP_1) | instskip(NEXT) | instid1(VALU_DEP_2)
	v_dual_sub_f32 v13, v14, v26 :: v_dual_add_f32 v14, v7, v8
	v_sub_f32_e32 v9, v9, v27
	s_delay_alu instid0(VALU_DEP_1) | instskip(NEXT) | instid1(VALU_DEP_3)
	v_add_f32_e32 v9, v13, v9
	v_sub_f32_e32 v13, v14, v7
	s_delay_alu instid0(VALU_DEP_2) | instskip(NEXT) | instid1(VALU_DEP_2)
	v_add_f32_e32 v9, v14, v9
	v_sub_f32_e32 v14, v14, v13
	v_sub_f32_e32 v8, v8, v13
	s_delay_alu instid0(VALU_DEP_3) | instskip(NEXT) | instid1(VALU_DEP_3)
	v_add_f32_e32 v25, v22, v9
	v_sub_f32_e32 v7, v7, v14
	s_delay_alu instid0(VALU_DEP_2) | instskip(NEXT) | instid1(VALU_DEP_1)
	v_sub_f32_e32 v13, v25, v22
	v_dual_add_f32 v7, v8, v7 :: v_dual_sub_f32 v8, v9, v13
	s_delay_alu instid0(VALU_DEP_1) | instskip(NEXT) | instid1(VALU_DEP_1)
	v_add_f32_e32 v7, v7, v8
	v_add_f32_e32 v7, v25, v7
	s_wait_alu 0xfffd
	s_delay_alu instid0(VALU_DEP_1) | instskip(SKIP_2) | instid1(VALU_DEP_2)
	v_cndmask_b32_e32 v7, 0x7f800000, v7, vcc_lo
	v_cmp_gt_f32_e64 vcc_lo, 0x33800000, |v5|
	s_wait_alu 0xfffd
	v_cndmask_b32_e32 v5, v7, v5, vcc_lo
	s_delay_alu instid0(VALU_DEP_1)
	v_add_f32_e32 v5, v6, v5
.LBB93_127:
	s_wait_alu 0xfffe
	s_or_b32 exec_lo, exec_lo, s15
	s_add_co_i32 s16, ttmp9, 32
	s_mov_b32 s17, 0
	v_dual_mov_b32 v7, 0 :: v_dual_mov_b32 v6, 2
	s_wait_alu 0xfffe
	s_lshl_b64 s[16:17], s[16:17], 3
	s_wait_alu 0xfffe
	s_add_nc_u64 s[16:17], s[28:29], s[16:17]
	global_store_b64 v7, v[5:6], s[16:17] scope:SCOPE_DEV
.LBB93_128:
	s_wait_alu 0xfffe
	s_or_b32 exec_lo, exec_lo, s14
	v_cmp_eq_u32_e32 vcc_lo, 0, v0
	s_and_b32 exec_lo, exec_lo, vcc_lo
; %bb.129:
	v_mov_b32_e32 v5, 0
	ds_store_b32 v5, v33 offset:28
.LBB93_130:
	s_wait_alu 0xfffe
	s_or_b32 exec_lo, exec_lo, s9
	v_mov_b32_e32 v5, 0
	s_wait_storecnt 0x0
	s_wait_loadcnt_dscnt 0x0
	s_barrier_signal -1
	s_barrier_wait -1
	global_inv scope:SCOPE_SE
	ds_load_b32 v5, v5 offset:28
	v_mov_b32_e32 v7, v1
	s_mov_b32 s9, exec_lo
	v_cmpx_ne_u32_e32 0, v0
	s_cbranch_execz .LBB93_134
; %bb.131:
	v_cndmask_b32_e64 v7, v24, v23, s8
	s_delay_alu instid0(VALU_DEP_1) | instskip(SKIP_1) | instid1(VALU_DEP_2)
	v_max_num_f32_e32 v6, v7, v7
	v_cmp_u_f32_e32 vcc_lo, v7, v7
	v_min_num_f32_e32 v8, v6, v21
	v_max_num_f32_e32 v6, v6, v21
	s_wait_alu 0xfffd
	s_delay_alu instid0(VALU_DEP_2) | instskip(NEXT) | instid1(VALU_DEP_2)
	v_cndmask_b32_e32 v8, v8, v7, vcc_lo
	v_cndmask_b32_e32 v6, v6, v7, vcc_lo
	s_delay_alu instid0(VALU_DEP_2) | instskip(NEXT) | instid1(VALU_DEP_2)
	v_cndmask_b32_e64 v8, v8, v1, s7
	v_cndmask_b32_e64 v6, v6, v1, s7
	s_delay_alu instid0(VALU_DEP_2) | instskip(NEXT) | instid1(VALU_DEP_2)
	v_cmp_class_f32_e64 s7, v8, 0x1f8
	v_cmp_neq_f32_e32 vcc_lo, v8, v6
	s_or_b32 s8, vcc_lo, s7
	s_wait_alu 0xfffe
	s_and_saveexec_b32 s7, s8
	s_cbranch_execz .LBB93_133
; %bb.132:
	v_sub_f32_e32 v7, v8, v6
	s_mov_b32 s8, 0x3e9b6dac
	s_delay_alu instid0(VALU_DEP_1) | instskip(SKIP_1) | instid1(VALU_DEP_2)
	v_mul_f32_e32 v8, 0x3fb8aa3b, v7
	v_cmp_ngt_f32_e32 vcc_lo, 0xc2ce8ed0, v7
	v_fma_f32 v9, 0x3fb8aa3b, v7, -v8
	v_rndne_f32_e32 v13, v8
	s_delay_alu instid0(VALU_DEP_1) | instskip(NEXT) | instid1(VALU_DEP_1)
	v_dual_fmamk_f32 v9, v7, 0x32a5705f, v9 :: v_dual_sub_f32 v8, v8, v13
	v_add_f32_e32 v8, v8, v9
	v_cvt_i32_f32_e32 v9, v13
	s_delay_alu instid0(VALU_DEP_2) | instskip(NEXT) | instid1(TRANS32_DEP_1)
	v_exp_f32_e32 v8, v8
	v_ldexp_f32 v8, v8, v9
	s_wait_alu 0xfffd
	s_delay_alu instid0(VALU_DEP_1) | instskip(SKIP_2) | instid1(VALU_DEP_2)
	v_cndmask_b32_e32 v8, 0, v8, vcc_lo
	v_cmp_nlt_f32_e32 vcc_lo, 0x42b17218, v7
	s_wait_alu 0xfffd
	v_cndmask_b32_e32 v9, 0x7f800000, v8, vcc_lo
	s_delay_alu instid0(VALU_DEP_1) | instskip(NEXT) | instid1(VALU_DEP_1)
	v_add_f32_e32 v13, 1.0, v9
	v_cvt_f64_f32_e32 v[7:8], v13
	s_delay_alu instid0(VALU_DEP_1) | instskip(SKIP_1) | instid1(VALU_DEP_1)
	v_frexp_exp_i32_f64_e32 v7, v[7:8]
	v_frexp_mant_f32_e32 v8, v13
	v_cmp_gt_f32_e32 vcc_lo, 0x3f2aaaab, v8
	v_add_f32_e32 v8, -1.0, v13
	s_delay_alu instid0(VALU_DEP_1) | instskip(NEXT) | instid1(VALU_DEP_1)
	v_dual_sub_f32 v21, v8, v13 :: v_dual_sub_f32 v8, v9, v8
	v_add_f32_e32 v21, 1.0, v21
	s_wait_alu 0xfffd
	v_subrev_co_ci_u32_e64 v7, null, 0, v7, vcc_lo
	v_cmp_neq_f32_e32 vcc_lo, 0x7f800000, v9
	s_delay_alu instid0(VALU_DEP_2) | instskip(SKIP_1) | instid1(VALU_DEP_2)
	v_sub_nc_u32_e32 v14, 0, v7
	v_cvt_f32_i32_e32 v7, v7
	v_ldexp_f32 v13, v13, v14
	v_add_f32_e32 v8, v8, v21
	s_delay_alu instid0(VALU_DEP_1) | instskip(NEXT) | instid1(VALU_DEP_3)
	v_ldexp_f32 v8, v8, v14
	v_add_f32_e32 v14, -1.0, v13
	s_delay_alu instid0(VALU_DEP_1) | instskip(NEXT) | instid1(VALU_DEP_1)
	v_dual_add_f32 v22, 1.0, v13 :: v_dual_add_f32 v23, 1.0, v14
	v_add_f32_e32 v21, -1.0, v22
	s_delay_alu instid0(VALU_DEP_1) | instskip(NEXT) | instid1(VALU_DEP_3)
	v_sub_f32_e32 v21, v13, v21
	v_sub_f32_e32 v13, v13, v23
	s_delay_alu instid0(VALU_DEP_2) | instskip(NEXT) | instid1(VALU_DEP_2)
	v_add_f32_e32 v21, v8, v21
	v_add_f32_e32 v8, v8, v13
	s_delay_alu instid0(VALU_DEP_2) | instskip(NEXT) | instid1(VALU_DEP_1)
	v_add_f32_e32 v23, v22, v21
	v_rcp_f32_e32 v13, v23
	v_sub_f32_e32 v22, v22, v23
	s_delay_alu instid0(VALU_DEP_1)
	v_dual_add_f32 v21, v21, v22 :: v_dual_add_f32 v24, v14, v8
	s_delay_alu instid0(TRANS32_DEP_1) | instid1(VALU_DEP_1)
	v_dual_mul_f32 v25, v24, v13 :: v_dual_sub_f32 v14, v14, v24
	s_delay_alu instid0(VALU_DEP_1) | instskip(NEXT) | instid1(VALU_DEP_1)
	v_mul_f32_e32 v26, v23, v25
	v_fma_f32 v22, v25, v23, -v26
	s_delay_alu instid0(VALU_DEP_1) | instskip(NEXT) | instid1(VALU_DEP_1)
	v_fmac_f32_e32 v22, v25, v21
	v_add_f32_e32 v27, v26, v22
	v_add_f32_e32 v8, v8, v14
	s_delay_alu instid0(VALU_DEP_2) | instskip(SKIP_1) | instid1(VALU_DEP_2)
	v_sub_f32_e32 v28, v24, v27
	v_sub_f32_e32 v14, v27, v26
	;; [unrolled: 1-line block ×3, first 2 shown]
	s_delay_alu instid0(VALU_DEP_2) | instskip(NEXT) | instid1(VALU_DEP_2)
	v_sub_f32_e32 v14, v14, v22
	v_sub_f32_e32 v24, v24, v27
	s_delay_alu instid0(VALU_DEP_1) | instskip(NEXT) | instid1(VALU_DEP_1)
	v_add_f32_e32 v8, v8, v24
	v_add_f32_e32 v8, v14, v8
	s_delay_alu instid0(VALU_DEP_1) | instskip(NEXT) | instid1(VALU_DEP_1)
	v_add_f32_e32 v14, v28, v8
	v_mul_f32_e32 v22, v13, v14
	v_sub_f32_e32 v27, v28, v14
	s_delay_alu instid0(VALU_DEP_2) | instskip(NEXT) | instid1(VALU_DEP_2)
	v_mul_f32_e32 v24, v23, v22
	v_add_f32_e32 v8, v8, v27
	s_delay_alu instid0(VALU_DEP_2) | instskip(NEXT) | instid1(VALU_DEP_1)
	v_fma_f32 v23, v22, v23, -v24
	v_fmac_f32_e32 v23, v22, v21
	s_delay_alu instid0(VALU_DEP_1) | instskip(NEXT) | instid1(VALU_DEP_1)
	v_add_f32_e32 v21, v24, v23
	v_sub_f32_e32 v26, v14, v21
	v_sub_f32_e32 v24, v21, v24
	s_delay_alu instid0(VALU_DEP_2) | instskip(NEXT) | instid1(VALU_DEP_1)
	v_sub_f32_e32 v14, v14, v26
	v_dual_sub_f32 v14, v14, v21 :: v_dual_sub_f32 v21, v24, v23
	s_delay_alu instid0(VALU_DEP_1) | instskip(SKIP_1) | instid1(VALU_DEP_1)
	v_add_f32_e32 v8, v8, v14
	v_add_f32_e32 v14, v25, v22
	v_dual_add_f32 v8, v21, v8 :: v_dual_sub_f32 v21, v14, v25
	s_delay_alu instid0(VALU_DEP_1) | instskip(NEXT) | instid1(VALU_DEP_1)
	v_add_f32_e32 v8, v26, v8
	v_dual_sub_f32 v21, v22, v21 :: v_dual_mul_f32 v8, v13, v8
	s_delay_alu instid0(VALU_DEP_1) | instskip(NEXT) | instid1(VALU_DEP_1)
	v_add_f32_e32 v8, v21, v8
	v_add_f32_e32 v13, v14, v8
	s_delay_alu instid0(VALU_DEP_1) | instskip(SKIP_1) | instid1(VALU_DEP_1)
	v_mul_f32_e32 v21, v13, v13
	s_wait_alu 0xfffe
	v_fmaak_f32 v22, s8, v21, 0x3ecc95a3
	v_mul_f32_e32 v23, v13, v21
	s_delay_alu instid0(VALU_DEP_2) | instskip(SKIP_2) | instid1(VALU_DEP_3)
	v_fmaak_f32 v21, v21, v22, 0x3f2aaada
	v_ldexp_f32 v22, v13, 1
	v_sub_f32_e32 v13, v13, v14
	v_mul_f32_e32 v21, v23, v21
	s_delay_alu instid0(VALU_DEP_2) | instskip(NEXT) | instid1(VALU_DEP_2)
	v_dual_mul_f32 v23, 0x3f317218, v7 :: v_dual_sub_f32 v8, v8, v13
	v_add_f32_e32 v14, v22, v21
	s_delay_alu instid0(VALU_DEP_2) | instskip(NEXT) | instid1(VALU_DEP_2)
	v_ldexp_f32 v8, v8, 1
	v_sub_f32_e32 v13, v14, v22
	s_delay_alu instid0(VALU_DEP_4) | instskip(NEXT) | instid1(VALU_DEP_2)
	v_fma_f32 v22, 0x3f317218, v7, -v23
	v_sub_f32_e32 v13, v21, v13
	s_delay_alu instid0(VALU_DEP_1) | instskip(NEXT) | instid1(VALU_DEP_1)
	v_dual_fmamk_f32 v7, v7, 0xb102e308, v22 :: v_dual_add_f32 v8, v8, v13
	v_add_f32_e32 v13, v23, v7
	s_delay_alu instid0(VALU_DEP_2) | instskip(NEXT) | instid1(VALU_DEP_2)
	v_add_f32_e32 v21, v14, v8
	v_sub_f32_e32 v23, v13, v23
	s_delay_alu instid0(VALU_DEP_1) | instskip(SKIP_1) | instid1(VALU_DEP_2)
	v_dual_add_f32 v22, v13, v21 :: v_dual_sub_f32 v7, v7, v23
	v_sub_f32_e32 v14, v21, v14
	v_sub_f32_e32 v24, v22, v13
	s_delay_alu instid0(VALU_DEP_1) | instskip(SKIP_1) | instid1(VALU_DEP_2)
	v_dual_sub_f32 v25, v22, v24 :: v_dual_sub_f32 v8, v8, v14
	v_sub_f32_e32 v14, v21, v24
	v_sub_f32_e32 v13, v13, v25
	s_delay_alu instid0(VALU_DEP_3) | instskip(NEXT) | instid1(VALU_DEP_1)
	v_add_f32_e32 v21, v7, v8
	v_dual_add_f32 v13, v14, v13 :: v_dual_sub_f32 v14, v21, v7
	s_delay_alu instid0(VALU_DEP_1) | instskip(SKIP_1) | instid1(VALU_DEP_1)
	v_dual_add_f32 v13, v21, v13 :: v_dual_sub_f32 v8, v8, v14
	v_sub_f32_e32 v21, v21, v14
	v_sub_f32_e32 v7, v7, v21
	s_delay_alu instid0(VALU_DEP_1) | instskip(NEXT) | instid1(VALU_DEP_4)
	v_add_f32_e32 v7, v8, v7
	v_add_f32_e32 v23, v22, v13
	s_delay_alu instid0(VALU_DEP_1) | instskip(NEXT) | instid1(VALU_DEP_1)
	v_sub_f32_e32 v14, v23, v22
	v_sub_f32_e32 v8, v13, v14
	s_delay_alu instid0(VALU_DEP_1) | instskip(NEXT) | instid1(VALU_DEP_1)
	v_add_f32_e32 v7, v7, v8
	v_add_f32_e32 v7, v23, v7
	s_wait_alu 0xfffd
	s_delay_alu instid0(VALU_DEP_1) | instskip(SKIP_2) | instid1(VALU_DEP_2)
	v_cndmask_b32_e32 v7, 0x7f800000, v7, vcc_lo
	v_cmp_gt_f32_e64 vcc_lo, 0x33800000, |v9|
	s_wait_alu 0xfffd
	v_cndmask_b32_e32 v7, v7, v9, vcc_lo
	s_delay_alu instid0(VALU_DEP_1)
	v_add_f32_e32 v7, v6, v7
.LBB93_133:
	s_wait_alu 0xfffe
	s_or_b32 exec_lo, exec_lo, s7
.LBB93_134:
	s_wait_alu 0xfffe
	s_or_b32 exec_lo, exec_lo, s9
	v_max_num_f32_e32 v6, v7, v7
	s_wait_dscnt 0x0
	v_max_num_f32_e32 v8, v5, v5
	v_cmp_u_f32_e32 vcc_lo, v5, v5
	s_delay_alu instid0(VALU_DEP_2) | instskip(SKIP_2) | instid1(VALU_DEP_1)
	v_min_num_f32_e32 v9, v8, v6
	v_max_num_f32_e32 v6, v8, v6
	s_wait_alu 0xfffd
	v_cndmask_b32_e32 v6, v6, v5, vcc_lo
	s_delay_alu instid0(VALU_DEP_3) | instskip(SKIP_2) | instid1(VALU_DEP_2)
	v_cndmask_b32_e32 v8, v9, v5, vcc_lo
	v_cmp_u_f32_e32 vcc_lo, v7, v7
	s_wait_alu 0xfffd
	v_cndmask_b32_e32 v8, v8, v7, vcc_lo
	v_cndmask_b32_e32 v6, v6, v7, vcc_lo
	s_delay_alu instid0(VALU_DEP_2) | instskip(NEXT) | instid1(VALU_DEP_2)
	v_cmp_class_f32_e64 s7, v8, 0x1f8
	v_cmp_neq_f32_e32 vcc_lo, v8, v6
	s_or_b32 s8, vcc_lo, s7
	s_wait_alu 0xfffe
	s_and_saveexec_b32 s7, s8
	s_cbranch_execz .LBB93_136
; %bb.135:
	v_sub_f32_e32 v5, v8, v6
	s_mov_b32 s8, 0x3e9b6dac
	s_delay_alu instid0(VALU_DEP_1) | instskip(SKIP_1) | instid1(VALU_DEP_2)
	v_mul_f32_e32 v7, 0x3fb8aa3b, v5
	v_cmp_ngt_f32_e32 vcc_lo, 0xc2ce8ed0, v5
	v_fma_f32 v8, 0x3fb8aa3b, v5, -v7
	v_rndne_f32_e32 v9, v7
	s_delay_alu instid0(VALU_DEP_1) | instskip(NEXT) | instid1(VALU_DEP_1)
	v_dual_fmamk_f32 v8, v5, 0x32a5705f, v8 :: v_dual_sub_f32 v7, v7, v9
	v_add_f32_e32 v7, v7, v8
	v_cvt_i32_f32_e32 v8, v9
	s_delay_alu instid0(VALU_DEP_2) | instskip(NEXT) | instid1(TRANS32_DEP_1)
	v_exp_f32_e32 v7, v7
	v_ldexp_f32 v7, v7, v8
	s_wait_alu 0xfffd
	s_delay_alu instid0(VALU_DEP_1) | instskip(SKIP_2) | instid1(VALU_DEP_2)
	v_cndmask_b32_e32 v7, 0, v7, vcc_lo
	v_cmp_nlt_f32_e32 vcc_lo, 0x42b17218, v5
	s_wait_alu 0xfffd
	v_cndmask_b32_e32 v5, 0x7f800000, v7, vcc_lo
	s_delay_alu instid0(VALU_DEP_1) | instskip(NEXT) | instid1(VALU_DEP_1)
	v_add_f32_e32 v9, 1.0, v5
	v_cvt_f64_f32_e32 v[7:8], v9
	s_delay_alu instid0(VALU_DEP_1) | instskip(SKIP_1) | instid1(VALU_DEP_1)
	v_frexp_exp_i32_f64_e32 v7, v[7:8]
	v_frexp_mant_f32_e32 v8, v9
	v_cmp_gt_f32_e32 vcc_lo, 0x3f2aaaab, v8
	v_add_f32_e32 v8, -1.0, v9
	s_delay_alu instid0(VALU_DEP_1) | instskip(SKIP_1) | instid1(VALU_DEP_2)
	v_sub_f32_e32 v14, v8, v9
	v_sub_f32_e32 v8, v5, v8
	v_add_f32_e32 v14, 1.0, v14
	s_delay_alu instid0(VALU_DEP_1) | instskip(SKIP_3) | instid1(VALU_DEP_2)
	v_add_f32_e32 v8, v8, v14
	s_wait_alu 0xfffd
	v_subrev_co_ci_u32_e64 v7, null, 0, v7, vcc_lo
	v_cmp_neq_f32_e32 vcc_lo, 0x7f800000, v5
	v_sub_nc_u32_e32 v13, 0, v7
	v_cvt_f32_i32_e32 v7, v7
	s_delay_alu instid0(VALU_DEP_2) | instskip(SKIP_1) | instid1(VALU_DEP_2)
	v_ldexp_f32 v9, v9, v13
	v_ldexp_f32 v8, v8, v13
	v_add_f32_e32 v21, 1.0, v9
	v_add_f32_e32 v13, -1.0, v9
	s_delay_alu instid0(VALU_DEP_1) | instskip(NEXT) | instid1(VALU_DEP_3)
	v_add_f32_e32 v22, 1.0, v13
	v_add_f32_e32 v14, -1.0, v21
	s_delay_alu instid0(VALU_DEP_1) | instskip(NEXT) | instid1(VALU_DEP_3)
	v_sub_f32_e32 v14, v9, v14
	v_sub_f32_e32 v9, v9, v22
	s_delay_alu instid0(VALU_DEP_2) | instskip(NEXT) | instid1(VALU_DEP_1)
	v_add_f32_e32 v14, v8, v14
	v_add_f32_e32 v22, v21, v14
	s_delay_alu instid0(VALU_DEP_1) | instskip(SKIP_1) | instid1(VALU_DEP_1)
	v_dual_add_f32 v8, v8, v9 :: v_dual_sub_f32 v21, v21, v22
	v_rcp_f32_e32 v9, v22
	v_dual_add_f32 v23, v13, v8 :: v_dual_add_f32 v14, v14, v21
	s_delay_alu instid0(TRANS32_DEP_1) | instid1(VALU_DEP_1)
	v_dual_sub_f32 v13, v13, v23 :: v_dual_mul_f32 v24, v23, v9
	s_delay_alu instid0(VALU_DEP_1) | instskip(NEXT) | instid1(VALU_DEP_1)
	v_dual_add_f32 v8, v8, v13 :: v_dual_mul_f32 v25, v22, v24
	v_fma_f32 v21, v24, v22, -v25
	s_delay_alu instid0(VALU_DEP_1) | instskip(NEXT) | instid1(VALU_DEP_1)
	v_fmac_f32_e32 v21, v24, v14
	v_add_f32_e32 v26, v25, v21
	s_delay_alu instid0(VALU_DEP_1) | instskip(NEXT) | instid1(VALU_DEP_1)
	v_sub_f32_e32 v27, v23, v26
	v_sub_f32_e32 v23, v23, v27
	s_delay_alu instid0(VALU_DEP_1) | instskip(NEXT) | instid1(VALU_DEP_1)
	v_sub_f32_e32 v23, v23, v26
	v_dual_sub_f32 v13, v26, v25 :: v_dual_add_f32 v8, v8, v23
	s_delay_alu instid0(VALU_DEP_1) | instskip(NEXT) | instid1(VALU_DEP_1)
	v_sub_f32_e32 v13, v13, v21
	v_add_f32_e32 v8, v13, v8
	s_delay_alu instid0(VALU_DEP_1) | instskip(NEXT) | instid1(VALU_DEP_1)
	v_add_f32_e32 v13, v27, v8
	v_mul_f32_e32 v21, v9, v13
	s_delay_alu instid0(VALU_DEP_1) | instskip(NEXT) | instid1(VALU_DEP_1)
	v_mul_f32_e32 v23, v22, v21
	v_fma_f32 v22, v21, v22, -v23
	s_delay_alu instid0(VALU_DEP_1) | instskip(SKIP_1) | instid1(VALU_DEP_2)
	v_fmac_f32_e32 v22, v21, v14
	v_sub_f32_e32 v26, v27, v13
	v_add_f32_e32 v14, v23, v22
	s_delay_alu instid0(VALU_DEP_2) | instskip(NEXT) | instid1(VALU_DEP_2)
	v_add_f32_e32 v8, v8, v26
	v_sub_f32_e32 v25, v13, v14
	v_sub_f32_e32 v23, v14, v23
	s_delay_alu instid0(VALU_DEP_2) | instskip(NEXT) | instid1(VALU_DEP_1)
	v_sub_f32_e32 v13, v13, v25
	v_sub_f32_e32 v13, v13, v14
	s_delay_alu instid0(VALU_DEP_3) | instskip(NEXT) | instid1(VALU_DEP_2)
	v_sub_f32_e32 v14, v23, v22
	v_add_f32_e32 v8, v8, v13
	s_delay_alu instid0(VALU_DEP_1) | instskip(NEXT) | instid1(VALU_DEP_1)
	v_dual_add_f32 v13, v24, v21 :: v_dual_add_f32 v8, v14, v8
	v_sub_f32_e32 v14, v13, v24
	s_delay_alu instid0(VALU_DEP_2) | instskip(NEXT) | instid1(VALU_DEP_2)
	v_add_f32_e32 v8, v25, v8
	v_sub_f32_e32 v14, v21, v14
	s_delay_alu instid0(VALU_DEP_2) | instskip(NEXT) | instid1(VALU_DEP_1)
	v_mul_f32_e32 v8, v9, v8
	v_add_f32_e32 v8, v14, v8
	s_delay_alu instid0(VALU_DEP_1) | instskip(NEXT) | instid1(VALU_DEP_1)
	v_add_f32_e32 v9, v13, v8
	v_mul_f32_e32 v14, v9, v9
	s_wait_alu 0xfffe
	s_delay_alu instid0(VALU_DEP_1) | instskip(SKIP_1) | instid1(VALU_DEP_2)
	v_fmaak_f32 v21, s8, v14, 0x3ecc95a3
	v_mul_f32_e32 v22, v9, v14
	v_fmaak_f32 v14, v14, v21, 0x3f2aaada
	v_ldexp_f32 v21, v9, 1
	s_delay_alu instid0(VALU_DEP_2) | instskip(SKIP_1) | instid1(VALU_DEP_2)
	v_dual_sub_f32 v9, v9, v13 :: v_dual_mul_f32 v14, v22, v14
	v_mul_f32_e32 v22, 0x3f317218, v7
	v_dual_sub_f32 v8, v8, v9 :: v_dual_add_f32 v13, v21, v14
	s_delay_alu instid0(VALU_DEP_1) | instskip(NEXT) | instid1(VALU_DEP_2)
	v_ldexp_f32 v8, v8, 1
	v_sub_f32_e32 v9, v13, v21
	s_delay_alu instid0(VALU_DEP_4) | instskip(NEXT) | instid1(VALU_DEP_2)
	v_fma_f32 v21, 0x3f317218, v7, -v22
	v_sub_f32_e32 v9, v14, v9
	s_delay_alu instid0(VALU_DEP_1) | instskip(NEXT) | instid1(VALU_DEP_1)
	v_dual_fmamk_f32 v7, v7, 0xb102e308, v21 :: v_dual_add_f32 v8, v8, v9
	v_add_f32_e32 v9, v22, v7
	s_delay_alu instid0(VALU_DEP_1) | instskip(NEXT) | instid1(VALU_DEP_1)
	v_sub_f32_e32 v22, v9, v22
	v_dual_add_f32 v14, v13, v8 :: v_dual_sub_f32 v7, v7, v22
	s_delay_alu instid0(VALU_DEP_1) | instskip(SKIP_1) | instid1(VALU_DEP_1)
	v_add_f32_e32 v21, v9, v14
	v_sub_f32_e32 v13, v14, v13
	v_sub_f32_e32 v8, v8, v13
	s_delay_alu instid0(VALU_DEP_3) | instskip(NEXT) | instid1(VALU_DEP_1)
	v_sub_f32_e32 v23, v21, v9
	v_dual_sub_f32 v13, v14, v23 :: v_dual_add_f32 v14, v7, v8
	v_sub_f32_e32 v24, v21, v23
	s_delay_alu instid0(VALU_DEP_1) | instskip(NEXT) | instid1(VALU_DEP_1)
	v_sub_f32_e32 v9, v9, v24
	v_add_f32_e32 v9, v13, v9
	s_delay_alu instid0(VALU_DEP_4) | instskip(NEXT) | instid1(VALU_DEP_2)
	v_sub_f32_e32 v13, v14, v7
	v_add_f32_e32 v9, v14, v9
	s_delay_alu instid0(VALU_DEP_1) | instskip(NEXT) | instid1(VALU_DEP_3)
	v_add_f32_e32 v22, v21, v9
	v_sub_f32_e32 v8, v8, v13
	v_sub_f32_e32 v14, v14, v13
	s_delay_alu instid0(VALU_DEP_3) | instskip(NEXT) | instid1(VALU_DEP_2)
	v_sub_f32_e32 v13, v22, v21
	v_sub_f32_e32 v7, v7, v14
	s_delay_alu instid0(VALU_DEP_1) | instskip(NEXT) | instid1(VALU_DEP_1)
	v_dual_add_f32 v7, v8, v7 :: v_dual_sub_f32 v8, v9, v13
	v_add_f32_e32 v7, v7, v8
	s_delay_alu instid0(VALU_DEP_1) | instskip(SKIP_1) | instid1(VALU_DEP_1)
	v_add_f32_e32 v7, v22, v7
	s_wait_alu 0xfffd
	v_cndmask_b32_e32 v7, 0x7f800000, v7, vcc_lo
	v_cmp_gt_f32_e64 vcc_lo, 0x33800000, |v5|
	s_wait_alu 0xfffd
	s_delay_alu instid0(VALU_DEP_2) | instskip(NEXT) | instid1(VALU_DEP_1)
	v_cndmask_b32_e32 v5, v7, v5, vcc_lo
	v_add_f32_e32 v5, v6, v5
.LBB93_136:
	s_wait_alu 0xfffe
	s_or_b32 exec_lo, exec_lo, s7
	s_delay_alu instid0(VALU_DEP_1) | instskip(SKIP_1) | instid1(VALU_DEP_2)
	v_max_num_f32_e32 v6, v5, v5
	v_cmp_u_f32_e32 vcc_lo, v5, v5
	v_min_num_f32_e32 v7, v6, v17
	v_max_num_f32_e32 v6, v6, v17
	s_wait_alu 0xfffd
	s_delay_alu instid0(VALU_DEP_2) | instskip(NEXT) | instid1(VALU_DEP_2)
	v_cndmask_b32_e32 v7, v7, v5, vcc_lo
	v_cndmask_b32_e32 v6, v6, v5, vcc_lo
	s_delay_alu instid0(VALU_DEP_2) | instskip(NEXT) | instid1(VALU_DEP_2)
	v_cndmask_b32_e64 v8, v7, v2, s2
	v_cndmask_b32_e64 v7, v6, v2, s2
	v_mov_b32_e32 v6, v5
	s_delay_alu instid0(VALU_DEP_3) | instskip(NEXT) | instid1(VALU_DEP_3)
	v_cmp_class_f32_e64 s2, v8, 0x1f8
	v_cmp_neq_f32_e32 vcc_lo, v8, v7
	s_or_b32 s7, vcc_lo, s2
	s_wait_alu 0xfffe
	s_and_saveexec_b32 s2, s7
	s_cbranch_execz .LBB93_138
; %bb.137:
	v_sub_f32_e32 v6, v8, v7
	s_mov_b32 s7, 0x3e9b6dac
	s_delay_alu instid0(VALU_DEP_1) | instskip(SKIP_1) | instid1(VALU_DEP_2)
	v_mul_f32_e32 v8, 0x3fb8aa3b, v6
	v_cmp_ngt_f32_e32 vcc_lo, 0xc2ce8ed0, v6
	v_fma_f32 v9, 0x3fb8aa3b, v6, -v8
	v_rndne_f32_e32 v13, v8
	s_delay_alu instid0(VALU_DEP_1) | instskip(NEXT) | instid1(VALU_DEP_1)
	v_dual_fmamk_f32 v9, v6, 0x32a5705f, v9 :: v_dual_sub_f32 v8, v8, v13
	v_add_f32_e32 v8, v8, v9
	v_cvt_i32_f32_e32 v9, v13
	s_delay_alu instid0(VALU_DEP_2) | instskip(NEXT) | instid1(TRANS32_DEP_1)
	v_exp_f32_e32 v8, v8
	v_ldexp_f32 v8, v8, v9
	s_wait_alu 0xfffd
	s_delay_alu instid0(VALU_DEP_1) | instskip(SKIP_2) | instid1(VALU_DEP_2)
	v_cndmask_b32_e32 v8, 0, v8, vcc_lo
	v_cmp_nlt_f32_e32 vcc_lo, 0x42b17218, v6
	s_wait_alu 0xfffd
	v_cndmask_b32_e32 v6, 0x7f800000, v8, vcc_lo
	s_delay_alu instid0(VALU_DEP_1) | instskip(NEXT) | instid1(VALU_DEP_1)
	v_add_f32_e32 v13, 1.0, v6
	v_cvt_f64_f32_e32 v[8:9], v13
	s_delay_alu instid0(VALU_DEP_1) | instskip(SKIP_1) | instid1(VALU_DEP_1)
	v_frexp_exp_i32_f64_e32 v8, v[8:9]
	v_frexp_mant_f32_e32 v9, v13
	v_cmp_gt_f32_e32 vcc_lo, 0x3f2aaaab, v9
	v_add_f32_e32 v9, -1.0, v13
	s_delay_alu instid0(VALU_DEP_1) | instskip(NEXT) | instid1(VALU_DEP_1)
	v_sub_f32_e32 v21, v9, v13
	v_add_f32_e32 v21, 1.0, v21
	v_sub_f32_e32 v9, v6, v9
	s_delay_alu instid0(VALU_DEP_1) | instskip(SKIP_3) | instid1(VALU_DEP_2)
	v_add_f32_e32 v9, v9, v21
	s_wait_alu 0xfffd
	v_subrev_co_ci_u32_e64 v8, null, 0, v8, vcc_lo
	v_cmp_neq_f32_e32 vcc_lo, 0x7f800000, v6
	v_sub_nc_u32_e32 v14, 0, v8
	v_cvt_f32_i32_e32 v8, v8
	s_delay_alu instid0(VALU_DEP_2) | instskip(SKIP_1) | instid1(VALU_DEP_2)
	v_ldexp_f32 v13, v13, v14
	v_ldexp_f32 v9, v9, v14
	v_add_f32_e32 v14, -1.0, v13
	s_delay_alu instid0(VALU_DEP_1) | instskip(NEXT) | instid1(VALU_DEP_1)
	v_dual_add_f32 v22, 1.0, v13 :: v_dual_add_f32 v23, 1.0, v14
	v_add_f32_e32 v21, -1.0, v22
	s_delay_alu instid0(VALU_DEP_1) | instskip(NEXT) | instid1(VALU_DEP_3)
	v_sub_f32_e32 v21, v13, v21
	v_sub_f32_e32 v13, v13, v23
	s_delay_alu instid0(VALU_DEP_2) | instskip(NEXT) | instid1(VALU_DEP_2)
	v_add_f32_e32 v21, v9, v21
	v_add_f32_e32 v9, v9, v13
	s_delay_alu instid0(VALU_DEP_1) | instskip(NEXT) | instid1(VALU_DEP_1)
	v_add_f32_e32 v24, v14, v9
	v_sub_f32_e32 v14, v14, v24
	s_delay_alu instid0(VALU_DEP_4) | instskip(NEXT) | instid1(VALU_DEP_1)
	v_add_f32_e32 v23, v22, v21
	v_rcp_f32_e32 v13, v23
	v_sub_f32_e32 v22, v22, v23
	s_delay_alu instid0(VALU_DEP_1) | instskip(NEXT) | instid1(TRANS32_DEP_1)
	v_add_f32_e32 v21, v21, v22
	v_mul_f32_e32 v25, v24, v13
	s_delay_alu instid0(VALU_DEP_1) | instskip(NEXT) | instid1(VALU_DEP_1)
	v_mul_f32_e32 v26, v23, v25
	v_fma_f32 v22, v25, v23, -v26
	s_delay_alu instid0(VALU_DEP_1) | instskip(NEXT) | instid1(VALU_DEP_1)
	v_fmac_f32_e32 v22, v25, v21
	v_add_f32_e32 v27, v26, v22
	s_delay_alu instid0(VALU_DEP_1) | instskip(NEXT) | instid1(VALU_DEP_1)
	v_sub_f32_e32 v28, v24, v27
	v_dual_sub_f32 v24, v24, v28 :: v_dual_add_f32 v9, v9, v14
	v_sub_f32_e32 v14, v27, v26
	s_delay_alu instid0(VALU_DEP_2) | instskip(NEXT) | instid1(VALU_DEP_1)
	v_sub_f32_e32 v24, v24, v27
	v_dual_sub_f32 v14, v14, v22 :: v_dual_add_f32 v9, v9, v24
	s_delay_alu instid0(VALU_DEP_1) | instskip(NEXT) | instid1(VALU_DEP_1)
	v_add_f32_e32 v9, v14, v9
	v_add_f32_e32 v14, v28, v9
	s_delay_alu instid0(VALU_DEP_1) | instskip(SKIP_1) | instid1(VALU_DEP_1)
	v_mul_f32_e32 v22, v13, v14
	v_sub_f32_e32 v27, v28, v14
	v_dual_mul_f32 v24, v23, v22 :: v_dual_add_f32 v9, v9, v27
	s_delay_alu instid0(VALU_DEP_1) | instskip(NEXT) | instid1(VALU_DEP_1)
	v_fma_f32 v23, v22, v23, -v24
	v_fmac_f32_e32 v23, v22, v21
	s_delay_alu instid0(VALU_DEP_1) | instskip(NEXT) | instid1(VALU_DEP_1)
	v_add_f32_e32 v21, v24, v23
	v_sub_f32_e32 v26, v14, v21
	v_sub_f32_e32 v24, v21, v24
	s_delay_alu instid0(VALU_DEP_2) | instskip(NEXT) | instid1(VALU_DEP_1)
	v_sub_f32_e32 v14, v14, v26
	v_dual_sub_f32 v14, v14, v21 :: v_dual_sub_f32 v21, v24, v23
	s_delay_alu instid0(VALU_DEP_1) | instskip(NEXT) | instid1(VALU_DEP_1)
	v_add_f32_e32 v9, v9, v14
	v_add_f32_e32 v9, v21, v9
	s_delay_alu instid0(VALU_DEP_1) | instskip(NEXT) | instid1(VALU_DEP_1)
	v_dual_add_f32 v14, v25, v22 :: v_dual_add_f32 v9, v26, v9
	v_sub_f32_e32 v21, v14, v25
	s_delay_alu instid0(VALU_DEP_2) | instskip(NEXT) | instid1(VALU_DEP_2)
	v_mul_f32_e32 v9, v13, v9
	v_sub_f32_e32 v21, v22, v21
	s_delay_alu instid0(VALU_DEP_1) | instskip(NEXT) | instid1(VALU_DEP_1)
	v_add_f32_e32 v9, v21, v9
	v_add_f32_e32 v13, v14, v9
	s_delay_alu instid0(VALU_DEP_1) | instskip(SKIP_1) | instid1(VALU_DEP_1)
	v_mul_f32_e32 v21, v13, v13
	s_wait_alu 0xfffe
	v_fmaak_f32 v22, s7, v21, 0x3ecc95a3
	v_mul_f32_e32 v23, v13, v21
	s_delay_alu instid0(VALU_DEP_2) | instskip(SKIP_1) | instid1(VALU_DEP_2)
	v_fmaak_f32 v21, v21, v22, 0x3f2aaada
	v_ldexp_f32 v22, v13, 1
	v_mul_f32_e32 v21, v23, v21
	s_delay_alu instid0(VALU_DEP_1) | instskip(NEXT) | instid1(VALU_DEP_1)
	v_dual_sub_f32 v13, v13, v14 :: v_dual_add_f32 v14, v22, v21
	v_sub_f32_e32 v9, v9, v13
	s_delay_alu instid0(VALU_DEP_2) | instskip(NEXT) | instid1(VALU_DEP_2)
	v_sub_f32_e32 v13, v14, v22
	v_ldexp_f32 v9, v9, 1
	s_delay_alu instid0(VALU_DEP_2) | instskip(NEXT) | instid1(VALU_DEP_1)
	v_sub_f32_e32 v13, v21, v13
	v_add_f32_e32 v9, v9, v13
	s_delay_alu instid0(VALU_DEP_1) | instskip(NEXT) | instid1(VALU_DEP_1)
	v_add_f32_e32 v21, v14, v9
	v_dual_mul_f32 v23, 0x3f317218, v8 :: v_dual_sub_f32 v14, v21, v14
	s_delay_alu instid0(VALU_DEP_1) | instskip(NEXT) | instid1(VALU_DEP_1)
	v_fma_f32 v22, 0x3f317218, v8, -v23
	v_dual_sub_f32 v9, v9, v14 :: v_dual_fmamk_f32 v8, v8, 0xb102e308, v22
	s_delay_alu instid0(VALU_DEP_1) | instskip(NEXT) | instid1(VALU_DEP_1)
	v_add_f32_e32 v13, v23, v8
	v_add_f32_e32 v22, v13, v21
	s_delay_alu instid0(VALU_DEP_1) | instskip(NEXT) | instid1(VALU_DEP_1)
	v_dual_sub_f32 v23, v13, v23 :: v_dual_sub_f32 v24, v22, v13
	v_dual_sub_f32 v8, v8, v23 :: v_dual_sub_f32 v25, v22, v24
	s_delay_alu instid0(VALU_DEP_1) | instskip(NEXT) | instid1(VALU_DEP_2)
	v_dual_sub_f32 v14, v21, v24 :: v_dual_add_f32 v21, v8, v9
	v_sub_f32_e32 v13, v13, v25
	s_delay_alu instid0(VALU_DEP_1) | instskip(NEXT) | instid1(VALU_DEP_1)
	v_dual_add_f32 v13, v14, v13 :: v_dual_sub_f32 v14, v21, v8
	v_add_f32_e32 v13, v21, v13
	s_delay_alu instid0(VALU_DEP_2) | instskip(SKIP_1) | instid1(VALU_DEP_3)
	v_sub_f32_e32 v21, v21, v14
	v_sub_f32_e32 v9, v9, v14
	v_add_f32_e32 v23, v22, v13
	s_delay_alu instid0(VALU_DEP_3) | instskip(NEXT) | instid1(VALU_DEP_2)
	v_sub_f32_e32 v8, v8, v21
	v_sub_f32_e32 v14, v23, v22
	s_delay_alu instid0(VALU_DEP_2) | instskip(NEXT) | instid1(VALU_DEP_2)
	v_add_f32_e32 v8, v9, v8
	v_sub_f32_e32 v9, v13, v14
	s_delay_alu instid0(VALU_DEP_1) | instskip(NEXT) | instid1(VALU_DEP_1)
	v_add_f32_e32 v8, v8, v9
	v_add_f32_e32 v8, v23, v8
	s_wait_alu 0xfffd
	s_delay_alu instid0(VALU_DEP_1) | instskip(SKIP_2) | instid1(VALU_DEP_2)
	v_cndmask_b32_e32 v8, 0x7f800000, v8, vcc_lo
	v_cmp_gt_f32_e64 vcc_lo, 0x33800000, |v6|
	s_wait_alu 0xfffd
	v_cndmask_b32_e32 v6, v8, v6, vcc_lo
	s_delay_alu instid0(VALU_DEP_1)
	v_add_f32_e32 v6, v7, v6
.LBB93_138:
	s_wait_alu 0xfffe
	s_or_b32 exec_lo, exec_lo, s2
	s_delay_alu instid0(VALU_DEP_1) | instskip(SKIP_1) | instid1(VALU_DEP_2)
	v_max_num_f32_e32 v7, v6, v6
	v_cmp_u_f32_e32 vcc_lo, v6, v6
	v_min_num_f32_e32 v8, v7, v10
	v_max_num_f32_e32 v7, v7, v10
	s_wait_alu 0xfffd
	s_delay_alu instid0(VALU_DEP_2) | instskip(NEXT) | instid1(VALU_DEP_2)
	v_cndmask_b32_e32 v8, v8, v6, vcc_lo
	v_cndmask_b32_e32 v7, v7, v6, vcc_lo
	s_delay_alu instid0(VALU_DEP_2) | instskip(NEXT) | instid1(VALU_DEP_2)
	v_cndmask_b32_e64 v9, v8, v3, s3
	v_cndmask_b32_e64 v8, v7, v3, s3
	v_mov_b32_e32 v7, v6
	s_delay_alu instid0(VALU_DEP_3) | instskip(NEXT) | instid1(VALU_DEP_3)
	v_cmp_class_f32_e64 s2, v9, 0x1f8
	v_cmp_neq_f32_e32 vcc_lo, v9, v8
	s_or_b32 s3, vcc_lo, s2
	s_wait_alu 0xfffe
	s_and_saveexec_b32 s2, s3
	s_cbranch_execz .LBB93_140
; %bb.139:
	v_sub_f32_e32 v7, v9, v8
	s_mov_b32 s3, 0x3e9b6dac
	s_delay_alu instid0(VALU_DEP_1) | instskip(SKIP_1) | instid1(VALU_DEP_2)
	v_mul_f32_e32 v9, 0x3fb8aa3b, v7
	v_cmp_ngt_f32_e32 vcc_lo, 0xc2ce8ed0, v7
	v_fma_f32 v10, 0x3fb8aa3b, v7, -v9
	v_rndne_f32_e32 v13, v9
	s_delay_alu instid0(VALU_DEP_1) | instskip(NEXT) | instid1(VALU_DEP_1)
	v_dual_fmamk_f32 v10, v7, 0x32a5705f, v10 :: v_dual_sub_f32 v9, v9, v13
	v_add_f32_e32 v9, v9, v10
	v_cvt_i32_f32_e32 v10, v13
	s_delay_alu instid0(VALU_DEP_2) | instskip(NEXT) | instid1(TRANS32_DEP_1)
	v_exp_f32_e32 v9, v9
	v_ldexp_f32 v9, v9, v10
	s_wait_alu 0xfffd
	s_delay_alu instid0(VALU_DEP_1) | instskip(SKIP_2) | instid1(VALU_DEP_2)
	v_cndmask_b32_e32 v9, 0, v9, vcc_lo
	v_cmp_nlt_f32_e32 vcc_lo, 0x42b17218, v7
	s_wait_alu 0xfffd
	v_cndmask_b32_e32 v7, 0x7f800000, v9, vcc_lo
	s_delay_alu instid0(VALU_DEP_1) | instskip(NEXT) | instid1(VALU_DEP_1)
	v_add_f32_e32 v13, 1.0, v7
	v_cvt_f64_f32_e32 v[9:10], v13
	s_delay_alu instid0(VALU_DEP_1) | instskip(SKIP_1) | instid1(VALU_DEP_1)
	v_frexp_exp_i32_f64_e32 v9, v[9:10]
	v_frexp_mant_f32_e32 v10, v13
	v_cmp_gt_f32_e32 vcc_lo, 0x3f2aaaab, v10
	v_add_f32_e32 v10, -1.0, v13
	s_delay_alu instid0(VALU_DEP_1) | instskip(NEXT) | instid1(VALU_DEP_1)
	v_dual_sub_f32 v21, v10, v13 :: v_dual_sub_f32 v10, v7, v10
	v_add_f32_e32 v21, 1.0, v21
	s_delay_alu instid0(VALU_DEP_1) | instskip(SKIP_2) | instid1(VALU_DEP_1)
	v_add_f32_e32 v10, v10, v21
	s_wait_alu 0xfffd
	v_subrev_co_ci_u32_e64 v9, null, 0, v9, vcc_lo
	v_sub_nc_u32_e32 v14, 0, v9
	v_cvt_f32_i32_e32 v9, v9
	s_delay_alu instid0(VALU_DEP_2) | instskip(SKIP_1) | instid1(VALU_DEP_2)
	v_ldexp_f32 v13, v13, v14
	v_ldexp_f32 v10, v10, v14
	v_add_f32_e32 v22, 1.0, v13
	s_delay_alu instid0(VALU_DEP_1) | instskip(NEXT) | instid1(VALU_DEP_1)
	v_dual_add_f32 v14, -1.0, v13 :: v_dual_add_f32 v21, -1.0, v22
	v_add_f32_e32 v23, 1.0, v14
	s_delay_alu instid0(VALU_DEP_2) | instskip(NEXT) | instid1(VALU_DEP_2)
	v_sub_f32_e32 v21, v13, v21
	v_sub_f32_e32 v13, v13, v23
	s_delay_alu instid0(VALU_DEP_2) | instskip(NEXT) | instid1(VALU_DEP_2)
	v_add_f32_e32 v21, v10, v21
	v_add_f32_e32 v10, v10, v13
	s_delay_alu instid0(VALU_DEP_2) | instskip(NEXT) | instid1(VALU_DEP_2)
	v_add_f32_e32 v23, v22, v21
	v_add_f32_e32 v24, v14, v10
	s_delay_alu instid0(VALU_DEP_2) | instskip(SKIP_2) | instid1(VALU_DEP_3)
	v_rcp_f32_e32 v13, v23
	v_sub_f32_e32 v22, v22, v23
	v_cmp_neq_f32_e32 vcc_lo, 0x7f800000, v7
	v_sub_f32_e32 v14, v14, v24
	s_delay_alu instid0(VALU_DEP_1) | instskip(NEXT) | instid1(VALU_DEP_4)
	v_add_f32_e32 v10, v10, v14
	v_add_f32_e32 v21, v21, v22
	s_delay_alu instid0(TRANS32_DEP_1) | instskip(NEXT) | instid1(VALU_DEP_1)
	v_mul_f32_e32 v25, v24, v13
	v_mul_f32_e32 v26, v23, v25
	s_delay_alu instid0(VALU_DEP_1) | instskip(NEXT) | instid1(VALU_DEP_1)
	v_fma_f32 v22, v25, v23, -v26
	v_fmac_f32_e32 v22, v25, v21
	s_delay_alu instid0(VALU_DEP_1) | instskip(NEXT) | instid1(VALU_DEP_1)
	v_add_f32_e32 v27, v26, v22
	v_sub_f32_e32 v28, v24, v27
	v_sub_f32_e32 v14, v27, v26
	s_delay_alu instid0(VALU_DEP_2) | instskip(NEXT) | instid1(VALU_DEP_2)
	v_sub_f32_e32 v24, v24, v28
	v_sub_f32_e32 v14, v14, v22
	s_delay_alu instid0(VALU_DEP_2) | instskip(NEXT) | instid1(VALU_DEP_1)
	v_sub_f32_e32 v24, v24, v27
	v_add_f32_e32 v10, v10, v24
	s_delay_alu instid0(VALU_DEP_1) | instskip(NEXT) | instid1(VALU_DEP_1)
	v_add_f32_e32 v10, v14, v10
	v_add_f32_e32 v14, v28, v10
	s_delay_alu instid0(VALU_DEP_1) | instskip(NEXT) | instid1(VALU_DEP_1)
	v_mul_f32_e32 v22, v13, v14
	v_mul_f32_e32 v24, v23, v22
	s_delay_alu instid0(VALU_DEP_1) | instskip(NEXT) | instid1(VALU_DEP_1)
	v_fma_f32 v23, v22, v23, -v24
	v_fmac_f32_e32 v23, v22, v21
	v_sub_f32_e32 v27, v28, v14
	s_delay_alu instid0(VALU_DEP_2) | instskip(NEXT) | instid1(VALU_DEP_2)
	v_add_f32_e32 v21, v24, v23
	v_add_f32_e32 v10, v10, v27
	s_delay_alu instid0(VALU_DEP_2) | instskip(SKIP_1) | instid1(VALU_DEP_2)
	v_sub_f32_e32 v26, v14, v21
	v_sub_f32_e32 v24, v21, v24
	;; [unrolled: 1-line block ×3, first 2 shown]
	s_delay_alu instid0(VALU_DEP_1) | instskip(NEXT) | instid1(VALU_DEP_1)
	v_dual_sub_f32 v14, v14, v21 :: v_dual_sub_f32 v21, v24, v23
	v_add_f32_e32 v10, v10, v14
	v_add_f32_e32 v14, v25, v22
	s_delay_alu instid0(VALU_DEP_1) | instskip(NEXT) | instid1(VALU_DEP_1)
	v_dual_add_f32 v10, v21, v10 :: v_dual_sub_f32 v21, v14, v25
	v_add_f32_e32 v10, v26, v10
	s_delay_alu instid0(VALU_DEP_1) | instskip(NEXT) | instid1(VALU_DEP_1)
	v_dual_sub_f32 v21, v22, v21 :: v_dual_mul_f32 v10, v13, v10
	v_add_f32_e32 v10, v21, v10
	s_delay_alu instid0(VALU_DEP_1) | instskip(NEXT) | instid1(VALU_DEP_1)
	v_add_f32_e32 v13, v14, v10
	v_mul_f32_e32 v21, v13, v13
	s_wait_alu 0xfffe
	s_delay_alu instid0(VALU_DEP_1) | instskip(SKIP_1) | instid1(VALU_DEP_2)
	v_fmaak_f32 v22, s3, v21, 0x3ecc95a3
	v_mul_f32_e32 v23, v13, v21
	v_fmaak_f32 v21, v21, v22, 0x3f2aaada
	v_ldexp_f32 v22, v13, 1
	s_delay_alu instid0(VALU_DEP_2) | instskip(SKIP_1) | instid1(VALU_DEP_2)
	v_mul_f32_e32 v21, v23, v21
	v_mul_f32_e32 v23, 0x3f317218, v9
	v_dual_sub_f32 v13, v13, v14 :: v_dual_add_f32 v14, v22, v21
	s_delay_alu instid0(VALU_DEP_1) | instskip(NEXT) | instid1(VALU_DEP_2)
	v_sub_f32_e32 v10, v10, v13
	v_sub_f32_e32 v13, v14, v22
	s_delay_alu instid0(VALU_DEP_4) | instskip(NEXT) | instid1(VALU_DEP_3)
	v_fma_f32 v22, 0x3f317218, v9, -v23
	v_ldexp_f32 v10, v10, 1
	s_delay_alu instid0(VALU_DEP_3) | instskip(NEXT) | instid1(VALU_DEP_1)
	v_sub_f32_e32 v13, v21, v13
	v_dual_fmamk_f32 v9, v9, 0xb102e308, v22 :: v_dual_add_f32 v10, v10, v13
	s_delay_alu instid0(VALU_DEP_1) | instskip(NEXT) | instid1(VALU_DEP_1)
	v_add_f32_e32 v13, v23, v9
	v_sub_f32_e32 v23, v13, v23
	s_delay_alu instid0(VALU_DEP_1) | instskip(NEXT) | instid1(VALU_DEP_4)
	v_sub_f32_e32 v9, v9, v23
	v_add_f32_e32 v21, v14, v10
	s_delay_alu instid0(VALU_DEP_1) | instskip(SKIP_1) | instid1(VALU_DEP_1)
	v_add_f32_e32 v22, v13, v21
	v_sub_f32_e32 v14, v21, v14
	v_sub_f32_e32 v10, v10, v14
	s_delay_alu instid0(VALU_DEP_3) | instskip(NEXT) | instid1(VALU_DEP_1)
	v_sub_f32_e32 v24, v22, v13
	v_sub_f32_e32 v14, v21, v24
	s_delay_alu instid0(VALU_DEP_3) | instskip(SKIP_1) | instid1(VALU_DEP_1)
	v_add_f32_e32 v21, v9, v10
	v_sub_f32_e32 v25, v22, v24
	v_sub_f32_e32 v13, v13, v25
	s_delay_alu instid0(VALU_DEP_1) | instskip(NEXT) | instid1(VALU_DEP_4)
	v_add_f32_e32 v13, v14, v13
	v_sub_f32_e32 v14, v21, v9
	s_delay_alu instid0(VALU_DEP_1) | instskip(SKIP_1) | instid1(VALU_DEP_2)
	v_dual_add_f32 v13, v21, v13 :: v_dual_sub_f32 v10, v10, v14
	v_sub_f32_e32 v21, v21, v14
	v_add_f32_e32 v23, v22, v13
	s_delay_alu instid0(VALU_DEP_1) | instskip(NEXT) | instid1(VALU_DEP_1)
	v_dual_sub_f32 v9, v9, v21 :: v_dual_sub_f32 v14, v23, v22
	v_dual_add_f32 v9, v10, v9 :: v_dual_sub_f32 v10, v13, v14
	s_delay_alu instid0(VALU_DEP_1) | instskip(NEXT) | instid1(VALU_DEP_1)
	v_add_f32_e32 v9, v9, v10
	v_add_f32_e32 v9, v23, v9
	s_wait_alu 0xfffd
	s_delay_alu instid0(VALU_DEP_1) | instskip(SKIP_2) | instid1(VALU_DEP_2)
	v_cndmask_b32_e32 v9, 0x7f800000, v9, vcc_lo
	v_cmp_gt_f32_e64 vcc_lo, 0x33800000, |v7|
	s_wait_alu 0xfffd
	v_cndmask_b32_e32 v7, v9, v7, vcc_lo
	s_delay_alu instid0(VALU_DEP_1)
	v_add_f32_e32 v7, v8, v7
.LBB93_140:
	s_wait_alu 0xfffe
	s_or_b32 exec_lo, exec_lo, s2
	s_delay_alu instid0(VALU_DEP_1) | instskip(SKIP_1) | instid1(VALU_DEP_2)
	v_max_num_f32_e32 v8, v7, v7
	v_cmp_u_f32_e32 vcc_lo, v7, v7
	v_min_num_f32_e32 v9, v8, v18
	s_wait_alu 0xfffd
	s_delay_alu instid0(VALU_DEP_1) | instskip(NEXT) | instid1(VALU_DEP_1)
	v_dual_max_num_f32 v8, v8, v18 :: v_dual_cndmask_b32 v9, v9, v7
	v_cndmask_b32_e32 v8, v8, v7, vcc_lo
	s_delay_alu instid0(VALU_DEP_2) | instskip(NEXT) | instid1(VALU_DEP_2)
	v_cndmask_b32_e64 v10, v9, v4, s4
	v_cndmask_b32_e64 v9, v8, v4, s4
	v_mov_b32_e32 v8, v7
	s_delay_alu instid0(VALU_DEP_3) | instskip(NEXT) | instid1(VALU_DEP_3)
	v_cmp_class_f32_e64 s2, v10, 0x1f8
	v_cmp_neq_f32_e32 vcc_lo, v10, v9
	s_or_b32 s3, vcc_lo, s2
	s_wait_alu 0xfffe
	s_and_saveexec_b32 s2, s3
	s_cbranch_execz .LBB93_142
; %bb.141:
	v_sub_f32_e32 v8, v10, v9
	s_mov_b32 s3, 0x3e9b6dac
	s_delay_alu instid0(VALU_DEP_1) | instskip(SKIP_1) | instid1(VALU_DEP_2)
	v_mul_f32_e32 v10, 0x3fb8aa3b, v8
	v_cmp_ngt_f32_e32 vcc_lo, 0xc2ce8ed0, v8
	v_fma_f32 v13, 0x3fb8aa3b, v8, -v10
	v_rndne_f32_e32 v14, v10
	s_delay_alu instid0(VALU_DEP_1) | instskip(NEXT) | instid1(VALU_DEP_1)
	v_dual_fmamk_f32 v13, v8, 0x32a5705f, v13 :: v_dual_sub_f32 v10, v10, v14
	v_add_f32_e32 v10, v10, v13
	v_cvt_i32_f32_e32 v13, v14
	s_delay_alu instid0(VALU_DEP_2) | instskip(NEXT) | instid1(TRANS32_DEP_1)
	v_exp_f32_e32 v10, v10
	v_ldexp_f32 v10, v10, v13
	s_wait_alu 0xfffd
	s_delay_alu instid0(VALU_DEP_1) | instskip(SKIP_2) | instid1(VALU_DEP_2)
	v_cndmask_b32_e32 v10, 0, v10, vcc_lo
	v_cmp_nlt_f32_e32 vcc_lo, 0x42b17218, v8
	s_wait_alu 0xfffd
	v_cndmask_b32_e32 v8, 0x7f800000, v10, vcc_lo
	s_delay_alu instid0(VALU_DEP_1) | instskip(NEXT) | instid1(VALU_DEP_1)
	v_add_f32_e32 v10, 1.0, v8
	v_cvt_f64_f32_e32 v[13:14], v10
	s_delay_alu instid0(VALU_DEP_1) | instskip(SKIP_1) | instid1(VALU_DEP_1)
	v_frexp_exp_i32_f64_e32 v13, v[13:14]
	v_frexp_mant_f32_e32 v14, v10
	v_cmp_gt_f32_e32 vcc_lo, 0x3f2aaaab, v14
	v_add_f32_e32 v14, -1.0, v10
	s_delay_alu instid0(VALU_DEP_1) | instskip(NEXT) | instid1(VALU_DEP_1)
	v_sub_f32_e32 v21, v14, v10
	v_dual_sub_f32 v14, v8, v14 :: v_dual_add_f32 v21, 1.0, v21
	s_delay_alu instid0(VALU_DEP_1) | instskip(SKIP_2) | instid1(VALU_DEP_1)
	v_add_f32_e32 v14, v14, v21
	s_wait_alu 0xfffd
	v_subrev_co_ci_u32_e64 v13, null, 0, v13, vcc_lo
	v_sub_nc_u32_e32 v18, 0, v13
	v_cvt_f32_i32_e32 v13, v13
	s_delay_alu instid0(VALU_DEP_2) | instskip(SKIP_1) | instid1(VALU_DEP_2)
	v_ldexp_f32 v10, v10, v18
	v_ldexp_f32 v14, v14, v18
	v_add_f32_e32 v22, 1.0, v10
	v_add_f32_e32 v18, -1.0, v10
	s_delay_alu instid0(VALU_DEP_2) | instskip(NEXT) | instid1(VALU_DEP_2)
	v_add_f32_e32 v21, -1.0, v22
	v_add_f32_e32 v23, 1.0, v18
	s_delay_alu instid0(VALU_DEP_2) | instskip(NEXT) | instid1(VALU_DEP_2)
	v_sub_f32_e32 v21, v10, v21
	v_sub_f32_e32 v10, v10, v23
	v_cmp_neq_f32_e32 vcc_lo, 0x7f800000, v8
	s_delay_alu instid0(VALU_DEP_3) | instskip(NEXT) | instid1(VALU_DEP_3)
	v_add_f32_e32 v21, v14, v21
	v_add_f32_e32 v10, v14, v10
	s_delay_alu instid0(VALU_DEP_2) | instskip(NEXT) | instid1(VALU_DEP_2)
	v_add_f32_e32 v23, v22, v21
	v_add_f32_e32 v24, v18, v10
	s_delay_alu instid0(VALU_DEP_2) | instskip(SKIP_1) | instid1(VALU_DEP_1)
	v_rcp_f32_e32 v14, v23
	v_sub_f32_e32 v22, v22, v23
	v_dual_sub_f32 v18, v18, v24 :: v_dual_add_f32 v21, v21, v22
	s_delay_alu instid0(VALU_DEP_1) | instskip(NEXT) | instid1(TRANS32_DEP_1)
	v_add_f32_e32 v10, v10, v18
	v_mul_f32_e32 v25, v24, v14
	s_delay_alu instid0(VALU_DEP_1) | instskip(NEXT) | instid1(VALU_DEP_1)
	v_mul_f32_e32 v26, v23, v25
	v_fma_f32 v22, v25, v23, -v26
	s_delay_alu instid0(VALU_DEP_1) | instskip(NEXT) | instid1(VALU_DEP_1)
	v_fmac_f32_e32 v22, v25, v21
	v_add_f32_e32 v27, v26, v22
	s_delay_alu instid0(VALU_DEP_1) | instskip(NEXT) | instid1(VALU_DEP_1)
	v_sub_f32_e32 v28, v24, v27
	v_sub_f32_e32 v24, v24, v28
	;; [unrolled: 1-line block ×3, first 2 shown]
	s_delay_alu instid0(VALU_DEP_2) | instskip(NEXT) | instid1(VALU_DEP_2)
	v_sub_f32_e32 v24, v24, v27
	v_sub_f32_e32 v18, v18, v22
	s_delay_alu instid0(VALU_DEP_2) | instskip(NEXT) | instid1(VALU_DEP_1)
	v_add_f32_e32 v10, v10, v24
	v_add_f32_e32 v10, v18, v10
	s_delay_alu instid0(VALU_DEP_1) | instskip(NEXT) | instid1(VALU_DEP_1)
	v_add_f32_e32 v18, v28, v10
	v_mul_f32_e32 v22, v14, v18
	v_sub_f32_e32 v27, v28, v18
	s_delay_alu instid0(VALU_DEP_2) | instskip(NEXT) | instid1(VALU_DEP_2)
	v_mul_f32_e32 v24, v23, v22
	v_add_f32_e32 v10, v10, v27
	s_delay_alu instid0(VALU_DEP_2) | instskip(NEXT) | instid1(VALU_DEP_1)
	v_fma_f32 v23, v22, v23, -v24
	v_fmac_f32_e32 v23, v22, v21
	s_delay_alu instid0(VALU_DEP_1) | instskip(NEXT) | instid1(VALU_DEP_1)
	v_add_f32_e32 v21, v24, v23
	v_sub_f32_e32 v26, v18, v21
	v_sub_f32_e32 v24, v21, v24
	s_delay_alu instid0(VALU_DEP_2) | instskip(NEXT) | instid1(VALU_DEP_1)
	v_sub_f32_e32 v18, v18, v26
	v_dual_sub_f32 v18, v18, v21 :: v_dual_sub_f32 v21, v24, v23
	s_delay_alu instid0(VALU_DEP_1) | instskip(SKIP_1) | instid1(VALU_DEP_1)
	v_add_f32_e32 v10, v10, v18
	v_add_f32_e32 v18, v25, v22
	v_dual_add_f32 v10, v21, v10 :: v_dual_sub_f32 v21, v18, v25
	s_delay_alu instid0(VALU_DEP_1) | instskip(NEXT) | instid1(VALU_DEP_2)
	v_add_f32_e32 v10, v26, v10
	v_sub_f32_e32 v21, v22, v21
	s_delay_alu instid0(VALU_DEP_2) | instskip(NEXT) | instid1(VALU_DEP_1)
	v_mul_f32_e32 v10, v14, v10
	v_add_f32_e32 v10, v21, v10
	s_delay_alu instid0(VALU_DEP_1) | instskip(NEXT) | instid1(VALU_DEP_1)
	v_add_f32_e32 v14, v18, v10
	v_mul_f32_e32 v21, v14, v14
	s_wait_alu 0xfffe
	s_delay_alu instid0(VALU_DEP_1) | instskip(SKIP_1) | instid1(VALU_DEP_2)
	v_fmaak_f32 v22, s3, v21, 0x3ecc95a3
	v_mul_f32_e32 v23, v14, v21
	v_fmaak_f32 v21, v21, v22, 0x3f2aaada
	v_ldexp_f32 v22, v14, 1
	s_delay_alu instid0(VALU_DEP_2) | instskip(NEXT) | instid1(VALU_DEP_1)
	v_dual_sub_f32 v14, v14, v18 :: v_dual_mul_f32 v21, v23, v21
	v_dual_mul_f32 v23, 0x3f317218, v13 :: v_dual_sub_f32 v10, v10, v14
	s_delay_alu instid0(VALU_DEP_2) | instskip(NEXT) | instid1(VALU_DEP_2)
	v_add_f32_e32 v18, v22, v21
	v_ldexp_f32 v10, v10, 1
	s_delay_alu instid0(VALU_DEP_2) | instskip(NEXT) | instid1(VALU_DEP_4)
	v_sub_f32_e32 v14, v18, v22
	v_fma_f32 v22, 0x3f317218, v13, -v23
	s_delay_alu instid0(VALU_DEP_2) | instskip(NEXT) | instid1(VALU_DEP_1)
	v_sub_f32_e32 v14, v21, v14
	v_dual_fmamk_f32 v13, v13, 0xb102e308, v22 :: v_dual_add_f32 v10, v10, v14
	s_delay_alu instid0(VALU_DEP_1) | instskip(NEXT) | instid1(VALU_DEP_1)
	v_dual_add_f32 v14, v23, v13 :: v_dual_add_f32 v21, v18, v10
	v_sub_f32_e32 v23, v14, v23
	s_delay_alu instid0(VALU_DEP_2) | instskip(SKIP_1) | instid1(VALU_DEP_2)
	v_add_f32_e32 v22, v14, v21
	v_sub_f32_e32 v18, v21, v18
	v_dual_sub_f32 v13, v13, v23 :: v_dual_sub_f32 v24, v22, v14
	s_delay_alu instid0(VALU_DEP_2) | instskip(NEXT) | instid1(VALU_DEP_2)
	v_sub_f32_e32 v10, v10, v18
	v_sub_f32_e32 v25, v22, v24
	;; [unrolled: 1-line block ×3, first 2 shown]
	s_delay_alu instid0(VALU_DEP_2) | instskip(NEXT) | instid1(VALU_DEP_1)
	v_dual_add_f32 v21, v13, v10 :: v_dual_sub_f32 v14, v14, v25
	v_add_f32_e32 v14, v18, v14
	s_delay_alu instid0(VALU_DEP_2) | instskip(NEXT) | instid1(VALU_DEP_2)
	v_sub_f32_e32 v18, v21, v13
	v_add_f32_e32 v14, v21, v14
	s_delay_alu instid0(VALU_DEP_2) | instskip(SKIP_1) | instid1(VALU_DEP_3)
	v_sub_f32_e32 v21, v21, v18
	v_sub_f32_e32 v10, v10, v18
	v_add_f32_e32 v23, v22, v14
	s_delay_alu instid0(VALU_DEP_1) | instskip(NEXT) | instid1(VALU_DEP_1)
	v_dual_sub_f32 v13, v13, v21 :: v_dual_sub_f32 v18, v23, v22
	v_add_f32_e32 v10, v10, v13
	s_delay_alu instid0(VALU_DEP_2) | instskip(NEXT) | instid1(VALU_DEP_1)
	v_sub_f32_e32 v13, v14, v18
	v_add_f32_e32 v10, v10, v13
	s_delay_alu instid0(VALU_DEP_1) | instskip(SKIP_1) | instid1(VALU_DEP_1)
	v_add_f32_e32 v10, v23, v10
	s_wait_alu 0xfffd
	v_cndmask_b32_e32 v10, 0x7f800000, v10, vcc_lo
	v_cmp_gt_f32_e64 vcc_lo, 0x33800000, |v8|
	s_wait_alu 0xfffd
	s_delay_alu instid0(VALU_DEP_2) | instskip(NEXT) | instid1(VALU_DEP_1)
	v_cndmask_b32_e32 v8, v10, v8, vcc_lo
	v_add_f32_e32 v8, v9, v8
.LBB93_142:
	s_wait_alu 0xfffe
	s_or_b32 exec_lo, exec_lo, s2
	s_delay_alu instid0(VALU_DEP_1) | instskip(SKIP_1) | instid1(VALU_DEP_2)
	v_max_num_f32_e32 v9, v8, v8
	v_cmp_u_f32_e32 vcc_lo, v8, v8
	v_min_num_f32_e32 v10, v9, v19
	s_wait_alu 0xfffd
	s_delay_alu instid0(VALU_DEP_1) | instskip(NEXT) | instid1(VALU_DEP_1)
	v_dual_max_num_f32 v9, v9, v19 :: v_dual_cndmask_b32 v10, v10, v8
	v_cndmask_b32_e32 v9, v9, v8, vcc_lo
	s_delay_alu instid0(VALU_DEP_2) | instskip(NEXT) | instid1(VALU_DEP_2)
	v_cndmask_b32_e64 v13, v10, v11, s5
	v_cndmask_b32_e64 v10, v9, v11, s5
	v_mov_b32_e32 v9, v8
	s_delay_alu instid0(VALU_DEP_3) | instskip(NEXT) | instid1(VALU_DEP_3)
	v_cmp_class_f32_e64 s2, v13, 0x1f8
	v_cmp_neq_f32_e32 vcc_lo, v13, v10
	s_or_b32 s3, vcc_lo, s2
	s_wait_alu 0xfffe
	s_and_saveexec_b32 s2, s3
	s_cbranch_execz .LBB93_144
; %bb.143:
	v_sub_f32_e32 v9, v13, v10
	s_mov_b32 s3, 0x3e9b6dac
	s_delay_alu instid0(VALU_DEP_1) | instskip(SKIP_1) | instid1(VALU_DEP_2)
	v_mul_f32_e32 v13, 0x3fb8aa3b, v9
	v_cmp_ngt_f32_e32 vcc_lo, 0xc2ce8ed0, v9
	v_fma_f32 v14, 0x3fb8aa3b, v9, -v13
	v_rndne_f32_e32 v18, v13
	s_delay_alu instid0(VALU_DEP_2) | instskip(NEXT) | instid1(VALU_DEP_2)
	v_fmamk_f32 v14, v9, 0x32a5705f, v14
	v_sub_f32_e32 v13, v13, v18
	s_delay_alu instid0(VALU_DEP_1) | instskip(SKIP_1) | instid1(VALU_DEP_2)
	v_add_f32_e32 v13, v13, v14
	v_cvt_i32_f32_e32 v14, v18
	v_exp_f32_e32 v13, v13
	s_delay_alu instid0(TRANS32_DEP_1) | instskip(SKIP_1) | instid1(VALU_DEP_1)
	v_ldexp_f32 v13, v13, v14
	s_wait_alu 0xfffd
	v_cndmask_b32_e32 v13, 0, v13, vcc_lo
	v_cmp_nlt_f32_e32 vcc_lo, 0x42b17218, v9
	s_wait_alu 0xfffd
	s_delay_alu instid0(VALU_DEP_2) | instskip(NEXT) | instid1(VALU_DEP_1)
	v_cndmask_b32_e32 v9, 0x7f800000, v13, vcc_lo
	v_add_f32_e32 v18, 1.0, v9
	s_delay_alu instid0(VALU_DEP_1) | instskip(NEXT) | instid1(VALU_DEP_1)
	v_cvt_f64_f32_e32 v[13:14], v18
	v_frexp_exp_i32_f64_e32 v13, v[13:14]
	v_frexp_mant_f32_e32 v14, v18
	s_delay_alu instid0(VALU_DEP_1) | instskip(SKIP_1) | instid1(VALU_DEP_1)
	v_cmp_gt_f32_e32 vcc_lo, 0x3f2aaaab, v14
	v_add_f32_e32 v14, -1.0, v18
	v_sub_f32_e32 v21, v14, v18
	s_delay_alu instid0(VALU_DEP_1) | instskip(SKIP_2) | instid1(VALU_DEP_1)
	v_add_f32_e32 v21, 1.0, v21
	s_wait_alu 0xfffd
	v_subrev_co_ci_u32_e64 v13, null, 0, v13, vcc_lo
	v_sub_nc_u32_e32 v19, 0, v13
	v_cvt_f32_i32_e32 v13, v13
	s_delay_alu instid0(VALU_DEP_2) | instskip(NEXT) | instid1(VALU_DEP_1)
	v_ldexp_f32 v18, v18, v19
	v_add_f32_e32 v22, 1.0, v18
	v_sub_f32_e32 v14, v9, v14
	v_cmp_neq_f32_e32 vcc_lo, 0x7f800000, v9
	s_delay_alu instid0(VALU_DEP_2) | instskip(NEXT) | instid1(VALU_DEP_1)
	v_dual_add_f32 v14, v14, v21 :: v_dual_add_f32 v21, -1.0, v22
	v_ldexp_f32 v14, v14, v19
	v_add_f32_e32 v19, -1.0, v18
	s_delay_alu instid0(VALU_DEP_3) | instskip(NEXT) | instid1(VALU_DEP_2)
	v_sub_f32_e32 v21, v18, v21
	v_add_f32_e32 v23, 1.0, v19
	s_delay_alu instid0(VALU_DEP_2) | instskip(NEXT) | instid1(VALU_DEP_2)
	v_add_f32_e32 v21, v14, v21
	v_sub_f32_e32 v18, v18, v23
	s_delay_alu instid0(VALU_DEP_1) | instskip(NEXT) | instid1(VALU_DEP_1)
	v_add_f32_e32 v14, v14, v18
	v_dual_add_f32 v24, v19, v14 :: v_dual_add_f32 v23, v22, v21
	s_delay_alu instid0(VALU_DEP_1) | instskip(SKIP_1) | instid1(VALU_DEP_1)
	v_rcp_f32_e32 v18, v23
	v_sub_f32_e32 v22, v22, v23
	v_add_f32_e32 v21, v21, v22
	s_delay_alu instid0(TRANS32_DEP_1) | instskip(NEXT) | instid1(VALU_DEP_1)
	v_mul_f32_e32 v25, v24, v18
	v_mul_f32_e32 v26, v23, v25
	s_delay_alu instid0(VALU_DEP_1) | instskip(NEXT) | instid1(VALU_DEP_1)
	v_fma_f32 v22, v25, v23, -v26
	v_dual_fmac_f32 v22, v25, v21 :: v_dual_sub_f32 v19, v19, v24
	s_delay_alu instid0(VALU_DEP_1) | instskip(NEXT) | instid1(VALU_DEP_2)
	v_add_f32_e32 v27, v26, v22
	v_add_f32_e32 v14, v14, v19
	s_delay_alu instid0(VALU_DEP_2) | instskip(NEXT) | instid1(VALU_DEP_1)
	v_sub_f32_e32 v28, v24, v27
	v_sub_f32_e32 v24, v24, v28
	s_delay_alu instid0(VALU_DEP_1) | instskip(NEXT) | instid1(VALU_DEP_1)
	v_dual_sub_f32 v24, v24, v27 :: v_dual_sub_f32 v19, v27, v26
	v_dual_add_f32 v14, v14, v24 :: v_dual_sub_f32 v19, v19, v22
	s_delay_alu instid0(VALU_DEP_1) | instskip(NEXT) | instid1(VALU_DEP_1)
	v_add_f32_e32 v14, v19, v14
	v_add_f32_e32 v19, v28, v14
	s_delay_alu instid0(VALU_DEP_1) | instskip(NEXT) | instid1(VALU_DEP_1)
	v_mul_f32_e32 v22, v18, v19
	v_dual_sub_f32 v27, v28, v19 :: v_dual_mul_f32 v24, v23, v22
	s_delay_alu instid0(VALU_DEP_1) | instskip(NEXT) | instid1(VALU_DEP_1)
	v_fma_f32 v23, v22, v23, -v24
	v_fmac_f32_e32 v23, v22, v21
	s_delay_alu instid0(VALU_DEP_3) | instskip(NEXT) | instid1(VALU_DEP_2)
	v_add_f32_e32 v14, v14, v27
	v_add_f32_e32 v21, v24, v23
	s_delay_alu instid0(VALU_DEP_1) | instskip(NEXT) | instid1(VALU_DEP_1)
	v_sub_f32_e32 v26, v19, v21
	v_dual_sub_f32 v24, v21, v24 :: v_dual_sub_f32 v19, v19, v26
	s_delay_alu instid0(VALU_DEP_1) | instskip(NEXT) | instid1(VALU_DEP_2)
	v_sub_f32_e32 v19, v19, v21
	v_sub_f32_e32 v21, v24, v23
	s_delay_alu instid0(VALU_DEP_2) | instskip(NEXT) | instid1(VALU_DEP_1)
	v_dual_add_f32 v14, v14, v19 :: v_dual_add_f32 v19, v25, v22
	v_dual_add_f32 v14, v21, v14 :: v_dual_sub_f32 v21, v19, v25
	s_delay_alu instid0(VALU_DEP_1) | instskip(NEXT) | instid1(VALU_DEP_2)
	v_add_f32_e32 v14, v26, v14
	v_sub_f32_e32 v21, v22, v21
	s_delay_alu instid0(VALU_DEP_2) | instskip(NEXT) | instid1(VALU_DEP_1)
	v_mul_f32_e32 v14, v18, v14
	v_add_f32_e32 v14, v21, v14
	s_delay_alu instid0(VALU_DEP_1) | instskip(NEXT) | instid1(VALU_DEP_1)
	v_add_f32_e32 v18, v19, v14
	v_mul_f32_e32 v21, v18, v18
	s_wait_alu 0xfffe
	s_delay_alu instid0(VALU_DEP_1) | instskip(SKIP_1) | instid1(VALU_DEP_2)
	v_fmaak_f32 v22, s3, v21, 0x3ecc95a3
	v_mul_f32_e32 v23, v18, v21
	v_fmaak_f32 v21, v21, v22, 0x3f2aaada
	v_ldexp_f32 v22, v18, 1
	s_delay_alu instid0(VALU_DEP_2) | instskip(NEXT) | instid1(VALU_DEP_1)
	v_dual_sub_f32 v18, v18, v19 :: v_dual_mul_f32 v21, v23, v21
	v_sub_f32_e32 v14, v14, v18
	s_delay_alu instid0(VALU_DEP_2) | instskip(SKIP_1) | instid1(VALU_DEP_3)
	v_add_f32_e32 v19, v22, v21
	v_mul_f32_e32 v23, 0x3f317218, v13
	v_ldexp_f32 v14, v14, 1
	s_delay_alu instid0(VALU_DEP_3) | instskip(NEXT) | instid1(VALU_DEP_3)
	v_sub_f32_e32 v18, v19, v22
	v_fma_f32 v22, 0x3f317218, v13, -v23
	s_delay_alu instid0(VALU_DEP_2) | instskip(NEXT) | instid1(VALU_DEP_1)
	v_sub_f32_e32 v18, v21, v18
	v_dual_fmamk_f32 v13, v13, 0xb102e308, v22 :: v_dual_add_f32 v14, v14, v18
	s_delay_alu instid0(VALU_DEP_1) | instskip(NEXT) | instid1(VALU_DEP_2)
	v_add_f32_e32 v18, v23, v13
	v_add_f32_e32 v21, v19, v14
	s_delay_alu instid0(VALU_DEP_2) | instskip(NEXT) | instid1(VALU_DEP_1)
	v_sub_f32_e32 v23, v18, v23
	v_dual_add_f32 v22, v18, v21 :: v_dual_sub_f32 v13, v13, v23
	s_delay_alu instid0(VALU_DEP_1) | instskip(NEXT) | instid1(VALU_DEP_1)
	v_sub_f32_e32 v24, v22, v18
	v_sub_f32_e32 v25, v22, v24
	s_delay_alu instid0(VALU_DEP_1) | instskip(NEXT) | instid1(VALU_DEP_1)
	v_dual_sub_f32 v18, v18, v25 :: v_dual_sub_f32 v19, v21, v19
	v_dual_sub_f32 v14, v14, v19 :: v_dual_sub_f32 v19, v21, v24
	s_delay_alu instid0(VALU_DEP_1) | instskip(NEXT) | instid1(VALU_DEP_1)
	v_add_f32_e32 v21, v13, v14
	v_dual_add_f32 v18, v19, v18 :: v_dual_sub_f32 v19, v21, v13
	s_delay_alu instid0(VALU_DEP_1) | instskip(NEXT) | instid1(VALU_DEP_2)
	v_sub_f32_e32 v14, v14, v19
	v_add_f32_e32 v18, v21, v18
	v_sub_f32_e32 v21, v21, v19
	s_delay_alu instid0(VALU_DEP_2) | instskip(NEXT) | instid1(VALU_DEP_1)
	v_add_f32_e32 v23, v22, v18
	v_sub_f32_e32 v19, v23, v22
	s_delay_alu instid0(VALU_DEP_3) | instskip(NEXT) | instid1(VALU_DEP_1)
	v_sub_f32_e32 v13, v13, v21
	v_add_f32_e32 v13, v14, v13
	s_delay_alu instid0(VALU_DEP_3) | instskip(NEXT) | instid1(VALU_DEP_1)
	v_sub_f32_e32 v14, v18, v19
	v_add_f32_e32 v13, v13, v14
	s_delay_alu instid0(VALU_DEP_1) | instskip(SKIP_1) | instid1(VALU_DEP_1)
	v_add_f32_e32 v13, v23, v13
	s_wait_alu 0xfffd
	v_cndmask_b32_e32 v13, 0x7f800000, v13, vcc_lo
	v_cmp_gt_f32_e64 vcc_lo, 0x33800000, |v9|
	s_wait_alu 0xfffd
	s_delay_alu instid0(VALU_DEP_2) | instskip(NEXT) | instid1(VALU_DEP_1)
	v_cndmask_b32_e32 v9, v13, v9, vcc_lo
	v_add_f32_e32 v9, v10, v9
.LBB93_144:
	s_wait_alu 0xfffe
	s_or_b32 exec_lo, exec_lo, s2
	s_delay_alu instid0(VALU_DEP_1) | instskip(SKIP_1) | instid1(VALU_DEP_2)
	v_max_num_f32_e32 v10, v9, v9
	v_cmp_u_f32_e32 vcc_lo, v9, v9
	v_min_num_f32_e32 v13, v10, v20
	s_wait_alu 0xfffd
	s_delay_alu instid0(VALU_DEP_1) | instskip(NEXT) | instid1(VALU_DEP_1)
	v_dual_max_num_f32 v10, v10, v20 :: v_dual_cndmask_b32 v13, v13, v9
	v_cndmask_b32_e32 v10, v10, v9, vcc_lo
	s_delay_alu instid0(VALU_DEP_2) | instskip(NEXT) | instid1(VALU_DEP_2)
	v_cndmask_b32_e64 v14, v13, v12, s6
	v_cndmask_b32_e64 v13, v10, v12, s6
	v_mov_b32_e32 v10, v9
	s_delay_alu instid0(VALU_DEP_3) | instskip(NEXT) | instid1(VALU_DEP_3)
	v_cmp_class_f32_e64 s2, v14, 0x1f8
	v_cmp_neq_f32_e32 vcc_lo, v14, v13
	s_or_b32 s3, vcc_lo, s2
	s_wait_alu 0xfffe
	s_and_saveexec_b32 s2, s3
	s_cbranch_execz .LBB93_146
; %bb.145:
	v_sub_f32_e32 v10, v14, v13
	s_mov_b32 s3, 0x3e9b6dac
	s_delay_alu instid0(VALU_DEP_1) | instskip(SKIP_1) | instid1(VALU_DEP_2)
	v_mul_f32_e32 v14, 0x3fb8aa3b, v10
	v_cmp_ngt_f32_e32 vcc_lo, 0xc2ce8ed0, v10
	v_fma_f32 v18, 0x3fb8aa3b, v10, -v14
	v_rndne_f32_e32 v19, v14
	s_delay_alu instid0(VALU_DEP_2) | instskip(NEXT) | instid1(VALU_DEP_2)
	v_fmamk_f32 v18, v10, 0x32a5705f, v18
	v_sub_f32_e32 v14, v14, v19
	s_delay_alu instid0(VALU_DEP_1) | instskip(SKIP_1) | instid1(VALU_DEP_2)
	v_add_f32_e32 v14, v14, v18
	v_cvt_i32_f32_e32 v18, v19
	v_exp_f32_e32 v14, v14
	s_delay_alu instid0(TRANS32_DEP_1) | instskip(SKIP_1) | instid1(VALU_DEP_1)
	v_ldexp_f32 v14, v14, v18
	s_wait_alu 0xfffd
	v_cndmask_b32_e32 v14, 0, v14, vcc_lo
	v_cmp_nlt_f32_e32 vcc_lo, 0x42b17218, v10
	s_wait_alu 0xfffd
	s_delay_alu instid0(VALU_DEP_2) | instskip(NEXT) | instid1(VALU_DEP_1)
	v_cndmask_b32_e32 v10, 0x7f800000, v14, vcc_lo
	v_add_f32_e32 v14, 1.0, v10
	s_delay_alu instid0(VALU_DEP_1) | instskip(NEXT) | instid1(VALU_DEP_1)
	v_cvt_f64_f32_e32 v[18:19], v14
	v_frexp_exp_i32_f64_e32 v18, v[18:19]
	v_frexp_mant_f32_e32 v19, v14
	s_delay_alu instid0(VALU_DEP_1) | instskip(SKIP_1) | instid1(VALU_DEP_1)
	v_cmp_gt_f32_e32 vcc_lo, 0x3f2aaaab, v19
	v_add_f32_e32 v19, -1.0, v14
	v_sub_f32_e32 v21, v19, v14
	v_sub_f32_e32 v19, v10, v19
	s_delay_alu instid0(VALU_DEP_2) | instskip(NEXT) | instid1(VALU_DEP_1)
	v_add_f32_e32 v21, 1.0, v21
	v_add_f32_e32 v19, v19, v21
	s_wait_alu 0xfffd
	v_subrev_co_ci_u32_e64 v18, null, 0, v18, vcc_lo
	s_delay_alu instid0(VALU_DEP_1) | instskip(SKIP_1) | instid1(VALU_DEP_2)
	v_sub_nc_u32_e32 v20, 0, v18
	v_cvt_f32_i32_e32 v18, v18
	v_ldexp_f32 v14, v14, v20
	v_ldexp_f32 v19, v19, v20
	s_delay_alu instid0(VALU_DEP_2) | instskip(SKIP_1) | instid1(VALU_DEP_1)
	v_add_f32_e32 v22, 1.0, v14
	v_add_f32_e32 v20, -1.0, v14
	v_add_f32_e32 v23, 1.0, v20
	s_delay_alu instid0(VALU_DEP_3) | instskip(NEXT) | instid1(VALU_DEP_1)
	v_add_f32_e32 v21, -1.0, v22
	v_sub_f32_e32 v21, v14, v21
	s_delay_alu instid0(VALU_DEP_3) | instskip(SKIP_1) | instid1(VALU_DEP_3)
	v_sub_f32_e32 v14, v14, v23
	v_cmp_neq_f32_e32 vcc_lo, 0x7f800000, v10
	v_add_f32_e32 v21, v19, v21
	s_delay_alu instid0(VALU_DEP_1) | instskip(NEXT) | instid1(VALU_DEP_1)
	v_dual_add_f32 v14, v19, v14 :: v_dual_add_f32 v23, v22, v21
	v_add_f32_e32 v24, v20, v14
	s_delay_alu instid0(VALU_DEP_2) | instskip(NEXT) | instid1(VALU_DEP_1)
	v_rcp_f32_e32 v19, v23
	v_sub_f32_e32 v20, v20, v24
	s_delay_alu instid0(TRANS32_DEP_1) | instid1(VALU_DEP_1)
	v_dual_add_f32 v14, v14, v20 :: v_dual_mul_f32 v25, v24, v19
	v_sub_f32_e32 v22, v22, v23
	s_delay_alu instid0(VALU_DEP_1) | instskip(NEXT) | instid1(VALU_DEP_1)
	v_dual_mul_f32 v26, v23, v25 :: v_dual_add_f32 v21, v21, v22
	v_fma_f32 v22, v25, v23, -v26
	s_delay_alu instid0(VALU_DEP_1) | instskip(NEXT) | instid1(VALU_DEP_1)
	v_fmac_f32_e32 v22, v25, v21
	v_add_f32_e32 v27, v26, v22
	s_delay_alu instid0(VALU_DEP_1) | instskip(SKIP_1) | instid1(VALU_DEP_2)
	v_sub_f32_e32 v28, v24, v27
	v_sub_f32_e32 v20, v27, v26
	;; [unrolled: 1-line block ×3, first 2 shown]
	s_delay_alu instid0(VALU_DEP_2) | instskip(NEXT) | instid1(VALU_DEP_2)
	v_sub_f32_e32 v20, v20, v22
	v_sub_f32_e32 v24, v24, v27
	s_delay_alu instid0(VALU_DEP_1) | instskip(NEXT) | instid1(VALU_DEP_1)
	v_add_f32_e32 v14, v14, v24
	v_add_f32_e32 v14, v20, v14
	s_delay_alu instid0(VALU_DEP_1) | instskip(NEXT) | instid1(VALU_DEP_1)
	v_add_f32_e32 v20, v28, v14
	v_mul_f32_e32 v22, v19, v20
	s_delay_alu instid0(VALU_DEP_1) | instskip(NEXT) | instid1(VALU_DEP_1)
	v_dual_sub_f32 v27, v28, v20 :: v_dual_mul_f32 v24, v23, v22
	v_add_f32_e32 v14, v14, v27
	s_delay_alu instid0(VALU_DEP_2) | instskip(NEXT) | instid1(VALU_DEP_1)
	v_fma_f32 v23, v22, v23, -v24
	v_fmac_f32_e32 v23, v22, v21
	s_delay_alu instid0(VALU_DEP_1) | instskip(NEXT) | instid1(VALU_DEP_1)
	v_add_f32_e32 v21, v24, v23
	v_sub_f32_e32 v26, v20, v21
	v_sub_f32_e32 v24, v21, v24
	s_delay_alu instid0(VALU_DEP_2) | instskip(NEXT) | instid1(VALU_DEP_1)
	v_sub_f32_e32 v20, v20, v26
	v_sub_f32_e32 v20, v20, v21
	s_delay_alu instid0(VALU_DEP_1) | instskip(SKIP_1) | instid1(VALU_DEP_1)
	v_dual_sub_f32 v21, v24, v23 :: v_dual_add_f32 v14, v14, v20
	v_add_f32_e32 v20, v25, v22
	v_dual_add_f32 v14, v21, v14 :: v_dual_sub_f32 v21, v20, v25
	s_delay_alu instid0(VALU_DEP_1) | instskip(NEXT) | instid1(VALU_DEP_1)
	v_add_f32_e32 v14, v26, v14
	v_dual_sub_f32 v21, v22, v21 :: v_dual_mul_f32 v14, v19, v14
	s_delay_alu instid0(VALU_DEP_1) | instskip(NEXT) | instid1(VALU_DEP_1)
	v_add_f32_e32 v14, v21, v14
	v_add_f32_e32 v19, v20, v14
	s_delay_alu instid0(VALU_DEP_1) | instskip(SKIP_1) | instid1(VALU_DEP_1)
	v_mul_f32_e32 v21, v19, v19
	s_wait_alu 0xfffe
	v_fmaak_f32 v22, s3, v21, 0x3ecc95a3
	v_mul_f32_e32 v23, v19, v21
	s_delay_alu instid0(VALU_DEP_2) | instskip(SKIP_2) | instid1(VALU_DEP_3)
	v_fmaak_f32 v21, v21, v22, 0x3f2aaada
	v_ldexp_f32 v22, v19, 1
	v_sub_f32_e32 v19, v19, v20
	v_mul_f32_e32 v21, v23, v21
	s_delay_alu instid0(VALU_DEP_2) | instskip(NEXT) | instid1(VALU_DEP_2)
	v_dual_mul_f32 v23, 0x3f317218, v18 :: v_dual_sub_f32 v14, v14, v19
	v_add_f32_e32 v20, v22, v21
	s_delay_alu instid0(VALU_DEP_2) | instskip(NEXT) | instid1(VALU_DEP_2)
	v_ldexp_f32 v14, v14, 1
	v_sub_f32_e32 v19, v20, v22
	s_delay_alu instid0(VALU_DEP_4) | instskip(NEXT) | instid1(VALU_DEP_1)
	v_fma_f32 v22, 0x3f317218, v18, -v23
	v_dual_sub_f32 v19, v21, v19 :: v_dual_fmamk_f32 v18, v18, 0xb102e308, v22
	s_delay_alu instid0(VALU_DEP_1) | instskip(NEXT) | instid1(VALU_DEP_1)
	v_dual_add_f32 v14, v14, v19 :: v_dual_add_f32 v19, v23, v18
	v_add_f32_e32 v21, v20, v14
	s_delay_alu instid0(VALU_DEP_2) | instskip(NEXT) | instid1(VALU_DEP_2)
	v_sub_f32_e32 v23, v19, v23
	v_add_f32_e32 v22, v19, v21
	v_sub_f32_e32 v20, v21, v20
	s_delay_alu instid0(VALU_DEP_3) | instskip(NEXT) | instid1(VALU_DEP_3)
	v_sub_f32_e32 v18, v18, v23
	v_sub_f32_e32 v24, v22, v19
	s_delay_alu instid0(VALU_DEP_3) | instskip(NEXT) | instid1(VALU_DEP_2)
	v_sub_f32_e32 v14, v14, v20
	v_sub_f32_e32 v25, v22, v24
	s_delay_alu instid0(VALU_DEP_2) | instskip(NEXT) | instid1(VALU_DEP_2)
	v_dual_sub_f32 v20, v21, v24 :: v_dual_add_f32 v21, v18, v14
	v_sub_f32_e32 v19, v19, v25
	s_delay_alu instid0(VALU_DEP_1) | instskip(NEXT) | instid1(VALU_DEP_1)
	v_dual_add_f32 v19, v20, v19 :: v_dual_sub_f32 v20, v21, v18
	v_add_f32_e32 v19, v21, v19
	s_delay_alu instid0(VALU_DEP_2) | instskip(SKIP_1) | instid1(VALU_DEP_3)
	v_sub_f32_e32 v21, v21, v20
	v_sub_f32_e32 v14, v14, v20
	v_add_f32_e32 v23, v22, v19
	s_delay_alu instid0(VALU_DEP_3) | instskip(NEXT) | instid1(VALU_DEP_2)
	v_sub_f32_e32 v18, v18, v21
	v_sub_f32_e32 v20, v23, v22
	s_delay_alu instid0(VALU_DEP_2) | instskip(NEXT) | instid1(VALU_DEP_2)
	v_add_f32_e32 v14, v14, v18
	v_sub_f32_e32 v18, v19, v20
	s_delay_alu instid0(VALU_DEP_1) | instskip(NEXT) | instid1(VALU_DEP_1)
	v_add_f32_e32 v14, v14, v18
	v_add_f32_e32 v14, v23, v14
	s_wait_alu 0xfffd
	s_delay_alu instid0(VALU_DEP_1) | instskip(SKIP_2) | instid1(VALU_DEP_2)
	v_cndmask_b32_e32 v14, 0x7f800000, v14, vcc_lo
	v_cmp_gt_f32_e64 vcc_lo, 0x33800000, |v10|
	s_wait_alu 0xfffd
	v_cndmask_b32_e32 v10, v14, v10, vcc_lo
	s_delay_alu instid0(VALU_DEP_1)
	v_add_f32_e32 v10, v13, v10
.LBB93_146:
	s_wait_alu 0xfffe
	s_or_b32 exec_lo, exec_lo, s2
	s_load_b256 s[16:23], s[0:1], 0x38
	s_branch .LBB93_218
.LBB93_147:
	v_cmp_eq_u32_e64 s0, 0, v0
	s_wait_kmcnt 0x0
	s_cmp_lg_u64 s[20:21], 0
	v_mov_b32_e32 v10, v6
	v_dual_mov_b32 v9, v5 :: v_dual_mov_b32 v8, v4
	v_dual_mov_b32 v7, v3 :: v_dual_mov_b32 v6, v2
	v_mov_b32_e32 v5, v1
	s_cselect_b32 s1, -1, 0
	v_cmp_ne_u32_e32 vcc_lo, 0, v0
	s_and_b32 s0, s0, s1
	s_delay_alu instid0(SALU_CYCLE_1)
	s_and_saveexec_b32 s1, s0
	s_cbranch_execz .LBB93_151
; %bb.148:
	v_dual_mov_b32 v5, 0 :: v_dual_max_num_f32 v6, v1, v1
	global_load_b32 v5, v5, s[16:17]
	s_wait_loadcnt 0x0
	v_max_num_f32_e32 v7, v5, v5
	v_cmp_u_f32_e64 s0, v5, v5
	s_delay_alu instid0(VALU_DEP_2) | instskip(SKIP_1) | instid1(VALU_DEP_2)
	v_min_num_f32_e32 v8, v7, v6
	v_max_num_f32_e32 v6, v7, v6
	v_cndmask_b32_e64 v7, v8, v5, s0
	s_delay_alu instid0(VALU_DEP_2) | instskip(SKIP_2) | instid1(VALU_DEP_1)
	v_cndmask_b32_e64 v8, v6, v5, s0
	v_cmp_u_f32_e64 s0, v1, v1
	s_wait_alu 0xf1ff
	v_cndmask_b32_e64 v6, v7, v1, s0
	s_delay_alu instid0(VALU_DEP_3) | instskip(NEXT) | instid1(VALU_DEP_2)
	v_cndmask_b32_e64 v1, v8, v1, s0
	v_cmp_class_f32_e64 s2, v6, 0x1f8
	s_delay_alu instid0(VALU_DEP_2)
	v_cmp_neq_f32_e64 s0, v6, v1
	s_or_b32 s0, s0, s2
	s_wait_alu 0xfffe
	s_and_saveexec_b32 s2, s0
	s_cbranch_execz .LBB93_150
; %bb.149:
	v_sub_f32_e32 v5, v6, v1
	s_delay_alu instid0(VALU_DEP_1) | instskip(SKIP_1) | instid1(VALU_DEP_2)
	v_mul_f32_e32 v6, 0x3fb8aa3b, v5
	v_cmp_ngt_f32_e64 s0, 0xc2ce8ed0, v5
	v_fma_f32 v7, 0x3fb8aa3b, v5, -v6
	v_rndne_f32_e32 v8, v6
	s_delay_alu instid0(VALU_DEP_1) | instskip(NEXT) | instid1(VALU_DEP_1)
	v_dual_fmamk_f32 v7, v5, 0x32a5705f, v7 :: v_dual_sub_f32 v6, v6, v8
	v_add_f32_e32 v6, v6, v7
	v_cvt_i32_f32_e32 v7, v8
	s_delay_alu instid0(VALU_DEP_2) | instskip(NEXT) | instid1(TRANS32_DEP_1)
	v_exp_f32_e32 v6, v6
	v_ldexp_f32 v6, v6, v7
	s_wait_alu 0xf1ff
	s_delay_alu instid0(VALU_DEP_1) | instskip(SKIP_2) | instid1(VALU_DEP_1)
	v_cndmask_b32_e64 v6, 0, v6, s0
	v_cmp_nlt_f32_e64 s0, 0x42b17218, v5
	s_wait_alu 0xf1ff
	v_cndmask_b32_e64 v7, 0x7f800000, v6, s0
	s_delay_alu instid0(VALU_DEP_1) | instskip(NEXT) | instid1(VALU_DEP_1)
	v_add_f32_e32 v8, 1.0, v7
	v_cvt_f64_f32_e32 v[5:6], v8
	s_delay_alu instid0(VALU_DEP_1) | instskip(SKIP_1) | instid1(VALU_DEP_1)
	v_frexp_exp_i32_f64_e32 v5, v[5:6]
	v_frexp_mant_f32_e32 v6, v8
	v_cmp_gt_f32_e64 s0, 0x3f2aaaab, v6
	v_add_f32_e32 v6, -1.0, v8
	s_delay_alu instid0(VALU_DEP_1) | instskip(SKIP_1) | instid1(VALU_DEP_2)
	v_sub_f32_e32 v10, v6, v8
	v_sub_f32_e32 v6, v7, v6
	v_add_f32_e32 v10, 1.0, v10
	s_delay_alu instid0(VALU_DEP_1)
	v_add_f32_e32 v6, v6, v10
	s_wait_alu 0xf1ff
	v_subrev_co_ci_u32_e64 v5, null, 0, v5, s0
	s_mov_b32 s0, 0x3e9b6dac
	v_sub_nc_u32_e32 v9, 0, v5
	v_cvt_f32_i32_e32 v5, v5
	s_delay_alu instid0(VALU_DEP_2) | instskip(SKIP_1) | instid1(VALU_DEP_2)
	v_ldexp_f32 v8, v8, v9
	v_ldexp_f32 v6, v6, v9
	v_add_f32_e32 v13, 1.0, v8
	s_delay_alu instid0(VALU_DEP_1) | instskip(NEXT) | instid1(VALU_DEP_1)
	v_dual_add_f32 v9, -1.0, v8 :: v_dual_add_f32 v10, -1.0, v13
	v_add_f32_e32 v14, 1.0, v9
	s_delay_alu instid0(VALU_DEP_2) | instskip(NEXT) | instid1(VALU_DEP_2)
	v_sub_f32_e32 v10, v8, v10
	v_sub_f32_e32 v8, v8, v14
	s_delay_alu instid0(VALU_DEP_2) | instskip(NEXT) | instid1(VALU_DEP_2)
	v_add_f32_e32 v10, v6, v10
	v_add_f32_e32 v6, v6, v8
	s_delay_alu instid0(VALU_DEP_2) | instskip(NEXT) | instid1(VALU_DEP_2)
	v_add_f32_e32 v14, v13, v10
	v_add_f32_e32 v18, v9, v6
	s_delay_alu instid0(VALU_DEP_2) | instskip(SKIP_1) | instid1(VALU_DEP_1)
	v_rcp_f32_e32 v8, v14
	v_sub_f32_e32 v13, v13, v14
	v_dual_sub_f32 v9, v9, v18 :: v_dual_add_f32 v10, v10, v13
	s_delay_alu instid0(VALU_DEP_1) | instskip(NEXT) | instid1(TRANS32_DEP_1)
	v_add_f32_e32 v6, v6, v9
	v_mul_f32_e32 v19, v18, v8
	s_delay_alu instid0(VALU_DEP_1) | instskip(NEXT) | instid1(VALU_DEP_1)
	v_mul_f32_e32 v20, v14, v19
	v_fma_f32 v13, v19, v14, -v20
	s_delay_alu instid0(VALU_DEP_1) | instskip(NEXT) | instid1(VALU_DEP_1)
	v_fmac_f32_e32 v13, v19, v10
	v_add_f32_e32 v21, v20, v13
	s_delay_alu instid0(VALU_DEP_1) | instskip(NEXT) | instid1(VALU_DEP_1)
	v_dual_sub_f32 v22, v18, v21 :: v_dual_sub_f32 v9, v21, v20
	v_dual_sub_f32 v18, v18, v22 :: v_dual_sub_f32 v9, v9, v13
	s_delay_alu instid0(VALU_DEP_1) | instskip(NEXT) | instid1(VALU_DEP_1)
	v_sub_f32_e32 v18, v18, v21
	v_add_f32_e32 v6, v6, v18
	s_delay_alu instid0(VALU_DEP_1) | instskip(NEXT) | instid1(VALU_DEP_1)
	v_add_f32_e32 v6, v9, v6
	v_add_f32_e32 v9, v22, v6
	s_delay_alu instid0(VALU_DEP_1) | instskip(SKIP_1) | instid1(VALU_DEP_2)
	v_mul_f32_e32 v13, v8, v9
	v_sub_f32_e32 v21, v22, v9
	v_mul_f32_e32 v18, v14, v13
	s_delay_alu instid0(VALU_DEP_2) | instskip(NEXT) | instid1(VALU_DEP_2)
	v_add_f32_e32 v6, v6, v21
	v_fma_f32 v14, v13, v14, -v18
	s_delay_alu instid0(VALU_DEP_1) | instskip(NEXT) | instid1(VALU_DEP_1)
	v_fmac_f32_e32 v14, v13, v10
	v_add_f32_e32 v10, v18, v14
	s_delay_alu instid0(VALU_DEP_1) | instskip(NEXT) | instid1(VALU_DEP_1)
	v_sub_f32_e32 v20, v9, v10
	v_dual_sub_f32 v18, v10, v18 :: v_dual_sub_f32 v9, v9, v20
	s_delay_alu instid0(VALU_DEP_1) | instskip(NEXT) | instid1(VALU_DEP_2)
	v_sub_f32_e32 v9, v9, v10
	v_sub_f32_e32 v10, v18, v14
	s_delay_alu instid0(VALU_DEP_2) | instskip(NEXT) | instid1(VALU_DEP_1)
	v_add_f32_e32 v6, v6, v9
	v_dual_add_f32 v9, v19, v13 :: v_dual_add_f32 v6, v10, v6
	s_delay_alu instid0(VALU_DEP_1) | instskip(NEXT) | instid1(VALU_DEP_2)
	v_sub_f32_e32 v10, v9, v19
	v_add_f32_e32 v6, v20, v6
	s_delay_alu instid0(VALU_DEP_2) | instskip(NEXT) | instid1(VALU_DEP_2)
	v_sub_f32_e32 v10, v13, v10
	v_mul_f32_e32 v6, v8, v6
	s_delay_alu instid0(VALU_DEP_1) | instskip(NEXT) | instid1(VALU_DEP_1)
	v_add_f32_e32 v6, v10, v6
	v_add_f32_e32 v8, v9, v6
	s_delay_alu instid0(VALU_DEP_1) | instskip(SKIP_1) | instid1(VALU_DEP_1)
	v_mul_f32_e32 v10, v8, v8
	s_wait_alu 0xfffe
	v_fmaak_f32 v13, s0, v10, 0x3ecc95a3
	v_mul_f32_e32 v14, v8, v10
	v_cmp_neq_f32_e64 s0, 0x7f800000, v7
	s_delay_alu instid0(VALU_DEP_3) | instskip(SKIP_2) | instid1(VALU_DEP_3)
	v_fmaak_f32 v10, v10, v13, 0x3f2aaada
	v_ldexp_f32 v13, v8, 1
	v_sub_f32_e32 v8, v8, v9
	v_mul_f32_e32 v10, v14, v10
	v_mul_f32_e32 v14, 0x3f317218, v5
	s_delay_alu instid0(VALU_DEP_2) | instskip(NEXT) | instid1(VALU_DEP_1)
	v_dual_sub_f32 v6, v6, v8 :: v_dual_add_f32 v9, v13, v10
	v_ldexp_f32 v6, v6, 1
	s_delay_alu instid0(VALU_DEP_2) | instskip(NEXT) | instid1(VALU_DEP_4)
	v_sub_f32_e32 v8, v9, v13
	v_fma_f32 v13, 0x3f317218, v5, -v14
	s_delay_alu instid0(VALU_DEP_1) | instskip(NEXT) | instid1(VALU_DEP_1)
	v_dual_sub_f32 v8, v10, v8 :: v_dual_fmamk_f32 v5, v5, 0xb102e308, v13
	v_add_f32_e32 v6, v6, v8
	s_delay_alu instid0(VALU_DEP_2) | instskip(NEXT) | instid1(VALU_DEP_2)
	v_add_f32_e32 v8, v14, v5
	v_add_f32_e32 v10, v9, v6
	s_delay_alu instid0(VALU_DEP_2) | instskip(NEXT) | instid1(VALU_DEP_2)
	v_sub_f32_e32 v14, v8, v14
	v_add_f32_e32 v13, v8, v10
	v_sub_f32_e32 v9, v10, v9
	s_delay_alu instid0(VALU_DEP_3) | instskip(NEXT) | instid1(VALU_DEP_3)
	v_sub_f32_e32 v5, v5, v14
	v_sub_f32_e32 v18, v13, v8
	s_delay_alu instid0(VALU_DEP_1) | instskip(SKIP_1) | instid1(VALU_DEP_2)
	v_dual_sub_f32 v6, v6, v9 :: v_dual_sub_f32 v19, v13, v18
	v_sub_f32_e32 v9, v10, v18
	v_add_f32_e32 v10, v5, v6
	s_delay_alu instid0(VALU_DEP_3) | instskip(NEXT) | instid1(VALU_DEP_1)
	v_sub_f32_e32 v8, v8, v19
	v_dual_add_f32 v8, v9, v8 :: v_dual_sub_f32 v9, v10, v5
	s_delay_alu instid0(VALU_DEP_1) | instskip(NEXT) | instid1(VALU_DEP_2)
	v_add_f32_e32 v8, v10, v8
	v_sub_f32_e32 v10, v10, v9
	v_sub_f32_e32 v6, v6, v9
	s_delay_alu instid0(VALU_DEP_3) | instskip(NEXT) | instid1(VALU_DEP_3)
	v_add_f32_e32 v14, v13, v8
	v_sub_f32_e32 v5, v5, v10
	s_delay_alu instid0(VALU_DEP_2) | instskip(NEXT) | instid1(VALU_DEP_2)
	v_sub_f32_e32 v9, v14, v13
	v_add_f32_e32 v5, v6, v5
	s_delay_alu instid0(VALU_DEP_2) | instskip(NEXT) | instid1(VALU_DEP_1)
	v_sub_f32_e32 v6, v8, v9
	v_add_f32_e32 v5, v5, v6
	s_delay_alu instid0(VALU_DEP_1) | instskip(SKIP_1) | instid1(VALU_DEP_1)
	v_add_f32_e32 v5, v14, v5
	s_wait_alu 0xf1ff
	v_cndmask_b32_e64 v5, 0x7f800000, v5, s0
	v_cmp_gt_f32_e64 s0, 0x33800000, |v7|
	s_wait_alu 0xf1ff
	s_delay_alu instid0(VALU_DEP_1) | instskip(NEXT) | instid1(VALU_DEP_1)
	v_cndmask_b32_e64 v5, v5, v7, s0
	v_add_f32_e32 v5, v1, v5
.LBB93_150:
	s_or_b32 exec_lo, exec_lo, s2
	s_delay_alu instid0(VALU_DEP_1)
	v_mov_b32_e32 v1, v5
.LBB93_151:
	s_or_b32 exec_lo, exec_lo, s1
	s_delay_alu instid0(VALU_DEP_1) | instskip(SKIP_3) | instid1(VALU_DEP_4)
	v_max_num_f32_e32 v14, v1, v1
	v_cmp_u_f32_e64 s5, v1, v1
	v_cmp_u_f32_e64 s0, v2, v2
	v_mov_b32_e32 v19, v1
	v_min_num_f32_e32 v7, v14, v17
	v_max_num_f32_e32 v13, v14, v17
	s_wait_alu 0xf1ff
	s_delay_alu instid0(VALU_DEP_2) | instskip(NEXT) | instid1(VALU_DEP_2)
	v_cndmask_b32_e64 v6, v7, v1, s5
	v_cndmask_b32_e64 v9, v13, v1, s5
	s_delay_alu instid0(VALU_DEP_2) | instskip(NEXT) | instid1(VALU_DEP_2)
	v_cndmask_b32_e64 v8, v6, v2, s0
	v_cndmask_b32_e64 v6, v9, v2, s0
	s_delay_alu instid0(VALU_DEP_2) | instskip(NEXT) | instid1(VALU_DEP_2)
	v_cmp_class_f32_e64 s2, v8, 0x1f8
	v_cmp_neq_f32_e64 s1, v8, v6
	s_or_b32 s1, s1, s2
	s_wait_alu 0xfffe
	s_and_saveexec_b32 s2, s1
	s_cbranch_execz .LBB93_153
; %bb.152:
	v_sub_f32_e32 v8, v8, v6
	s_delay_alu instid0(VALU_DEP_1) | instskip(SKIP_1) | instid1(VALU_DEP_2)
	v_mul_f32_e32 v9, 0x3fb8aa3b, v8
	v_cmp_ngt_f32_e64 s1, 0xc2ce8ed0, v8
	v_fma_f32 v10, 0x3fb8aa3b, v8, -v9
	v_rndne_f32_e32 v18, v9
	s_delay_alu instid0(VALU_DEP_1) | instskip(NEXT) | instid1(VALU_DEP_1)
	v_dual_fmamk_f32 v10, v8, 0x32a5705f, v10 :: v_dual_sub_f32 v9, v9, v18
	v_add_f32_e32 v9, v9, v10
	v_cvt_i32_f32_e32 v10, v18
	s_delay_alu instid0(VALU_DEP_2) | instskip(NEXT) | instid1(TRANS32_DEP_1)
	v_exp_f32_e32 v9, v9
	v_ldexp_f32 v9, v9, v10
	s_wait_alu 0xf1ff
	s_delay_alu instid0(VALU_DEP_1) | instskip(SKIP_2) | instid1(VALU_DEP_1)
	v_cndmask_b32_e64 v9, 0, v9, s1
	v_cmp_nlt_f32_e64 s1, 0x42b17218, v8
	s_wait_alu 0xf1ff
	v_cndmask_b32_e64 v10, 0x7f800000, v9, s1
	s_delay_alu instid0(VALU_DEP_1) | instskip(NEXT) | instid1(VALU_DEP_1)
	v_add_f32_e32 v18, 1.0, v10
	v_cvt_f64_f32_e32 v[8:9], v18
	s_delay_alu instid0(VALU_DEP_1) | instskip(SKIP_1) | instid1(VALU_DEP_1)
	v_frexp_exp_i32_f64_e32 v8, v[8:9]
	v_frexp_mant_f32_e32 v9, v18
	v_cmp_gt_f32_e64 s1, 0x3f2aaaab, v9
	v_add_f32_e32 v9, -1.0, v18
	s_delay_alu instid0(VALU_DEP_1) | instskip(NEXT) | instid1(VALU_DEP_1)
	v_dual_sub_f32 v20, v9, v18 :: v_dual_sub_f32 v9, v10, v9
	v_add_f32_e32 v20, 1.0, v20
	s_delay_alu instid0(VALU_DEP_1)
	v_add_f32_e32 v9, v9, v20
	s_wait_alu 0xf1ff
	v_subrev_co_ci_u32_e64 v8, null, 0, v8, s1
	s_mov_b32 s1, 0x3e9b6dac
	v_sub_nc_u32_e32 v19, 0, v8
	v_cvt_f32_i32_e32 v8, v8
	s_delay_alu instid0(VALU_DEP_2) | instskip(SKIP_1) | instid1(VALU_DEP_2)
	v_ldexp_f32 v18, v18, v19
	v_ldexp_f32 v9, v9, v19
	v_add_f32_e32 v21, 1.0, v18
	s_delay_alu instid0(VALU_DEP_1) | instskip(NEXT) | instid1(VALU_DEP_1)
	v_add_f32_e32 v20, -1.0, v21
	v_dual_sub_f32 v20, v18, v20 :: v_dual_add_f32 v19, -1.0, v18
	s_delay_alu instid0(VALU_DEP_1) | instskip(NEXT) | instid1(VALU_DEP_2)
	v_add_f32_e32 v20, v9, v20
	v_add_f32_e32 v22, 1.0, v19
	s_delay_alu instid0(VALU_DEP_1) | instskip(NEXT) | instid1(VALU_DEP_1)
	v_sub_f32_e32 v18, v18, v22
	v_add_f32_e32 v9, v9, v18
	s_delay_alu instid0(VALU_DEP_1) | instskip(NEXT) | instid1(VALU_DEP_1)
	v_dual_add_f32 v23, v19, v9 :: v_dual_add_f32 v22, v21, v20
	v_rcp_f32_e32 v18, v22
	v_sub_f32_e32 v21, v21, v22
	s_delay_alu instid0(VALU_DEP_1)
	v_dual_add_f32 v20, v20, v21 :: v_dual_sub_f32 v19, v19, v23
	s_delay_alu instid0(TRANS32_DEP_1) | instid1(VALU_DEP_1)
	v_dual_mul_f32 v24, v23, v18 :: v_dual_add_f32 v9, v9, v19
	s_delay_alu instid0(VALU_DEP_1) | instskip(NEXT) | instid1(VALU_DEP_1)
	v_mul_f32_e32 v25, v22, v24
	v_fma_f32 v21, v24, v22, -v25
	s_delay_alu instid0(VALU_DEP_1) | instskip(NEXT) | instid1(VALU_DEP_1)
	v_fmac_f32_e32 v21, v24, v20
	v_add_f32_e32 v26, v25, v21
	s_delay_alu instid0(VALU_DEP_1) | instskip(NEXT) | instid1(VALU_DEP_1)
	v_sub_f32_e32 v27, v23, v26
	v_sub_f32_e32 v23, v23, v27
	;; [unrolled: 1-line block ×3, first 2 shown]
	s_delay_alu instid0(VALU_DEP_2) | instskip(NEXT) | instid1(VALU_DEP_2)
	v_sub_f32_e32 v23, v23, v26
	v_sub_f32_e32 v19, v19, v21
	s_delay_alu instid0(VALU_DEP_2) | instskip(NEXT) | instid1(VALU_DEP_1)
	v_add_f32_e32 v9, v9, v23
	v_add_f32_e32 v9, v19, v9
	s_delay_alu instid0(VALU_DEP_1) | instskip(NEXT) | instid1(VALU_DEP_1)
	v_add_f32_e32 v19, v27, v9
	v_mul_f32_e32 v21, v18, v19
	s_delay_alu instid0(VALU_DEP_1) | instskip(NEXT) | instid1(VALU_DEP_1)
	v_dual_sub_f32 v26, v27, v19 :: v_dual_mul_f32 v23, v22, v21
	v_add_f32_e32 v9, v9, v26
	s_delay_alu instid0(VALU_DEP_2) | instskip(NEXT) | instid1(VALU_DEP_1)
	v_fma_f32 v22, v21, v22, -v23
	v_fmac_f32_e32 v22, v21, v20
	s_delay_alu instid0(VALU_DEP_1) | instskip(NEXT) | instid1(VALU_DEP_1)
	v_add_f32_e32 v20, v23, v22
	v_sub_f32_e32 v25, v19, v20
	v_sub_f32_e32 v23, v20, v23
	s_delay_alu instid0(VALU_DEP_2) | instskip(NEXT) | instid1(VALU_DEP_1)
	v_sub_f32_e32 v19, v19, v25
	v_sub_f32_e32 v19, v19, v20
	s_delay_alu instid0(VALU_DEP_1) | instskip(SKIP_1) | instid1(VALU_DEP_1)
	v_dual_sub_f32 v20, v23, v22 :: v_dual_add_f32 v9, v9, v19
	v_add_f32_e32 v19, v24, v21
	v_dual_add_f32 v9, v20, v9 :: v_dual_sub_f32 v20, v19, v24
	s_delay_alu instid0(VALU_DEP_1) | instskip(NEXT) | instid1(VALU_DEP_1)
	v_add_f32_e32 v9, v25, v9
	v_dual_sub_f32 v20, v21, v20 :: v_dual_mul_f32 v9, v18, v9
	s_delay_alu instid0(VALU_DEP_1) | instskip(NEXT) | instid1(VALU_DEP_1)
	v_add_f32_e32 v9, v20, v9
	v_add_f32_e32 v18, v19, v9
	s_delay_alu instid0(VALU_DEP_1) | instskip(SKIP_1) | instid1(VALU_DEP_1)
	v_mul_f32_e32 v20, v18, v18
	s_wait_alu 0xfffe
	v_fmaak_f32 v21, s1, v20, 0x3ecc95a3
	v_mul_f32_e32 v22, v18, v20
	v_cmp_neq_f32_e64 s1, 0x7f800000, v10
	s_delay_alu instid0(VALU_DEP_3) | instskip(SKIP_2) | instid1(VALU_DEP_3)
	v_fmaak_f32 v20, v20, v21, 0x3f2aaada
	v_ldexp_f32 v21, v18, 1
	v_sub_f32_e32 v18, v18, v19
	v_mul_f32_e32 v20, v22, v20
	s_delay_alu instid0(VALU_DEP_2) | instskip(NEXT) | instid1(VALU_DEP_2)
	v_dual_mul_f32 v22, 0x3f317218, v8 :: v_dual_sub_f32 v9, v9, v18
	v_add_f32_e32 v19, v21, v20
	s_delay_alu instid0(VALU_DEP_2) | instskip(NEXT) | instid1(VALU_DEP_2)
	v_ldexp_f32 v9, v9, 1
	v_sub_f32_e32 v18, v19, v21
	s_delay_alu instid0(VALU_DEP_4) | instskip(NEXT) | instid1(VALU_DEP_2)
	v_fma_f32 v21, 0x3f317218, v8, -v22
	v_sub_f32_e32 v18, v20, v18
	s_delay_alu instid0(VALU_DEP_1) | instskip(NEXT) | instid1(VALU_DEP_1)
	v_dual_fmamk_f32 v8, v8, 0xb102e308, v21 :: v_dual_add_f32 v9, v9, v18
	v_add_f32_e32 v18, v22, v8
	s_delay_alu instid0(VALU_DEP_2) | instskip(NEXT) | instid1(VALU_DEP_2)
	v_add_f32_e32 v20, v19, v9
	v_sub_f32_e32 v22, v18, v22
	s_delay_alu instid0(VALU_DEP_2) | instskip(SKIP_1) | instid1(VALU_DEP_3)
	v_add_f32_e32 v21, v18, v20
	v_sub_f32_e32 v19, v20, v19
	v_sub_f32_e32 v8, v8, v22
	s_delay_alu instid0(VALU_DEP_3) | instskip(NEXT) | instid1(VALU_DEP_3)
	v_sub_f32_e32 v23, v21, v18
	v_sub_f32_e32 v9, v9, v19
	s_delay_alu instid0(VALU_DEP_2) | instskip(SKIP_1) | instid1(VALU_DEP_3)
	v_sub_f32_e32 v24, v21, v23
	v_sub_f32_e32 v19, v20, v23
	v_add_f32_e32 v20, v8, v9
	s_delay_alu instid0(VALU_DEP_3) | instskip(NEXT) | instid1(VALU_DEP_1)
	v_sub_f32_e32 v18, v18, v24
	v_dual_add_f32 v18, v19, v18 :: v_dual_sub_f32 v19, v20, v8
	s_delay_alu instid0(VALU_DEP_1) | instskip(NEXT) | instid1(VALU_DEP_2)
	v_add_f32_e32 v18, v20, v18
	v_sub_f32_e32 v20, v20, v19
	v_sub_f32_e32 v9, v9, v19
	s_delay_alu instid0(VALU_DEP_3) | instskip(NEXT) | instid1(VALU_DEP_1)
	v_add_f32_e32 v22, v21, v18
	v_dual_sub_f32 v8, v8, v20 :: v_dual_sub_f32 v19, v22, v21
	s_delay_alu instid0(VALU_DEP_1) | instskip(NEXT) | instid1(VALU_DEP_1)
	v_dual_add_f32 v8, v9, v8 :: v_dual_sub_f32 v9, v18, v19
	v_add_f32_e32 v8, v8, v9
	s_delay_alu instid0(VALU_DEP_1) | instskip(SKIP_1) | instid1(VALU_DEP_1)
	v_add_f32_e32 v8, v22, v8
	s_wait_alu 0xf1ff
	v_cndmask_b32_e64 v8, 0x7f800000, v8, s1
	v_cmp_gt_f32_e64 s1, 0x33800000, |v10|
	s_wait_alu 0xf1ff
	s_delay_alu instid0(VALU_DEP_1) | instskip(NEXT) | instid1(VALU_DEP_1)
	v_cndmask_b32_e64 v8, v8, v10, s1
	v_add_f32_e32 v19, v6, v8
.LBB93_153:
	s_or_b32 exec_lo, exec_lo, s2
	v_max_num_f32_e32 v6, v3, v3
	s_delay_alu instid0(VALU_DEP_2) | instskip(SKIP_1) | instid1(VALU_DEP_2)
	v_max_num_f32_e32 v8, v19, v19
	v_cmp_u_f32_e64 s1, v19, v19
	v_min_num_f32_e32 v9, v8, v6
	v_max_num_f32_e32 v8, v8, v6
	s_wait_alu 0xf1ff
	s_delay_alu instid0(VALU_DEP_2) | instskip(NEXT) | instid1(VALU_DEP_2)
	v_cndmask_b32_e64 v9, v9, v19, s1
	v_cndmask_b32_e64 v8, v8, v19, s1
	v_cmp_u_f32_e64 s1, v3, v3
	s_wait_alu 0xf1ff
	s_delay_alu instid0(VALU_DEP_1) | instskip(NEXT) | instid1(VALU_DEP_3)
	v_cndmask_b32_e64 v9, v9, v3, s1
	v_cndmask_b32_e64 v8, v8, v3, s1
	s_delay_alu instid0(VALU_DEP_2) | instskip(NEXT) | instid1(VALU_DEP_2)
	v_cmp_class_f32_e64 s3, v9, 0x1f8
	v_cmp_neq_f32_e64 s2, v9, v8
	s_or_b32 s2, s2, s3
	s_delay_alu instid0(SALU_CYCLE_1)
	s_and_saveexec_b32 s3, s2
	s_cbranch_execz .LBB93_155
; %bb.154:
	v_sub_f32_e32 v9, v9, v8
	s_delay_alu instid0(VALU_DEP_1) | instskip(NEXT) | instid1(VALU_DEP_1)
	v_mul_f32_e32 v10, 0x3fb8aa3b, v9
	v_fma_f32 v18, 0x3fb8aa3b, v9, -v10
	v_rndne_f32_e32 v19, v10
	s_delay_alu instid0(VALU_DEP_1) | instskip(NEXT) | instid1(VALU_DEP_3)
	v_sub_f32_e32 v10, v10, v19
	v_fmamk_f32 v18, v9, 0x32a5705f, v18
	v_cmp_ngt_f32_e64 s2, 0xc2ce8ed0, v9
	s_delay_alu instid0(VALU_DEP_2) | instskip(SKIP_1) | instid1(VALU_DEP_2)
	v_add_f32_e32 v10, v10, v18
	v_cvt_i32_f32_e32 v18, v19
	v_exp_f32_e32 v10, v10
	s_delay_alu instid0(TRANS32_DEP_1) | instskip(NEXT) | instid1(VALU_DEP_1)
	v_ldexp_f32 v10, v10, v18
	v_cndmask_b32_e64 v10, 0, v10, s2
	v_cmp_nlt_f32_e64 s2, 0x42b17218, v9
	s_wait_alu 0xf1ff
	s_delay_alu instid0(VALU_DEP_1) | instskip(NEXT) | instid1(VALU_DEP_1)
	v_cndmask_b32_e64 v18, 0x7f800000, v10, s2
	v_add_f32_e32 v19, 1.0, v18
	s_delay_alu instid0(VALU_DEP_1) | instskip(NEXT) | instid1(VALU_DEP_1)
	v_cvt_f64_f32_e32 v[9:10], v19
	v_frexp_exp_i32_f64_e32 v9, v[9:10]
	v_frexp_mant_f32_e32 v10, v19
	s_delay_alu instid0(VALU_DEP_1) | instskip(SKIP_1) | instid1(VALU_DEP_1)
	v_cmp_gt_f32_e64 s2, 0x3f2aaaab, v10
	v_add_f32_e32 v10, -1.0, v19
	v_sub_f32_e32 v21, v10, v19
	s_delay_alu instid0(VALU_DEP_1)
	v_add_f32_e32 v21, 1.0, v21
	s_wait_alu 0xf1ff
	v_subrev_co_ci_u32_e64 v9, null, 0, v9, s2
	s_mov_b32 s2, 0x3e9b6dac
	v_sub_nc_u32_e32 v20, 0, v9
	v_cvt_f32_i32_e32 v9, v9
	s_delay_alu instid0(VALU_DEP_2) | instskip(SKIP_1) | instid1(VALU_DEP_1)
	v_ldexp_f32 v19, v19, v20
	v_sub_f32_e32 v10, v18, v10
	v_add_f32_e32 v10, v10, v21
	s_delay_alu instid0(VALU_DEP_1) | instskip(NEXT) | instid1(VALU_DEP_4)
	v_ldexp_f32 v10, v10, v20
	v_add_f32_e32 v20, -1.0, v19
	s_delay_alu instid0(VALU_DEP_1) | instskip(NEXT) | instid1(VALU_DEP_1)
	v_dual_add_f32 v22, 1.0, v19 :: v_dual_add_f32 v23, 1.0, v20
	v_add_f32_e32 v21, -1.0, v22
	s_delay_alu instid0(VALU_DEP_1) | instskip(NEXT) | instid1(VALU_DEP_3)
	v_sub_f32_e32 v21, v19, v21
	v_sub_f32_e32 v19, v19, v23
	s_delay_alu instid0(VALU_DEP_2) | instskip(NEXT) | instid1(VALU_DEP_2)
	v_add_f32_e32 v21, v10, v21
	v_add_f32_e32 v10, v10, v19
	s_delay_alu instid0(VALU_DEP_1) | instskip(NEXT) | instid1(VALU_DEP_1)
	v_dual_add_f32 v23, v22, v21 :: v_dual_add_f32 v24, v20, v10
	v_rcp_f32_e32 v19, v23
	v_sub_f32_e32 v22, v22, v23
	s_delay_alu instid0(VALU_DEP_1)
	v_dual_sub_f32 v20, v20, v24 :: v_dual_add_f32 v21, v21, v22
	s_delay_alu instid0(TRANS32_DEP_1) | instid1(VALU_DEP_1)
	v_dual_add_f32 v10, v10, v20 :: v_dual_mul_f32 v25, v24, v19
	s_delay_alu instid0(VALU_DEP_1) | instskip(NEXT) | instid1(VALU_DEP_1)
	v_mul_f32_e32 v26, v23, v25
	v_fma_f32 v22, v25, v23, -v26
	s_delay_alu instid0(VALU_DEP_1) | instskip(NEXT) | instid1(VALU_DEP_1)
	v_fmac_f32_e32 v22, v25, v21
	v_add_f32_e32 v27, v26, v22
	s_delay_alu instid0(VALU_DEP_1) | instskip(NEXT) | instid1(VALU_DEP_1)
	v_sub_f32_e32 v28, v24, v27
	v_sub_f32_e32 v24, v24, v28
	;; [unrolled: 1-line block ×3, first 2 shown]
	s_delay_alu instid0(VALU_DEP_2) | instskip(NEXT) | instid1(VALU_DEP_2)
	v_sub_f32_e32 v24, v24, v27
	v_sub_f32_e32 v20, v20, v22
	s_delay_alu instid0(VALU_DEP_2) | instskip(NEXT) | instid1(VALU_DEP_1)
	v_add_f32_e32 v10, v10, v24
	v_add_f32_e32 v10, v20, v10
	s_delay_alu instid0(VALU_DEP_1) | instskip(NEXT) | instid1(VALU_DEP_1)
	v_add_f32_e32 v20, v28, v10
	v_mul_f32_e32 v22, v19, v20
	s_delay_alu instid0(VALU_DEP_1) | instskip(NEXT) | instid1(VALU_DEP_1)
	v_mul_f32_e32 v24, v23, v22
	v_fma_f32 v23, v22, v23, -v24
	s_delay_alu instid0(VALU_DEP_1) | instskip(SKIP_1) | instid1(VALU_DEP_2)
	v_fmac_f32_e32 v23, v22, v21
	v_sub_f32_e32 v27, v28, v20
	v_add_f32_e32 v21, v24, v23
	s_delay_alu instid0(VALU_DEP_2) | instskip(NEXT) | instid1(VALU_DEP_2)
	v_add_f32_e32 v10, v10, v27
	v_sub_f32_e32 v26, v20, v21
	v_sub_f32_e32 v24, v21, v24
	s_delay_alu instid0(VALU_DEP_2) | instskip(NEXT) | instid1(VALU_DEP_1)
	v_sub_f32_e32 v20, v20, v26
	v_sub_f32_e32 v20, v20, v21
	s_delay_alu instid0(VALU_DEP_1) | instskip(SKIP_1) | instid1(VALU_DEP_1)
	v_dual_sub_f32 v21, v24, v23 :: v_dual_add_f32 v10, v10, v20
	v_add_f32_e32 v20, v25, v22
	v_dual_add_f32 v10, v21, v10 :: v_dual_sub_f32 v21, v20, v25
	s_delay_alu instid0(VALU_DEP_1) | instskip(NEXT) | instid1(VALU_DEP_1)
	v_add_f32_e32 v10, v26, v10
	v_dual_sub_f32 v21, v22, v21 :: v_dual_mul_f32 v10, v19, v10
	s_delay_alu instid0(VALU_DEP_1) | instskip(NEXT) | instid1(VALU_DEP_1)
	v_add_f32_e32 v10, v21, v10
	v_add_f32_e32 v19, v20, v10
	s_delay_alu instid0(VALU_DEP_1) | instskip(SKIP_1) | instid1(VALU_DEP_1)
	v_mul_f32_e32 v21, v19, v19
	s_wait_alu 0xfffe
	v_fmaak_f32 v22, s2, v21, 0x3ecc95a3
	v_mul_f32_e32 v23, v19, v21
	v_cmp_neq_f32_e64 s2, 0x7f800000, v18
	s_delay_alu instid0(VALU_DEP_3) | instskip(SKIP_2) | instid1(VALU_DEP_3)
	v_fmaak_f32 v21, v21, v22, 0x3f2aaada
	v_ldexp_f32 v22, v19, 1
	v_sub_f32_e32 v19, v19, v20
	v_mul_f32_e32 v21, v23, v21
	s_delay_alu instid0(VALU_DEP_2) | instskip(NEXT) | instid1(VALU_DEP_2)
	v_dual_mul_f32 v23, 0x3f317218, v9 :: v_dual_sub_f32 v10, v10, v19
	v_add_f32_e32 v20, v22, v21
	s_delay_alu instid0(VALU_DEP_2) | instskip(NEXT) | instid1(VALU_DEP_2)
	v_ldexp_f32 v10, v10, 1
	v_sub_f32_e32 v19, v20, v22
	s_delay_alu instid0(VALU_DEP_4) | instskip(NEXT) | instid1(VALU_DEP_2)
	v_fma_f32 v22, 0x3f317218, v9, -v23
	v_sub_f32_e32 v19, v21, v19
	s_delay_alu instid0(VALU_DEP_1) | instskip(NEXT) | instid1(VALU_DEP_1)
	v_dual_fmamk_f32 v9, v9, 0xb102e308, v22 :: v_dual_add_f32 v10, v10, v19
	v_add_f32_e32 v19, v23, v9
	s_delay_alu instid0(VALU_DEP_2) | instskip(NEXT) | instid1(VALU_DEP_2)
	v_add_f32_e32 v21, v20, v10
	v_sub_f32_e32 v23, v19, v23
	s_delay_alu instid0(VALU_DEP_2) | instskip(SKIP_1) | instid1(VALU_DEP_3)
	v_add_f32_e32 v22, v19, v21
	v_sub_f32_e32 v20, v21, v20
	v_sub_f32_e32 v9, v9, v23
	s_delay_alu instid0(VALU_DEP_3) | instskip(NEXT) | instid1(VALU_DEP_3)
	v_sub_f32_e32 v24, v22, v19
	v_sub_f32_e32 v10, v10, v20
	s_delay_alu instid0(VALU_DEP_2) | instskip(SKIP_1) | instid1(VALU_DEP_3)
	v_sub_f32_e32 v25, v22, v24
	v_sub_f32_e32 v20, v21, v24
	v_add_f32_e32 v21, v9, v10
	s_delay_alu instid0(VALU_DEP_3) | instskip(NEXT) | instid1(VALU_DEP_1)
	v_sub_f32_e32 v19, v19, v25
	v_dual_add_f32 v19, v20, v19 :: v_dual_sub_f32 v20, v21, v9
	s_delay_alu instid0(VALU_DEP_1) | instskip(NEXT) | instid1(VALU_DEP_2)
	v_add_f32_e32 v19, v21, v19
	v_sub_f32_e32 v21, v21, v20
	v_sub_f32_e32 v10, v10, v20
	s_delay_alu instid0(VALU_DEP_3) | instskip(NEXT) | instid1(VALU_DEP_1)
	v_add_f32_e32 v23, v22, v19
	v_dual_sub_f32 v9, v9, v21 :: v_dual_sub_f32 v20, v23, v22
	s_delay_alu instid0(VALU_DEP_1) | instskip(NEXT) | instid1(VALU_DEP_1)
	v_dual_add_f32 v9, v10, v9 :: v_dual_sub_f32 v10, v19, v20
	v_add_f32_e32 v9, v9, v10
	s_delay_alu instid0(VALU_DEP_1) | instskip(SKIP_1) | instid1(VALU_DEP_1)
	v_add_f32_e32 v9, v23, v9
	s_wait_alu 0xf1ff
	v_cndmask_b32_e64 v9, 0x7f800000, v9, s2
	v_cmp_gt_f32_e64 s2, 0x33800000, |v18|
	s_wait_alu 0xf1ff
	s_delay_alu instid0(VALU_DEP_1) | instskip(NEXT) | instid1(VALU_DEP_1)
	v_cndmask_b32_e64 v9, v9, v18, s2
	v_add_f32_e32 v19, v8, v9
.LBB93_155:
	s_or_b32 exec_lo, exec_lo, s3
	s_delay_alu instid0(VALU_DEP_1) | instskip(SKIP_1) | instid1(VALU_DEP_2)
	v_dual_max_num_f32 v8, v4, v4 :: v_dual_max_num_f32 v9, v19, v19
	v_cmp_u_f32_e64 s2, v19, v19
	v_min_num_f32_e32 v10, v9, v8
	v_max_num_f32_e32 v9, v9, v8
	s_wait_alu 0xf1ff
	s_delay_alu instid0(VALU_DEP_2) | instskip(NEXT) | instid1(VALU_DEP_2)
	v_cndmask_b32_e64 v10, v10, v19, s2
	v_cndmask_b32_e64 v9, v9, v19, s2
	v_cmp_u_f32_e64 s2, v4, v4
	s_wait_alu 0xf1ff
	s_delay_alu instid0(VALU_DEP_1) | instskip(NEXT) | instid1(VALU_DEP_3)
	v_cndmask_b32_e64 v10, v10, v4, s2
	v_cndmask_b32_e64 v9, v9, v4, s2
	s_delay_alu instid0(VALU_DEP_2) | instskip(NEXT) | instid1(VALU_DEP_2)
	v_cmp_class_f32_e64 s4, v10, 0x1f8
	v_cmp_neq_f32_e64 s3, v10, v9
	s_or_b32 s3, s3, s4
	s_wait_alu 0xfffe
	s_and_saveexec_b32 s4, s3
	s_cbranch_execz .LBB93_157
; %bb.156:
	v_sub_f32_e32 v10, v10, v9
	s_delay_alu instid0(VALU_DEP_1) | instskip(SKIP_1) | instid1(VALU_DEP_2)
	v_mul_f32_e32 v18, 0x3fb8aa3b, v10
	v_cmp_ngt_f32_e64 s3, 0xc2ce8ed0, v10
	v_fma_f32 v19, 0x3fb8aa3b, v10, -v18
	v_rndne_f32_e32 v20, v18
	s_delay_alu instid0(VALU_DEP_2) | instskip(NEXT) | instid1(VALU_DEP_2)
	v_fmamk_f32 v19, v10, 0x32a5705f, v19
	v_sub_f32_e32 v18, v18, v20
	s_delay_alu instid0(VALU_DEP_1) | instskip(SKIP_1) | instid1(VALU_DEP_2)
	v_add_f32_e32 v18, v18, v19
	v_cvt_i32_f32_e32 v19, v20
	v_exp_f32_e32 v18, v18
	s_delay_alu instid0(TRANS32_DEP_1) | instskip(SKIP_1) | instid1(VALU_DEP_1)
	v_ldexp_f32 v18, v18, v19
	s_wait_alu 0xf1ff
	v_cndmask_b32_e64 v18, 0, v18, s3
	v_cmp_nlt_f32_e64 s3, 0x42b17218, v10
	s_wait_alu 0xf1ff
	s_delay_alu instid0(VALU_DEP_1) | instskip(NEXT) | instid1(VALU_DEP_1)
	v_cndmask_b32_e64 v10, 0x7f800000, v18, s3
	v_add_f32_e32 v20, 1.0, v10
	s_delay_alu instid0(VALU_DEP_1) | instskip(NEXT) | instid1(VALU_DEP_1)
	v_cvt_f64_f32_e32 v[18:19], v20
	v_frexp_exp_i32_f64_e32 v18, v[18:19]
	v_frexp_mant_f32_e32 v19, v20
	s_delay_alu instid0(VALU_DEP_1) | instskip(SKIP_1) | instid1(VALU_DEP_1)
	v_cmp_gt_f32_e64 s3, 0x3f2aaaab, v19
	v_add_f32_e32 v19, -1.0, v20
	v_dual_sub_f32 v22, v19, v20 :: v_dual_sub_f32 v19, v10, v19
	s_wait_alu 0xf1ff
	s_delay_alu instid0(VALU_DEP_3) | instskip(SKIP_3) | instid1(VALU_DEP_2)
	v_subrev_co_ci_u32_e64 v18, null, 0, v18, s3
	s_mov_b32 s3, 0x3e9b6dac
	v_sub_nc_u32_e32 v21, 0, v18
	v_cvt_f32_i32_e32 v18, v18
	v_ldexp_f32 v20, v20, v21
	s_delay_alu instid0(VALU_DEP_1) | instskip(NEXT) | instid1(VALU_DEP_1)
	v_dual_add_f32 v22, 1.0, v22 :: v_dual_add_f32 v23, 1.0, v20
	v_add_f32_e32 v19, v19, v22
	s_delay_alu instid0(VALU_DEP_1) | instskip(NEXT) | instid1(VALU_DEP_3)
	v_ldexp_f32 v19, v19, v21
	v_dual_add_f32 v21, -1.0, v20 :: v_dual_add_f32 v22, -1.0, v23
	s_delay_alu instid0(VALU_DEP_1) | instskip(NEXT) | instid1(VALU_DEP_2)
	v_add_f32_e32 v24, 1.0, v21
	v_sub_f32_e32 v22, v20, v22
	s_delay_alu instid0(VALU_DEP_2) | instskip(NEXT) | instid1(VALU_DEP_2)
	v_sub_f32_e32 v20, v20, v24
	v_add_f32_e32 v22, v19, v22
	s_delay_alu instid0(VALU_DEP_2) | instskip(NEXT) | instid1(VALU_DEP_1)
	v_add_f32_e32 v19, v19, v20
	v_dual_add_f32 v25, v21, v19 :: v_dual_add_f32 v24, v23, v22
	s_delay_alu instid0(VALU_DEP_1) | instskip(NEXT) | instid1(VALU_DEP_2)
	v_sub_f32_e32 v21, v21, v25
	v_rcp_f32_e32 v20, v24
	v_sub_f32_e32 v23, v23, v24
	s_delay_alu instid0(VALU_DEP_1) | instskip(NEXT) | instid1(TRANS32_DEP_1)
	v_dual_add_f32 v19, v19, v21 :: v_dual_add_f32 v22, v22, v23
	v_mul_f32_e32 v26, v25, v20
	s_delay_alu instid0(VALU_DEP_1) | instskip(NEXT) | instid1(VALU_DEP_1)
	v_mul_f32_e32 v27, v24, v26
	v_fma_f32 v23, v26, v24, -v27
	s_delay_alu instid0(VALU_DEP_1) | instskip(NEXT) | instid1(VALU_DEP_1)
	v_fmac_f32_e32 v23, v26, v22
	v_add_f32_e32 v28, v27, v23
	s_delay_alu instid0(VALU_DEP_1) | instskip(SKIP_1) | instid1(VALU_DEP_2)
	v_sub_f32_e32 v29, v25, v28
	v_sub_f32_e32 v21, v28, v27
	;; [unrolled: 1-line block ×3, first 2 shown]
	s_delay_alu instid0(VALU_DEP_2) | instskip(NEXT) | instid1(VALU_DEP_2)
	v_sub_f32_e32 v21, v21, v23
	v_sub_f32_e32 v25, v25, v28
	s_delay_alu instid0(VALU_DEP_1) | instskip(NEXT) | instid1(VALU_DEP_1)
	v_add_f32_e32 v19, v19, v25
	v_add_f32_e32 v19, v21, v19
	s_delay_alu instid0(VALU_DEP_1) | instskip(NEXT) | instid1(VALU_DEP_1)
	v_add_f32_e32 v21, v29, v19
	v_mul_f32_e32 v23, v20, v21
	s_delay_alu instid0(VALU_DEP_1) | instskip(NEXT) | instid1(VALU_DEP_1)
	v_dual_sub_f32 v28, v29, v21 :: v_dual_mul_f32 v25, v24, v23
	v_add_f32_e32 v19, v19, v28
	s_delay_alu instid0(VALU_DEP_2) | instskip(NEXT) | instid1(VALU_DEP_1)
	v_fma_f32 v24, v23, v24, -v25
	v_fmac_f32_e32 v24, v23, v22
	s_delay_alu instid0(VALU_DEP_1) | instskip(NEXT) | instid1(VALU_DEP_1)
	v_add_f32_e32 v22, v25, v24
	v_sub_f32_e32 v27, v21, v22
	s_delay_alu instid0(VALU_DEP_1) | instskip(NEXT) | instid1(VALU_DEP_1)
	v_sub_f32_e32 v21, v21, v27
	v_sub_f32_e32 v21, v21, v22
	s_delay_alu instid0(VALU_DEP_1) | instskip(SKIP_2) | instid1(VALU_DEP_1)
	v_add_f32_e32 v19, v19, v21
	v_add_f32_e32 v21, v26, v23
	v_sub_f32_e32 v25, v22, v25
	v_sub_f32_e32 v22, v25, v24
	s_delay_alu instid0(VALU_DEP_1) | instskip(NEXT) | instid1(VALU_DEP_1)
	v_dual_add_f32 v19, v22, v19 :: v_dual_sub_f32 v22, v21, v26
	v_add_f32_e32 v19, v27, v19
	s_delay_alu instid0(VALU_DEP_1) | instskip(NEXT) | instid1(VALU_DEP_1)
	v_dual_sub_f32 v22, v23, v22 :: v_dual_mul_f32 v19, v20, v19
	v_add_f32_e32 v19, v22, v19
	s_delay_alu instid0(VALU_DEP_1) | instskip(NEXT) | instid1(VALU_DEP_1)
	v_add_f32_e32 v20, v21, v19
	v_mul_f32_e32 v22, v20, v20
	s_wait_alu 0xfffe
	s_delay_alu instid0(VALU_DEP_1) | instskip(SKIP_2) | instid1(VALU_DEP_3)
	v_fmaak_f32 v23, s3, v22, 0x3ecc95a3
	v_mul_f32_e32 v24, v20, v22
	v_cmp_neq_f32_e64 s3, 0x7f800000, v10
	v_fmaak_f32 v22, v22, v23, 0x3f2aaada
	v_ldexp_f32 v23, v20, 1
	v_sub_f32_e32 v20, v20, v21
	s_delay_alu instid0(VALU_DEP_3) | instskip(NEXT) | instid1(VALU_DEP_2)
	v_mul_f32_e32 v22, v24, v22
	v_dual_mul_f32 v24, 0x3f317218, v18 :: v_dual_sub_f32 v19, v19, v20
	s_delay_alu instid0(VALU_DEP_2) | instskip(NEXT) | instid1(VALU_DEP_2)
	v_add_f32_e32 v21, v23, v22
	v_ldexp_f32 v19, v19, 1
	s_delay_alu instid0(VALU_DEP_2) | instskip(NEXT) | instid1(VALU_DEP_4)
	v_sub_f32_e32 v20, v21, v23
	v_fma_f32 v23, 0x3f317218, v18, -v24
	s_delay_alu instid0(VALU_DEP_2) | instskip(NEXT) | instid1(VALU_DEP_1)
	v_sub_f32_e32 v20, v22, v20
	v_dual_fmamk_f32 v18, v18, 0xb102e308, v23 :: v_dual_add_f32 v19, v19, v20
	s_delay_alu instid0(VALU_DEP_1) | instskip(NEXT) | instid1(VALU_DEP_1)
	v_add_f32_e32 v20, v24, v18
	v_sub_f32_e32 v24, v20, v24
	s_delay_alu instid0(VALU_DEP_1) | instskip(NEXT) | instid1(VALU_DEP_4)
	v_sub_f32_e32 v18, v18, v24
	v_add_f32_e32 v22, v21, v19
	s_delay_alu instid0(VALU_DEP_1) | instskip(NEXT) | instid1(VALU_DEP_1)
	v_sub_f32_e32 v21, v22, v21
	v_sub_f32_e32 v19, v19, v21
	v_add_f32_e32 v23, v20, v22
	s_delay_alu instid0(VALU_DEP_1) | instskip(NEXT) | instid1(VALU_DEP_1)
	v_sub_f32_e32 v25, v23, v20
	v_sub_f32_e32 v21, v22, v25
	s_delay_alu instid0(VALU_DEP_4) | instskip(SKIP_1) | instid1(VALU_DEP_1)
	v_add_f32_e32 v22, v18, v19
	v_sub_f32_e32 v26, v23, v25
	v_sub_f32_e32 v20, v20, v26
	s_delay_alu instid0(VALU_DEP_1) | instskip(NEXT) | instid1(VALU_DEP_1)
	v_dual_add_f32 v20, v21, v20 :: v_dual_sub_f32 v21, v22, v18
	v_dual_add_f32 v20, v22, v20 :: v_dual_sub_f32 v19, v19, v21
	v_sub_f32_e32 v22, v22, v21
	s_delay_alu instid0(VALU_DEP_2) | instskip(NEXT) | instid1(VALU_DEP_1)
	v_add_f32_e32 v24, v23, v20
	v_dual_sub_f32 v18, v18, v22 :: v_dual_sub_f32 v21, v24, v23
	s_delay_alu instid0(VALU_DEP_1) | instskip(NEXT) | instid1(VALU_DEP_1)
	v_dual_add_f32 v18, v19, v18 :: v_dual_sub_f32 v19, v20, v21
	v_add_f32_e32 v18, v18, v19
	s_delay_alu instid0(VALU_DEP_1) | instskip(SKIP_1) | instid1(VALU_DEP_1)
	v_add_f32_e32 v18, v24, v18
	s_wait_alu 0xf1ff
	v_cndmask_b32_e64 v18, 0x7f800000, v18, s3
	v_cmp_gt_f32_e64 s3, 0x33800000, |v10|
	s_wait_alu 0xf1ff
	s_delay_alu instid0(VALU_DEP_1) | instskip(NEXT) | instid1(VALU_DEP_1)
	v_cndmask_b32_e64 v10, v18, v10, s3
	v_add_f32_e32 v19, v9, v10
.LBB93_157:
	s_wait_alu 0xfffe
	s_or_b32 exec_lo, exec_lo, s4
	v_max_num_f32_e32 v9, v11, v11
	s_delay_alu instid0(VALU_DEP_2) | instskip(SKIP_1) | instid1(VALU_DEP_2)
	v_max_num_f32_e32 v10, v19, v19
	v_cmp_u_f32_e64 s3, v19, v19
	v_min_num_f32_e32 v18, v10, v9
	v_max_num_f32_e32 v10, v10, v9
	s_wait_alu 0xf1ff
	s_delay_alu instid0(VALU_DEP_2) | instskip(NEXT) | instid1(VALU_DEP_2)
	v_cndmask_b32_e64 v18, v18, v19, s3
	v_cndmask_b32_e64 v10, v10, v19, s3
	v_cmp_u_f32_e64 s3, v11, v11
	s_wait_alu 0xf1ff
	s_delay_alu instid0(VALU_DEP_1) | instskip(NEXT) | instid1(VALU_DEP_3)
	v_cndmask_b32_e64 v18, v18, v11, s3
	v_cndmask_b32_e64 v10, v10, v11, s3
	s_delay_alu instid0(VALU_DEP_2) | instskip(NEXT) | instid1(VALU_DEP_2)
	v_cmp_class_f32_e64 s6, v18, 0x1f8
	v_cmp_neq_f32_e64 s4, v18, v10
	s_or_b32 s4, s4, s6
	s_wait_alu 0xfffe
	s_and_saveexec_b32 s6, s4
	s_cbranch_execz .LBB93_159
; %bb.158:
	v_sub_f32_e32 v18, v18, v10
	s_delay_alu instid0(VALU_DEP_1) | instskip(NEXT) | instid1(VALU_DEP_1)
	v_mul_f32_e32 v19, 0x3fb8aa3b, v18
	v_fma_f32 v20, 0x3fb8aa3b, v18, -v19
	v_rndne_f32_e32 v21, v19
	s_delay_alu instid0(VALU_DEP_1) | instskip(SKIP_1) | instid1(VALU_DEP_2)
	v_dual_sub_f32 v19, v19, v21 :: v_dual_fmamk_f32 v20, v18, 0x32a5705f, v20
	v_cmp_ngt_f32_e64 s4, 0xc2ce8ed0, v18
	v_add_f32_e32 v19, v19, v20
	v_cvt_i32_f32_e32 v20, v21
	s_delay_alu instid0(VALU_DEP_2) | instskip(NEXT) | instid1(TRANS32_DEP_1)
	v_exp_f32_e32 v19, v19
	v_ldexp_f32 v19, v19, v20
	s_wait_alu 0xf1ff
	s_delay_alu instid0(VALU_DEP_1) | instskip(SKIP_2) | instid1(VALU_DEP_1)
	v_cndmask_b32_e64 v19, 0, v19, s4
	v_cmp_nlt_f32_e64 s4, 0x42b17218, v18
	s_wait_alu 0xf1ff
	v_cndmask_b32_e64 v20, 0x7f800000, v19, s4
	s_delay_alu instid0(VALU_DEP_1) | instskip(NEXT) | instid1(VALU_DEP_1)
	v_add_f32_e32 v21, 1.0, v20
	v_cvt_f64_f32_e32 v[18:19], v21
	s_delay_alu instid0(VALU_DEP_1) | instskip(SKIP_1) | instid1(VALU_DEP_1)
	v_frexp_exp_i32_f64_e32 v18, v[18:19]
	v_frexp_mant_f32_e32 v19, v21
	v_cmp_gt_f32_e64 s4, 0x3f2aaaab, v19
	v_add_f32_e32 v19, -1.0, v21
	s_delay_alu instid0(VALU_DEP_1)
	v_sub_f32_e32 v23, v19, v21
	v_sub_f32_e32 v19, v20, v19
	s_wait_alu 0xf1ff
	v_subrev_co_ci_u32_e64 v18, null, 0, v18, s4
	s_mov_b32 s4, 0x3e9b6dac
	v_sub_nc_u32_e32 v22, 0, v18
	v_cvt_f32_i32_e32 v18, v18
	s_delay_alu instid0(VALU_DEP_2) | instskip(NEXT) | instid1(VALU_DEP_1)
	v_ldexp_f32 v21, v21, v22
	v_dual_add_f32 v24, 1.0, v21 :: v_dual_add_f32 v23, 1.0, v23
	s_delay_alu instid0(VALU_DEP_1) | instskip(NEXT) | instid1(VALU_DEP_2)
	v_add_f32_e32 v19, v19, v23
	v_add_f32_e32 v23, -1.0, v24
	s_delay_alu instid0(VALU_DEP_2) | instskip(NEXT) | instid1(VALU_DEP_2)
	v_ldexp_f32 v19, v19, v22
	v_dual_add_f32 v22, -1.0, v21 :: v_dual_sub_f32 v23, v21, v23
	s_delay_alu instid0(VALU_DEP_1) | instskip(NEXT) | instid1(VALU_DEP_2)
	v_add_f32_e32 v25, 1.0, v22
	v_add_f32_e32 v23, v19, v23
	s_delay_alu instid0(VALU_DEP_2) | instskip(NEXT) | instid1(VALU_DEP_2)
	v_sub_f32_e32 v21, v21, v25
	v_add_f32_e32 v25, v24, v23
	s_delay_alu instid0(VALU_DEP_2) | instskip(NEXT) | instid1(VALU_DEP_2)
	v_add_f32_e32 v19, v19, v21
	v_rcp_f32_e32 v21, v25
	v_sub_f32_e32 v24, v24, v25
	s_delay_alu instid0(VALU_DEP_1) | instskip(NEXT) | instid1(VALU_DEP_1)
	v_dual_add_f32 v26, v22, v19 :: v_dual_add_f32 v23, v23, v24
	v_sub_f32_e32 v22, v22, v26
	s_delay_alu instid0(TRANS32_DEP_1) | instskip(NEXT) | instid1(VALU_DEP_1)
	v_mul_f32_e32 v27, v26, v21
	v_dual_add_f32 v19, v19, v22 :: v_dual_mul_f32 v28, v25, v27
	s_delay_alu instid0(VALU_DEP_1) | instskip(NEXT) | instid1(VALU_DEP_1)
	v_fma_f32 v24, v27, v25, -v28
	v_fmac_f32_e32 v24, v27, v23
	s_delay_alu instid0(VALU_DEP_1) | instskip(NEXT) | instid1(VALU_DEP_1)
	v_add_f32_e32 v29, v28, v24
	v_sub_f32_e32 v30, v26, v29
	v_sub_f32_e32 v22, v29, v28
	s_delay_alu instid0(VALU_DEP_2) | instskip(NEXT) | instid1(VALU_DEP_2)
	v_sub_f32_e32 v26, v26, v30
	v_sub_f32_e32 v22, v22, v24
	s_delay_alu instid0(VALU_DEP_2) | instskip(NEXT) | instid1(VALU_DEP_1)
	v_sub_f32_e32 v26, v26, v29
	v_add_f32_e32 v19, v19, v26
	s_delay_alu instid0(VALU_DEP_1) | instskip(NEXT) | instid1(VALU_DEP_1)
	v_add_f32_e32 v19, v22, v19
	v_add_f32_e32 v22, v30, v19
	s_delay_alu instid0(VALU_DEP_1) | instskip(NEXT) | instid1(VALU_DEP_1)
	v_mul_f32_e32 v24, v21, v22
	v_dual_sub_f32 v29, v30, v22 :: v_dual_mul_f32 v26, v25, v24
	s_delay_alu instid0(VALU_DEP_1) | instskip(NEXT) | instid1(VALU_DEP_2)
	v_add_f32_e32 v19, v19, v29
	v_fma_f32 v25, v24, v25, -v26
	s_delay_alu instid0(VALU_DEP_1) | instskip(NEXT) | instid1(VALU_DEP_1)
	v_fmac_f32_e32 v25, v24, v23
	v_add_f32_e32 v23, v26, v25
	s_delay_alu instid0(VALU_DEP_1) | instskip(SKIP_1) | instid1(VALU_DEP_2)
	v_sub_f32_e32 v28, v22, v23
	v_sub_f32_e32 v26, v23, v26
	;; [unrolled: 1-line block ×3, first 2 shown]
	s_delay_alu instid0(VALU_DEP_1) | instskip(NEXT) | instid1(VALU_DEP_3)
	v_sub_f32_e32 v22, v22, v23
	v_sub_f32_e32 v23, v26, v25
	s_delay_alu instid0(VALU_DEP_2) | instskip(SKIP_1) | instid1(VALU_DEP_2)
	v_add_f32_e32 v19, v19, v22
	v_add_f32_e32 v22, v27, v24
	;; [unrolled: 1-line block ×3, first 2 shown]
	s_delay_alu instid0(VALU_DEP_2) | instskip(NEXT) | instid1(VALU_DEP_2)
	v_sub_f32_e32 v23, v22, v27
	v_add_f32_e32 v19, v28, v19
	s_delay_alu instid0(VALU_DEP_2) | instskip(NEXT) | instid1(VALU_DEP_2)
	v_sub_f32_e32 v23, v24, v23
	v_mul_f32_e32 v19, v21, v19
	s_delay_alu instid0(VALU_DEP_1) | instskip(NEXT) | instid1(VALU_DEP_1)
	v_add_f32_e32 v19, v23, v19
	v_add_f32_e32 v21, v22, v19
	s_delay_alu instid0(VALU_DEP_1) | instskip(SKIP_1) | instid1(VALU_DEP_1)
	v_mul_f32_e32 v23, v21, v21
	s_wait_alu 0xfffe
	v_fmaak_f32 v24, s4, v23, 0x3ecc95a3
	v_mul_f32_e32 v25, v21, v23
	v_cmp_neq_f32_e64 s4, 0x7f800000, v20
	s_delay_alu instid0(VALU_DEP_3) | instskip(SKIP_2) | instid1(VALU_DEP_3)
	v_fmaak_f32 v23, v23, v24, 0x3f2aaada
	v_ldexp_f32 v24, v21, 1
	v_sub_f32_e32 v21, v21, v22
	v_mul_f32_e32 v23, v25, v23
	v_mul_f32_e32 v25, 0x3f317218, v18
	s_delay_alu instid0(VALU_DEP_2) | instskip(NEXT) | instid1(VALU_DEP_1)
	v_dual_sub_f32 v19, v19, v21 :: v_dual_add_f32 v22, v24, v23
	v_ldexp_f32 v19, v19, 1
	s_delay_alu instid0(VALU_DEP_2) | instskip(NEXT) | instid1(VALU_DEP_4)
	v_sub_f32_e32 v21, v22, v24
	v_fma_f32 v24, 0x3f317218, v18, -v25
	s_delay_alu instid0(VALU_DEP_1) | instskip(NEXT) | instid1(VALU_DEP_1)
	v_dual_sub_f32 v21, v23, v21 :: v_dual_fmamk_f32 v18, v18, 0xb102e308, v24
	v_add_f32_e32 v19, v19, v21
	s_delay_alu instid0(VALU_DEP_2) | instskip(NEXT) | instid1(VALU_DEP_2)
	v_add_f32_e32 v21, v25, v18
	v_add_f32_e32 v23, v22, v19
	s_delay_alu instid0(VALU_DEP_2) | instskip(NEXT) | instid1(VALU_DEP_2)
	v_sub_f32_e32 v25, v21, v25
	v_add_f32_e32 v24, v21, v23
	v_sub_f32_e32 v22, v23, v22
	s_delay_alu instid0(VALU_DEP_3) | instskip(NEXT) | instid1(VALU_DEP_2)
	v_sub_f32_e32 v18, v18, v25
	v_dual_sub_f32 v26, v24, v21 :: v_dual_sub_f32 v19, v19, v22
	s_delay_alu instid0(VALU_DEP_1) | instskip(NEXT) | instid1(VALU_DEP_2)
	v_sub_f32_e32 v27, v24, v26
	v_dual_sub_f32 v22, v23, v26 :: v_dual_add_f32 v23, v18, v19
	s_delay_alu instid0(VALU_DEP_2) | instskip(NEXT) | instid1(VALU_DEP_1)
	v_sub_f32_e32 v21, v21, v27
	v_dual_add_f32 v21, v22, v21 :: v_dual_sub_f32 v22, v23, v18
	s_delay_alu instid0(VALU_DEP_1) | instskip(NEXT) | instid1(VALU_DEP_2)
	v_add_f32_e32 v21, v23, v21
	v_sub_f32_e32 v23, v23, v22
	v_sub_f32_e32 v19, v19, v22
	s_delay_alu instid0(VALU_DEP_2) | instskip(NEXT) | instid1(VALU_DEP_1)
	v_dual_add_f32 v25, v24, v21 :: v_dual_sub_f32 v18, v18, v23
	v_sub_f32_e32 v22, v25, v24
	s_delay_alu instid0(VALU_DEP_2) | instskip(NEXT) | instid1(VALU_DEP_2)
	v_add_f32_e32 v18, v19, v18
	v_sub_f32_e32 v19, v21, v22
	s_delay_alu instid0(VALU_DEP_1) | instskip(NEXT) | instid1(VALU_DEP_1)
	v_add_f32_e32 v18, v18, v19
	v_add_f32_e32 v18, v25, v18
	s_wait_alu 0xf1ff
	s_delay_alu instid0(VALU_DEP_1) | instskip(SKIP_2) | instid1(VALU_DEP_1)
	v_cndmask_b32_e64 v18, 0x7f800000, v18, s4
	v_cmp_gt_f32_e64 s4, 0x33800000, |v20|
	s_wait_alu 0xf1ff
	v_cndmask_b32_e64 v18, v18, v20, s4
	s_delay_alu instid0(VALU_DEP_1)
	v_add_f32_e32 v19, v10, v18
.LBB93_159:
	s_wait_alu 0xfffe
	s_or_b32 exec_lo, exec_lo, s6
	v_max_num_f32_e32 v10, v12, v12
	s_delay_alu instid0(VALU_DEP_2) | instskip(SKIP_1) | instid1(VALU_DEP_2)
	v_max_num_f32_e32 v18, v19, v19
	v_cmp_u_f32_e64 s4, v19, v19
	v_min_num_f32_e32 v20, v18, v10
	v_max_num_f32_e32 v18, v18, v10
	s_wait_alu 0xf1ff
	s_delay_alu instid0(VALU_DEP_2) | instskip(NEXT) | instid1(VALU_DEP_2)
	v_cndmask_b32_e64 v20, v20, v19, s4
	v_cndmask_b32_e64 v18, v18, v19, s4
	v_cmp_u_f32_e64 s4, v12, v12
	s_wait_alu 0xf1ff
	s_delay_alu instid0(VALU_DEP_1) | instskip(NEXT) | instid1(VALU_DEP_3)
	v_cndmask_b32_e64 v20, v20, v12, s4
	v_cndmask_b32_e64 v18, v18, v12, s4
	s_delay_alu instid0(VALU_DEP_2) | instskip(NEXT) | instid1(VALU_DEP_2)
	v_cmp_class_f32_e64 s7, v20, 0x1f8
	v_cmp_neq_f32_e64 s6, v20, v18
	s_or_b32 s6, s6, s7
	s_wait_alu 0xfffe
	s_and_saveexec_b32 s7, s6
	s_cbranch_execz .LBB93_161
; %bb.160:
	v_sub_f32_e32 v19, v20, v18
	s_delay_alu instid0(VALU_DEP_1) | instskip(SKIP_1) | instid1(VALU_DEP_2)
	v_mul_f32_e32 v20, 0x3fb8aa3b, v19
	v_cmp_ngt_f32_e64 s6, 0xc2ce8ed0, v19
	v_fma_f32 v21, 0x3fb8aa3b, v19, -v20
	v_rndne_f32_e32 v22, v20
	s_delay_alu instid0(VALU_DEP_1) | instskip(NEXT) | instid1(VALU_DEP_1)
	v_dual_fmamk_f32 v21, v19, 0x32a5705f, v21 :: v_dual_sub_f32 v20, v20, v22
	v_add_f32_e32 v20, v20, v21
	v_cvt_i32_f32_e32 v21, v22
	s_delay_alu instid0(VALU_DEP_2) | instskip(NEXT) | instid1(TRANS32_DEP_1)
	v_exp_f32_e32 v20, v20
	v_ldexp_f32 v20, v20, v21
	s_wait_alu 0xf1ff
	s_delay_alu instid0(VALU_DEP_1) | instskip(SKIP_2) | instid1(VALU_DEP_1)
	v_cndmask_b32_e64 v20, 0, v20, s6
	v_cmp_nlt_f32_e64 s6, 0x42b17218, v19
	s_wait_alu 0xf1ff
	v_cndmask_b32_e64 v21, 0x7f800000, v20, s6
	s_delay_alu instid0(VALU_DEP_1) | instskip(NEXT) | instid1(VALU_DEP_1)
	v_add_f32_e32 v22, 1.0, v21
	v_cvt_f64_f32_e32 v[19:20], v22
	s_delay_alu instid0(VALU_DEP_1) | instskip(SKIP_1) | instid1(VALU_DEP_1)
	v_frexp_exp_i32_f64_e32 v19, v[19:20]
	v_frexp_mant_f32_e32 v20, v22
	v_cmp_gt_f32_e64 s6, 0x3f2aaaab, v20
	v_add_f32_e32 v20, -1.0, v22
	s_delay_alu instid0(VALU_DEP_1)
	v_sub_f32_e32 v24, v20, v22
	v_sub_f32_e32 v20, v21, v20
	s_wait_alu 0xf1ff
	v_subrev_co_ci_u32_e64 v19, null, 0, v19, s6
	s_mov_b32 s6, 0x3e9b6dac
	v_sub_nc_u32_e32 v23, 0, v19
	v_cvt_f32_i32_e32 v19, v19
	s_delay_alu instid0(VALU_DEP_2) | instskip(NEXT) | instid1(VALU_DEP_1)
	v_ldexp_f32 v22, v22, v23
	v_dual_add_f32 v25, 1.0, v22 :: v_dual_add_f32 v24, 1.0, v24
	s_delay_alu instid0(VALU_DEP_1) | instskip(NEXT) | instid1(VALU_DEP_2)
	v_add_f32_e32 v20, v20, v24
	v_add_f32_e32 v24, -1.0, v25
	s_delay_alu instid0(VALU_DEP_2) | instskip(NEXT) | instid1(VALU_DEP_2)
	v_ldexp_f32 v20, v20, v23
	v_dual_add_f32 v23, -1.0, v22 :: v_dual_sub_f32 v24, v22, v24
	s_delay_alu instid0(VALU_DEP_1) | instskip(NEXT) | instid1(VALU_DEP_2)
	v_add_f32_e32 v26, 1.0, v23
	v_add_f32_e32 v24, v20, v24
	s_delay_alu instid0(VALU_DEP_2) | instskip(NEXT) | instid1(VALU_DEP_2)
	v_sub_f32_e32 v22, v22, v26
	v_add_f32_e32 v26, v25, v24
	s_delay_alu instid0(VALU_DEP_2) | instskip(NEXT) | instid1(VALU_DEP_2)
	v_add_f32_e32 v20, v20, v22
	v_rcp_f32_e32 v22, v26
	v_sub_f32_e32 v25, v25, v26
	s_delay_alu instid0(VALU_DEP_1) | instskip(NEXT) | instid1(VALU_DEP_1)
	v_dual_add_f32 v27, v23, v20 :: v_dual_add_f32 v24, v24, v25
	v_sub_f32_e32 v23, v23, v27
	s_delay_alu instid0(TRANS32_DEP_1) | instskip(NEXT) | instid1(VALU_DEP_1)
	v_mul_f32_e32 v28, v27, v22
	v_dual_add_f32 v20, v20, v23 :: v_dual_mul_f32 v29, v26, v28
	s_delay_alu instid0(VALU_DEP_1) | instskip(NEXT) | instid1(VALU_DEP_1)
	v_fma_f32 v25, v28, v26, -v29
	v_fmac_f32_e32 v25, v28, v24
	s_delay_alu instid0(VALU_DEP_1) | instskip(NEXT) | instid1(VALU_DEP_1)
	v_add_f32_e32 v30, v29, v25
	v_sub_f32_e32 v31, v27, v30
	v_sub_f32_e32 v23, v30, v29
	s_delay_alu instid0(VALU_DEP_2) | instskip(NEXT) | instid1(VALU_DEP_2)
	v_sub_f32_e32 v27, v27, v31
	v_sub_f32_e32 v23, v23, v25
	s_delay_alu instid0(VALU_DEP_2) | instskip(NEXT) | instid1(VALU_DEP_1)
	v_sub_f32_e32 v27, v27, v30
	v_add_f32_e32 v20, v20, v27
	s_delay_alu instid0(VALU_DEP_1) | instskip(NEXT) | instid1(VALU_DEP_1)
	v_add_f32_e32 v20, v23, v20
	v_add_f32_e32 v23, v31, v20
	s_delay_alu instid0(VALU_DEP_1) | instskip(NEXT) | instid1(VALU_DEP_1)
	v_mul_f32_e32 v25, v22, v23
	v_dual_sub_f32 v30, v31, v23 :: v_dual_mul_f32 v27, v26, v25
	s_delay_alu instid0(VALU_DEP_1) | instskip(NEXT) | instid1(VALU_DEP_2)
	v_add_f32_e32 v20, v20, v30
	v_fma_f32 v26, v25, v26, -v27
	s_delay_alu instid0(VALU_DEP_1) | instskip(NEXT) | instid1(VALU_DEP_1)
	v_fmac_f32_e32 v26, v25, v24
	v_add_f32_e32 v24, v27, v26
	s_delay_alu instid0(VALU_DEP_1) | instskip(SKIP_1) | instid1(VALU_DEP_2)
	v_sub_f32_e32 v29, v23, v24
	v_sub_f32_e32 v27, v24, v27
	;; [unrolled: 1-line block ×3, first 2 shown]
	s_delay_alu instid0(VALU_DEP_1) | instskip(NEXT) | instid1(VALU_DEP_3)
	v_sub_f32_e32 v23, v23, v24
	v_sub_f32_e32 v24, v27, v26
	s_delay_alu instid0(VALU_DEP_2) | instskip(SKIP_1) | instid1(VALU_DEP_2)
	v_add_f32_e32 v20, v20, v23
	v_add_f32_e32 v23, v28, v25
	;; [unrolled: 1-line block ×3, first 2 shown]
	s_delay_alu instid0(VALU_DEP_2) | instskip(NEXT) | instid1(VALU_DEP_2)
	v_sub_f32_e32 v24, v23, v28
	v_add_f32_e32 v20, v29, v20
	s_delay_alu instid0(VALU_DEP_2) | instskip(NEXT) | instid1(VALU_DEP_2)
	v_sub_f32_e32 v24, v25, v24
	v_mul_f32_e32 v20, v22, v20
	s_delay_alu instid0(VALU_DEP_1) | instskip(NEXT) | instid1(VALU_DEP_1)
	v_add_f32_e32 v20, v24, v20
	v_add_f32_e32 v22, v23, v20
	s_delay_alu instid0(VALU_DEP_1) | instskip(SKIP_1) | instid1(VALU_DEP_1)
	v_mul_f32_e32 v24, v22, v22
	s_wait_alu 0xfffe
	v_fmaak_f32 v25, s6, v24, 0x3ecc95a3
	v_mul_f32_e32 v26, v22, v24
	v_cmp_neq_f32_e64 s6, 0x7f800000, v21
	s_delay_alu instid0(VALU_DEP_3) | instskip(SKIP_2) | instid1(VALU_DEP_3)
	v_fmaak_f32 v24, v24, v25, 0x3f2aaada
	v_ldexp_f32 v25, v22, 1
	v_sub_f32_e32 v22, v22, v23
	v_mul_f32_e32 v24, v26, v24
	v_mul_f32_e32 v26, 0x3f317218, v19
	s_delay_alu instid0(VALU_DEP_2) | instskip(NEXT) | instid1(VALU_DEP_1)
	v_dual_sub_f32 v20, v20, v22 :: v_dual_add_f32 v23, v25, v24
	v_ldexp_f32 v20, v20, 1
	s_delay_alu instid0(VALU_DEP_2) | instskip(NEXT) | instid1(VALU_DEP_4)
	v_sub_f32_e32 v22, v23, v25
	v_fma_f32 v25, 0x3f317218, v19, -v26
	s_delay_alu instid0(VALU_DEP_1) | instskip(NEXT) | instid1(VALU_DEP_1)
	v_dual_sub_f32 v22, v24, v22 :: v_dual_fmamk_f32 v19, v19, 0xb102e308, v25
	v_add_f32_e32 v20, v20, v22
	s_delay_alu instid0(VALU_DEP_2) | instskip(NEXT) | instid1(VALU_DEP_2)
	v_add_f32_e32 v22, v26, v19
	v_add_f32_e32 v24, v23, v20
	s_delay_alu instid0(VALU_DEP_2) | instskip(NEXT) | instid1(VALU_DEP_2)
	v_sub_f32_e32 v26, v22, v26
	v_add_f32_e32 v25, v22, v24
	v_sub_f32_e32 v23, v24, v23
	s_delay_alu instid0(VALU_DEP_3) | instskip(NEXT) | instid1(VALU_DEP_2)
	v_sub_f32_e32 v19, v19, v26
	v_dual_sub_f32 v27, v25, v22 :: v_dual_sub_f32 v20, v20, v23
	s_delay_alu instid0(VALU_DEP_1) | instskip(NEXT) | instid1(VALU_DEP_2)
	v_sub_f32_e32 v28, v25, v27
	v_dual_sub_f32 v23, v24, v27 :: v_dual_add_f32 v24, v19, v20
	s_delay_alu instid0(VALU_DEP_2) | instskip(NEXT) | instid1(VALU_DEP_1)
	v_sub_f32_e32 v22, v22, v28
	v_dual_add_f32 v22, v23, v22 :: v_dual_sub_f32 v23, v24, v19
	s_delay_alu instid0(VALU_DEP_1) | instskip(NEXT) | instid1(VALU_DEP_2)
	v_add_f32_e32 v22, v24, v22
	v_sub_f32_e32 v24, v24, v23
	v_sub_f32_e32 v20, v20, v23
	s_delay_alu instid0(VALU_DEP_2) | instskip(NEXT) | instid1(VALU_DEP_1)
	v_dual_add_f32 v26, v25, v22 :: v_dual_sub_f32 v19, v19, v24
	v_sub_f32_e32 v23, v26, v25
	s_delay_alu instid0(VALU_DEP_2) | instskip(NEXT) | instid1(VALU_DEP_2)
	v_add_f32_e32 v19, v20, v19
	v_sub_f32_e32 v20, v22, v23
	s_delay_alu instid0(VALU_DEP_1) | instskip(NEXT) | instid1(VALU_DEP_1)
	v_add_f32_e32 v19, v19, v20
	v_add_f32_e32 v19, v26, v19
	s_wait_alu 0xf1ff
	s_delay_alu instid0(VALU_DEP_1) | instskip(SKIP_2) | instid1(VALU_DEP_1)
	v_cndmask_b32_e64 v19, 0x7f800000, v19, s6
	v_cmp_gt_f32_e64 s6, 0x33800000, |v21|
	s_wait_alu 0xf1ff
	v_cndmask_b32_e64 v19, v19, v21, s6
	s_delay_alu instid0(VALU_DEP_1)
	v_add_f32_e32 v19, v18, v19
.LBB93_161:
	s_wait_alu 0xfffe
	s_or_b32 exec_lo, exec_lo, s7
	v_mbcnt_lo_u32_b32 v18, -1, 0
	s_delay_alu instid0(VALU_DEP_2) | instskip(SKIP_1) | instid1(VALU_DEP_2)
	v_mov_b32_dpp v21, v19 row_shr:1 row_mask:0xf bank_mask:0xf
	s_mov_b32 s7, exec_lo
	v_and_b32_e32 v20, 15, v18
	s_delay_alu instid0(VALU_DEP_1)
	v_cmpx_ne_u32_e32 0, v20
	s_cbranch_execz .LBB93_165
; %bb.162:
	v_dual_max_num_f32 v22, v19, v19 :: v_dual_max_num_f32 v23, v21, v21
	v_cmp_u_f32_e64 s6, v21, v21
	s_delay_alu instid0(VALU_DEP_2) | instskip(SKIP_2) | instid1(VALU_DEP_2)
	v_min_num_f32_e32 v24, v23, v22
	v_max_num_f32_e32 v22, v23, v22
	s_wait_alu 0xf1ff
	v_cndmask_b32_e64 v23, v24, v21, s6
	s_delay_alu instid0(VALU_DEP_2) | instskip(SKIP_2) | instid1(VALU_DEP_1)
	v_cndmask_b32_e64 v24, v22, v21, s6
	v_cmp_u_f32_e64 s6, v19, v19
	s_wait_alu 0xf1ff
	v_cndmask_b32_e64 v22, v23, v19, s6
	s_delay_alu instid0(VALU_DEP_3) | instskip(NEXT) | instid1(VALU_DEP_2)
	v_cndmask_b32_e64 v19, v24, v19, s6
	v_cmp_class_f32_e64 s8, v22, 0x1f8
	s_delay_alu instid0(VALU_DEP_2)
	v_cmp_neq_f32_e64 s6, v22, v19
	s_or_b32 s6, s6, s8
	s_wait_alu 0xfffe
	s_and_saveexec_b32 s8, s6
	s_cbranch_execz .LBB93_164
; %bb.163:
	v_sub_f32_e32 v21, v22, v19
	s_delay_alu instid0(VALU_DEP_1) | instskip(SKIP_1) | instid1(VALU_DEP_2)
	v_mul_f32_e32 v22, 0x3fb8aa3b, v21
	v_cmp_ngt_f32_e64 s6, 0xc2ce8ed0, v21
	v_fma_f32 v23, 0x3fb8aa3b, v21, -v22
	v_rndne_f32_e32 v24, v22
	s_delay_alu instid0(VALU_DEP_1) | instskip(NEXT) | instid1(VALU_DEP_1)
	v_dual_fmamk_f32 v23, v21, 0x32a5705f, v23 :: v_dual_sub_f32 v22, v22, v24
	v_add_f32_e32 v22, v22, v23
	v_cvt_i32_f32_e32 v23, v24
	s_delay_alu instid0(VALU_DEP_2) | instskip(NEXT) | instid1(TRANS32_DEP_1)
	v_exp_f32_e32 v22, v22
	v_ldexp_f32 v22, v22, v23
	s_wait_alu 0xf1ff
	s_delay_alu instid0(VALU_DEP_1) | instskip(SKIP_2) | instid1(VALU_DEP_1)
	v_cndmask_b32_e64 v22, 0, v22, s6
	v_cmp_nlt_f32_e64 s6, 0x42b17218, v21
	s_wait_alu 0xf1ff
	v_cndmask_b32_e64 v23, 0x7f800000, v22, s6
	s_delay_alu instid0(VALU_DEP_1) | instskip(NEXT) | instid1(VALU_DEP_1)
	v_add_f32_e32 v24, 1.0, v23
	v_cvt_f64_f32_e32 v[21:22], v24
	s_delay_alu instid0(VALU_DEP_1) | instskip(SKIP_1) | instid1(VALU_DEP_1)
	v_frexp_exp_i32_f64_e32 v21, v[21:22]
	v_frexp_mant_f32_e32 v22, v24
	v_cmp_gt_f32_e64 s6, 0x3f2aaaab, v22
	v_add_f32_e32 v22, -1.0, v24
	s_delay_alu instid0(VALU_DEP_1)
	v_sub_f32_e32 v26, v22, v24
	v_sub_f32_e32 v22, v23, v22
	s_wait_alu 0xf1ff
	v_subrev_co_ci_u32_e64 v21, null, 0, v21, s6
	s_mov_b32 s6, 0x3e9b6dac
	v_sub_nc_u32_e32 v25, 0, v21
	v_cvt_f32_i32_e32 v21, v21
	s_delay_alu instid0(VALU_DEP_2) | instskip(NEXT) | instid1(VALU_DEP_1)
	v_ldexp_f32 v24, v24, v25
	v_dual_add_f32 v27, 1.0, v24 :: v_dual_add_f32 v26, 1.0, v26
	s_delay_alu instid0(VALU_DEP_1) | instskip(NEXT) | instid1(VALU_DEP_2)
	v_add_f32_e32 v22, v22, v26
	v_add_f32_e32 v26, -1.0, v27
	s_delay_alu instid0(VALU_DEP_2) | instskip(NEXT) | instid1(VALU_DEP_2)
	v_ldexp_f32 v22, v22, v25
	v_dual_add_f32 v25, -1.0, v24 :: v_dual_sub_f32 v26, v24, v26
	s_delay_alu instid0(VALU_DEP_1) | instskip(NEXT) | instid1(VALU_DEP_2)
	v_add_f32_e32 v28, 1.0, v25
	v_add_f32_e32 v26, v22, v26
	s_delay_alu instid0(VALU_DEP_2) | instskip(NEXT) | instid1(VALU_DEP_2)
	v_sub_f32_e32 v24, v24, v28
	v_add_f32_e32 v28, v27, v26
	s_delay_alu instid0(VALU_DEP_2) | instskip(NEXT) | instid1(VALU_DEP_2)
	v_add_f32_e32 v22, v22, v24
	v_rcp_f32_e32 v24, v28
	v_sub_f32_e32 v27, v27, v28
	s_delay_alu instid0(VALU_DEP_1) | instskip(NEXT) | instid1(VALU_DEP_1)
	v_dual_add_f32 v29, v25, v22 :: v_dual_add_f32 v26, v26, v27
	v_sub_f32_e32 v25, v25, v29
	s_delay_alu instid0(TRANS32_DEP_1) | instskip(NEXT) | instid1(VALU_DEP_1)
	v_mul_f32_e32 v30, v29, v24
	v_dual_add_f32 v22, v22, v25 :: v_dual_mul_f32 v31, v28, v30
	s_delay_alu instid0(VALU_DEP_1) | instskip(NEXT) | instid1(VALU_DEP_1)
	v_fma_f32 v27, v30, v28, -v31
	v_fmac_f32_e32 v27, v30, v26
	s_delay_alu instid0(VALU_DEP_1) | instskip(NEXT) | instid1(VALU_DEP_1)
	v_add_f32_e32 v32, v31, v27
	v_sub_f32_e32 v33, v29, v32
	v_sub_f32_e32 v25, v32, v31
	s_delay_alu instid0(VALU_DEP_2) | instskip(NEXT) | instid1(VALU_DEP_2)
	v_sub_f32_e32 v29, v29, v33
	v_sub_f32_e32 v25, v25, v27
	s_delay_alu instid0(VALU_DEP_2) | instskip(NEXT) | instid1(VALU_DEP_1)
	v_sub_f32_e32 v29, v29, v32
	v_add_f32_e32 v22, v22, v29
	s_delay_alu instid0(VALU_DEP_1) | instskip(NEXT) | instid1(VALU_DEP_1)
	v_add_f32_e32 v22, v25, v22
	v_add_f32_e32 v25, v33, v22
	s_delay_alu instid0(VALU_DEP_1) | instskip(NEXT) | instid1(VALU_DEP_1)
	v_mul_f32_e32 v27, v24, v25
	v_dual_sub_f32 v32, v33, v25 :: v_dual_mul_f32 v29, v28, v27
	s_delay_alu instid0(VALU_DEP_1) | instskip(NEXT) | instid1(VALU_DEP_2)
	v_add_f32_e32 v22, v22, v32
	v_fma_f32 v28, v27, v28, -v29
	s_delay_alu instid0(VALU_DEP_1) | instskip(NEXT) | instid1(VALU_DEP_1)
	v_fmac_f32_e32 v28, v27, v26
	v_add_f32_e32 v26, v29, v28
	s_delay_alu instid0(VALU_DEP_1) | instskip(SKIP_1) | instid1(VALU_DEP_2)
	v_sub_f32_e32 v31, v25, v26
	v_sub_f32_e32 v29, v26, v29
	;; [unrolled: 1-line block ×3, first 2 shown]
	s_delay_alu instid0(VALU_DEP_1) | instskip(NEXT) | instid1(VALU_DEP_3)
	v_sub_f32_e32 v25, v25, v26
	v_sub_f32_e32 v26, v29, v28
	s_delay_alu instid0(VALU_DEP_2) | instskip(SKIP_1) | instid1(VALU_DEP_2)
	v_add_f32_e32 v22, v22, v25
	v_add_f32_e32 v25, v30, v27
	;; [unrolled: 1-line block ×3, first 2 shown]
	s_delay_alu instid0(VALU_DEP_2) | instskip(NEXT) | instid1(VALU_DEP_2)
	v_sub_f32_e32 v26, v25, v30
	v_add_f32_e32 v22, v31, v22
	s_delay_alu instid0(VALU_DEP_2) | instskip(NEXT) | instid1(VALU_DEP_2)
	v_sub_f32_e32 v26, v27, v26
	v_mul_f32_e32 v22, v24, v22
	s_delay_alu instid0(VALU_DEP_1) | instskip(NEXT) | instid1(VALU_DEP_1)
	v_add_f32_e32 v22, v26, v22
	v_add_f32_e32 v24, v25, v22
	s_delay_alu instid0(VALU_DEP_1) | instskip(SKIP_1) | instid1(VALU_DEP_1)
	v_mul_f32_e32 v26, v24, v24
	s_wait_alu 0xfffe
	v_fmaak_f32 v27, s6, v26, 0x3ecc95a3
	v_mul_f32_e32 v28, v24, v26
	v_cmp_neq_f32_e64 s6, 0x7f800000, v23
	s_delay_alu instid0(VALU_DEP_3) | instskip(SKIP_2) | instid1(VALU_DEP_3)
	v_fmaak_f32 v26, v26, v27, 0x3f2aaada
	v_ldexp_f32 v27, v24, 1
	v_sub_f32_e32 v24, v24, v25
	v_mul_f32_e32 v26, v28, v26
	v_mul_f32_e32 v28, 0x3f317218, v21
	s_delay_alu instid0(VALU_DEP_2) | instskip(NEXT) | instid1(VALU_DEP_1)
	v_dual_sub_f32 v22, v22, v24 :: v_dual_add_f32 v25, v27, v26
	v_ldexp_f32 v22, v22, 1
	s_delay_alu instid0(VALU_DEP_2) | instskip(NEXT) | instid1(VALU_DEP_4)
	v_sub_f32_e32 v24, v25, v27
	v_fma_f32 v27, 0x3f317218, v21, -v28
	s_delay_alu instid0(VALU_DEP_1) | instskip(NEXT) | instid1(VALU_DEP_1)
	v_dual_sub_f32 v24, v26, v24 :: v_dual_fmamk_f32 v21, v21, 0xb102e308, v27
	v_add_f32_e32 v22, v22, v24
	s_delay_alu instid0(VALU_DEP_2) | instskip(NEXT) | instid1(VALU_DEP_2)
	v_add_f32_e32 v24, v28, v21
	v_add_f32_e32 v26, v25, v22
	s_delay_alu instid0(VALU_DEP_2) | instskip(NEXT) | instid1(VALU_DEP_2)
	v_sub_f32_e32 v28, v24, v28
	v_add_f32_e32 v27, v24, v26
	v_sub_f32_e32 v25, v26, v25
	s_delay_alu instid0(VALU_DEP_3) | instskip(NEXT) | instid1(VALU_DEP_2)
	v_sub_f32_e32 v21, v21, v28
	v_dual_sub_f32 v29, v27, v24 :: v_dual_sub_f32 v22, v22, v25
	s_delay_alu instid0(VALU_DEP_1) | instskip(NEXT) | instid1(VALU_DEP_2)
	v_sub_f32_e32 v30, v27, v29
	v_dual_sub_f32 v25, v26, v29 :: v_dual_add_f32 v26, v21, v22
	s_delay_alu instid0(VALU_DEP_2) | instskip(NEXT) | instid1(VALU_DEP_1)
	v_sub_f32_e32 v24, v24, v30
	v_dual_add_f32 v24, v25, v24 :: v_dual_sub_f32 v25, v26, v21
	s_delay_alu instid0(VALU_DEP_1) | instskip(NEXT) | instid1(VALU_DEP_2)
	v_add_f32_e32 v24, v26, v24
	v_sub_f32_e32 v26, v26, v25
	v_sub_f32_e32 v22, v22, v25
	s_delay_alu instid0(VALU_DEP_2) | instskip(NEXT) | instid1(VALU_DEP_1)
	v_dual_add_f32 v28, v27, v24 :: v_dual_sub_f32 v21, v21, v26
	v_sub_f32_e32 v25, v28, v27
	s_delay_alu instid0(VALU_DEP_2) | instskip(NEXT) | instid1(VALU_DEP_2)
	v_add_f32_e32 v21, v22, v21
	v_sub_f32_e32 v22, v24, v25
	s_delay_alu instid0(VALU_DEP_1) | instskip(NEXT) | instid1(VALU_DEP_1)
	v_add_f32_e32 v21, v21, v22
	v_add_f32_e32 v21, v28, v21
	s_wait_alu 0xf1ff
	s_delay_alu instid0(VALU_DEP_1) | instskip(SKIP_2) | instid1(VALU_DEP_1)
	v_cndmask_b32_e64 v21, 0x7f800000, v21, s6
	v_cmp_gt_f32_e64 s6, 0x33800000, |v23|
	s_wait_alu 0xf1ff
	v_cndmask_b32_e64 v21, v21, v23, s6
	s_delay_alu instid0(VALU_DEP_1)
	v_add_f32_e32 v21, v19, v21
.LBB93_164:
	s_wait_alu 0xfffe
	s_or_b32 exec_lo, exec_lo, s8
	s_delay_alu instid0(VALU_DEP_1)
	v_mov_b32_e32 v19, v21
.LBB93_165:
	s_wait_alu 0xfffe
	s_or_b32 exec_lo, exec_lo, s7
	s_delay_alu instid0(VALU_DEP_1)
	v_mov_b32_dpp v21, v19 row_shr:2 row_mask:0xf bank_mask:0xf
	s_mov_b32 s7, exec_lo
	v_cmpx_lt_u32_e32 1, v20
	s_cbranch_execz .LBB93_169
; %bb.166:
	s_delay_alu instid0(VALU_DEP_2) | instskip(SKIP_1) | instid1(VALU_DEP_2)
	v_dual_max_num_f32 v22, v19, v19 :: v_dual_max_num_f32 v23, v21, v21
	v_cmp_u_f32_e64 s6, v21, v21
	v_min_num_f32_e32 v24, v23, v22
	v_max_num_f32_e32 v22, v23, v22
	s_wait_alu 0xf1ff
	s_delay_alu instid0(VALU_DEP_2) | instskip(NEXT) | instid1(VALU_DEP_2)
	v_cndmask_b32_e64 v23, v24, v21, s6
	v_cndmask_b32_e64 v24, v22, v21, s6
	v_cmp_u_f32_e64 s6, v19, v19
	s_wait_alu 0xf1ff
	s_delay_alu instid0(VALU_DEP_1) | instskip(NEXT) | instid1(VALU_DEP_3)
	v_cndmask_b32_e64 v22, v23, v19, s6
	v_cndmask_b32_e64 v19, v24, v19, s6
	s_delay_alu instid0(VALU_DEP_2) | instskip(NEXT) | instid1(VALU_DEP_2)
	v_cmp_class_f32_e64 s8, v22, 0x1f8
	v_cmp_neq_f32_e64 s6, v22, v19
	s_or_b32 s6, s6, s8
	s_wait_alu 0xfffe
	s_and_saveexec_b32 s8, s6
	s_cbranch_execz .LBB93_168
; %bb.167:
	v_sub_f32_e32 v21, v22, v19
	s_delay_alu instid0(VALU_DEP_1) | instskip(SKIP_1) | instid1(VALU_DEP_2)
	v_mul_f32_e32 v22, 0x3fb8aa3b, v21
	v_cmp_ngt_f32_e64 s6, 0xc2ce8ed0, v21
	v_fma_f32 v23, 0x3fb8aa3b, v21, -v22
	v_rndne_f32_e32 v24, v22
	s_delay_alu instid0(VALU_DEP_1) | instskip(NEXT) | instid1(VALU_DEP_1)
	v_dual_fmamk_f32 v23, v21, 0x32a5705f, v23 :: v_dual_sub_f32 v22, v22, v24
	v_add_f32_e32 v22, v22, v23
	v_cvt_i32_f32_e32 v23, v24
	s_delay_alu instid0(VALU_DEP_2) | instskip(NEXT) | instid1(TRANS32_DEP_1)
	v_exp_f32_e32 v22, v22
	v_ldexp_f32 v22, v22, v23
	s_wait_alu 0xf1ff
	s_delay_alu instid0(VALU_DEP_1) | instskip(SKIP_2) | instid1(VALU_DEP_1)
	v_cndmask_b32_e64 v22, 0, v22, s6
	v_cmp_nlt_f32_e64 s6, 0x42b17218, v21
	s_wait_alu 0xf1ff
	v_cndmask_b32_e64 v23, 0x7f800000, v22, s6
	s_delay_alu instid0(VALU_DEP_1) | instskip(NEXT) | instid1(VALU_DEP_1)
	v_add_f32_e32 v24, 1.0, v23
	v_cvt_f64_f32_e32 v[21:22], v24
	s_delay_alu instid0(VALU_DEP_1) | instskip(SKIP_1) | instid1(VALU_DEP_1)
	v_frexp_exp_i32_f64_e32 v21, v[21:22]
	v_frexp_mant_f32_e32 v22, v24
	v_cmp_gt_f32_e64 s6, 0x3f2aaaab, v22
	v_add_f32_e32 v22, -1.0, v24
	s_delay_alu instid0(VALU_DEP_1)
	v_sub_f32_e32 v26, v22, v24
	v_sub_f32_e32 v22, v23, v22
	s_wait_alu 0xf1ff
	v_subrev_co_ci_u32_e64 v21, null, 0, v21, s6
	s_mov_b32 s6, 0x3e9b6dac
	v_sub_nc_u32_e32 v25, 0, v21
	v_cvt_f32_i32_e32 v21, v21
	s_delay_alu instid0(VALU_DEP_2) | instskip(NEXT) | instid1(VALU_DEP_1)
	v_ldexp_f32 v24, v24, v25
	v_dual_add_f32 v27, 1.0, v24 :: v_dual_add_f32 v26, 1.0, v26
	s_delay_alu instid0(VALU_DEP_1) | instskip(NEXT) | instid1(VALU_DEP_2)
	v_add_f32_e32 v22, v22, v26
	v_add_f32_e32 v26, -1.0, v27
	s_delay_alu instid0(VALU_DEP_2) | instskip(NEXT) | instid1(VALU_DEP_2)
	v_ldexp_f32 v22, v22, v25
	v_dual_add_f32 v25, -1.0, v24 :: v_dual_sub_f32 v26, v24, v26
	s_delay_alu instid0(VALU_DEP_1) | instskip(NEXT) | instid1(VALU_DEP_2)
	v_add_f32_e32 v28, 1.0, v25
	v_add_f32_e32 v26, v22, v26
	s_delay_alu instid0(VALU_DEP_2) | instskip(NEXT) | instid1(VALU_DEP_2)
	v_sub_f32_e32 v24, v24, v28
	v_add_f32_e32 v28, v27, v26
	s_delay_alu instid0(VALU_DEP_2) | instskip(NEXT) | instid1(VALU_DEP_2)
	v_add_f32_e32 v22, v22, v24
	v_rcp_f32_e32 v24, v28
	v_sub_f32_e32 v27, v27, v28
	s_delay_alu instid0(VALU_DEP_1) | instskip(NEXT) | instid1(VALU_DEP_1)
	v_dual_add_f32 v29, v25, v22 :: v_dual_add_f32 v26, v26, v27
	v_sub_f32_e32 v25, v25, v29
	s_delay_alu instid0(TRANS32_DEP_1) | instskip(NEXT) | instid1(VALU_DEP_1)
	v_mul_f32_e32 v30, v29, v24
	v_dual_add_f32 v22, v22, v25 :: v_dual_mul_f32 v31, v28, v30
	s_delay_alu instid0(VALU_DEP_1) | instskip(NEXT) | instid1(VALU_DEP_1)
	v_fma_f32 v27, v30, v28, -v31
	v_fmac_f32_e32 v27, v30, v26
	s_delay_alu instid0(VALU_DEP_1) | instskip(NEXT) | instid1(VALU_DEP_1)
	v_add_f32_e32 v32, v31, v27
	v_sub_f32_e32 v33, v29, v32
	v_sub_f32_e32 v25, v32, v31
	s_delay_alu instid0(VALU_DEP_2) | instskip(NEXT) | instid1(VALU_DEP_2)
	v_sub_f32_e32 v29, v29, v33
	v_sub_f32_e32 v25, v25, v27
	s_delay_alu instid0(VALU_DEP_2) | instskip(NEXT) | instid1(VALU_DEP_1)
	v_sub_f32_e32 v29, v29, v32
	v_add_f32_e32 v22, v22, v29
	s_delay_alu instid0(VALU_DEP_1) | instskip(NEXT) | instid1(VALU_DEP_1)
	v_add_f32_e32 v22, v25, v22
	v_add_f32_e32 v25, v33, v22
	s_delay_alu instid0(VALU_DEP_1) | instskip(NEXT) | instid1(VALU_DEP_1)
	v_mul_f32_e32 v27, v24, v25
	v_dual_sub_f32 v32, v33, v25 :: v_dual_mul_f32 v29, v28, v27
	s_delay_alu instid0(VALU_DEP_1) | instskip(NEXT) | instid1(VALU_DEP_2)
	v_add_f32_e32 v22, v22, v32
	v_fma_f32 v28, v27, v28, -v29
	s_delay_alu instid0(VALU_DEP_1) | instskip(NEXT) | instid1(VALU_DEP_1)
	v_fmac_f32_e32 v28, v27, v26
	v_add_f32_e32 v26, v29, v28
	s_delay_alu instid0(VALU_DEP_1) | instskip(SKIP_1) | instid1(VALU_DEP_2)
	v_sub_f32_e32 v31, v25, v26
	v_sub_f32_e32 v29, v26, v29
	;; [unrolled: 1-line block ×3, first 2 shown]
	s_delay_alu instid0(VALU_DEP_1) | instskip(NEXT) | instid1(VALU_DEP_3)
	v_sub_f32_e32 v25, v25, v26
	v_sub_f32_e32 v26, v29, v28
	s_delay_alu instid0(VALU_DEP_2) | instskip(SKIP_1) | instid1(VALU_DEP_2)
	v_add_f32_e32 v22, v22, v25
	v_add_f32_e32 v25, v30, v27
	;; [unrolled: 1-line block ×3, first 2 shown]
	s_delay_alu instid0(VALU_DEP_2) | instskip(NEXT) | instid1(VALU_DEP_2)
	v_sub_f32_e32 v26, v25, v30
	v_add_f32_e32 v22, v31, v22
	s_delay_alu instid0(VALU_DEP_2) | instskip(NEXT) | instid1(VALU_DEP_2)
	v_sub_f32_e32 v26, v27, v26
	v_mul_f32_e32 v22, v24, v22
	s_delay_alu instid0(VALU_DEP_1) | instskip(NEXT) | instid1(VALU_DEP_1)
	v_add_f32_e32 v22, v26, v22
	v_add_f32_e32 v24, v25, v22
	s_delay_alu instid0(VALU_DEP_1) | instskip(SKIP_1) | instid1(VALU_DEP_1)
	v_mul_f32_e32 v26, v24, v24
	s_wait_alu 0xfffe
	v_fmaak_f32 v27, s6, v26, 0x3ecc95a3
	v_mul_f32_e32 v28, v24, v26
	v_cmp_neq_f32_e64 s6, 0x7f800000, v23
	s_delay_alu instid0(VALU_DEP_3) | instskip(SKIP_2) | instid1(VALU_DEP_3)
	v_fmaak_f32 v26, v26, v27, 0x3f2aaada
	v_ldexp_f32 v27, v24, 1
	v_sub_f32_e32 v24, v24, v25
	v_mul_f32_e32 v26, v28, v26
	v_mul_f32_e32 v28, 0x3f317218, v21
	s_delay_alu instid0(VALU_DEP_2) | instskip(NEXT) | instid1(VALU_DEP_1)
	v_dual_sub_f32 v22, v22, v24 :: v_dual_add_f32 v25, v27, v26
	v_ldexp_f32 v22, v22, 1
	s_delay_alu instid0(VALU_DEP_2) | instskip(NEXT) | instid1(VALU_DEP_4)
	v_sub_f32_e32 v24, v25, v27
	v_fma_f32 v27, 0x3f317218, v21, -v28
	s_delay_alu instid0(VALU_DEP_1) | instskip(NEXT) | instid1(VALU_DEP_1)
	v_dual_sub_f32 v24, v26, v24 :: v_dual_fmamk_f32 v21, v21, 0xb102e308, v27
	v_add_f32_e32 v22, v22, v24
	s_delay_alu instid0(VALU_DEP_2) | instskip(NEXT) | instid1(VALU_DEP_2)
	v_add_f32_e32 v24, v28, v21
	v_add_f32_e32 v26, v25, v22
	s_delay_alu instid0(VALU_DEP_2) | instskip(NEXT) | instid1(VALU_DEP_2)
	v_sub_f32_e32 v28, v24, v28
	v_add_f32_e32 v27, v24, v26
	v_sub_f32_e32 v25, v26, v25
	s_delay_alu instid0(VALU_DEP_3) | instskip(NEXT) | instid1(VALU_DEP_2)
	v_sub_f32_e32 v21, v21, v28
	v_dual_sub_f32 v29, v27, v24 :: v_dual_sub_f32 v22, v22, v25
	s_delay_alu instid0(VALU_DEP_1) | instskip(NEXT) | instid1(VALU_DEP_2)
	v_sub_f32_e32 v30, v27, v29
	v_dual_sub_f32 v25, v26, v29 :: v_dual_add_f32 v26, v21, v22
	s_delay_alu instid0(VALU_DEP_2) | instskip(NEXT) | instid1(VALU_DEP_1)
	v_sub_f32_e32 v24, v24, v30
	v_dual_add_f32 v24, v25, v24 :: v_dual_sub_f32 v25, v26, v21
	s_delay_alu instid0(VALU_DEP_1) | instskip(NEXT) | instid1(VALU_DEP_2)
	v_add_f32_e32 v24, v26, v24
	v_sub_f32_e32 v26, v26, v25
	v_sub_f32_e32 v22, v22, v25
	s_delay_alu instid0(VALU_DEP_2) | instskip(NEXT) | instid1(VALU_DEP_1)
	v_dual_add_f32 v28, v27, v24 :: v_dual_sub_f32 v21, v21, v26
	v_sub_f32_e32 v25, v28, v27
	s_delay_alu instid0(VALU_DEP_2) | instskip(NEXT) | instid1(VALU_DEP_2)
	v_add_f32_e32 v21, v22, v21
	v_sub_f32_e32 v22, v24, v25
	s_delay_alu instid0(VALU_DEP_1) | instskip(NEXT) | instid1(VALU_DEP_1)
	v_add_f32_e32 v21, v21, v22
	v_add_f32_e32 v21, v28, v21
	s_wait_alu 0xf1ff
	s_delay_alu instid0(VALU_DEP_1) | instskip(SKIP_2) | instid1(VALU_DEP_1)
	v_cndmask_b32_e64 v21, 0x7f800000, v21, s6
	v_cmp_gt_f32_e64 s6, 0x33800000, |v23|
	s_wait_alu 0xf1ff
	v_cndmask_b32_e64 v21, v21, v23, s6
	s_delay_alu instid0(VALU_DEP_1)
	v_add_f32_e32 v21, v19, v21
.LBB93_168:
	s_wait_alu 0xfffe
	s_or_b32 exec_lo, exec_lo, s8
	s_delay_alu instid0(VALU_DEP_1)
	v_mov_b32_e32 v19, v21
.LBB93_169:
	s_wait_alu 0xfffe
	s_or_b32 exec_lo, exec_lo, s7
	s_delay_alu instid0(VALU_DEP_1)
	v_mov_b32_dpp v21, v19 row_shr:4 row_mask:0xf bank_mask:0xf
	s_mov_b32 s7, exec_lo
	v_cmpx_lt_u32_e32 3, v20
	s_cbranch_execz .LBB93_173
; %bb.170:
	s_delay_alu instid0(VALU_DEP_2) | instskip(SKIP_1) | instid1(VALU_DEP_2)
	v_dual_max_num_f32 v22, v19, v19 :: v_dual_max_num_f32 v23, v21, v21
	v_cmp_u_f32_e64 s6, v21, v21
	v_min_num_f32_e32 v24, v23, v22
	v_max_num_f32_e32 v22, v23, v22
	s_wait_alu 0xf1ff
	s_delay_alu instid0(VALU_DEP_2) | instskip(NEXT) | instid1(VALU_DEP_2)
	v_cndmask_b32_e64 v23, v24, v21, s6
	v_cndmask_b32_e64 v24, v22, v21, s6
	v_cmp_u_f32_e64 s6, v19, v19
	s_wait_alu 0xf1ff
	s_delay_alu instid0(VALU_DEP_1) | instskip(NEXT) | instid1(VALU_DEP_3)
	v_cndmask_b32_e64 v22, v23, v19, s6
	v_cndmask_b32_e64 v19, v24, v19, s6
	s_delay_alu instid0(VALU_DEP_2) | instskip(NEXT) | instid1(VALU_DEP_2)
	v_cmp_class_f32_e64 s8, v22, 0x1f8
	v_cmp_neq_f32_e64 s6, v22, v19
	s_or_b32 s6, s6, s8
	s_wait_alu 0xfffe
	s_and_saveexec_b32 s8, s6
	s_cbranch_execz .LBB93_172
; %bb.171:
	v_sub_f32_e32 v21, v22, v19
	s_delay_alu instid0(VALU_DEP_1) | instskip(SKIP_1) | instid1(VALU_DEP_2)
	v_mul_f32_e32 v22, 0x3fb8aa3b, v21
	v_cmp_ngt_f32_e64 s6, 0xc2ce8ed0, v21
	v_fma_f32 v23, 0x3fb8aa3b, v21, -v22
	v_rndne_f32_e32 v24, v22
	s_delay_alu instid0(VALU_DEP_1) | instskip(NEXT) | instid1(VALU_DEP_1)
	v_dual_fmamk_f32 v23, v21, 0x32a5705f, v23 :: v_dual_sub_f32 v22, v22, v24
	v_add_f32_e32 v22, v22, v23
	v_cvt_i32_f32_e32 v23, v24
	s_delay_alu instid0(VALU_DEP_2) | instskip(NEXT) | instid1(TRANS32_DEP_1)
	v_exp_f32_e32 v22, v22
	v_ldexp_f32 v22, v22, v23
	s_wait_alu 0xf1ff
	s_delay_alu instid0(VALU_DEP_1) | instskip(SKIP_2) | instid1(VALU_DEP_1)
	v_cndmask_b32_e64 v22, 0, v22, s6
	v_cmp_nlt_f32_e64 s6, 0x42b17218, v21
	s_wait_alu 0xf1ff
	v_cndmask_b32_e64 v23, 0x7f800000, v22, s6
	s_delay_alu instid0(VALU_DEP_1) | instskip(NEXT) | instid1(VALU_DEP_1)
	v_add_f32_e32 v24, 1.0, v23
	v_cvt_f64_f32_e32 v[21:22], v24
	s_delay_alu instid0(VALU_DEP_1) | instskip(SKIP_1) | instid1(VALU_DEP_1)
	v_frexp_exp_i32_f64_e32 v21, v[21:22]
	v_frexp_mant_f32_e32 v22, v24
	v_cmp_gt_f32_e64 s6, 0x3f2aaaab, v22
	v_add_f32_e32 v22, -1.0, v24
	s_delay_alu instid0(VALU_DEP_1)
	v_sub_f32_e32 v26, v22, v24
	v_sub_f32_e32 v22, v23, v22
	s_wait_alu 0xf1ff
	v_subrev_co_ci_u32_e64 v21, null, 0, v21, s6
	s_mov_b32 s6, 0x3e9b6dac
	v_sub_nc_u32_e32 v25, 0, v21
	v_cvt_f32_i32_e32 v21, v21
	s_delay_alu instid0(VALU_DEP_2) | instskip(NEXT) | instid1(VALU_DEP_1)
	v_ldexp_f32 v24, v24, v25
	v_dual_add_f32 v27, 1.0, v24 :: v_dual_add_f32 v26, 1.0, v26
	s_delay_alu instid0(VALU_DEP_1) | instskip(NEXT) | instid1(VALU_DEP_2)
	v_add_f32_e32 v22, v22, v26
	v_add_f32_e32 v26, -1.0, v27
	s_delay_alu instid0(VALU_DEP_2) | instskip(NEXT) | instid1(VALU_DEP_2)
	v_ldexp_f32 v22, v22, v25
	v_dual_add_f32 v25, -1.0, v24 :: v_dual_sub_f32 v26, v24, v26
	s_delay_alu instid0(VALU_DEP_1) | instskip(NEXT) | instid1(VALU_DEP_2)
	v_add_f32_e32 v28, 1.0, v25
	v_add_f32_e32 v26, v22, v26
	s_delay_alu instid0(VALU_DEP_2) | instskip(NEXT) | instid1(VALU_DEP_2)
	v_sub_f32_e32 v24, v24, v28
	v_add_f32_e32 v28, v27, v26
	s_delay_alu instid0(VALU_DEP_2) | instskip(NEXT) | instid1(VALU_DEP_2)
	v_add_f32_e32 v22, v22, v24
	v_rcp_f32_e32 v24, v28
	v_sub_f32_e32 v27, v27, v28
	s_delay_alu instid0(VALU_DEP_1) | instskip(NEXT) | instid1(VALU_DEP_1)
	v_dual_add_f32 v29, v25, v22 :: v_dual_add_f32 v26, v26, v27
	v_sub_f32_e32 v25, v25, v29
	s_delay_alu instid0(TRANS32_DEP_1) | instskip(NEXT) | instid1(VALU_DEP_1)
	v_mul_f32_e32 v30, v29, v24
	v_dual_add_f32 v22, v22, v25 :: v_dual_mul_f32 v31, v28, v30
	s_delay_alu instid0(VALU_DEP_1) | instskip(NEXT) | instid1(VALU_DEP_1)
	v_fma_f32 v27, v30, v28, -v31
	v_fmac_f32_e32 v27, v30, v26
	s_delay_alu instid0(VALU_DEP_1) | instskip(NEXT) | instid1(VALU_DEP_1)
	v_add_f32_e32 v32, v31, v27
	v_sub_f32_e32 v33, v29, v32
	v_sub_f32_e32 v25, v32, v31
	s_delay_alu instid0(VALU_DEP_2) | instskip(NEXT) | instid1(VALU_DEP_2)
	v_sub_f32_e32 v29, v29, v33
	v_sub_f32_e32 v25, v25, v27
	s_delay_alu instid0(VALU_DEP_2) | instskip(NEXT) | instid1(VALU_DEP_1)
	v_sub_f32_e32 v29, v29, v32
	v_add_f32_e32 v22, v22, v29
	s_delay_alu instid0(VALU_DEP_1) | instskip(NEXT) | instid1(VALU_DEP_1)
	v_add_f32_e32 v22, v25, v22
	v_add_f32_e32 v25, v33, v22
	s_delay_alu instid0(VALU_DEP_1) | instskip(NEXT) | instid1(VALU_DEP_1)
	v_mul_f32_e32 v27, v24, v25
	v_dual_sub_f32 v32, v33, v25 :: v_dual_mul_f32 v29, v28, v27
	s_delay_alu instid0(VALU_DEP_1) | instskip(NEXT) | instid1(VALU_DEP_2)
	v_add_f32_e32 v22, v22, v32
	v_fma_f32 v28, v27, v28, -v29
	s_delay_alu instid0(VALU_DEP_1) | instskip(NEXT) | instid1(VALU_DEP_1)
	v_fmac_f32_e32 v28, v27, v26
	v_add_f32_e32 v26, v29, v28
	s_delay_alu instid0(VALU_DEP_1) | instskip(SKIP_1) | instid1(VALU_DEP_2)
	v_sub_f32_e32 v31, v25, v26
	v_sub_f32_e32 v29, v26, v29
	;; [unrolled: 1-line block ×3, first 2 shown]
	s_delay_alu instid0(VALU_DEP_1) | instskip(NEXT) | instid1(VALU_DEP_3)
	v_sub_f32_e32 v25, v25, v26
	v_sub_f32_e32 v26, v29, v28
	s_delay_alu instid0(VALU_DEP_2) | instskip(SKIP_1) | instid1(VALU_DEP_2)
	v_add_f32_e32 v22, v22, v25
	v_add_f32_e32 v25, v30, v27
	;; [unrolled: 1-line block ×3, first 2 shown]
	s_delay_alu instid0(VALU_DEP_2) | instskip(NEXT) | instid1(VALU_DEP_2)
	v_sub_f32_e32 v26, v25, v30
	v_add_f32_e32 v22, v31, v22
	s_delay_alu instid0(VALU_DEP_2) | instskip(NEXT) | instid1(VALU_DEP_2)
	v_sub_f32_e32 v26, v27, v26
	v_mul_f32_e32 v22, v24, v22
	s_delay_alu instid0(VALU_DEP_1) | instskip(NEXT) | instid1(VALU_DEP_1)
	v_add_f32_e32 v22, v26, v22
	v_add_f32_e32 v24, v25, v22
	s_delay_alu instid0(VALU_DEP_1) | instskip(SKIP_1) | instid1(VALU_DEP_1)
	v_mul_f32_e32 v26, v24, v24
	s_wait_alu 0xfffe
	v_fmaak_f32 v27, s6, v26, 0x3ecc95a3
	v_mul_f32_e32 v28, v24, v26
	v_cmp_neq_f32_e64 s6, 0x7f800000, v23
	s_delay_alu instid0(VALU_DEP_3) | instskip(SKIP_2) | instid1(VALU_DEP_3)
	v_fmaak_f32 v26, v26, v27, 0x3f2aaada
	v_ldexp_f32 v27, v24, 1
	v_sub_f32_e32 v24, v24, v25
	v_mul_f32_e32 v26, v28, v26
	v_mul_f32_e32 v28, 0x3f317218, v21
	s_delay_alu instid0(VALU_DEP_2) | instskip(NEXT) | instid1(VALU_DEP_1)
	v_dual_sub_f32 v22, v22, v24 :: v_dual_add_f32 v25, v27, v26
	v_ldexp_f32 v22, v22, 1
	s_delay_alu instid0(VALU_DEP_2) | instskip(NEXT) | instid1(VALU_DEP_4)
	v_sub_f32_e32 v24, v25, v27
	v_fma_f32 v27, 0x3f317218, v21, -v28
	s_delay_alu instid0(VALU_DEP_1) | instskip(NEXT) | instid1(VALU_DEP_1)
	v_dual_sub_f32 v24, v26, v24 :: v_dual_fmamk_f32 v21, v21, 0xb102e308, v27
	v_add_f32_e32 v22, v22, v24
	s_delay_alu instid0(VALU_DEP_2) | instskip(NEXT) | instid1(VALU_DEP_2)
	v_add_f32_e32 v24, v28, v21
	v_add_f32_e32 v26, v25, v22
	s_delay_alu instid0(VALU_DEP_2) | instskip(NEXT) | instid1(VALU_DEP_2)
	v_sub_f32_e32 v28, v24, v28
	v_add_f32_e32 v27, v24, v26
	v_sub_f32_e32 v25, v26, v25
	s_delay_alu instid0(VALU_DEP_3) | instskip(NEXT) | instid1(VALU_DEP_2)
	v_sub_f32_e32 v21, v21, v28
	v_dual_sub_f32 v29, v27, v24 :: v_dual_sub_f32 v22, v22, v25
	s_delay_alu instid0(VALU_DEP_1) | instskip(NEXT) | instid1(VALU_DEP_2)
	v_sub_f32_e32 v30, v27, v29
	v_dual_sub_f32 v25, v26, v29 :: v_dual_add_f32 v26, v21, v22
	s_delay_alu instid0(VALU_DEP_2) | instskip(NEXT) | instid1(VALU_DEP_1)
	v_sub_f32_e32 v24, v24, v30
	v_dual_add_f32 v24, v25, v24 :: v_dual_sub_f32 v25, v26, v21
	s_delay_alu instid0(VALU_DEP_1) | instskip(NEXT) | instid1(VALU_DEP_2)
	v_add_f32_e32 v24, v26, v24
	v_sub_f32_e32 v26, v26, v25
	v_sub_f32_e32 v22, v22, v25
	s_delay_alu instid0(VALU_DEP_2) | instskip(NEXT) | instid1(VALU_DEP_1)
	v_dual_add_f32 v28, v27, v24 :: v_dual_sub_f32 v21, v21, v26
	v_sub_f32_e32 v25, v28, v27
	s_delay_alu instid0(VALU_DEP_2) | instskip(NEXT) | instid1(VALU_DEP_2)
	v_add_f32_e32 v21, v22, v21
	v_sub_f32_e32 v22, v24, v25
	s_delay_alu instid0(VALU_DEP_1) | instskip(NEXT) | instid1(VALU_DEP_1)
	v_add_f32_e32 v21, v21, v22
	v_add_f32_e32 v21, v28, v21
	s_wait_alu 0xf1ff
	s_delay_alu instid0(VALU_DEP_1) | instskip(SKIP_2) | instid1(VALU_DEP_1)
	v_cndmask_b32_e64 v21, 0x7f800000, v21, s6
	v_cmp_gt_f32_e64 s6, 0x33800000, |v23|
	s_wait_alu 0xf1ff
	v_cndmask_b32_e64 v21, v21, v23, s6
	s_delay_alu instid0(VALU_DEP_1)
	v_add_f32_e32 v21, v19, v21
.LBB93_172:
	s_wait_alu 0xfffe
	s_or_b32 exec_lo, exec_lo, s8
	s_delay_alu instid0(VALU_DEP_1)
	v_mov_b32_e32 v19, v21
.LBB93_173:
	s_wait_alu 0xfffe
	s_or_b32 exec_lo, exec_lo, s7
	s_delay_alu instid0(VALU_DEP_1)
	v_mov_b32_dpp v21, v19 row_shr:8 row_mask:0xf bank_mask:0xf
	s_mov_b32 s7, exec_lo
	v_cmpx_lt_u32_e32 7, v20
	s_cbranch_execz .LBB93_177
; %bb.174:
	v_max_num_f32_e32 v20, v19, v19
	v_max_num_f32_e32 v22, v21, v21
	v_cmp_u_f32_e64 s6, v21, v21
	s_delay_alu instid0(VALU_DEP_2) | instskip(SKIP_2) | instid1(VALU_DEP_2)
	v_min_num_f32_e32 v23, v22, v20
	v_max_num_f32_e32 v20, v22, v20
	s_wait_alu 0xf1ff
	v_cndmask_b32_e64 v22, v23, v21, s6
	s_delay_alu instid0(VALU_DEP_2) | instskip(SKIP_2) | instid1(VALU_DEP_1)
	v_cndmask_b32_e64 v23, v20, v21, s6
	v_cmp_u_f32_e64 s6, v19, v19
	s_wait_alu 0xf1ff
	v_cndmask_b32_e64 v20, v22, v19, s6
	s_delay_alu instid0(VALU_DEP_3) | instskip(NEXT) | instid1(VALU_DEP_2)
	v_cndmask_b32_e64 v19, v23, v19, s6
	v_cmp_class_f32_e64 s8, v20, 0x1f8
	s_delay_alu instid0(VALU_DEP_2)
	v_cmp_neq_f32_e64 s6, v20, v19
	s_or_b32 s6, s6, s8
	s_wait_alu 0xfffe
	s_and_saveexec_b32 s8, s6
	s_cbranch_execz .LBB93_176
; %bb.175:
	v_sub_f32_e32 v20, v20, v19
	s_delay_alu instid0(VALU_DEP_1) | instskip(NEXT) | instid1(VALU_DEP_1)
	v_mul_f32_e32 v21, 0x3fb8aa3b, v20
	v_fma_f32 v22, 0x3fb8aa3b, v20, -v21
	v_rndne_f32_e32 v23, v21
	s_delay_alu instid0(VALU_DEP_1) | instskip(NEXT) | instid1(VALU_DEP_1)
	v_dual_fmamk_f32 v22, v20, 0x32a5705f, v22 :: v_dual_sub_f32 v21, v21, v23
	v_add_f32_e32 v21, v21, v22
	v_cvt_i32_f32_e32 v22, v23
	v_cmp_ngt_f32_e64 s6, 0xc2ce8ed0, v20
	s_delay_alu instid0(VALU_DEP_3) | instskip(NEXT) | instid1(TRANS32_DEP_1)
	v_exp_f32_e32 v21, v21
	v_ldexp_f32 v21, v21, v22
	s_wait_alu 0xf1ff
	s_delay_alu instid0(VALU_DEP_1) | instskip(SKIP_2) | instid1(VALU_DEP_1)
	v_cndmask_b32_e64 v21, 0, v21, s6
	v_cmp_nlt_f32_e64 s6, 0x42b17218, v20
	s_wait_alu 0xf1ff
	v_cndmask_b32_e64 v22, 0x7f800000, v21, s6
	s_delay_alu instid0(VALU_DEP_1) | instskip(NEXT) | instid1(VALU_DEP_1)
	v_add_f32_e32 v23, 1.0, v22
	v_cvt_f64_f32_e32 v[20:21], v23
	s_delay_alu instid0(VALU_DEP_1) | instskip(SKIP_1) | instid1(VALU_DEP_1)
	v_frexp_exp_i32_f64_e32 v20, v[20:21]
	v_frexp_mant_f32_e32 v21, v23
	v_cmp_gt_f32_e64 s6, 0x3f2aaaab, v21
	v_add_f32_e32 v21, -1.0, v23
	s_delay_alu instid0(VALU_DEP_1) | instskip(SKIP_1) | instid1(VALU_DEP_3)
	v_sub_f32_e32 v25, v21, v23
	s_wait_alu 0xf1ff
	v_subrev_co_ci_u32_e64 v20, null, 0, v20, s6
	s_mov_b32 s6, 0x3e9b6dac
	v_sub_nc_u32_e32 v24, 0, v20
	v_cvt_f32_i32_e32 v20, v20
	s_delay_alu instid0(VALU_DEP_2) | instskip(NEXT) | instid1(VALU_DEP_1)
	v_ldexp_f32 v23, v23, v24
	v_dual_sub_f32 v21, v22, v21 :: v_dual_add_f32 v26, 1.0, v23
	v_add_f32_e32 v25, 1.0, v25
	s_delay_alu instid0(VALU_DEP_1) | instskip(NEXT) | instid1(VALU_DEP_3)
	v_add_f32_e32 v21, v21, v25
	v_add_f32_e32 v25, -1.0, v26
	s_delay_alu instid0(VALU_DEP_2) | instskip(NEXT) | instid1(VALU_DEP_2)
	v_ldexp_f32 v21, v21, v24
	v_dual_add_f32 v24, -1.0, v23 :: v_dual_sub_f32 v25, v23, v25
	s_delay_alu instid0(VALU_DEP_1) | instskip(NEXT) | instid1(VALU_DEP_2)
	v_add_f32_e32 v27, 1.0, v24
	v_add_f32_e32 v25, v21, v25
	s_delay_alu instid0(VALU_DEP_2) | instskip(NEXT) | instid1(VALU_DEP_2)
	v_sub_f32_e32 v23, v23, v27
	v_add_f32_e32 v27, v26, v25
	s_delay_alu instid0(VALU_DEP_2) | instskip(NEXT) | instid1(VALU_DEP_2)
	v_add_f32_e32 v21, v21, v23
	v_rcp_f32_e32 v23, v27
	v_sub_f32_e32 v26, v26, v27
	s_delay_alu instid0(VALU_DEP_1) | instskip(NEXT) | instid1(VALU_DEP_1)
	v_dual_add_f32 v28, v24, v21 :: v_dual_add_f32 v25, v25, v26
	v_sub_f32_e32 v24, v24, v28
	s_delay_alu instid0(TRANS32_DEP_1) | instskip(NEXT) | instid1(VALU_DEP_1)
	v_mul_f32_e32 v29, v28, v23
	v_dual_add_f32 v21, v21, v24 :: v_dual_mul_f32 v30, v27, v29
	s_delay_alu instid0(VALU_DEP_1) | instskip(NEXT) | instid1(VALU_DEP_1)
	v_fma_f32 v26, v29, v27, -v30
	v_fmac_f32_e32 v26, v29, v25
	s_delay_alu instid0(VALU_DEP_1) | instskip(NEXT) | instid1(VALU_DEP_1)
	v_add_f32_e32 v31, v30, v26
	v_sub_f32_e32 v32, v28, v31
	v_sub_f32_e32 v24, v31, v30
	s_delay_alu instid0(VALU_DEP_2) | instskip(NEXT) | instid1(VALU_DEP_2)
	v_sub_f32_e32 v28, v28, v32
	v_sub_f32_e32 v24, v24, v26
	s_delay_alu instid0(VALU_DEP_2) | instskip(NEXT) | instid1(VALU_DEP_1)
	v_sub_f32_e32 v28, v28, v31
	v_add_f32_e32 v21, v21, v28
	s_delay_alu instid0(VALU_DEP_1) | instskip(NEXT) | instid1(VALU_DEP_1)
	v_add_f32_e32 v21, v24, v21
	v_add_f32_e32 v24, v32, v21
	s_delay_alu instid0(VALU_DEP_1) | instskip(NEXT) | instid1(VALU_DEP_1)
	v_mul_f32_e32 v26, v23, v24
	v_dual_sub_f32 v31, v32, v24 :: v_dual_mul_f32 v28, v27, v26
	s_delay_alu instid0(VALU_DEP_1) | instskip(NEXT) | instid1(VALU_DEP_2)
	v_add_f32_e32 v21, v21, v31
	v_fma_f32 v27, v26, v27, -v28
	s_delay_alu instid0(VALU_DEP_1) | instskip(NEXT) | instid1(VALU_DEP_1)
	v_fmac_f32_e32 v27, v26, v25
	v_add_f32_e32 v25, v28, v27
	s_delay_alu instid0(VALU_DEP_1) | instskip(SKIP_1) | instid1(VALU_DEP_2)
	v_sub_f32_e32 v30, v24, v25
	v_sub_f32_e32 v28, v25, v28
	;; [unrolled: 1-line block ×3, first 2 shown]
	s_delay_alu instid0(VALU_DEP_1) | instskip(NEXT) | instid1(VALU_DEP_3)
	v_sub_f32_e32 v24, v24, v25
	v_sub_f32_e32 v25, v28, v27
	s_delay_alu instid0(VALU_DEP_2) | instskip(SKIP_1) | instid1(VALU_DEP_2)
	v_add_f32_e32 v21, v21, v24
	v_add_f32_e32 v24, v29, v26
	;; [unrolled: 1-line block ×3, first 2 shown]
	s_delay_alu instid0(VALU_DEP_2) | instskip(NEXT) | instid1(VALU_DEP_2)
	v_sub_f32_e32 v25, v24, v29
	v_add_f32_e32 v21, v30, v21
	s_delay_alu instid0(VALU_DEP_2) | instskip(NEXT) | instid1(VALU_DEP_2)
	v_sub_f32_e32 v25, v26, v25
	v_mul_f32_e32 v21, v23, v21
	s_delay_alu instid0(VALU_DEP_1) | instskip(NEXT) | instid1(VALU_DEP_1)
	v_add_f32_e32 v21, v25, v21
	v_add_f32_e32 v23, v24, v21
	s_delay_alu instid0(VALU_DEP_1) | instskip(SKIP_1) | instid1(VALU_DEP_1)
	v_mul_f32_e32 v25, v23, v23
	s_wait_alu 0xfffe
	v_fmaak_f32 v26, s6, v25, 0x3ecc95a3
	v_mul_f32_e32 v27, v23, v25
	v_cmp_neq_f32_e64 s6, 0x7f800000, v22
	s_delay_alu instid0(VALU_DEP_3) | instskip(SKIP_2) | instid1(VALU_DEP_3)
	v_fmaak_f32 v25, v25, v26, 0x3f2aaada
	v_ldexp_f32 v26, v23, 1
	v_sub_f32_e32 v23, v23, v24
	v_mul_f32_e32 v25, v27, v25
	v_mul_f32_e32 v27, 0x3f317218, v20
	s_delay_alu instid0(VALU_DEP_2) | instskip(NEXT) | instid1(VALU_DEP_1)
	v_dual_sub_f32 v21, v21, v23 :: v_dual_add_f32 v24, v26, v25
	v_ldexp_f32 v21, v21, 1
	s_delay_alu instid0(VALU_DEP_2) | instskip(NEXT) | instid1(VALU_DEP_4)
	v_sub_f32_e32 v23, v24, v26
	v_fma_f32 v26, 0x3f317218, v20, -v27
	s_delay_alu instid0(VALU_DEP_1) | instskip(NEXT) | instid1(VALU_DEP_1)
	v_dual_sub_f32 v23, v25, v23 :: v_dual_fmamk_f32 v20, v20, 0xb102e308, v26
	v_add_f32_e32 v21, v21, v23
	s_delay_alu instid0(VALU_DEP_2) | instskip(NEXT) | instid1(VALU_DEP_2)
	v_add_f32_e32 v23, v27, v20
	v_add_f32_e32 v25, v24, v21
	s_delay_alu instid0(VALU_DEP_2) | instskip(NEXT) | instid1(VALU_DEP_2)
	v_sub_f32_e32 v27, v23, v27
	v_add_f32_e32 v26, v23, v25
	v_sub_f32_e32 v24, v25, v24
	s_delay_alu instid0(VALU_DEP_3) | instskip(NEXT) | instid1(VALU_DEP_2)
	v_sub_f32_e32 v20, v20, v27
	v_dual_sub_f32 v28, v26, v23 :: v_dual_sub_f32 v21, v21, v24
	s_delay_alu instid0(VALU_DEP_1) | instskip(NEXT) | instid1(VALU_DEP_2)
	v_sub_f32_e32 v29, v26, v28
	v_dual_sub_f32 v24, v25, v28 :: v_dual_add_f32 v25, v20, v21
	s_delay_alu instid0(VALU_DEP_2) | instskip(NEXT) | instid1(VALU_DEP_1)
	v_sub_f32_e32 v23, v23, v29
	v_dual_add_f32 v23, v24, v23 :: v_dual_sub_f32 v24, v25, v20
	s_delay_alu instid0(VALU_DEP_1) | instskip(NEXT) | instid1(VALU_DEP_2)
	v_add_f32_e32 v23, v25, v23
	v_sub_f32_e32 v25, v25, v24
	v_sub_f32_e32 v21, v21, v24
	s_delay_alu instid0(VALU_DEP_2) | instskip(NEXT) | instid1(VALU_DEP_1)
	v_dual_add_f32 v27, v26, v23 :: v_dual_sub_f32 v20, v20, v25
	v_sub_f32_e32 v24, v27, v26
	s_delay_alu instid0(VALU_DEP_2) | instskip(NEXT) | instid1(VALU_DEP_2)
	v_add_f32_e32 v20, v21, v20
	v_sub_f32_e32 v21, v23, v24
	s_delay_alu instid0(VALU_DEP_1) | instskip(NEXT) | instid1(VALU_DEP_1)
	v_add_f32_e32 v20, v20, v21
	v_add_f32_e32 v20, v27, v20
	s_wait_alu 0xf1ff
	s_delay_alu instid0(VALU_DEP_1) | instskip(SKIP_2) | instid1(VALU_DEP_1)
	v_cndmask_b32_e64 v20, 0x7f800000, v20, s6
	v_cmp_gt_f32_e64 s6, 0x33800000, |v22|
	s_wait_alu 0xf1ff
	v_cndmask_b32_e64 v20, v20, v22, s6
	s_delay_alu instid0(VALU_DEP_1)
	v_add_f32_e32 v21, v19, v20
.LBB93_176:
	s_wait_alu 0xfffe
	s_or_b32 exec_lo, exec_lo, s8
	s_delay_alu instid0(VALU_DEP_1)
	v_mov_b32_e32 v19, v21
.LBB93_177:
	s_wait_alu 0xfffe
	s_or_b32 exec_lo, exec_lo, s7
	ds_swizzle_b32 v20, v19 offset:swizzle(BROADCAST,32,15)
	v_and_b32_e32 v21, 16, v18
	s_mov_b32 s7, exec_lo
	s_delay_alu instid0(VALU_DEP_1)
	v_cmpx_ne_u32_e32 0, v21
	s_cbranch_execz .LBB93_181
; %bb.178:
	s_wait_dscnt 0x0
	v_dual_max_num_f32 v21, v19, v19 :: v_dual_max_num_f32 v22, v20, v20
	v_cmp_u_f32_e64 s6, v20, v20
	s_delay_alu instid0(VALU_DEP_2) | instskip(SKIP_2) | instid1(VALU_DEP_2)
	v_min_num_f32_e32 v23, v22, v21
	v_max_num_f32_e32 v21, v22, v21
	s_wait_alu 0xf1ff
	v_cndmask_b32_e64 v22, v23, v20, s6
	s_delay_alu instid0(VALU_DEP_2) | instskip(SKIP_2) | instid1(VALU_DEP_1)
	v_cndmask_b32_e64 v23, v21, v20, s6
	v_cmp_u_f32_e64 s6, v19, v19
	s_wait_alu 0xf1ff
	v_cndmask_b32_e64 v21, v22, v19, s6
	s_delay_alu instid0(VALU_DEP_3) | instskip(NEXT) | instid1(VALU_DEP_2)
	v_cndmask_b32_e64 v19, v23, v19, s6
	v_cmp_class_f32_e64 s8, v21, 0x1f8
	s_delay_alu instid0(VALU_DEP_2)
	v_cmp_neq_f32_e64 s6, v21, v19
	s_or_b32 s6, s6, s8
	s_wait_alu 0xfffe
	s_and_saveexec_b32 s8, s6
	s_cbranch_execz .LBB93_180
; %bb.179:
	v_sub_f32_e32 v20, v21, v19
	s_delay_alu instid0(VALU_DEP_1) | instskip(SKIP_1) | instid1(VALU_DEP_2)
	v_mul_f32_e32 v21, 0x3fb8aa3b, v20
	v_cmp_ngt_f32_e64 s6, 0xc2ce8ed0, v20
	v_fma_f32 v22, 0x3fb8aa3b, v20, -v21
	v_rndne_f32_e32 v23, v21
	s_delay_alu instid0(VALU_DEP_1) | instskip(NEXT) | instid1(VALU_DEP_1)
	v_dual_fmamk_f32 v22, v20, 0x32a5705f, v22 :: v_dual_sub_f32 v21, v21, v23
	v_add_f32_e32 v21, v21, v22
	v_cvt_i32_f32_e32 v22, v23
	s_delay_alu instid0(VALU_DEP_2) | instskip(NEXT) | instid1(TRANS32_DEP_1)
	v_exp_f32_e32 v21, v21
	v_ldexp_f32 v21, v21, v22
	s_wait_alu 0xf1ff
	s_delay_alu instid0(VALU_DEP_1) | instskip(SKIP_2) | instid1(VALU_DEP_1)
	v_cndmask_b32_e64 v21, 0, v21, s6
	v_cmp_nlt_f32_e64 s6, 0x42b17218, v20
	s_wait_alu 0xf1ff
	v_cndmask_b32_e64 v22, 0x7f800000, v21, s6
	s_delay_alu instid0(VALU_DEP_1) | instskip(NEXT) | instid1(VALU_DEP_1)
	v_add_f32_e32 v23, 1.0, v22
	v_cvt_f64_f32_e32 v[20:21], v23
	s_delay_alu instid0(VALU_DEP_1) | instskip(SKIP_1) | instid1(VALU_DEP_1)
	v_frexp_exp_i32_f64_e32 v20, v[20:21]
	v_frexp_mant_f32_e32 v21, v23
	v_cmp_gt_f32_e64 s6, 0x3f2aaaab, v21
	v_add_f32_e32 v21, -1.0, v23
	s_delay_alu instid0(VALU_DEP_1)
	v_sub_f32_e32 v25, v21, v23
	v_sub_f32_e32 v21, v22, v21
	s_wait_alu 0xf1ff
	v_subrev_co_ci_u32_e64 v20, null, 0, v20, s6
	s_mov_b32 s6, 0x3e9b6dac
	v_sub_nc_u32_e32 v24, 0, v20
	v_cvt_f32_i32_e32 v20, v20
	s_delay_alu instid0(VALU_DEP_2) | instskip(NEXT) | instid1(VALU_DEP_1)
	v_ldexp_f32 v23, v23, v24
	v_dual_add_f32 v26, 1.0, v23 :: v_dual_add_f32 v25, 1.0, v25
	s_delay_alu instid0(VALU_DEP_1) | instskip(NEXT) | instid1(VALU_DEP_2)
	v_add_f32_e32 v21, v21, v25
	v_add_f32_e32 v25, -1.0, v26
	s_delay_alu instid0(VALU_DEP_2) | instskip(NEXT) | instid1(VALU_DEP_2)
	v_ldexp_f32 v21, v21, v24
	v_dual_add_f32 v24, -1.0, v23 :: v_dual_sub_f32 v25, v23, v25
	s_delay_alu instid0(VALU_DEP_1) | instskip(NEXT) | instid1(VALU_DEP_2)
	v_add_f32_e32 v27, 1.0, v24
	v_add_f32_e32 v25, v21, v25
	s_delay_alu instid0(VALU_DEP_2) | instskip(NEXT) | instid1(VALU_DEP_2)
	v_sub_f32_e32 v23, v23, v27
	v_add_f32_e32 v27, v26, v25
	s_delay_alu instid0(VALU_DEP_2) | instskip(NEXT) | instid1(VALU_DEP_2)
	v_add_f32_e32 v21, v21, v23
	v_rcp_f32_e32 v23, v27
	v_sub_f32_e32 v26, v26, v27
	s_delay_alu instid0(VALU_DEP_1) | instskip(NEXT) | instid1(VALU_DEP_1)
	v_dual_add_f32 v28, v24, v21 :: v_dual_add_f32 v25, v25, v26
	v_sub_f32_e32 v24, v24, v28
	s_delay_alu instid0(TRANS32_DEP_1) | instskip(NEXT) | instid1(VALU_DEP_1)
	v_mul_f32_e32 v29, v28, v23
	v_dual_add_f32 v21, v21, v24 :: v_dual_mul_f32 v30, v27, v29
	s_delay_alu instid0(VALU_DEP_1) | instskip(NEXT) | instid1(VALU_DEP_1)
	v_fma_f32 v26, v29, v27, -v30
	v_fmac_f32_e32 v26, v29, v25
	s_delay_alu instid0(VALU_DEP_1) | instskip(NEXT) | instid1(VALU_DEP_1)
	v_add_f32_e32 v31, v30, v26
	v_sub_f32_e32 v32, v28, v31
	v_sub_f32_e32 v24, v31, v30
	s_delay_alu instid0(VALU_DEP_2) | instskip(NEXT) | instid1(VALU_DEP_2)
	v_sub_f32_e32 v28, v28, v32
	v_sub_f32_e32 v24, v24, v26
	s_delay_alu instid0(VALU_DEP_2) | instskip(NEXT) | instid1(VALU_DEP_1)
	v_sub_f32_e32 v28, v28, v31
	v_add_f32_e32 v21, v21, v28
	s_delay_alu instid0(VALU_DEP_1) | instskip(NEXT) | instid1(VALU_DEP_1)
	v_add_f32_e32 v21, v24, v21
	v_add_f32_e32 v24, v32, v21
	s_delay_alu instid0(VALU_DEP_1) | instskip(NEXT) | instid1(VALU_DEP_1)
	v_mul_f32_e32 v26, v23, v24
	v_dual_sub_f32 v31, v32, v24 :: v_dual_mul_f32 v28, v27, v26
	s_delay_alu instid0(VALU_DEP_1) | instskip(NEXT) | instid1(VALU_DEP_2)
	v_add_f32_e32 v21, v21, v31
	v_fma_f32 v27, v26, v27, -v28
	s_delay_alu instid0(VALU_DEP_1) | instskip(NEXT) | instid1(VALU_DEP_1)
	v_fmac_f32_e32 v27, v26, v25
	v_add_f32_e32 v25, v28, v27
	s_delay_alu instid0(VALU_DEP_1) | instskip(SKIP_1) | instid1(VALU_DEP_2)
	v_sub_f32_e32 v30, v24, v25
	v_sub_f32_e32 v28, v25, v28
	;; [unrolled: 1-line block ×3, first 2 shown]
	s_delay_alu instid0(VALU_DEP_1) | instskip(NEXT) | instid1(VALU_DEP_3)
	v_sub_f32_e32 v24, v24, v25
	v_sub_f32_e32 v25, v28, v27
	s_delay_alu instid0(VALU_DEP_2) | instskip(SKIP_1) | instid1(VALU_DEP_2)
	v_add_f32_e32 v21, v21, v24
	v_add_f32_e32 v24, v29, v26
	;; [unrolled: 1-line block ×3, first 2 shown]
	s_delay_alu instid0(VALU_DEP_2) | instskip(NEXT) | instid1(VALU_DEP_2)
	v_sub_f32_e32 v25, v24, v29
	v_add_f32_e32 v21, v30, v21
	s_delay_alu instid0(VALU_DEP_2) | instskip(NEXT) | instid1(VALU_DEP_2)
	v_sub_f32_e32 v25, v26, v25
	v_mul_f32_e32 v21, v23, v21
	s_delay_alu instid0(VALU_DEP_1) | instskip(NEXT) | instid1(VALU_DEP_1)
	v_add_f32_e32 v21, v25, v21
	v_add_f32_e32 v23, v24, v21
	s_delay_alu instid0(VALU_DEP_1) | instskip(SKIP_1) | instid1(VALU_DEP_1)
	v_mul_f32_e32 v25, v23, v23
	s_wait_alu 0xfffe
	v_fmaak_f32 v26, s6, v25, 0x3ecc95a3
	v_mul_f32_e32 v27, v23, v25
	v_cmp_neq_f32_e64 s6, 0x7f800000, v22
	s_delay_alu instid0(VALU_DEP_3) | instskip(SKIP_2) | instid1(VALU_DEP_3)
	v_fmaak_f32 v25, v25, v26, 0x3f2aaada
	v_ldexp_f32 v26, v23, 1
	v_sub_f32_e32 v23, v23, v24
	v_mul_f32_e32 v25, v27, v25
	v_mul_f32_e32 v27, 0x3f317218, v20
	s_delay_alu instid0(VALU_DEP_2) | instskip(NEXT) | instid1(VALU_DEP_1)
	v_dual_sub_f32 v21, v21, v23 :: v_dual_add_f32 v24, v26, v25
	v_ldexp_f32 v21, v21, 1
	s_delay_alu instid0(VALU_DEP_2) | instskip(NEXT) | instid1(VALU_DEP_4)
	v_sub_f32_e32 v23, v24, v26
	v_fma_f32 v26, 0x3f317218, v20, -v27
	s_delay_alu instid0(VALU_DEP_1) | instskip(NEXT) | instid1(VALU_DEP_1)
	v_dual_sub_f32 v23, v25, v23 :: v_dual_fmamk_f32 v20, v20, 0xb102e308, v26
	v_add_f32_e32 v21, v21, v23
	s_delay_alu instid0(VALU_DEP_2) | instskip(NEXT) | instid1(VALU_DEP_2)
	v_add_f32_e32 v23, v27, v20
	v_add_f32_e32 v25, v24, v21
	s_delay_alu instid0(VALU_DEP_2) | instskip(NEXT) | instid1(VALU_DEP_2)
	v_sub_f32_e32 v27, v23, v27
	v_add_f32_e32 v26, v23, v25
	v_sub_f32_e32 v24, v25, v24
	s_delay_alu instid0(VALU_DEP_3) | instskip(NEXT) | instid1(VALU_DEP_2)
	v_sub_f32_e32 v20, v20, v27
	v_dual_sub_f32 v28, v26, v23 :: v_dual_sub_f32 v21, v21, v24
	s_delay_alu instid0(VALU_DEP_1) | instskip(NEXT) | instid1(VALU_DEP_2)
	v_sub_f32_e32 v29, v26, v28
	v_dual_sub_f32 v24, v25, v28 :: v_dual_add_f32 v25, v20, v21
	s_delay_alu instid0(VALU_DEP_2) | instskip(NEXT) | instid1(VALU_DEP_1)
	v_sub_f32_e32 v23, v23, v29
	v_dual_add_f32 v23, v24, v23 :: v_dual_sub_f32 v24, v25, v20
	s_delay_alu instid0(VALU_DEP_1) | instskip(NEXT) | instid1(VALU_DEP_2)
	v_add_f32_e32 v23, v25, v23
	v_sub_f32_e32 v25, v25, v24
	v_sub_f32_e32 v21, v21, v24
	s_delay_alu instid0(VALU_DEP_2) | instskip(NEXT) | instid1(VALU_DEP_1)
	v_dual_add_f32 v27, v26, v23 :: v_dual_sub_f32 v20, v20, v25
	v_sub_f32_e32 v24, v27, v26
	s_delay_alu instid0(VALU_DEP_2) | instskip(NEXT) | instid1(VALU_DEP_2)
	v_add_f32_e32 v20, v21, v20
	v_sub_f32_e32 v21, v23, v24
	s_delay_alu instid0(VALU_DEP_1) | instskip(NEXT) | instid1(VALU_DEP_1)
	v_add_f32_e32 v20, v20, v21
	v_add_f32_e32 v20, v27, v20
	s_wait_alu 0xf1ff
	s_delay_alu instid0(VALU_DEP_1) | instskip(SKIP_2) | instid1(VALU_DEP_1)
	v_cndmask_b32_e64 v20, 0x7f800000, v20, s6
	v_cmp_gt_f32_e64 s6, 0x33800000, |v22|
	s_wait_alu 0xf1ff
	v_cndmask_b32_e64 v20, v20, v22, s6
	s_delay_alu instid0(VALU_DEP_1)
	v_add_f32_e32 v20, v19, v20
.LBB93_180:
	s_wait_alu 0xfffe
	s_or_b32 exec_lo, exec_lo, s8
	s_delay_alu instid0(VALU_DEP_1)
	v_mov_b32_e32 v19, v20
.LBB93_181:
	s_wait_alu 0xfffe
	s_or_b32 exec_lo, exec_lo, s7
	v_or_b32_e32 v21, 31, v0
	s_wait_dscnt 0x0
	v_lshrrev_b32_e32 v20, 5, v0
	s_mov_b32 s7, exec_lo
	s_delay_alu instid0(VALU_DEP_2)
	v_cmpx_eq_u32_e64 v0, v21
; %bb.182:
	s_delay_alu instid0(VALU_DEP_2)
	v_lshlrev_b32_e32 v21, 2, v20
	ds_store_b32 v21, v19
; %bb.183:
	s_wait_alu 0xfffe
	s_or_b32 exec_lo, exec_lo, s7
	s_delay_alu instid0(SALU_CYCLE_1)
	s_mov_b32 s7, exec_lo
	s_wait_loadcnt_dscnt 0x0
	s_barrier_signal -1
	s_barrier_wait -1
	global_inv scope:SCOPE_SE
	v_cmpx_gt_u32_e32 8, v0
	s_cbranch_execz .LBB93_197
; %bb.184:
	v_mad_i32_i24 v21, 0xffffffec, v0, v16
	s_mov_b32 s8, exec_lo
	ds_load_b32 v23, v21
	v_and_b32_e32 v21, 7, v18
	s_wait_dscnt 0x0
	v_mov_b32_dpp v24, v23 row_shr:1 row_mask:0xf bank_mask:0xf
	s_delay_alu instid0(VALU_DEP_2)
	v_cmpx_ne_u32_e32 0, v21
	s_cbranch_execz .LBB93_188
; %bb.185:
	s_delay_alu instid0(VALU_DEP_2) | instskip(SKIP_1) | instid1(VALU_DEP_2)
	v_dual_max_num_f32 v22, v23, v23 :: v_dual_max_num_f32 v25, v24, v24
	v_cmp_u_f32_e64 s6, v24, v24
	v_min_num_f32_e32 v26, v25, v22
	v_max_num_f32_e32 v22, v25, v22
	s_wait_alu 0xf1ff
	s_delay_alu instid0(VALU_DEP_2) | instskip(NEXT) | instid1(VALU_DEP_2)
	v_cndmask_b32_e64 v25, v26, v24, s6
	v_cndmask_b32_e64 v22, v22, v24, s6
	v_cmp_u_f32_e64 s6, v23, v23
	s_wait_alu 0xf1ff
	s_delay_alu instid0(VALU_DEP_1) | instskip(NEXT) | instid1(VALU_DEP_3)
	v_cndmask_b32_e64 v25, v25, v23, s6
	v_cndmask_b32_e64 v22, v22, v23, s6
	s_delay_alu instid0(VALU_DEP_2) | instskip(NEXT) | instid1(VALU_DEP_2)
	v_cmp_class_f32_e64 s9, v25, 0x1f8
	v_cmp_neq_f32_e64 s6, v25, v22
	s_or_b32 s6, s6, s9
	s_wait_alu 0xfffe
	s_and_saveexec_b32 s9, s6
	s_cbranch_execz .LBB93_187
; %bb.186:
	v_sub_f32_e32 v23, v25, v22
	s_delay_alu instid0(VALU_DEP_1) | instskip(NEXT) | instid1(VALU_DEP_1)
	v_mul_f32_e32 v24, 0x3fb8aa3b, v23
	v_fma_f32 v25, 0x3fb8aa3b, v23, -v24
	v_rndne_f32_e32 v26, v24
	s_delay_alu instid0(VALU_DEP_1) | instskip(NEXT) | instid1(VALU_DEP_1)
	v_dual_fmamk_f32 v25, v23, 0x32a5705f, v25 :: v_dual_sub_f32 v24, v24, v26
	v_add_f32_e32 v24, v24, v25
	v_cvt_i32_f32_e32 v25, v26
	v_cmp_ngt_f32_e64 s6, 0xc2ce8ed0, v23
	s_delay_alu instid0(VALU_DEP_3) | instskip(NEXT) | instid1(TRANS32_DEP_1)
	v_exp_f32_e32 v24, v24
	v_ldexp_f32 v24, v24, v25
	s_wait_alu 0xf1ff
	s_delay_alu instid0(VALU_DEP_1) | instskip(SKIP_2) | instid1(VALU_DEP_1)
	v_cndmask_b32_e64 v24, 0, v24, s6
	v_cmp_nlt_f32_e64 s6, 0x42b17218, v23
	s_wait_alu 0xf1ff
	v_cndmask_b32_e64 v25, 0x7f800000, v24, s6
	s_delay_alu instid0(VALU_DEP_1) | instskip(NEXT) | instid1(VALU_DEP_1)
	v_add_f32_e32 v26, 1.0, v25
	v_cvt_f64_f32_e32 v[23:24], v26
	s_delay_alu instid0(VALU_DEP_1) | instskip(SKIP_1) | instid1(VALU_DEP_1)
	v_frexp_exp_i32_f64_e32 v23, v[23:24]
	v_frexp_mant_f32_e32 v24, v26
	v_cmp_gt_f32_e64 s6, 0x3f2aaaab, v24
	v_add_f32_e32 v24, -1.0, v26
	s_delay_alu instid0(VALU_DEP_1) | instskip(SKIP_1) | instid1(VALU_DEP_3)
	v_sub_f32_e32 v28, v24, v26
	s_wait_alu 0xf1ff
	v_subrev_co_ci_u32_e64 v23, null, 0, v23, s6
	s_mov_b32 s6, 0x3e9b6dac
	v_sub_nc_u32_e32 v27, 0, v23
	v_cvt_f32_i32_e32 v23, v23
	s_delay_alu instid0(VALU_DEP_2) | instskip(NEXT) | instid1(VALU_DEP_1)
	v_ldexp_f32 v26, v26, v27
	v_dual_sub_f32 v24, v25, v24 :: v_dual_add_f32 v29, 1.0, v26
	v_add_f32_e32 v28, 1.0, v28
	s_delay_alu instid0(VALU_DEP_1) | instskip(NEXT) | instid1(VALU_DEP_3)
	v_add_f32_e32 v24, v24, v28
	v_add_f32_e32 v28, -1.0, v29
	s_delay_alu instid0(VALU_DEP_2) | instskip(NEXT) | instid1(VALU_DEP_2)
	v_ldexp_f32 v24, v24, v27
	v_dual_add_f32 v27, -1.0, v26 :: v_dual_sub_f32 v28, v26, v28
	s_delay_alu instid0(VALU_DEP_1) | instskip(NEXT) | instid1(VALU_DEP_2)
	v_add_f32_e32 v30, 1.0, v27
	v_add_f32_e32 v28, v24, v28
	s_delay_alu instid0(VALU_DEP_2) | instskip(NEXT) | instid1(VALU_DEP_2)
	v_sub_f32_e32 v26, v26, v30
	v_add_f32_e32 v30, v29, v28
	s_delay_alu instid0(VALU_DEP_2) | instskip(NEXT) | instid1(VALU_DEP_2)
	v_add_f32_e32 v24, v24, v26
	v_rcp_f32_e32 v26, v30
	v_sub_f32_e32 v29, v29, v30
	s_delay_alu instid0(VALU_DEP_1) | instskip(NEXT) | instid1(VALU_DEP_1)
	v_dual_add_f32 v31, v27, v24 :: v_dual_add_f32 v28, v28, v29
	v_sub_f32_e32 v27, v27, v31
	s_delay_alu instid0(TRANS32_DEP_1) | instskip(NEXT) | instid1(VALU_DEP_1)
	v_mul_f32_e32 v32, v31, v26
	v_dual_add_f32 v24, v24, v27 :: v_dual_mul_f32 v33, v30, v32
	s_delay_alu instid0(VALU_DEP_1) | instskip(NEXT) | instid1(VALU_DEP_1)
	v_fma_f32 v29, v32, v30, -v33
	v_fmac_f32_e32 v29, v32, v28
	s_delay_alu instid0(VALU_DEP_1) | instskip(NEXT) | instid1(VALU_DEP_1)
	v_add_f32_e32 v34, v33, v29
	v_sub_f32_e32 v35, v31, v34
	v_sub_f32_e32 v27, v34, v33
	s_delay_alu instid0(VALU_DEP_2) | instskip(NEXT) | instid1(VALU_DEP_2)
	v_sub_f32_e32 v31, v31, v35
	v_sub_f32_e32 v27, v27, v29
	s_delay_alu instid0(VALU_DEP_2) | instskip(NEXT) | instid1(VALU_DEP_1)
	v_sub_f32_e32 v31, v31, v34
	v_add_f32_e32 v24, v24, v31
	s_delay_alu instid0(VALU_DEP_1) | instskip(NEXT) | instid1(VALU_DEP_1)
	v_add_f32_e32 v24, v27, v24
	v_add_f32_e32 v27, v35, v24
	s_delay_alu instid0(VALU_DEP_1) | instskip(NEXT) | instid1(VALU_DEP_1)
	v_mul_f32_e32 v29, v26, v27
	v_dual_sub_f32 v34, v35, v27 :: v_dual_mul_f32 v31, v30, v29
	s_delay_alu instid0(VALU_DEP_1) | instskip(NEXT) | instid1(VALU_DEP_2)
	v_add_f32_e32 v24, v24, v34
	v_fma_f32 v30, v29, v30, -v31
	s_delay_alu instid0(VALU_DEP_1) | instskip(NEXT) | instid1(VALU_DEP_1)
	v_fmac_f32_e32 v30, v29, v28
	v_add_f32_e32 v28, v31, v30
	s_delay_alu instid0(VALU_DEP_1) | instskip(SKIP_1) | instid1(VALU_DEP_2)
	v_sub_f32_e32 v33, v27, v28
	v_sub_f32_e32 v31, v28, v31
	;; [unrolled: 1-line block ×3, first 2 shown]
	s_delay_alu instid0(VALU_DEP_1) | instskip(NEXT) | instid1(VALU_DEP_3)
	v_sub_f32_e32 v27, v27, v28
	v_sub_f32_e32 v28, v31, v30
	s_delay_alu instid0(VALU_DEP_2) | instskip(SKIP_1) | instid1(VALU_DEP_2)
	v_add_f32_e32 v24, v24, v27
	v_add_f32_e32 v27, v32, v29
	;; [unrolled: 1-line block ×3, first 2 shown]
	s_delay_alu instid0(VALU_DEP_2) | instskip(NEXT) | instid1(VALU_DEP_2)
	v_sub_f32_e32 v28, v27, v32
	v_add_f32_e32 v24, v33, v24
	s_delay_alu instid0(VALU_DEP_2) | instskip(NEXT) | instid1(VALU_DEP_2)
	v_sub_f32_e32 v28, v29, v28
	v_mul_f32_e32 v24, v26, v24
	s_delay_alu instid0(VALU_DEP_1) | instskip(NEXT) | instid1(VALU_DEP_1)
	v_add_f32_e32 v24, v28, v24
	v_add_f32_e32 v26, v27, v24
	s_delay_alu instid0(VALU_DEP_1) | instskip(SKIP_1) | instid1(VALU_DEP_1)
	v_mul_f32_e32 v28, v26, v26
	s_wait_alu 0xfffe
	v_fmaak_f32 v29, s6, v28, 0x3ecc95a3
	v_mul_f32_e32 v30, v26, v28
	v_cmp_neq_f32_e64 s6, 0x7f800000, v25
	s_delay_alu instid0(VALU_DEP_3) | instskip(SKIP_2) | instid1(VALU_DEP_3)
	v_fmaak_f32 v28, v28, v29, 0x3f2aaada
	v_ldexp_f32 v29, v26, 1
	v_sub_f32_e32 v26, v26, v27
	v_mul_f32_e32 v28, v30, v28
	v_mul_f32_e32 v30, 0x3f317218, v23
	s_delay_alu instid0(VALU_DEP_2) | instskip(NEXT) | instid1(VALU_DEP_1)
	v_dual_sub_f32 v24, v24, v26 :: v_dual_add_f32 v27, v29, v28
	v_ldexp_f32 v24, v24, 1
	s_delay_alu instid0(VALU_DEP_2) | instskip(NEXT) | instid1(VALU_DEP_4)
	v_sub_f32_e32 v26, v27, v29
	v_fma_f32 v29, 0x3f317218, v23, -v30
	s_delay_alu instid0(VALU_DEP_1) | instskip(NEXT) | instid1(VALU_DEP_1)
	v_dual_sub_f32 v26, v28, v26 :: v_dual_fmamk_f32 v23, v23, 0xb102e308, v29
	v_add_f32_e32 v24, v24, v26
	s_delay_alu instid0(VALU_DEP_2) | instskip(NEXT) | instid1(VALU_DEP_2)
	v_add_f32_e32 v26, v30, v23
	v_add_f32_e32 v28, v27, v24
	s_delay_alu instid0(VALU_DEP_2) | instskip(NEXT) | instid1(VALU_DEP_2)
	v_sub_f32_e32 v30, v26, v30
	v_add_f32_e32 v29, v26, v28
	v_sub_f32_e32 v27, v28, v27
	s_delay_alu instid0(VALU_DEP_3) | instskip(NEXT) | instid1(VALU_DEP_2)
	v_sub_f32_e32 v23, v23, v30
	v_dual_sub_f32 v31, v29, v26 :: v_dual_sub_f32 v24, v24, v27
	s_delay_alu instid0(VALU_DEP_1) | instskip(NEXT) | instid1(VALU_DEP_2)
	v_sub_f32_e32 v32, v29, v31
	v_dual_sub_f32 v27, v28, v31 :: v_dual_add_f32 v28, v23, v24
	s_delay_alu instid0(VALU_DEP_2) | instskip(NEXT) | instid1(VALU_DEP_1)
	v_sub_f32_e32 v26, v26, v32
	v_dual_add_f32 v26, v27, v26 :: v_dual_sub_f32 v27, v28, v23
	s_delay_alu instid0(VALU_DEP_1) | instskip(NEXT) | instid1(VALU_DEP_2)
	v_add_f32_e32 v26, v28, v26
	v_sub_f32_e32 v28, v28, v27
	v_sub_f32_e32 v24, v24, v27
	s_delay_alu instid0(VALU_DEP_2) | instskip(NEXT) | instid1(VALU_DEP_1)
	v_dual_add_f32 v30, v29, v26 :: v_dual_sub_f32 v23, v23, v28
	v_sub_f32_e32 v27, v30, v29
	s_delay_alu instid0(VALU_DEP_2) | instskip(NEXT) | instid1(VALU_DEP_2)
	v_add_f32_e32 v23, v24, v23
	v_sub_f32_e32 v24, v26, v27
	s_delay_alu instid0(VALU_DEP_1) | instskip(NEXT) | instid1(VALU_DEP_1)
	v_add_f32_e32 v23, v23, v24
	v_add_f32_e32 v23, v30, v23
	s_wait_alu 0xf1ff
	s_delay_alu instid0(VALU_DEP_1) | instskip(SKIP_2) | instid1(VALU_DEP_1)
	v_cndmask_b32_e64 v23, 0x7f800000, v23, s6
	v_cmp_gt_f32_e64 s6, 0x33800000, |v25|
	s_wait_alu 0xf1ff
	v_cndmask_b32_e64 v23, v23, v25, s6
	s_delay_alu instid0(VALU_DEP_1)
	v_add_f32_e32 v24, v22, v23
.LBB93_187:
	s_wait_alu 0xfffe
	s_or_b32 exec_lo, exec_lo, s9
	s_delay_alu instid0(VALU_DEP_1)
	v_mov_b32_e32 v23, v24
.LBB93_188:
	s_wait_alu 0xfffe
	s_or_b32 exec_lo, exec_lo, s8
	v_mul_i32_i24_e32 v22, 0xffffffec, v0
	s_delay_alu instid0(VALU_DEP_2)
	v_mov_b32_dpp v24, v23 row_shr:2 row_mask:0xf bank_mask:0xf
	s_mov_b32 s8, exec_lo
	v_cmpx_lt_u32_e32 1, v21
	s_cbranch_execz .LBB93_192
; %bb.189:
	s_delay_alu instid0(VALU_DEP_2) | instskip(SKIP_1) | instid1(VALU_DEP_2)
	v_dual_max_num_f32 v25, v23, v23 :: v_dual_max_num_f32 v26, v24, v24
	v_cmp_u_f32_e64 s6, v24, v24
	v_min_num_f32_e32 v27, v26, v25
	v_max_num_f32_e32 v25, v26, v25
	s_wait_alu 0xf1ff
	s_delay_alu instid0(VALU_DEP_2) | instskip(NEXT) | instid1(VALU_DEP_2)
	v_cndmask_b32_e64 v26, v27, v24, s6
	v_cndmask_b32_e64 v27, v25, v24, s6
	v_cmp_u_f32_e64 s6, v23, v23
	s_wait_alu 0xf1ff
	s_delay_alu instid0(VALU_DEP_1) | instskip(NEXT) | instid1(VALU_DEP_3)
	v_cndmask_b32_e64 v25, v26, v23, s6
	v_cndmask_b32_e64 v23, v27, v23, s6
	s_delay_alu instid0(VALU_DEP_2) | instskip(NEXT) | instid1(VALU_DEP_2)
	v_cmp_class_f32_e64 s9, v25, 0x1f8
	v_cmp_neq_f32_e64 s6, v25, v23
	s_or_b32 s6, s6, s9
	s_wait_alu 0xfffe
	s_and_saveexec_b32 s9, s6
	s_cbranch_execz .LBB93_191
; %bb.190:
	v_sub_f32_e32 v24, v25, v23
	s_delay_alu instid0(VALU_DEP_1) | instskip(SKIP_1) | instid1(VALU_DEP_2)
	v_mul_f32_e32 v25, 0x3fb8aa3b, v24
	v_cmp_ngt_f32_e64 s6, 0xc2ce8ed0, v24
	v_fma_f32 v26, 0x3fb8aa3b, v24, -v25
	v_rndne_f32_e32 v27, v25
	s_delay_alu instid0(VALU_DEP_1) | instskip(NEXT) | instid1(VALU_DEP_1)
	v_dual_fmamk_f32 v26, v24, 0x32a5705f, v26 :: v_dual_sub_f32 v25, v25, v27
	v_add_f32_e32 v25, v25, v26
	v_cvt_i32_f32_e32 v26, v27
	s_delay_alu instid0(VALU_DEP_2) | instskip(NEXT) | instid1(TRANS32_DEP_1)
	v_exp_f32_e32 v25, v25
	v_ldexp_f32 v25, v25, v26
	s_wait_alu 0xf1ff
	s_delay_alu instid0(VALU_DEP_1) | instskip(SKIP_2) | instid1(VALU_DEP_1)
	v_cndmask_b32_e64 v25, 0, v25, s6
	v_cmp_nlt_f32_e64 s6, 0x42b17218, v24
	s_wait_alu 0xf1ff
	v_cndmask_b32_e64 v26, 0x7f800000, v25, s6
	s_delay_alu instid0(VALU_DEP_1) | instskip(NEXT) | instid1(VALU_DEP_1)
	v_add_f32_e32 v27, 1.0, v26
	v_cvt_f64_f32_e32 v[24:25], v27
	s_delay_alu instid0(VALU_DEP_1) | instskip(SKIP_1) | instid1(VALU_DEP_1)
	v_frexp_exp_i32_f64_e32 v24, v[24:25]
	v_frexp_mant_f32_e32 v25, v27
	v_cmp_gt_f32_e64 s6, 0x3f2aaaab, v25
	v_add_f32_e32 v25, -1.0, v27
	s_delay_alu instid0(VALU_DEP_1)
	v_sub_f32_e32 v29, v25, v27
	v_sub_f32_e32 v25, v26, v25
	s_wait_alu 0xf1ff
	v_subrev_co_ci_u32_e64 v24, null, 0, v24, s6
	s_mov_b32 s6, 0x3e9b6dac
	v_sub_nc_u32_e32 v28, 0, v24
	v_cvt_f32_i32_e32 v24, v24
	s_delay_alu instid0(VALU_DEP_2) | instskip(NEXT) | instid1(VALU_DEP_1)
	v_ldexp_f32 v27, v27, v28
	v_dual_add_f32 v30, 1.0, v27 :: v_dual_add_f32 v29, 1.0, v29
	s_delay_alu instid0(VALU_DEP_1) | instskip(NEXT) | instid1(VALU_DEP_2)
	v_add_f32_e32 v25, v25, v29
	v_add_f32_e32 v29, -1.0, v30
	s_delay_alu instid0(VALU_DEP_2) | instskip(NEXT) | instid1(VALU_DEP_2)
	v_ldexp_f32 v25, v25, v28
	v_dual_add_f32 v28, -1.0, v27 :: v_dual_sub_f32 v29, v27, v29
	s_delay_alu instid0(VALU_DEP_1) | instskip(NEXT) | instid1(VALU_DEP_2)
	v_add_f32_e32 v31, 1.0, v28
	v_add_f32_e32 v29, v25, v29
	s_delay_alu instid0(VALU_DEP_2) | instskip(NEXT) | instid1(VALU_DEP_2)
	v_sub_f32_e32 v27, v27, v31
	v_add_f32_e32 v31, v30, v29
	s_delay_alu instid0(VALU_DEP_2) | instskip(NEXT) | instid1(VALU_DEP_2)
	v_add_f32_e32 v25, v25, v27
	v_rcp_f32_e32 v27, v31
	v_sub_f32_e32 v30, v30, v31
	s_delay_alu instid0(VALU_DEP_1) | instskip(NEXT) | instid1(VALU_DEP_1)
	v_dual_add_f32 v32, v28, v25 :: v_dual_add_f32 v29, v29, v30
	v_sub_f32_e32 v28, v28, v32
	s_delay_alu instid0(TRANS32_DEP_1) | instskip(NEXT) | instid1(VALU_DEP_1)
	v_mul_f32_e32 v33, v32, v27
	v_dual_add_f32 v25, v25, v28 :: v_dual_mul_f32 v34, v31, v33
	s_delay_alu instid0(VALU_DEP_1) | instskip(NEXT) | instid1(VALU_DEP_1)
	v_fma_f32 v30, v33, v31, -v34
	v_fmac_f32_e32 v30, v33, v29
	s_delay_alu instid0(VALU_DEP_1) | instskip(NEXT) | instid1(VALU_DEP_1)
	v_add_f32_e32 v35, v34, v30
	v_sub_f32_e32 v36, v32, v35
	v_sub_f32_e32 v28, v35, v34
	s_delay_alu instid0(VALU_DEP_2) | instskip(NEXT) | instid1(VALU_DEP_2)
	v_sub_f32_e32 v32, v32, v36
	v_sub_f32_e32 v28, v28, v30
	s_delay_alu instid0(VALU_DEP_2) | instskip(NEXT) | instid1(VALU_DEP_1)
	v_sub_f32_e32 v32, v32, v35
	v_add_f32_e32 v25, v25, v32
	s_delay_alu instid0(VALU_DEP_1) | instskip(NEXT) | instid1(VALU_DEP_1)
	v_add_f32_e32 v25, v28, v25
	v_add_f32_e32 v28, v36, v25
	s_delay_alu instid0(VALU_DEP_1) | instskip(NEXT) | instid1(VALU_DEP_1)
	v_mul_f32_e32 v30, v27, v28
	v_dual_sub_f32 v35, v36, v28 :: v_dual_mul_f32 v32, v31, v30
	s_delay_alu instid0(VALU_DEP_1) | instskip(NEXT) | instid1(VALU_DEP_2)
	v_add_f32_e32 v25, v25, v35
	v_fma_f32 v31, v30, v31, -v32
	s_delay_alu instid0(VALU_DEP_1) | instskip(NEXT) | instid1(VALU_DEP_1)
	v_fmac_f32_e32 v31, v30, v29
	v_add_f32_e32 v29, v32, v31
	s_delay_alu instid0(VALU_DEP_1) | instskip(SKIP_1) | instid1(VALU_DEP_2)
	v_sub_f32_e32 v34, v28, v29
	v_sub_f32_e32 v32, v29, v32
	;; [unrolled: 1-line block ×3, first 2 shown]
	s_delay_alu instid0(VALU_DEP_1) | instskip(NEXT) | instid1(VALU_DEP_3)
	v_sub_f32_e32 v28, v28, v29
	v_sub_f32_e32 v29, v32, v31
	s_delay_alu instid0(VALU_DEP_2) | instskip(SKIP_1) | instid1(VALU_DEP_2)
	v_add_f32_e32 v25, v25, v28
	v_add_f32_e32 v28, v33, v30
	;; [unrolled: 1-line block ×3, first 2 shown]
	s_delay_alu instid0(VALU_DEP_2) | instskip(NEXT) | instid1(VALU_DEP_2)
	v_sub_f32_e32 v29, v28, v33
	v_add_f32_e32 v25, v34, v25
	s_delay_alu instid0(VALU_DEP_2) | instskip(NEXT) | instid1(VALU_DEP_2)
	v_sub_f32_e32 v29, v30, v29
	v_mul_f32_e32 v25, v27, v25
	s_delay_alu instid0(VALU_DEP_1) | instskip(NEXT) | instid1(VALU_DEP_1)
	v_add_f32_e32 v25, v29, v25
	v_add_f32_e32 v27, v28, v25
	s_delay_alu instid0(VALU_DEP_1) | instskip(SKIP_1) | instid1(VALU_DEP_1)
	v_mul_f32_e32 v29, v27, v27
	s_wait_alu 0xfffe
	v_fmaak_f32 v30, s6, v29, 0x3ecc95a3
	v_mul_f32_e32 v31, v27, v29
	v_cmp_neq_f32_e64 s6, 0x7f800000, v26
	s_delay_alu instid0(VALU_DEP_3) | instskip(SKIP_2) | instid1(VALU_DEP_3)
	v_fmaak_f32 v29, v29, v30, 0x3f2aaada
	v_ldexp_f32 v30, v27, 1
	v_sub_f32_e32 v27, v27, v28
	v_mul_f32_e32 v29, v31, v29
	v_mul_f32_e32 v31, 0x3f317218, v24
	s_delay_alu instid0(VALU_DEP_2) | instskip(NEXT) | instid1(VALU_DEP_1)
	v_dual_sub_f32 v25, v25, v27 :: v_dual_add_f32 v28, v30, v29
	v_ldexp_f32 v25, v25, 1
	s_delay_alu instid0(VALU_DEP_2) | instskip(NEXT) | instid1(VALU_DEP_4)
	v_sub_f32_e32 v27, v28, v30
	v_fma_f32 v30, 0x3f317218, v24, -v31
	s_delay_alu instid0(VALU_DEP_1) | instskip(NEXT) | instid1(VALU_DEP_1)
	v_dual_sub_f32 v27, v29, v27 :: v_dual_fmamk_f32 v24, v24, 0xb102e308, v30
	v_add_f32_e32 v25, v25, v27
	s_delay_alu instid0(VALU_DEP_2) | instskip(NEXT) | instid1(VALU_DEP_2)
	v_add_f32_e32 v27, v31, v24
	v_add_f32_e32 v29, v28, v25
	s_delay_alu instid0(VALU_DEP_2) | instskip(NEXT) | instid1(VALU_DEP_2)
	v_sub_f32_e32 v31, v27, v31
	v_add_f32_e32 v30, v27, v29
	v_sub_f32_e32 v28, v29, v28
	s_delay_alu instid0(VALU_DEP_3) | instskip(NEXT) | instid1(VALU_DEP_2)
	v_sub_f32_e32 v24, v24, v31
	v_dual_sub_f32 v32, v30, v27 :: v_dual_sub_f32 v25, v25, v28
	s_delay_alu instid0(VALU_DEP_1) | instskip(NEXT) | instid1(VALU_DEP_2)
	v_sub_f32_e32 v33, v30, v32
	v_dual_sub_f32 v28, v29, v32 :: v_dual_add_f32 v29, v24, v25
	s_delay_alu instid0(VALU_DEP_2) | instskip(NEXT) | instid1(VALU_DEP_1)
	v_sub_f32_e32 v27, v27, v33
	v_dual_add_f32 v27, v28, v27 :: v_dual_sub_f32 v28, v29, v24
	s_delay_alu instid0(VALU_DEP_1) | instskip(NEXT) | instid1(VALU_DEP_2)
	v_add_f32_e32 v27, v29, v27
	v_sub_f32_e32 v29, v29, v28
	v_sub_f32_e32 v25, v25, v28
	s_delay_alu instid0(VALU_DEP_2) | instskip(NEXT) | instid1(VALU_DEP_1)
	v_dual_add_f32 v31, v30, v27 :: v_dual_sub_f32 v24, v24, v29
	v_sub_f32_e32 v28, v31, v30
	s_delay_alu instid0(VALU_DEP_2) | instskip(NEXT) | instid1(VALU_DEP_2)
	v_add_f32_e32 v24, v25, v24
	v_sub_f32_e32 v25, v27, v28
	s_delay_alu instid0(VALU_DEP_1) | instskip(NEXT) | instid1(VALU_DEP_1)
	v_add_f32_e32 v24, v24, v25
	v_add_f32_e32 v24, v31, v24
	s_wait_alu 0xf1ff
	s_delay_alu instid0(VALU_DEP_1) | instskip(SKIP_2) | instid1(VALU_DEP_1)
	v_cndmask_b32_e64 v24, 0x7f800000, v24, s6
	v_cmp_gt_f32_e64 s6, 0x33800000, |v26|
	s_wait_alu 0xf1ff
	v_cndmask_b32_e64 v24, v24, v26, s6
	s_delay_alu instid0(VALU_DEP_1)
	v_add_f32_e32 v24, v23, v24
.LBB93_191:
	s_wait_alu 0xfffe
	s_or_b32 exec_lo, exec_lo, s9
	s_delay_alu instid0(VALU_DEP_1)
	v_mov_b32_e32 v23, v24
.LBB93_192:
	s_wait_alu 0xfffe
	s_or_b32 exec_lo, exec_lo, s8
	s_delay_alu instid0(VALU_DEP_1)
	v_mov_b32_dpp v24, v23 row_shr:4 row_mask:0xf bank_mask:0xf
	s_mov_b32 s8, exec_lo
	v_cmpx_lt_u32_e32 3, v21
	s_cbranch_execz .LBB93_196
; %bb.193:
	v_max_num_f32_e32 v21, v23, v23
	v_max_num_f32_e32 v25, v24, v24
	v_cmp_u_f32_e64 s6, v24, v24
	s_delay_alu instid0(VALU_DEP_2) | instskip(SKIP_2) | instid1(VALU_DEP_2)
	v_min_num_f32_e32 v26, v25, v21
	v_max_num_f32_e32 v21, v25, v21
	s_wait_alu 0xf1ff
	v_cndmask_b32_e64 v25, v26, v24, s6
	s_delay_alu instid0(VALU_DEP_2) | instskip(SKIP_2) | instid1(VALU_DEP_1)
	v_cndmask_b32_e64 v21, v21, v24, s6
	v_cmp_u_f32_e64 s6, v23, v23
	s_wait_alu 0xf1ff
	v_cndmask_b32_e64 v25, v25, v23, s6
	s_delay_alu instid0(VALU_DEP_3) | instskip(NEXT) | instid1(VALU_DEP_2)
	v_cndmask_b32_e64 v21, v21, v23, s6
	v_cmp_class_f32_e64 s9, v25, 0x1f8
	s_delay_alu instid0(VALU_DEP_2)
	v_cmp_neq_f32_e64 s6, v25, v21
	s_or_b32 s6, s6, s9
	s_wait_alu 0xfffe
	s_and_saveexec_b32 s9, s6
	s_cbranch_execz .LBB93_195
; %bb.194:
	v_sub_f32_e32 v23, v25, v21
	s_delay_alu instid0(VALU_DEP_1) | instskip(NEXT) | instid1(VALU_DEP_1)
	v_mul_f32_e32 v24, 0x3fb8aa3b, v23
	v_fma_f32 v25, 0x3fb8aa3b, v23, -v24
	v_rndne_f32_e32 v26, v24
	s_delay_alu instid0(VALU_DEP_1) | instskip(SKIP_1) | instid1(VALU_DEP_2)
	v_dual_sub_f32 v24, v24, v26 :: v_dual_fmamk_f32 v25, v23, 0x32a5705f, v25
	v_cmp_ngt_f32_e64 s6, 0xc2ce8ed0, v23
	v_add_f32_e32 v24, v24, v25
	v_cvt_i32_f32_e32 v25, v26
	s_delay_alu instid0(VALU_DEP_2) | instskip(NEXT) | instid1(TRANS32_DEP_1)
	v_exp_f32_e32 v24, v24
	v_ldexp_f32 v24, v24, v25
	s_wait_alu 0xf1ff
	s_delay_alu instid0(VALU_DEP_1) | instskip(SKIP_2) | instid1(VALU_DEP_1)
	v_cndmask_b32_e64 v24, 0, v24, s6
	v_cmp_nlt_f32_e64 s6, 0x42b17218, v23
	s_wait_alu 0xf1ff
	v_cndmask_b32_e64 v25, 0x7f800000, v24, s6
	s_delay_alu instid0(VALU_DEP_1) | instskip(NEXT) | instid1(VALU_DEP_1)
	v_add_f32_e32 v26, 1.0, v25
	v_cvt_f64_f32_e32 v[23:24], v26
	s_delay_alu instid0(VALU_DEP_1) | instskip(SKIP_1) | instid1(VALU_DEP_1)
	v_frexp_exp_i32_f64_e32 v23, v[23:24]
	v_frexp_mant_f32_e32 v24, v26
	v_cmp_gt_f32_e64 s6, 0x3f2aaaab, v24
	v_add_f32_e32 v24, -1.0, v26
	s_delay_alu instid0(VALU_DEP_1)
	v_sub_f32_e32 v28, v24, v26
	v_sub_f32_e32 v24, v25, v24
	s_wait_alu 0xf1ff
	v_subrev_co_ci_u32_e64 v23, null, 0, v23, s6
	s_mov_b32 s6, 0x3e9b6dac
	v_sub_nc_u32_e32 v27, 0, v23
	v_cvt_f32_i32_e32 v23, v23
	s_delay_alu instid0(VALU_DEP_2) | instskip(NEXT) | instid1(VALU_DEP_1)
	v_ldexp_f32 v26, v26, v27
	v_dual_add_f32 v29, 1.0, v26 :: v_dual_add_f32 v28, 1.0, v28
	s_delay_alu instid0(VALU_DEP_1) | instskip(NEXT) | instid1(VALU_DEP_2)
	v_add_f32_e32 v24, v24, v28
	v_add_f32_e32 v28, -1.0, v29
	s_delay_alu instid0(VALU_DEP_2) | instskip(NEXT) | instid1(VALU_DEP_2)
	v_ldexp_f32 v24, v24, v27
	v_dual_add_f32 v27, -1.0, v26 :: v_dual_sub_f32 v28, v26, v28
	s_delay_alu instid0(VALU_DEP_1) | instskip(NEXT) | instid1(VALU_DEP_2)
	v_add_f32_e32 v30, 1.0, v27
	v_add_f32_e32 v28, v24, v28
	s_delay_alu instid0(VALU_DEP_2) | instskip(NEXT) | instid1(VALU_DEP_2)
	v_sub_f32_e32 v26, v26, v30
	v_add_f32_e32 v30, v29, v28
	s_delay_alu instid0(VALU_DEP_2) | instskip(NEXT) | instid1(VALU_DEP_2)
	v_add_f32_e32 v24, v24, v26
	v_rcp_f32_e32 v26, v30
	v_sub_f32_e32 v29, v29, v30
	s_delay_alu instid0(VALU_DEP_1) | instskip(NEXT) | instid1(VALU_DEP_1)
	v_dual_add_f32 v31, v27, v24 :: v_dual_add_f32 v28, v28, v29
	v_sub_f32_e32 v27, v27, v31
	s_delay_alu instid0(TRANS32_DEP_1) | instskip(NEXT) | instid1(VALU_DEP_1)
	v_mul_f32_e32 v32, v31, v26
	v_dual_add_f32 v24, v24, v27 :: v_dual_mul_f32 v33, v30, v32
	s_delay_alu instid0(VALU_DEP_1) | instskip(NEXT) | instid1(VALU_DEP_1)
	v_fma_f32 v29, v32, v30, -v33
	v_fmac_f32_e32 v29, v32, v28
	s_delay_alu instid0(VALU_DEP_1) | instskip(NEXT) | instid1(VALU_DEP_1)
	v_add_f32_e32 v34, v33, v29
	v_sub_f32_e32 v35, v31, v34
	v_sub_f32_e32 v27, v34, v33
	s_delay_alu instid0(VALU_DEP_2) | instskip(NEXT) | instid1(VALU_DEP_2)
	v_sub_f32_e32 v31, v31, v35
	v_sub_f32_e32 v27, v27, v29
	s_delay_alu instid0(VALU_DEP_2) | instskip(NEXT) | instid1(VALU_DEP_1)
	v_sub_f32_e32 v31, v31, v34
	v_add_f32_e32 v24, v24, v31
	s_delay_alu instid0(VALU_DEP_1) | instskip(NEXT) | instid1(VALU_DEP_1)
	v_add_f32_e32 v24, v27, v24
	v_add_f32_e32 v27, v35, v24
	s_delay_alu instid0(VALU_DEP_1) | instskip(NEXT) | instid1(VALU_DEP_1)
	v_mul_f32_e32 v29, v26, v27
	v_dual_sub_f32 v34, v35, v27 :: v_dual_mul_f32 v31, v30, v29
	s_delay_alu instid0(VALU_DEP_1) | instskip(NEXT) | instid1(VALU_DEP_2)
	v_add_f32_e32 v24, v24, v34
	v_fma_f32 v30, v29, v30, -v31
	s_delay_alu instid0(VALU_DEP_1) | instskip(NEXT) | instid1(VALU_DEP_1)
	v_fmac_f32_e32 v30, v29, v28
	v_add_f32_e32 v28, v31, v30
	s_delay_alu instid0(VALU_DEP_1) | instskip(SKIP_1) | instid1(VALU_DEP_2)
	v_sub_f32_e32 v33, v27, v28
	v_sub_f32_e32 v31, v28, v31
	;; [unrolled: 1-line block ×3, first 2 shown]
	s_delay_alu instid0(VALU_DEP_1) | instskip(NEXT) | instid1(VALU_DEP_3)
	v_sub_f32_e32 v27, v27, v28
	v_sub_f32_e32 v28, v31, v30
	s_delay_alu instid0(VALU_DEP_2) | instskip(SKIP_1) | instid1(VALU_DEP_2)
	v_add_f32_e32 v24, v24, v27
	v_add_f32_e32 v27, v32, v29
	;; [unrolled: 1-line block ×3, first 2 shown]
	s_delay_alu instid0(VALU_DEP_2) | instskip(NEXT) | instid1(VALU_DEP_2)
	v_sub_f32_e32 v28, v27, v32
	v_add_f32_e32 v24, v33, v24
	s_delay_alu instid0(VALU_DEP_2) | instskip(NEXT) | instid1(VALU_DEP_2)
	v_sub_f32_e32 v28, v29, v28
	v_mul_f32_e32 v24, v26, v24
	s_delay_alu instid0(VALU_DEP_1) | instskip(NEXT) | instid1(VALU_DEP_1)
	v_add_f32_e32 v24, v28, v24
	v_add_f32_e32 v26, v27, v24
	s_delay_alu instid0(VALU_DEP_1) | instskip(SKIP_1) | instid1(VALU_DEP_1)
	v_mul_f32_e32 v28, v26, v26
	s_wait_alu 0xfffe
	v_fmaak_f32 v29, s6, v28, 0x3ecc95a3
	v_mul_f32_e32 v30, v26, v28
	v_cmp_neq_f32_e64 s6, 0x7f800000, v25
	s_delay_alu instid0(VALU_DEP_3) | instskip(SKIP_2) | instid1(VALU_DEP_3)
	v_fmaak_f32 v28, v28, v29, 0x3f2aaada
	v_ldexp_f32 v29, v26, 1
	v_sub_f32_e32 v26, v26, v27
	v_mul_f32_e32 v28, v30, v28
	v_mul_f32_e32 v30, 0x3f317218, v23
	s_delay_alu instid0(VALU_DEP_2) | instskip(NEXT) | instid1(VALU_DEP_1)
	v_dual_sub_f32 v24, v24, v26 :: v_dual_add_f32 v27, v29, v28
	v_ldexp_f32 v24, v24, 1
	s_delay_alu instid0(VALU_DEP_2) | instskip(NEXT) | instid1(VALU_DEP_4)
	v_sub_f32_e32 v26, v27, v29
	v_fma_f32 v29, 0x3f317218, v23, -v30
	s_delay_alu instid0(VALU_DEP_1) | instskip(NEXT) | instid1(VALU_DEP_1)
	v_dual_sub_f32 v26, v28, v26 :: v_dual_fmamk_f32 v23, v23, 0xb102e308, v29
	v_add_f32_e32 v24, v24, v26
	s_delay_alu instid0(VALU_DEP_2) | instskip(NEXT) | instid1(VALU_DEP_2)
	v_add_f32_e32 v26, v30, v23
	v_add_f32_e32 v28, v27, v24
	s_delay_alu instid0(VALU_DEP_2) | instskip(NEXT) | instid1(VALU_DEP_2)
	v_sub_f32_e32 v30, v26, v30
	v_add_f32_e32 v29, v26, v28
	v_sub_f32_e32 v27, v28, v27
	s_delay_alu instid0(VALU_DEP_3) | instskip(NEXT) | instid1(VALU_DEP_2)
	v_sub_f32_e32 v23, v23, v30
	v_dual_sub_f32 v31, v29, v26 :: v_dual_sub_f32 v24, v24, v27
	s_delay_alu instid0(VALU_DEP_1) | instskip(NEXT) | instid1(VALU_DEP_2)
	v_sub_f32_e32 v32, v29, v31
	v_dual_sub_f32 v27, v28, v31 :: v_dual_add_f32 v28, v23, v24
	s_delay_alu instid0(VALU_DEP_2) | instskip(NEXT) | instid1(VALU_DEP_1)
	v_sub_f32_e32 v26, v26, v32
	v_dual_add_f32 v26, v27, v26 :: v_dual_sub_f32 v27, v28, v23
	s_delay_alu instid0(VALU_DEP_1) | instskip(NEXT) | instid1(VALU_DEP_2)
	v_add_f32_e32 v26, v28, v26
	v_sub_f32_e32 v28, v28, v27
	v_sub_f32_e32 v24, v24, v27
	s_delay_alu instid0(VALU_DEP_2) | instskip(NEXT) | instid1(VALU_DEP_1)
	v_dual_add_f32 v30, v29, v26 :: v_dual_sub_f32 v23, v23, v28
	v_sub_f32_e32 v27, v30, v29
	s_delay_alu instid0(VALU_DEP_2) | instskip(NEXT) | instid1(VALU_DEP_2)
	v_add_f32_e32 v23, v24, v23
	v_sub_f32_e32 v24, v26, v27
	s_delay_alu instid0(VALU_DEP_1) | instskip(NEXT) | instid1(VALU_DEP_1)
	v_add_f32_e32 v23, v23, v24
	v_add_f32_e32 v23, v30, v23
	s_wait_alu 0xf1ff
	s_delay_alu instid0(VALU_DEP_1) | instskip(SKIP_2) | instid1(VALU_DEP_1)
	v_cndmask_b32_e64 v23, 0x7f800000, v23, s6
	v_cmp_gt_f32_e64 s6, 0x33800000, |v25|
	s_wait_alu 0xf1ff
	v_cndmask_b32_e64 v23, v23, v25, s6
	s_delay_alu instid0(VALU_DEP_1)
	v_add_f32_e32 v24, v21, v23
.LBB93_195:
	s_wait_alu 0xfffe
	s_or_b32 exec_lo, exec_lo, s9
	s_delay_alu instid0(VALU_DEP_1)
	v_mov_b32_e32 v23, v24
.LBB93_196:
	s_wait_alu 0xfffe
	s_or_b32 exec_lo, exec_lo, s8
	v_add_nc_u32_e32 v21, v16, v22
	ds_store_b32 v21, v23
.LBB93_197:
	s_wait_alu 0xfffe
	s_or_b32 exec_lo, exec_lo, s7
	s_delay_alu instid0(SALU_CYCLE_1)
	s_mov_b32 s7, exec_lo
	s_wait_loadcnt_dscnt 0x0
	s_barrier_signal -1
	s_barrier_wait -1
	global_inv scope:SCOPE_SE
                                        ; implicit-def: $vgpr21
	v_cmpx_lt_u32_e32 31, v0
	s_cbranch_execz .LBB93_201
; %bb.198:
	v_lshl_add_u32 v20, v20, 2, -4
	ds_load_b32 v21, v20
	v_max_num_f32_e32 v20, v19, v19
	s_wait_dscnt 0x0
	v_max_num_f32_e32 v22, v21, v21
	v_cmp_u_f32_e64 s6, v21, v21
	s_delay_alu instid0(VALU_DEP_2) | instskip(SKIP_2) | instid1(VALU_DEP_2)
	v_min_num_f32_e32 v23, v22, v20
	v_max_num_f32_e32 v20, v22, v20
	s_wait_alu 0xf1ff
	v_cndmask_b32_e64 v22, v23, v21, s6
	s_delay_alu instid0(VALU_DEP_2) | instskip(SKIP_2) | instid1(VALU_DEP_1)
	v_cndmask_b32_e64 v20, v20, v21, s6
	v_cmp_u_f32_e64 s6, v19, v19
	s_wait_alu 0xf1ff
	v_cndmask_b32_e64 v22, v22, v19, s6
	s_delay_alu instid0(VALU_DEP_3) | instskip(SKIP_1) | instid1(VALU_DEP_3)
	v_cndmask_b32_e64 v20, v20, v19, s6
	v_mov_b32_e32 v19, v21
	v_cmp_class_f32_e64 s8, v22, 0x1f8
	s_delay_alu instid0(VALU_DEP_3)
	v_cmp_neq_f32_e64 s6, v22, v20
	s_or_b32 s6, s6, s8
	s_wait_alu 0xfffe
	s_and_saveexec_b32 s8, s6
	s_cbranch_execz .LBB93_200
; %bb.199:
	v_sub_f32_e32 v19, v22, v20
	s_delay_alu instid0(VALU_DEP_1) | instskip(SKIP_1) | instid1(VALU_DEP_2)
	v_mul_f32_e32 v22, 0x3fb8aa3b, v19
	v_cmp_ngt_f32_e64 s6, 0xc2ce8ed0, v19
	v_fma_f32 v23, 0x3fb8aa3b, v19, -v22
	v_rndne_f32_e32 v24, v22
	s_delay_alu instid0(VALU_DEP_1) | instskip(NEXT) | instid1(VALU_DEP_1)
	v_dual_fmamk_f32 v23, v19, 0x32a5705f, v23 :: v_dual_sub_f32 v22, v22, v24
	v_add_f32_e32 v22, v22, v23
	v_cvt_i32_f32_e32 v23, v24
	s_delay_alu instid0(VALU_DEP_2) | instskip(NEXT) | instid1(TRANS32_DEP_1)
	v_exp_f32_e32 v22, v22
	v_ldexp_f32 v22, v22, v23
	s_wait_alu 0xf1ff
	s_delay_alu instid0(VALU_DEP_1) | instskip(SKIP_2) | instid1(VALU_DEP_1)
	v_cndmask_b32_e64 v22, 0, v22, s6
	v_cmp_nlt_f32_e64 s6, 0x42b17218, v19
	s_wait_alu 0xf1ff
	v_cndmask_b32_e64 v19, 0x7f800000, v22, s6
	s_delay_alu instid0(VALU_DEP_1) | instskip(NEXT) | instid1(VALU_DEP_1)
	v_add_f32_e32 v24, 1.0, v19
	v_cvt_f64_f32_e32 v[22:23], v24
	s_delay_alu instid0(VALU_DEP_1) | instskip(SKIP_1) | instid1(VALU_DEP_1)
	v_frexp_exp_i32_f64_e32 v22, v[22:23]
	v_frexp_mant_f32_e32 v23, v24
	v_cmp_gt_f32_e64 s6, 0x3f2aaaab, v23
	v_add_f32_e32 v23, -1.0, v24
	s_delay_alu instid0(VALU_DEP_1) | instskip(NEXT) | instid1(VALU_DEP_1)
	v_sub_f32_e32 v26, v23, v24
	v_dual_sub_f32 v23, v19, v23 :: v_dual_add_f32 v26, 1.0, v26
	s_delay_alu instid0(VALU_DEP_1)
	v_add_f32_e32 v23, v23, v26
	s_wait_alu 0xf1ff
	v_subrev_co_ci_u32_e64 v22, null, 0, v22, s6
	s_mov_b32 s6, 0x3e9b6dac
	v_sub_nc_u32_e32 v25, 0, v22
	v_cvt_f32_i32_e32 v22, v22
	s_delay_alu instid0(VALU_DEP_2) | instskip(SKIP_1) | instid1(VALU_DEP_2)
	v_ldexp_f32 v24, v24, v25
	v_ldexp_f32 v23, v23, v25
	v_add_f32_e32 v27, 1.0, v24
	s_delay_alu instid0(VALU_DEP_1) | instskip(NEXT) | instid1(VALU_DEP_1)
	v_dual_add_f32 v25, -1.0, v24 :: v_dual_add_f32 v26, -1.0, v27
	v_add_f32_e32 v28, 1.0, v25
	s_delay_alu instid0(VALU_DEP_2) | instskip(NEXT) | instid1(VALU_DEP_2)
	v_sub_f32_e32 v26, v24, v26
	v_sub_f32_e32 v24, v24, v28
	s_delay_alu instid0(VALU_DEP_2) | instskip(NEXT) | instid1(VALU_DEP_2)
	v_add_f32_e32 v26, v23, v26
	v_add_f32_e32 v23, v23, v24
	s_delay_alu instid0(VALU_DEP_1) | instskip(NEXT) | instid1(VALU_DEP_1)
	v_dual_add_f32 v29, v25, v23 :: v_dual_add_f32 v28, v27, v26
	v_sub_f32_e32 v25, v25, v29
	s_delay_alu instid0(VALU_DEP_2) | instskip(SKIP_1) | instid1(VALU_DEP_1)
	v_rcp_f32_e32 v24, v28
	v_sub_f32_e32 v27, v27, v28
	v_dual_add_f32 v23, v23, v25 :: v_dual_add_f32 v26, v26, v27
	s_delay_alu instid0(TRANS32_DEP_1) | instskip(NEXT) | instid1(VALU_DEP_1)
	v_mul_f32_e32 v30, v29, v24
	v_mul_f32_e32 v31, v28, v30
	s_delay_alu instid0(VALU_DEP_1) | instskip(NEXT) | instid1(VALU_DEP_1)
	v_fma_f32 v27, v30, v28, -v31
	v_fmac_f32_e32 v27, v30, v26
	s_delay_alu instid0(VALU_DEP_1) | instskip(NEXT) | instid1(VALU_DEP_1)
	v_add_f32_e32 v32, v31, v27
	v_sub_f32_e32 v33, v29, v32
	s_delay_alu instid0(VALU_DEP_1) | instskip(SKIP_1) | instid1(VALU_DEP_2)
	v_sub_f32_e32 v29, v29, v33
	v_sub_f32_e32 v25, v32, v31
	v_sub_f32_e32 v29, v29, v32
	s_delay_alu instid0(VALU_DEP_2) | instskip(NEXT) | instid1(VALU_DEP_2)
	v_sub_f32_e32 v25, v25, v27
	v_add_f32_e32 v23, v23, v29
	s_delay_alu instid0(VALU_DEP_1) | instskip(NEXT) | instid1(VALU_DEP_1)
	v_add_f32_e32 v23, v25, v23
	v_add_f32_e32 v25, v33, v23
	s_delay_alu instid0(VALU_DEP_1) | instskip(NEXT) | instid1(VALU_DEP_1)
	v_mul_f32_e32 v27, v24, v25
	v_dual_sub_f32 v32, v33, v25 :: v_dual_mul_f32 v29, v28, v27
	s_delay_alu instid0(VALU_DEP_1) | instskip(NEXT) | instid1(VALU_DEP_2)
	v_add_f32_e32 v23, v23, v32
	v_fma_f32 v28, v27, v28, -v29
	s_delay_alu instid0(VALU_DEP_1) | instskip(NEXT) | instid1(VALU_DEP_1)
	v_fmac_f32_e32 v28, v27, v26
	v_add_f32_e32 v26, v29, v28
	s_delay_alu instid0(VALU_DEP_1) | instskip(SKIP_1) | instid1(VALU_DEP_2)
	v_sub_f32_e32 v31, v25, v26
	v_sub_f32_e32 v29, v26, v29
	;; [unrolled: 1-line block ×3, first 2 shown]
	s_delay_alu instid0(VALU_DEP_1) | instskip(NEXT) | instid1(VALU_DEP_1)
	v_sub_f32_e32 v25, v25, v26
	v_dual_sub_f32 v26, v29, v28 :: v_dual_add_f32 v23, v23, v25
	v_add_f32_e32 v25, v30, v27
	s_delay_alu instid0(VALU_DEP_1) | instskip(NEXT) | instid1(VALU_DEP_1)
	v_dual_add_f32 v23, v26, v23 :: v_dual_sub_f32 v26, v25, v30
	v_add_f32_e32 v23, v31, v23
	s_delay_alu instid0(VALU_DEP_1) | instskip(NEXT) | instid1(VALU_DEP_1)
	v_dual_sub_f32 v26, v27, v26 :: v_dual_mul_f32 v23, v24, v23
	v_add_f32_e32 v23, v26, v23
	s_delay_alu instid0(VALU_DEP_1) | instskip(NEXT) | instid1(VALU_DEP_1)
	v_add_f32_e32 v24, v25, v23
	v_mul_f32_e32 v26, v24, v24
	s_wait_alu 0xfffe
	s_delay_alu instid0(VALU_DEP_1) | instskip(SKIP_2) | instid1(VALU_DEP_3)
	v_fmaak_f32 v27, s6, v26, 0x3ecc95a3
	v_mul_f32_e32 v28, v24, v26
	v_cmp_neq_f32_e64 s6, 0x7f800000, v19
	v_fmaak_f32 v26, v26, v27, 0x3f2aaada
	v_ldexp_f32 v27, v24, 1
	v_sub_f32_e32 v24, v24, v25
	s_delay_alu instid0(VALU_DEP_3) | instskip(NEXT) | instid1(VALU_DEP_2)
	v_mul_f32_e32 v26, v28, v26
	v_dual_mul_f32 v28, 0x3f317218, v22 :: v_dual_sub_f32 v23, v23, v24
	s_delay_alu instid0(VALU_DEP_2) | instskip(NEXT) | instid1(VALU_DEP_2)
	v_add_f32_e32 v25, v27, v26
	v_ldexp_f32 v23, v23, 1
	s_delay_alu instid0(VALU_DEP_2) | instskip(NEXT) | instid1(VALU_DEP_4)
	v_sub_f32_e32 v24, v25, v27
	v_fma_f32 v27, 0x3f317218, v22, -v28
	s_delay_alu instid0(VALU_DEP_2) | instskip(NEXT) | instid1(VALU_DEP_1)
	v_sub_f32_e32 v24, v26, v24
	v_dual_fmamk_f32 v22, v22, 0xb102e308, v27 :: v_dual_add_f32 v23, v23, v24
	s_delay_alu instid0(VALU_DEP_1) | instskip(NEXT) | instid1(VALU_DEP_1)
	v_add_f32_e32 v24, v28, v22
	v_sub_f32_e32 v28, v24, v28
	s_delay_alu instid0(VALU_DEP_1) | instskip(NEXT) | instid1(VALU_DEP_4)
	v_sub_f32_e32 v22, v22, v28
	v_add_f32_e32 v26, v25, v23
	s_delay_alu instid0(VALU_DEP_1) | instskip(NEXT) | instid1(VALU_DEP_1)
	v_sub_f32_e32 v25, v26, v25
	v_sub_f32_e32 v23, v23, v25
	v_add_f32_e32 v27, v24, v26
	s_delay_alu instid0(VALU_DEP_1) | instskip(NEXT) | instid1(VALU_DEP_1)
	v_sub_f32_e32 v29, v27, v24
	v_sub_f32_e32 v25, v26, v29
	s_delay_alu instid0(VALU_DEP_4) | instskip(SKIP_1) | instid1(VALU_DEP_1)
	v_add_f32_e32 v26, v22, v23
	v_sub_f32_e32 v30, v27, v29
	v_sub_f32_e32 v24, v24, v30
	s_delay_alu instid0(VALU_DEP_1) | instskip(NEXT) | instid1(VALU_DEP_1)
	v_dual_add_f32 v24, v25, v24 :: v_dual_sub_f32 v25, v26, v22
	v_dual_add_f32 v24, v26, v24 :: v_dual_sub_f32 v23, v23, v25
	v_sub_f32_e32 v26, v26, v25
	s_delay_alu instid0(VALU_DEP_2) | instskip(NEXT) | instid1(VALU_DEP_1)
	v_add_f32_e32 v28, v27, v24
	v_dual_sub_f32 v22, v22, v26 :: v_dual_sub_f32 v25, v28, v27
	s_delay_alu instid0(VALU_DEP_1) | instskip(NEXT) | instid1(VALU_DEP_1)
	v_dual_add_f32 v22, v23, v22 :: v_dual_sub_f32 v23, v24, v25
	v_add_f32_e32 v22, v22, v23
	s_delay_alu instid0(VALU_DEP_1) | instskip(SKIP_1) | instid1(VALU_DEP_1)
	v_add_f32_e32 v22, v28, v22
	s_wait_alu 0xf1ff
	v_cndmask_b32_e64 v22, 0x7f800000, v22, s6
	v_cmp_gt_f32_e64 s6, 0x33800000, |v19|
	s_wait_alu 0xf1ff
	s_delay_alu instid0(VALU_DEP_1) | instskip(NEXT) | instid1(VALU_DEP_1)
	v_cndmask_b32_e64 v19, v22, v19, s6
	v_add_f32_e32 v19, v20, v19
.LBB93_200:
	s_wait_alu 0xfffe
	s_or_b32 exec_lo, exec_lo, s8
.LBB93_201:
	s_wait_alu 0xfffe
	s_or_b32 exec_lo, exec_lo, s7
	v_add_nc_u32_e32 v20, -1, v18
	s_delay_alu instid0(VALU_DEP_1) | instskip(SKIP_1) | instid1(VALU_DEP_1)
	v_cmp_gt_i32_e64 s6, 0, v20
	s_wait_alu 0xf1ff
	v_cndmask_b32_e64 v20, v20, v18, s6
	s_delay_alu instid0(VALU_DEP_1)
	v_lshlrev_b32_e32 v20, 2, v20
	ds_bpermute_b32 v19, v20, v19
	s_and_saveexec_b32 s6, vcc_lo
	s_cbranch_execz .LBB93_205
; %bb.202:
	v_cmp_eq_u32_e32 vcc_lo, 0, v18
	s_wait_dscnt 0x0
	v_cndmask_b32_e32 v5, v19, v21, vcc_lo
	s_delay_alu instid0(VALU_DEP_1) | instskip(SKIP_1) | instid1(VALU_DEP_2)
	v_max_num_f32_e32 v7, v5, v5
	v_cmp_u_f32_e32 vcc_lo, v5, v5
	v_min_num_f32_e32 v13, v7, v14
	v_max_num_f32_e32 v7, v7, v14
	s_wait_alu 0xfffd
	s_delay_alu instid0(VALU_DEP_2) | instskip(NEXT) | instid1(VALU_DEP_2)
	v_cndmask_b32_e32 v13, v13, v5, vcc_lo
	v_cndmask_b32_e32 v14, v7, v5, vcc_lo
	s_delay_alu instid0(VALU_DEP_2) | instskip(NEXT) | instid1(VALU_DEP_2)
	v_cndmask_b32_e64 v7, v13, v1, s5
	v_cndmask_b32_e64 v1, v14, v1, s5
	s_delay_alu instid0(VALU_DEP_2) | instskip(NEXT) | instid1(VALU_DEP_2)
	v_cmp_class_f32_e64 s5, v7, 0x1f8
	v_cmp_neq_f32_e32 vcc_lo, v7, v1
	s_or_b32 s7, vcc_lo, s5
	s_wait_alu 0xfffe
	s_and_saveexec_b32 s5, s7
	s_cbranch_execz .LBB93_204
; %bb.203:
	v_sub_f32_e32 v5, v7, v1
	s_mov_b32 s7, 0x3e9b6dac
	s_delay_alu instid0(VALU_DEP_1) | instskip(SKIP_1) | instid1(VALU_DEP_2)
	v_mul_f32_e32 v7, 0x3fb8aa3b, v5
	v_cmp_ngt_f32_e32 vcc_lo, 0xc2ce8ed0, v5
	v_fma_f32 v13, 0x3fb8aa3b, v5, -v7
	v_rndne_f32_e32 v14, v7
	s_delay_alu instid0(VALU_DEP_2) | instskip(NEXT) | instid1(VALU_DEP_2)
	v_fmamk_f32 v13, v5, 0x32a5705f, v13
	v_sub_f32_e32 v7, v7, v14
	s_delay_alu instid0(VALU_DEP_1) | instskip(SKIP_1) | instid1(VALU_DEP_2)
	v_add_f32_e32 v7, v7, v13
	v_cvt_i32_f32_e32 v13, v14
	v_exp_f32_e32 v7, v7
	s_delay_alu instid0(TRANS32_DEP_1) | instskip(SKIP_1) | instid1(VALU_DEP_1)
	v_ldexp_f32 v7, v7, v13
	s_wait_alu 0xfffd
	v_cndmask_b32_e32 v7, 0, v7, vcc_lo
	v_cmp_nlt_f32_e32 vcc_lo, 0x42b17218, v5
	s_wait_alu 0xfffd
	s_delay_alu instid0(VALU_DEP_2) | instskip(NEXT) | instid1(VALU_DEP_1)
	v_cndmask_b32_e32 v5, 0x7f800000, v7, vcc_lo
	v_add_f32_e32 v7, 1.0, v5
	s_delay_alu instid0(VALU_DEP_1) | instskip(NEXT) | instid1(VALU_DEP_1)
	v_cvt_f64_f32_e32 v[13:14], v7
	v_frexp_exp_i32_f64_e32 v13, v[13:14]
	v_frexp_mant_f32_e32 v14, v7
	s_delay_alu instid0(VALU_DEP_1) | instskip(SKIP_1) | instid1(VALU_DEP_1)
	v_cmp_gt_f32_e32 vcc_lo, 0x3f2aaaab, v14
	v_add_f32_e32 v14, -1.0, v7
	v_dual_sub_f32 v19, v14, v7 :: v_dual_sub_f32 v14, v5, v14
	s_delay_alu instid0(VALU_DEP_1) | instskip(NEXT) | instid1(VALU_DEP_1)
	v_add_f32_e32 v19, 1.0, v19
	v_add_f32_e32 v14, v14, v19
	s_wait_alu 0xfffd
	v_subrev_co_ci_u32_e64 v13, null, 0, v13, vcc_lo
	s_delay_alu instid0(VALU_DEP_1) | instskip(SKIP_1) | instid1(VALU_DEP_2)
	v_sub_nc_u32_e32 v18, 0, v13
	v_cvt_f32_i32_e32 v13, v13
	v_ldexp_f32 v7, v7, v18
	v_ldexp_f32 v14, v14, v18
	s_delay_alu instid0(VALU_DEP_2) | instskip(NEXT) | instid1(VALU_DEP_1)
	v_add_f32_e32 v20, 1.0, v7
	v_dual_add_f32 v18, -1.0, v7 :: v_dual_add_f32 v19, -1.0, v20
	s_delay_alu instid0(VALU_DEP_1) | instskip(NEXT) | instid1(VALU_DEP_2)
	v_add_f32_e32 v21, 1.0, v18
	v_sub_f32_e32 v19, v7, v19
	s_delay_alu instid0(VALU_DEP_2) | instskip(NEXT) | instid1(VALU_DEP_2)
	v_sub_f32_e32 v7, v7, v21
	v_add_f32_e32 v19, v14, v19
	s_delay_alu instid0(VALU_DEP_2) | instskip(NEXT) | instid1(VALU_DEP_2)
	v_add_f32_e32 v7, v14, v7
	v_add_f32_e32 v21, v20, v19
	s_delay_alu instid0(VALU_DEP_2) | instskip(NEXT) | instid1(VALU_DEP_2)
	v_add_f32_e32 v22, v18, v7
	v_rcp_f32_e32 v14, v21
	v_sub_f32_e32 v20, v20, v21
	s_delay_alu instid0(VALU_DEP_1) | instskip(NEXT) | instid1(VALU_DEP_1)
	v_dual_sub_f32 v18, v18, v22 :: v_dual_add_f32 v19, v19, v20
	v_add_f32_e32 v7, v7, v18
	s_delay_alu instid0(TRANS32_DEP_1) | instskip(NEXT) | instid1(VALU_DEP_1)
	v_mul_f32_e32 v23, v22, v14
	v_mul_f32_e32 v24, v21, v23
	s_delay_alu instid0(VALU_DEP_1) | instskip(NEXT) | instid1(VALU_DEP_1)
	v_fma_f32 v20, v23, v21, -v24
	v_fmac_f32_e32 v20, v23, v19
	s_delay_alu instid0(VALU_DEP_1) | instskip(NEXT) | instid1(VALU_DEP_1)
	v_add_f32_e32 v25, v24, v20
	v_sub_f32_e32 v26, v22, v25
	v_sub_f32_e32 v18, v25, v24
	v_cmp_neq_f32_e32 vcc_lo, 0x7f800000, v5
	s_delay_alu instid0(VALU_DEP_3) | instskip(NEXT) | instid1(VALU_DEP_3)
	v_sub_f32_e32 v22, v22, v26
	v_sub_f32_e32 v18, v18, v20
	s_delay_alu instid0(VALU_DEP_2) | instskip(NEXT) | instid1(VALU_DEP_1)
	v_sub_f32_e32 v22, v22, v25
	v_add_f32_e32 v7, v7, v22
	s_delay_alu instid0(VALU_DEP_1) | instskip(NEXT) | instid1(VALU_DEP_1)
	v_add_f32_e32 v7, v18, v7
	v_add_f32_e32 v18, v26, v7
	s_delay_alu instid0(VALU_DEP_1) | instskip(NEXT) | instid1(VALU_DEP_1)
	v_mul_f32_e32 v20, v14, v18
	v_dual_sub_f32 v25, v26, v18 :: v_dual_mul_f32 v22, v21, v20
	s_delay_alu instid0(VALU_DEP_1) | instskip(NEXT) | instid1(VALU_DEP_1)
	v_fma_f32 v21, v20, v21, -v22
	v_fmac_f32_e32 v21, v20, v19
	s_delay_alu instid0(VALU_DEP_1) | instskip(NEXT) | instid1(VALU_DEP_1)
	v_add_f32_e32 v19, v22, v21
	v_sub_f32_e32 v24, v18, v19
	v_sub_f32_e32 v22, v19, v22
	s_delay_alu instid0(VALU_DEP_2) | instskip(NEXT) | instid1(VALU_DEP_1)
	v_dual_sub_f32 v18, v18, v24 :: v_dual_add_f32 v7, v7, v25
	v_sub_f32_e32 v18, v18, v19
	s_delay_alu instid0(VALU_DEP_3) | instskip(NEXT) | instid1(VALU_DEP_2)
	v_sub_f32_e32 v19, v22, v21
	v_add_f32_e32 v7, v7, v18
	v_add_f32_e32 v18, v23, v20
	s_delay_alu instid0(VALU_DEP_2) | instskip(NEXT) | instid1(VALU_DEP_2)
	v_add_f32_e32 v7, v19, v7
	v_sub_f32_e32 v19, v18, v23
	s_delay_alu instid0(VALU_DEP_2) | instskip(NEXT) | instid1(VALU_DEP_2)
	v_add_f32_e32 v7, v24, v7
	v_sub_f32_e32 v19, v20, v19
	s_delay_alu instid0(VALU_DEP_2) | instskip(NEXT) | instid1(VALU_DEP_1)
	v_mul_f32_e32 v7, v14, v7
	v_add_f32_e32 v7, v19, v7
	s_delay_alu instid0(VALU_DEP_1) | instskip(NEXT) | instid1(VALU_DEP_1)
	v_add_f32_e32 v14, v18, v7
	v_mul_f32_e32 v19, v14, v14
	s_wait_alu 0xfffe
	s_delay_alu instid0(VALU_DEP_1) | instskip(SKIP_1) | instid1(VALU_DEP_2)
	v_fmaak_f32 v20, s7, v19, 0x3ecc95a3
	v_mul_f32_e32 v21, v14, v19
	v_fmaak_f32 v19, v19, v20, 0x3f2aaada
	v_ldexp_f32 v20, v14, 1
	s_delay_alu instid0(VALU_DEP_2) | instskip(NEXT) | instid1(VALU_DEP_1)
	v_dual_sub_f32 v14, v14, v18 :: v_dual_mul_f32 v19, v21, v19
	v_dual_sub_f32 v7, v7, v14 :: v_dual_add_f32 v18, v20, v19
	s_delay_alu instid0(VALU_DEP_1) | instskip(NEXT) | instid1(VALU_DEP_2)
	v_ldexp_f32 v7, v7, 1
	v_sub_f32_e32 v14, v18, v20
	s_delay_alu instid0(VALU_DEP_1) | instskip(NEXT) | instid1(VALU_DEP_1)
	v_sub_f32_e32 v14, v19, v14
	v_add_f32_e32 v7, v7, v14
	s_delay_alu instid0(VALU_DEP_1) | instskip(NEXT) | instid1(VALU_DEP_1)
	v_add_f32_e32 v19, v18, v7
	v_dual_mul_f32 v21, 0x3f317218, v13 :: v_dual_sub_f32 v18, v19, v18
	s_delay_alu instid0(VALU_DEP_1) | instskip(NEXT) | instid1(VALU_DEP_2)
	v_fma_f32 v20, 0x3f317218, v13, -v21
	v_sub_f32_e32 v7, v7, v18
	s_delay_alu instid0(VALU_DEP_2) | instskip(NEXT) | instid1(VALU_DEP_1)
	v_fmamk_f32 v13, v13, 0xb102e308, v20
	v_add_f32_e32 v14, v21, v13
	s_delay_alu instid0(VALU_DEP_1) | instskip(NEXT) | instid1(VALU_DEP_1)
	v_add_f32_e32 v20, v14, v19
	v_dual_sub_f32 v21, v14, v21 :: v_dual_sub_f32 v22, v20, v14
	s_delay_alu instid0(VALU_DEP_1) | instskip(NEXT) | instid1(VALU_DEP_1)
	v_dual_sub_f32 v13, v13, v21 :: v_dual_sub_f32 v18, v19, v22
	v_add_f32_e32 v19, v13, v7
	v_sub_f32_e32 v23, v20, v22
	s_delay_alu instid0(VALU_DEP_1) | instskip(NEXT) | instid1(VALU_DEP_1)
	v_sub_f32_e32 v14, v14, v23
	v_add_f32_e32 v14, v18, v14
	s_delay_alu instid0(VALU_DEP_4) | instskip(NEXT) | instid1(VALU_DEP_2)
	v_sub_f32_e32 v18, v19, v13
	v_add_f32_e32 v14, v19, v14
	s_delay_alu instid0(VALU_DEP_2) | instskip(SKIP_1) | instid1(VALU_DEP_3)
	v_sub_f32_e32 v19, v19, v18
	v_sub_f32_e32 v7, v7, v18
	v_add_f32_e32 v21, v20, v14
	s_delay_alu instid0(VALU_DEP_3) | instskip(NEXT) | instid1(VALU_DEP_1)
	v_sub_f32_e32 v13, v13, v19
	v_dual_sub_f32 v18, v21, v20 :: v_dual_add_f32 v7, v7, v13
	s_delay_alu instid0(VALU_DEP_1) | instskip(NEXT) | instid1(VALU_DEP_1)
	v_sub_f32_e32 v13, v14, v18
	v_add_f32_e32 v7, v7, v13
	s_delay_alu instid0(VALU_DEP_1) | instskip(SKIP_1) | instid1(VALU_DEP_1)
	v_add_f32_e32 v7, v21, v7
	s_wait_alu 0xfffd
	v_cndmask_b32_e32 v7, 0x7f800000, v7, vcc_lo
	v_cmp_gt_f32_e64 vcc_lo, 0x33800000, |v5|
	s_wait_alu 0xfffd
	s_delay_alu instid0(VALU_DEP_2) | instskip(NEXT) | instid1(VALU_DEP_1)
	v_cndmask_b32_e32 v5, v7, v5, vcc_lo
	v_add_f32_e32 v5, v1, v5
.LBB93_204:
	s_wait_alu 0xfffe
	s_or_b32 exec_lo, exec_lo, s5
	s_delay_alu instid0(VALU_DEP_1) | instskip(SKIP_1) | instid1(VALU_DEP_1)
	v_max_num_f32_e32 v1, v5, v5
	;;#ASMSTART
	;;#ASMEND
	v_min_num_f32_e32 v7, v1, v17
	v_max_num_f32_e32 v13, v1, v17
	v_mov_b32_e32 v1, v5
.LBB93_205:
	s_wait_alu 0xfffe
	s_or_b32 exec_lo, exec_lo, s6
	s_delay_alu instid0(VALU_DEP_1) | instskip(SKIP_3) | instid1(VALU_DEP_2)
	v_cmp_u_f32_e32 vcc_lo, v1, v1
	s_wait_alu 0xfffd
	v_cndmask_b32_e32 v7, v7, v1, vcc_lo
	v_cndmask_b32_e32 v13, v13, v1, vcc_lo
	v_cndmask_b32_e64 v7, v7, v2, s0
	s_delay_alu instid0(VALU_DEP_2) | instskip(NEXT) | instid1(VALU_DEP_2)
	v_cndmask_b32_e64 v2, v13, v2, s0
	v_cmp_class_f32_e64 s0, v7, 0x1f8
	s_delay_alu instid0(VALU_DEP_2)
	v_cmp_neq_f32_e32 vcc_lo, v7, v2
	s_or_b32 s5, vcc_lo, s0
	s_wait_alu 0xfffe
	s_and_saveexec_b32 s0, s5
	s_cbranch_execz .LBB93_207
; %bb.206:
	v_sub_f32_e32 v1, v7, v2
	s_mov_b32 s5, 0x3e9b6dac
	s_delay_alu instid0(VALU_DEP_1) | instskip(SKIP_1) | instid1(VALU_DEP_2)
	v_mul_f32_e32 v7, 0x3fb8aa3b, v1
	v_cmp_ngt_f32_e32 vcc_lo, 0xc2ce8ed0, v1
	v_fma_f32 v13, 0x3fb8aa3b, v1, -v7
	v_rndne_f32_e32 v14, v7
	s_delay_alu instid0(VALU_DEP_2) | instskip(NEXT) | instid1(VALU_DEP_2)
	v_fmamk_f32 v13, v1, 0x32a5705f, v13
	v_sub_f32_e32 v7, v7, v14
	s_delay_alu instid0(VALU_DEP_1) | instskip(SKIP_1) | instid1(VALU_DEP_2)
	v_add_f32_e32 v7, v7, v13
	v_cvt_i32_f32_e32 v13, v14
	v_exp_f32_e32 v7, v7
	s_delay_alu instid0(TRANS32_DEP_1) | instskip(SKIP_1) | instid1(VALU_DEP_1)
	v_ldexp_f32 v7, v7, v13
	s_wait_alu 0xfffd
	v_cndmask_b32_e32 v7, 0, v7, vcc_lo
	v_cmp_nlt_f32_e32 vcc_lo, 0x42b17218, v1
	s_wait_alu 0xfffd
	s_delay_alu instid0(VALU_DEP_2) | instskip(NEXT) | instid1(VALU_DEP_1)
	v_cndmask_b32_e32 v1, 0x7f800000, v7, vcc_lo
	v_add_f32_e32 v7, 1.0, v1
	s_delay_alu instid0(VALU_DEP_1) | instskip(NEXT) | instid1(VALU_DEP_1)
	v_cvt_f64_f32_e32 v[13:14], v7
	v_frexp_exp_i32_f64_e32 v13, v[13:14]
	v_frexp_mant_f32_e32 v14, v7
	s_delay_alu instid0(VALU_DEP_1) | instskip(SKIP_1) | instid1(VALU_DEP_1)
	v_cmp_gt_f32_e32 vcc_lo, 0x3f2aaaab, v14
	v_add_f32_e32 v14, -1.0, v7
	v_sub_f32_e32 v18, v14, v7
	v_sub_f32_e32 v14, v1, v14
	s_delay_alu instid0(VALU_DEP_2) | instskip(NEXT) | instid1(VALU_DEP_1)
	v_add_f32_e32 v18, 1.0, v18
	v_add_f32_e32 v14, v14, v18
	s_wait_alu 0xfffd
	v_subrev_co_ci_u32_e64 v13, null, 0, v13, vcc_lo
	s_delay_alu instid0(VALU_DEP_1) | instskip(SKIP_1) | instid1(VALU_DEP_2)
	v_sub_nc_u32_e32 v17, 0, v13
	v_cvt_f32_i32_e32 v13, v13
	v_ldexp_f32 v7, v7, v17
	v_ldexp_f32 v14, v14, v17
	s_delay_alu instid0(VALU_DEP_2) | instskip(SKIP_1) | instid1(VALU_DEP_1)
	v_add_f32_e32 v17, -1.0, v7
	s_wait_dscnt 0x0
	v_dual_add_f32 v19, 1.0, v7 :: v_dual_add_f32 v20, 1.0, v17
	s_delay_alu instid0(VALU_DEP_1) | instskip(NEXT) | instid1(VALU_DEP_1)
	v_add_f32_e32 v18, -1.0, v19
	v_sub_f32_e32 v18, v7, v18
	s_delay_alu instid0(VALU_DEP_3) | instskip(SKIP_1) | instid1(VALU_DEP_3)
	v_sub_f32_e32 v7, v7, v20
	v_cmp_neq_f32_e32 vcc_lo, 0x7f800000, v1
	v_add_f32_e32 v18, v14, v18
	s_delay_alu instid0(VALU_DEP_1) | instskip(NEXT) | instid1(VALU_DEP_1)
	v_add_f32_e32 v20, v19, v18
	v_sub_f32_e32 v19, v19, v20
	s_delay_alu instid0(VALU_DEP_1) | instskip(SKIP_2) | instid1(VALU_DEP_1)
	v_add_f32_e32 v18, v18, v19
	v_add_f32_e32 v7, v14, v7
	v_rcp_f32_e32 v14, v20
	v_add_f32_e32 v21, v17, v7
	s_delay_alu instid0(VALU_DEP_1)
	v_sub_f32_e32 v17, v17, v21
	s_delay_alu instid0(TRANS32_DEP_1) | instid1(VALU_DEP_1)
	v_dual_mul_f32 v22, v21, v14 :: v_dual_add_f32 v7, v7, v17
	s_delay_alu instid0(VALU_DEP_1) | instskip(NEXT) | instid1(VALU_DEP_1)
	v_mul_f32_e32 v23, v20, v22
	v_fma_f32 v19, v22, v20, -v23
	s_delay_alu instid0(VALU_DEP_1) | instskip(NEXT) | instid1(VALU_DEP_1)
	v_fmac_f32_e32 v19, v22, v18
	v_add_f32_e32 v24, v23, v19
	s_delay_alu instid0(VALU_DEP_1) | instskip(SKIP_1) | instid1(VALU_DEP_2)
	v_sub_f32_e32 v25, v21, v24
	v_sub_f32_e32 v17, v24, v23
	;; [unrolled: 1-line block ×3, first 2 shown]
	s_delay_alu instid0(VALU_DEP_2) | instskip(NEXT) | instid1(VALU_DEP_2)
	v_sub_f32_e32 v17, v17, v19
	v_sub_f32_e32 v21, v21, v24
	s_delay_alu instid0(VALU_DEP_1) | instskip(NEXT) | instid1(VALU_DEP_1)
	v_add_f32_e32 v7, v7, v21
	v_add_f32_e32 v7, v17, v7
	s_delay_alu instid0(VALU_DEP_1) | instskip(NEXT) | instid1(VALU_DEP_1)
	v_add_f32_e32 v17, v25, v7
	v_mul_f32_e32 v19, v14, v17
	s_delay_alu instid0(VALU_DEP_1) | instskip(NEXT) | instid1(VALU_DEP_1)
	v_dual_sub_f32 v24, v25, v17 :: v_dual_mul_f32 v21, v20, v19
	v_add_f32_e32 v7, v7, v24
	s_delay_alu instid0(VALU_DEP_2) | instskip(NEXT) | instid1(VALU_DEP_1)
	v_fma_f32 v20, v19, v20, -v21
	v_fmac_f32_e32 v20, v19, v18
	s_delay_alu instid0(VALU_DEP_1) | instskip(NEXT) | instid1(VALU_DEP_1)
	v_add_f32_e32 v18, v21, v20
	v_sub_f32_e32 v23, v17, v18
	v_sub_f32_e32 v21, v18, v21
	s_delay_alu instid0(VALU_DEP_2) | instskip(NEXT) | instid1(VALU_DEP_1)
	v_sub_f32_e32 v17, v17, v23
	v_sub_f32_e32 v17, v17, v18
	s_delay_alu instid0(VALU_DEP_1) | instskip(SKIP_1) | instid1(VALU_DEP_1)
	v_dual_sub_f32 v18, v21, v20 :: v_dual_add_f32 v7, v7, v17
	v_add_f32_e32 v17, v22, v19
	v_dual_add_f32 v7, v18, v7 :: v_dual_sub_f32 v18, v17, v22
	s_delay_alu instid0(VALU_DEP_1) | instskip(NEXT) | instid1(VALU_DEP_1)
	v_add_f32_e32 v7, v23, v7
	v_dual_sub_f32 v18, v19, v18 :: v_dual_mul_f32 v7, v14, v7
	s_delay_alu instid0(VALU_DEP_1) | instskip(NEXT) | instid1(VALU_DEP_1)
	v_add_f32_e32 v7, v18, v7
	v_add_f32_e32 v14, v17, v7
	s_delay_alu instid0(VALU_DEP_1) | instskip(SKIP_1) | instid1(VALU_DEP_1)
	v_mul_f32_e32 v18, v14, v14
	s_wait_alu 0xfffe
	v_fmaak_f32 v19, s5, v18, 0x3ecc95a3
	v_mul_f32_e32 v20, v14, v18
	s_delay_alu instid0(VALU_DEP_2) | instskip(SKIP_2) | instid1(VALU_DEP_3)
	v_fmaak_f32 v18, v18, v19, 0x3f2aaada
	v_ldexp_f32 v19, v14, 1
	v_sub_f32_e32 v14, v14, v17
	v_mul_f32_e32 v18, v20, v18
	s_delay_alu instid0(VALU_DEP_2) | instskip(NEXT) | instid1(VALU_DEP_2)
	v_dual_mul_f32 v20, 0x3f317218, v13 :: v_dual_sub_f32 v7, v7, v14
	v_add_f32_e32 v17, v19, v18
	s_delay_alu instid0(VALU_DEP_2) | instskip(NEXT) | instid1(VALU_DEP_2)
	v_ldexp_f32 v7, v7, 1
	v_sub_f32_e32 v14, v17, v19
	s_delay_alu instid0(VALU_DEP_4) | instskip(NEXT) | instid1(VALU_DEP_1)
	v_fma_f32 v19, 0x3f317218, v13, -v20
	v_dual_sub_f32 v14, v18, v14 :: v_dual_fmamk_f32 v13, v13, 0xb102e308, v19
	s_delay_alu instid0(VALU_DEP_1) | instskip(NEXT) | instid1(VALU_DEP_1)
	v_dual_add_f32 v7, v7, v14 :: v_dual_add_f32 v14, v20, v13
	v_add_f32_e32 v18, v17, v7
	s_delay_alu instid0(VALU_DEP_2) | instskip(NEXT) | instid1(VALU_DEP_2)
	v_sub_f32_e32 v20, v14, v20
	v_add_f32_e32 v19, v14, v18
	v_sub_f32_e32 v17, v18, v17
	s_delay_alu instid0(VALU_DEP_3) | instskip(NEXT) | instid1(VALU_DEP_3)
	v_sub_f32_e32 v13, v13, v20
	v_sub_f32_e32 v21, v19, v14
	s_delay_alu instid0(VALU_DEP_3) | instskip(NEXT) | instid1(VALU_DEP_2)
	v_sub_f32_e32 v7, v7, v17
	v_sub_f32_e32 v22, v19, v21
	s_delay_alu instid0(VALU_DEP_2) | instskip(NEXT) | instid1(VALU_DEP_2)
	v_dual_sub_f32 v17, v18, v21 :: v_dual_add_f32 v18, v13, v7
	v_sub_f32_e32 v14, v14, v22
	s_delay_alu instid0(VALU_DEP_1) | instskip(NEXT) | instid1(VALU_DEP_1)
	v_dual_add_f32 v14, v17, v14 :: v_dual_sub_f32 v17, v18, v13
	v_add_f32_e32 v14, v18, v14
	s_delay_alu instid0(VALU_DEP_2) | instskip(SKIP_1) | instid1(VALU_DEP_3)
	v_sub_f32_e32 v18, v18, v17
	v_sub_f32_e32 v7, v7, v17
	v_add_f32_e32 v20, v19, v14
	s_delay_alu instid0(VALU_DEP_3) | instskip(NEXT) | instid1(VALU_DEP_2)
	v_sub_f32_e32 v13, v13, v18
	v_sub_f32_e32 v17, v20, v19
	s_delay_alu instid0(VALU_DEP_2) | instskip(NEXT) | instid1(VALU_DEP_2)
	v_add_f32_e32 v7, v7, v13
	v_sub_f32_e32 v13, v14, v17
	s_delay_alu instid0(VALU_DEP_1) | instskip(NEXT) | instid1(VALU_DEP_1)
	v_add_f32_e32 v7, v7, v13
	v_add_f32_e32 v7, v20, v7
	s_wait_alu 0xfffd
	s_delay_alu instid0(VALU_DEP_1) | instskip(SKIP_2) | instid1(VALU_DEP_2)
	v_cndmask_b32_e32 v7, 0x7f800000, v7, vcc_lo
	v_cmp_gt_f32_e64 vcc_lo, 0x33800000, |v1|
	s_wait_alu 0xfffd
	v_cndmask_b32_e32 v1, v7, v1, vcc_lo
	s_delay_alu instid0(VALU_DEP_1)
	v_add_f32_e32 v1, v2, v1
.LBB93_207:
	s_wait_alu 0xfffe
	s_or_b32 exec_lo, exec_lo, s0
	s_delay_alu instid0(VALU_DEP_1) | instskip(SKIP_1) | instid1(VALU_DEP_2)
	v_max_num_f32_e32 v2, v1, v1
	v_cmp_u_f32_e32 vcc_lo, v1, v1
	v_min_num_f32_e32 v7, v2, v6
	v_max_num_f32_e32 v2, v2, v6
	s_wait_alu 0xfffd
	s_delay_alu instid0(VALU_DEP_2) | instskip(NEXT) | instid1(VALU_DEP_2)
	v_dual_cndmask_b32 v6, v7, v1 :: v_dual_mov_b32 v7, v1
	v_cndmask_b32_e32 v2, v2, v1, vcc_lo
	s_delay_alu instid0(VALU_DEP_2) | instskip(NEXT) | instid1(VALU_DEP_2)
	v_cndmask_b32_e64 v6, v6, v3, s1
	v_cndmask_b32_e64 v2, v2, v3, s1
	s_delay_alu instid0(VALU_DEP_2) | instskip(NEXT) | instid1(VALU_DEP_2)
	v_cmp_class_f32_e64 s0, v6, 0x1f8
	v_cmp_neq_f32_e32 vcc_lo, v6, v2
	s_or_b32 s1, vcc_lo, s0
	s_wait_alu 0xfffe
	s_and_saveexec_b32 s0, s1
	s_cbranch_execz .LBB93_209
; %bb.208:
	v_sub_f32_e32 v3, v6, v2
	s_mov_b32 s1, 0x3e9b6dac
	s_delay_alu instid0(VALU_DEP_1) | instskip(SKIP_1) | instid1(VALU_DEP_2)
	v_mul_f32_e32 v6, 0x3fb8aa3b, v3
	v_cmp_ngt_f32_e32 vcc_lo, 0xc2ce8ed0, v3
	v_fma_f32 v7, 0x3fb8aa3b, v3, -v6
	v_rndne_f32_e32 v13, v6
	s_delay_alu instid0(VALU_DEP_1) | instskip(NEXT) | instid1(VALU_DEP_1)
	v_dual_fmamk_f32 v7, v3, 0x32a5705f, v7 :: v_dual_sub_f32 v6, v6, v13
	v_add_f32_e32 v6, v6, v7
	v_cvt_i32_f32_e32 v7, v13
	s_delay_alu instid0(VALU_DEP_2) | instskip(NEXT) | instid1(TRANS32_DEP_1)
	v_exp_f32_e32 v6, v6
	v_ldexp_f32 v6, v6, v7
	s_wait_alu 0xfffd
	s_delay_alu instid0(VALU_DEP_1) | instskip(SKIP_2) | instid1(VALU_DEP_2)
	v_cndmask_b32_e32 v6, 0, v6, vcc_lo
	v_cmp_nlt_f32_e32 vcc_lo, 0x42b17218, v3
	s_wait_alu 0xfffd
	v_cndmask_b32_e32 v3, 0x7f800000, v6, vcc_lo
	s_delay_alu instid0(VALU_DEP_1) | instskip(NEXT) | instid1(VALU_DEP_1)
	v_add_f32_e32 v13, 1.0, v3
	v_cvt_f64_f32_e32 v[6:7], v13
	s_delay_alu instid0(VALU_DEP_1) | instskip(SKIP_1) | instid1(VALU_DEP_1)
	v_frexp_exp_i32_f64_e32 v6, v[6:7]
	v_frexp_mant_f32_e32 v7, v13
	v_cmp_gt_f32_e32 vcc_lo, 0x3f2aaaab, v7
	v_add_f32_e32 v7, -1.0, v13
	s_delay_alu instid0(VALU_DEP_1) | instskip(SKIP_1) | instid1(VALU_DEP_2)
	v_sub_f32_e32 v17, v7, v13
	v_sub_f32_e32 v7, v3, v7
	v_add_f32_e32 v17, 1.0, v17
	s_wait_alu 0xfffd
	v_subrev_co_ci_u32_e64 v6, null, 0, v6, vcc_lo
	s_delay_alu instid0(VALU_DEP_1) | instskip(SKIP_1) | instid1(VALU_DEP_2)
	v_sub_nc_u32_e32 v14, 0, v6
	v_cvt_f32_i32_e32 v6, v6
	v_ldexp_f32 v13, v13, v14
	s_delay_alu instid0(VALU_DEP_1) | instskip(SKIP_1) | instid1(VALU_DEP_2)
	v_add_f32_e32 v18, 1.0, v13
	v_add_f32_e32 v7, v7, v17
	v_add_f32_e32 v17, -1.0, v18
	s_delay_alu instid0(VALU_DEP_2) | instskip(SKIP_2) | instid1(VALU_DEP_4)
	v_ldexp_f32 v7, v7, v14
	v_add_f32_e32 v14, -1.0, v13
	v_cmp_neq_f32_e32 vcc_lo, 0x7f800000, v3
	v_sub_f32_e32 v17, v13, v17
	s_wait_dscnt 0x0
	s_delay_alu instid0(VALU_DEP_3) | instskip(NEXT) | instid1(VALU_DEP_2)
	v_add_f32_e32 v19, 1.0, v14
	v_add_f32_e32 v17, v7, v17
	s_delay_alu instid0(VALU_DEP_2) | instskip(NEXT) | instid1(VALU_DEP_2)
	v_sub_f32_e32 v13, v13, v19
	v_add_f32_e32 v19, v18, v17
	s_delay_alu instid0(VALU_DEP_2) | instskip(NEXT) | instid1(VALU_DEP_2)
	v_add_f32_e32 v7, v7, v13
	v_rcp_f32_e32 v13, v19
	v_sub_f32_e32 v18, v18, v19
	s_delay_alu instid0(VALU_DEP_1)
	v_dual_add_f32 v20, v14, v7 :: v_dual_add_f32 v17, v17, v18
	s_delay_alu instid0(TRANS32_DEP_1) | instid1(VALU_DEP_1)
	v_dual_sub_f32 v14, v14, v20 :: v_dual_mul_f32 v21, v20, v13
	s_delay_alu instid0(VALU_DEP_1) | instskip(NEXT) | instid1(VALU_DEP_2)
	v_add_f32_e32 v7, v7, v14
	v_mul_f32_e32 v22, v19, v21
	s_delay_alu instid0(VALU_DEP_1) | instskip(NEXT) | instid1(VALU_DEP_1)
	v_fma_f32 v18, v21, v19, -v22
	v_fmac_f32_e32 v18, v21, v17
	s_delay_alu instid0(VALU_DEP_1) | instskip(NEXT) | instid1(VALU_DEP_1)
	v_add_f32_e32 v23, v22, v18
	v_sub_f32_e32 v24, v20, v23
	v_sub_f32_e32 v14, v23, v22
	s_delay_alu instid0(VALU_DEP_2) | instskip(NEXT) | instid1(VALU_DEP_2)
	v_sub_f32_e32 v20, v20, v24
	v_sub_f32_e32 v14, v14, v18
	s_delay_alu instid0(VALU_DEP_2) | instskip(NEXT) | instid1(VALU_DEP_1)
	v_sub_f32_e32 v20, v20, v23
	v_add_f32_e32 v7, v7, v20
	s_delay_alu instid0(VALU_DEP_1) | instskip(NEXT) | instid1(VALU_DEP_1)
	v_add_f32_e32 v7, v14, v7
	v_add_f32_e32 v14, v24, v7
	s_delay_alu instid0(VALU_DEP_1) | instskip(NEXT) | instid1(VALU_DEP_1)
	v_mul_f32_e32 v18, v13, v14
	v_mul_f32_e32 v20, v19, v18
	s_delay_alu instid0(VALU_DEP_1) | instskip(NEXT) | instid1(VALU_DEP_1)
	v_fma_f32 v19, v18, v19, -v20
	v_fmac_f32_e32 v19, v18, v17
	s_delay_alu instid0(VALU_DEP_1) | instskip(NEXT) | instid1(VALU_DEP_1)
	v_add_f32_e32 v17, v20, v19
	v_dual_sub_f32 v23, v24, v14 :: v_dual_sub_f32 v22, v14, v17
	v_sub_f32_e32 v20, v17, v20
	s_delay_alu instid0(VALU_DEP_2) | instskip(NEXT) | instid1(VALU_DEP_1)
	v_sub_f32_e32 v14, v14, v22
	v_dual_sub_f32 v14, v14, v17 :: v_dual_add_f32 v7, v7, v23
	s_delay_alu instid0(VALU_DEP_1) | instskip(NEXT) | instid1(VALU_DEP_4)
	v_add_f32_e32 v7, v7, v14
	v_dual_add_f32 v14, v21, v18 :: v_dual_sub_f32 v17, v20, v19
	s_delay_alu instid0(VALU_DEP_1) | instskip(NEXT) | instid1(VALU_DEP_2)
	v_add_f32_e32 v7, v17, v7
	v_sub_f32_e32 v17, v14, v21
	s_delay_alu instid0(VALU_DEP_2) | instskip(NEXT) | instid1(VALU_DEP_2)
	v_add_f32_e32 v7, v22, v7
	v_sub_f32_e32 v17, v18, v17
	s_delay_alu instid0(VALU_DEP_2) | instskip(NEXT) | instid1(VALU_DEP_1)
	v_mul_f32_e32 v7, v13, v7
	v_add_f32_e32 v7, v17, v7
	s_delay_alu instid0(VALU_DEP_1) | instskip(NEXT) | instid1(VALU_DEP_1)
	v_add_f32_e32 v13, v14, v7
	v_mul_f32_e32 v17, v13, v13
	s_wait_alu 0xfffe
	s_delay_alu instid0(VALU_DEP_1) | instskip(SKIP_1) | instid1(VALU_DEP_2)
	v_fmaak_f32 v18, s1, v17, 0x3ecc95a3
	v_mul_f32_e32 v19, v13, v17
	v_fmaak_f32 v17, v17, v18, 0x3f2aaada
	v_ldexp_f32 v18, v13, 1
	v_sub_f32_e32 v13, v13, v14
	s_delay_alu instid0(VALU_DEP_3) | instskip(NEXT) | instid1(VALU_DEP_2)
	v_mul_f32_e32 v17, v19, v17
	v_sub_f32_e32 v7, v7, v13
	s_delay_alu instid0(VALU_DEP_2) | instskip(NEXT) | instid1(VALU_DEP_2)
	v_add_f32_e32 v14, v18, v17
	v_ldexp_f32 v7, v7, 1
	s_delay_alu instid0(VALU_DEP_2) | instskip(NEXT) | instid1(VALU_DEP_1)
	v_sub_f32_e32 v13, v14, v18
	v_sub_f32_e32 v13, v17, v13
	s_delay_alu instid0(VALU_DEP_1) | instskip(NEXT) | instid1(VALU_DEP_1)
	v_add_f32_e32 v7, v7, v13
	v_add_f32_e32 v17, v14, v7
	v_mul_f32_e32 v19, 0x3f317218, v6
	s_delay_alu instid0(VALU_DEP_2) | instskip(NEXT) | instid1(VALU_DEP_2)
	v_sub_f32_e32 v14, v17, v14
	v_fma_f32 v18, 0x3f317218, v6, -v19
	s_delay_alu instid0(VALU_DEP_1) | instskip(NEXT) | instid1(VALU_DEP_1)
	v_dual_sub_f32 v7, v7, v14 :: v_dual_fmamk_f32 v6, v6, 0xb102e308, v18
	v_add_f32_e32 v13, v19, v6
	s_delay_alu instid0(VALU_DEP_1) | instskip(NEXT) | instid1(VALU_DEP_1)
	v_add_f32_e32 v18, v13, v17
	v_sub_f32_e32 v20, v18, v13
	s_delay_alu instid0(VALU_DEP_1) | instskip(SKIP_2) | instid1(VALU_DEP_1)
	v_sub_f32_e32 v21, v18, v20
	v_sub_f32_e32 v14, v17, v20
	;; [unrolled: 1-line block ×3, first 2 shown]
	v_dual_sub_f32 v13, v13, v21 :: v_dual_sub_f32 v6, v6, v19
	s_delay_alu instid0(VALU_DEP_1) | instskip(NEXT) | instid1(VALU_DEP_2)
	v_add_f32_e32 v13, v14, v13
	v_add_f32_e32 v17, v6, v7
	s_delay_alu instid0(VALU_DEP_1) | instskip(NEXT) | instid1(VALU_DEP_3)
	v_sub_f32_e32 v14, v17, v6
	v_add_f32_e32 v13, v17, v13
	s_delay_alu instid0(VALU_DEP_2) | instskip(NEXT) | instid1(VALU_DEP_2)
	v_sub_f32_e32 v17, v17, v14
	v_add_f32_e32 v19, v18, v13
	s_delay_alu instid0(VALU_DEP_2) | instskip(NEXT) | instid1(VALU_DEP_2)
	v_dual_sub_f32 v7, v7, v14 :: v_dual_sub_f32 v6, v6, v17
	v_sub_f32_e32 v14, v19, v18
	s_delay_alu instid0(VALU_DEP_2) | instskip(NEXT) | instid1(VALU_DEP_2)
	v_add_f32_e32 v6, v7, v6
	v_sub_f32_e32 v7, v13, v14
	s_delay_alu instid0(VALU_DEP_1) | instskip(NEXT) | instid1(VALU_DEP_1)
	v_add_f32_e32 v6, v6, v7
	v_add_f32_e32 v6, v19, v6
	s_wait_alu 0xfffd
	s_delay_alu instid0(VALU_DEP_1) | instskip(SKIP_2) | instid1(VALU_DEP_2)
	v_cndmask_b32_e32 v6, 0x7f800000, v6, vcc_lo
	v_cmp_gt_f32_e64 vcc_lo, 0x33800000, |v3|
	s_wait_alu 0xfffd
	v_cndmask_b32_e32 v3, v6, v3, vcc_lo
	s_delay_alu instid0(VALU_DEP_1)
	v_add_f32_e32 v7, v2, v3
.LBB93_209:
	s_wait_alu 0xfffe
	s_or_b32 exec_lo, exec_lo, s0
	s_delay_alu instid0(VALU_DEP_1) | instskip(SKIP_1) | instid1(VALU_DEP_2)
	v_max_num_f32_e32 v2, v7, v7
	v_cmp_u_f32_e32 vcc_lo, v7, v7
	v_min_num_f32_e32 v3, v2, v8
	v_max_num_f32_e32 v2, v2, v8
	v_mov_b32_e32 v8, v7
	s_wait_alu 0xfffd
	s_delay_alu instid0(VALU_DEP_3) | instskip(NEXT) | instid1(VALU_DEP_3)
	v_cndmask_b32_e32 v3, v3, v7, vcc_lo
	v_cndmask_b32_e32 v2, v2, v7, vcc_lo
	s_delay_alu instid0(VALU_DEP_2) | instskip(NEXT) | instid1(VALU_DEP_2)
	v_cndmask_b32_e64 v3, v3, v4, s2
	v_cndmask_b32_e64 v2, v2, v4, s2
	s_delay_alu instid0(VALU_DEP_2) | instskip(NEXT) | instid1(VALU_DEP_2)
	v_cmp_class_f32_e64 s0, v3, 0x1f8
	v_cmp_neq_f32_e32 vcc_lo, v3, v2
	s_or_b32 s1, vcc_lo, s0
	s_wait_alu 0xfffe
	s_and_saveexec_b32 s0, s1
	s_cbranch_execz .LBB93_211
; %bb.210:
	v_sub_f32_e32 v3, v3, v2
	s_mov_b32 s1, 0x3e9b6dac
	s_delay_alu instid0(VALU_DEP_1) | instskip(NEXT) | instid1(VALU_DEP_1)
	v_mul_f32_e32 v4, 0x3fb8aa3b, v3
	v_fma_f32 v6, 0x3fb8aa3b, v3, -v4
	v_rndne_f32_e32 v8, v4
	s_delay_alu instid0(VALU_DEP_1) | instskip(NEXT) | instid1(VALU_DEP_3)
	v_sub_f32_e32 v4, v4, v8
	v_fmamk_f32 v6, v3, 0x32a5705f, v6
	v_cmp_ngt_f32_e32 vcc_lo, 0xc2ce8ed0, v3
	s_delay_alu instid0(VALU_DEP_2) | instskip(SKIP_1) | instid1(VALU_DEP_2)
	v_add_f32_e32 v4, v4, v6
	v_cvt_i32_f32_e32 v6, v8
	v_exp_f32_e32 v4, v4
	s_delay_alu instid0(TRANS32_DEP_1) | instskip(SKIP_1) | instid1(VALU_DEP_1)
	v_ldexp_f32 v4, v4, v6
	s_wait_alu 0xfffd
	v_cndmask_b32_e32 v4, 0, v4, vcc_lo
	v_cmp_nlt_f32_e32 vcc_lo, 0x42b17218, v3
	s_wait_alu 0xfffd
	s_delay_alu instid0(VALU_DEP_2) | instskip(NEXT) | instid1(VALU_DEP_1)
	v_cndmask_b32_e32 v6, 0x7f800000, v4, vcc_lo
	v_add_f32_e32 v8, 1.0, v6
	s_delay_alu instid0(VALU_DEP_1) | instskip(NEXT) | instid1(VALU_DEP_1)
	v_cvt_f64_f32_e32 v[3:4], v8
	v_frexp_exp_i32_f64_e32 v3, v[3:4]
	v_frexp_mant_f32_e32 v4, v8
	s_delay_alu instid0(VALU_DEP_1) | instskip(SKIP_1) | instid1(VALU_DEP_1)
	v_cmp_gt_f32_e32 vcc_lo, 0x3f2aaaab, v4
	v_add_f32_e32 v4, -1.0, v8
	v_sub_f32_e32 v14, v4, v8
	v_sub_f32_e32 v4, v6, v4
	s_delay_alu instid0(VALU_DEP_2) | instskip(NEXT) | instid1(VALU_DEP_1)
	v_add_f32_e32 v14, 1.0, v14
	v_add_f32_e32 v4, v4, v14
	s_wait_alu 0xfffd
	v_subrev_co_ci_u32_e64 v3, null, 0, v3, vcc_lo
	s_delay_alu instid0(VALU_DEP_1) | instskip(SKIP_1) | instid1(VALU_DEP_2)
	v_sub_nc_u32_e32 v13, 0, v3
	v_cvt_f32_i32_e32 v3, v3
	v_ldexp_f32 v8, v8, v13
	v_ldexp_f32 v4, v4, v13
	s_delay_alu instid0(VALU_DEP_2) | instskip(NEXT) | instid1(VALU_DEP_1)
	v_add_f32_e32 v17, 1.0, v8
	v_dual_add_f32 v13, -1.0, v8 :: v_dual_add_f32 v14, -1.0, v17
	s_delay_alu instid0(VALU_DEP_1) | instskip(NEXT) | instid1(VALU_DEP_2)
	v_add_f32_e32 v18, 1.0, v13
	v_sub_f32_e32 v14, v8, v14
	s_delay_alu instid0(VALU_DEP_2) | instskip(NEXT) | instid1(VALU_DEP_2)
	v_sub_f32_e32 v8, v8, v18
	v_add_f32_e32 v14, v4, v14
	s_delay_alu instid0(VALU_DEP_2) | instskip(NEXT) | instid1(VALU_DEP_2)
	v_add_f32_e32 v4, v4, v8
	v_add_f32_e32 v18, v17, v14
	s_wait_dscnt 0x0
	s_delay_alu instid0(VALU_DEP_2) | instskip(NEXT) | instid1(VALU_DEP_2)
	v_add_f32_e32 v19, v13, v4
	v_rcp_f32_e32 v8, v18
	v_sub_f32_e32 v17, v17, v18
	s_delay_alu instid0(VALU_DEP_1) | instskip(NEXT) | instid1(VALU_DEP_1)
	v_dual_sub_f32 v13, v13, v19 :: v_dual_add_f32 v14, v14, v17
	v_add_f32_e32 v4, v4, v13
	s_delay_alu instid0(TRANS32_DEP_1) | instskip(NEXT) | instid1(VALU_DEP_1)
	v_mul_f32_e32 v20, v19, v8
	v_mul_f32_e32 v21, v18, v20
	s_delay_alu instid0(VALU_DEP_1) | instskip(NEXT) | instid1(VALU_DEP_1)
	v_fma_f32 v17, v20, v18, -v21
	v_fmac_f32_e32 v17, v20, v14
	v_cmp_neq_f32_e32 vcc_lo, 0x7f800000, v6
	s_delay_alu instid0(VALU_DEP_2) | instskip(NEXT) | instid1(VALU_DEP_1)
	v_add_f32_e32 v22, v21, v17
	v_sub_f32_e32 v23, v19, v22
	v_sub_f32_e32 v13, v22, v21
	s_delay_alu instid0(VALU_DEP_2) | instskip(NEXT) | instid1(VALU_DEP_2)
	v_sub_f32_e32 v19, v19, v23
	v_sub_f32_e32 v13, v13, v17
	s_delay_alu instid0(VALU_DEP_2) | instskip(NEXT) | instid1(VALU_DEP_1)
	v_sub_f32_e32 v19, v19, v22
	v_add_f32_e32 v4, v4, v19
	s_delay_alu instid0(VALU_DEP_1) | instskip(NEXT) | instid1(VALU_DEP_1)
	v_add_f32_e32 v4, v13, v4
	v_add_f32_e32 v13, v23, v4
	s_delay_alu instid0(VALU_DEP_1) | instskip(SKIP_1) | instid1(VALU_DEP_1)
	v_mul_f32_e32 v17, v8, v13
	v_sub_f32_e32 v22, v23, v13
	v_dual_mul_f32 v19, v18, v17 :: v_dual_add_f32 v4, v4, v22
	s_delay_alu instid0(VALU_DEP_1) | instskip(NEXT) | instid1(VALU_DEP_1)
	v_fma_f32 v18, v17, v18, -v19
	v_fmac_f32_e32 v18, v17, v14
	s_delay_alu instid0(VALU_DEP_1) | instskip(NEXT) | instid1(VALU_DEP_1)
	v_add_f32_e32 v14, v19, v18
	v_sub_f32_e32 v21, v13, v14
	v_sub_f32_e32 v19, v14, v19
	s_delay_alu instid0(VALU_DEP_2) | instskip(NEXT) | instid1(VALU_DEP_1)
	v_sub_f32_e32 v13, v13, v21
	v_sub_f32_e32 v13, v13, v14
	s_delay_alu instid0(VALU_DEP_3) | instskip(NEXT) | instid1(VALU_DEP_2)
	v_sub_f32_e32 v14, v19, v18
	v_add_f32_e32 v4, v4, v13
	s_delay_alu instid0(VALU_DEP_1) | instskip(NEXT) | instid1(VALU_DEP_1)
	v_dual_add_f32 v13, v20, v17 :: v_dual_add_f32 v4, v14, v4
	v_sub_f32_e32 v14, v13, v20
	s_delay_alu instid0(VALU_DEP_2) | instskip(NEXT) | instid1(VALU_DEP_2)
	v_add_f32_e32 v4, v21, v4
	v_sub_f32_e32 v14, v17, v14
	s_delay_alu instid0(VALU_DEP_2) | instskip(NEXT) | instid1(VALU_DEP_1)
	v_mul_f32_e32 v4, v8, v4
	v_add_f32_e32 v4, v14, v4
	s_delay_alu instid0(VALU_DEP_1) | instskip(NEXT) | instid1(VALU_DEP_1)
	v_add_f32_e32 v8, v13, v4
	v_mul_f32_e32 v14, v8, v8
	s_wait_alu 0xfffe
	s_delay_alu instid0(VALU_DEP_1) | instskip(SKIP_1) | instid1(VALU_DEP_2)
	v_fmaak_f32 v17, s1, v14, 0x3ecc95a3
	v_mul_f32_e32 v18, v8, v14
	v_fmaak_f32 v14, v14, v17, 0x3f2aaada
	v_ldexp_f32 v17, v8, 1
	v_sub_f32_e32 v8, v8, v13
	s_delay_alu instid0(VALU_DEP_3) | instskip(SKIP_1) | instid1(VALU_DEP_2)
	v_mul_f32_e32 v14, v18, v14
	v_mul_f32_e32 v18, 0x3f317218, v3
	v_dual_sub_f32 v4, v4, v8 :: v_dual_add_f32 v13, v17, v14
	s_delay_alu instid0(VALU_DEP_1) | instskip(NEXT) | instid1(VALU_DEP_2)
	v_ldexp_f32 v4, v4, 1
	v_sub_f32_e32 v8, v13, v17
	s_delay_alu instid0(VALU_DEP_4) | instskip(NEXT) | instid1(VALU_DEP_1)
	v_fma_f32 v17, 0x3f317218, v3, -v18
	v_dual_sub_f32 v8, v14, v8 :: v_dual_fmamk_f32 v3, v3, 0xb102e308, v17
	s_delay_alu instid0(VALU_DEP_1) | instskip(NEXT) | instid1(VALU_DEP_2)
	v_add_f32_e32 v4, v4, v8
	v_add_f32_e32 v8, v18, v3
	s_delay_alu instid0(VALU_DEP_2) | instskip(NEXT) | instid1(VALU_DEP_2)
	v_add_f32_e32 v14, v13, v4
	v_sub_f32_e32 v18, v8, v18
	s_delay_alu instid0(VALU_DEP_2) | instskip(SKIP_1) | instid1(VALU_DEP_3)
	v_add_f32_e32 v17, v8, v14
	v_sub_f32_e32 v13, v14, v13
	v_sub_f32_e32 v3, v3, v18
	s_delay_alu instid0(VALU_DEP_2) | instskip(NEXT) | instid1(VALU_DEP_1)
	v_dual_sub_f32 v19, v17, v8 :: v_dual_sub_f32 v4, v4, v13
	v_sub_f32_e32 v20, v17, v19
	s_delay_alu instid0(VALU_DEP_2) | instskip(NEXT) | instid1(VALU_DEP_2)
	v_dual_sub_f32 v13, v14, v19 :: v_dual_add_f32 v14, v3, v4
	v_sub_f32_e32 v8, v8, v20
	s_delay_alu instid0(VALU_DEP_1) | instskip(NEXT) | instid1(VALU_DEP_1)
	v_dual_add_f32 v8, v13, v8 :: v_dual_sub_f32 v13, v14, v3
	v_add_f32_e32 v8, v14, v8
	s_delay_alu instid0(VALU_DEP_2) | instskip(SKIP_1) | instid1(VALU_DEP_2)
	v_sub_f32_e32 v14, v14, v13
	v_sub_f32_e32 v4, v4, v13
	v_dual_add_f32 v18, v17, v8 :: v_dual_sub_f32 v3, v3, v14
	s_delay_alu instid0(VALU_DEP_1) | instskip(NEXT) | instid1(VALU_DEP_2)
	v_sub_f32_e32 v13, v18, v17
	v_add_f32_e32 v3, v4, v3
	s_delay_alu instid0(VALU_DEP_2) | instskip(NEXT) | instid1(VALU_DEP_1)
	v_sub_f32_e32 v4, v8, v13
	v_add_f32_e32 v3, v3, v4
	s_delay_alu instid0(VALU_DEP_1) | instskip(SKIP_1) | instid1(VALU_DEP_1)
	v_add_f32_e32 v3, v18, v3
	s_wait_alu 0xfffd
	v_cndmask_b32_e32 v3, 0x7f800000, v3, vcc_lo
	v_cmp_gt_f32_e64 vcc_lo, 0x33800000, |v6|
	s_wait_alu 0xfffd
	s_delay_alu instid0(VALU_DEP_2) | instskip(NEXT) | instid1(VALU_DEP_1)
	v_cndmask_b32_e32 v3, v3, v6, vcc_lo
	v_add_f32_e32 v8, v2, v3
.LBB93_211:
	s_wait_alu 0xfffe
	s_or_b32 exec_lo, exec_lo, s0
	s_delay_alu instid0(VALU_DEP_1) | instskip(SKIP_1) | instid1(VALU_DEP_2)
	v_max_num_f32_e32 v2, v8, v8
	v_cmp_u_f32_e32 vcc_lo, v8, v8
	v_min_num_f32_e32 v3, v2, v9
	v_dual_max_num_f32 v2, v2, v9 :: v_dual_mov_b32 v9, v8
	s_wait_alu 0xfffd
	s_delay_alu instid0(VALU_DEP_2) | instskip(NEXT) | instid1(VALU_DEP_2)
	v_cndmask_b32_e32 v3, v3, v8, vcc_lo
	v_cndmask_b32_e32 v2, v2, v8, vcc_lo
	s_delay_alu instid0(VALU_DEP_2) | instskip(NEXT) | instid1(VALU_DEP_2)
	v_cndmask_b32_e64 v3, v3, v11, s3
	v_cndmask_b32_e64 v2, v2, v11, s3
	s_delay_alu instid0(VALU_DEP_2) | instskip(NEXT) | instid1(VALU_DEP_2)
	v_cmp_class_f32_e64 s0, v3, 0x1f8
	v_cmp_neq_f32_e32 vcc_lo, v3, v2
	s_or_b32 s1, vcc_lo, s0
	s_wait_alu 0xfffe
	s_and_saveexec_b32 s0, s1
	s_cbranch_execz .LBB93_213
; %bb.212:
	v_sub_f32_e32 v3, v3, v2
	s_mov_b32 s1, 0x3e9b6dac
	s_delay_alu instid0(VALU_DEP_1) | instskip(NEXT) | instid1(VALU_DEP_1)
	v_mul_f32_e32 v4, 0x3fb8aa3b, v3
	v_fma_f32 v6, 0x3fb8aa3b, v3, -v4
	v_rndne_f32_e32 v9, v4
	s_delay_alu instid0(VALU_DEP_1) | instskip(NEXT) | instid1(VALU_DEP_3)
	v_sub_f32_e32 v4, v4, v9
	v_fmamk_f32 v6, v3, 0x32a5705f, v6
	v_cmp_ngt_f32_e32 vcc_lo, 0xc2ce8ed0, v3
	s_delay_alu instid0(VALU_DEP_2) | instskip(SKIP_1) | instid1(VALU_DEP_2)
	v_add_f32_e32 v4, v4, v6
	v_cvt_i32_f32_e32 v6, v9
	v_exp_f32_e32 v4, v4
	s_delay_alu instid0(TRANS32_DEP_1) | instskip(SKIP_1) | instid1(VALU_DEP_1)
	v_ldexp_f32 v4, v4, v6
	s_wait_alu 0xfffd
	v_cndmask_b32_e32 v4, 0, v4, vcc_lo
	v_cmp_nlt_f32_e32 vcc_lo, 0x42b17218, v3
	s_wait_alu 0xfffd
	s_delay_alu instid0(VALU_DEP_2) | instskip(NEXT) | instid1(VALU_DEP_1)
	v_cndmask_b32_e32 v6, 0x7f800000, v4, vcc_lo
	v_add_f32_e32 v9, 1.0, v6
	s_delay_alu instid0(VALU_DEP_1) | instskip(NEXT) | instid1(VALU_DEP_1)
	v_cvt_f64_f32_e32 v[3:4], v9
	v_frexp_exp_i32_f64_e32 v3, v[3:4]
	v_frexp_mant_f32_e32 v4, v9
	s_delay_alu instid0(VALU_DEP_1) | instskip(SKIP_1) | instid1(VALU_DEP_1)
	v_cmp_gt_f32_e32 vcc_lo, 0x3f2aaaab, v4
	v_add_f32_e32 v4, -1.0, v9
	v_sub_f32_e32 v13, v4, v9
	s_delay_alu instid0(VALU_DEP_1) | instskip(SKIP_2) | instid1(VALU_DEP_1)
	v_add_f32_e32 v13, 1.0, v13
	s_wait_alu 0xfffd
	v_subrev_co_ci_u32_e64 v3, null, 0, v3, vcc_lo
	v_sub_nc_u32_e32 v11, 0, v3
	v_cvt_f32_i32_e32 v3, v3
	s_delay_alu instid0(VALU_DEP_2) | instskip(SKIP_1) | instid1(VALU_DEP_1)
	v_ldexp_f32 v9, v9, v11
	v_sub_f32_e32 v4, v6, v4
	v_add_f32_e32 v4, v4, v13
	s_delay_alu instid0(VALU_DEP_1) | instskip(NEXT) | instid1(VALU_DEP_4)
	v_ldexp_f32 v4, v4, v11
	v_add_f32_e32 v11, -1.0, v9
	v_add_f32_e32 v14, 1.0, v9
	v_cmp_neq_f32_e32 vcc_lo, 0x7f800000, v6
	s_delay_alu instid0(VALU_DEP_3) | instskip(NEXT) | instid1(VALU_DEP_3)
	v_add_f32_e32 v17, 1.0, v11
	v_add_f32_e32 v13, -1.0, v14
	s_delay_alu instid0(VALU_DEP_1) | instskip(NEXT) | instid1(VALU_DEP_3)
	v_sub_f32_e32 v13, v9, v13
	v_sub_f32_e32 v9, v9, v17
	s_delay_alu instid0(VALU_DEP_2) | instskip(NEXT) | instid1(VALU_DEP_2)
	v_add_f32_e32 v13, v4, v13
	v_add_f32_e32 v4, v4, v9
	s_delay_alu instid0(VALU_DEP_1) | instskip(NEXT) | instid1(VALU_DEP_1)
	v_add_f32_e32 v18, v11, v4
	v_sub_f32_e32 v11, v11, v18
	s_delay_alu instid0(VALU_DEP_1) | instskip(NEXT) | instid1(VALU_DEP_1)
	v_dual_add_f32 v17, v14, v13 :: v_dual_add_f32 v4, v4, v11
	v_rcp_f32_e32 v9, v17
	v_sub_f32_e32 v14, v14, v17
	s_delay_alu instid0(VALU_DEP_1) | instskip(SKIP_1) | instid1(TRANS32_DEP_1)
	v_add_f32_e32 v13, v13, v14
	s_wait_dscnt 0x0
	v_mul_f32_e32 v19, v18, v9
	s_delay_alu instid0(VALU_DEP_1) | instskip(NEXT) | instid1(VALU_DEP_1)
	v_mul_f32_e32 v20, v17, v19
	v_fma_f32 v14, v19, v17, -v20
	s_delay_alu instid0(VALU_DEP_1) | instskip(NEXT) | instid1(VALU_DEP_1)
	v_fmac_f32_e32 v14, v19, v13
	v_add_f32_e32 v21, v20, v14
	s_delay_alu instid0(VALU_DEP_1) | instskip(NEXT) | instid1(VALU_DEP_1)
	v_dual_sub_f32 v22, v18, v21 :: v_dual_sub_f32 v11, v21, v20
	v_sub_f32_e32 v18, v18, v22
	s_delay_alu instid0(VALU_DEP_1) | instskip(NEXT) | instid1(VALU_DEP_1)
	v_dual_sub_f32 v11, v11, v14 :: v_dual_sub_f32 v18, v18, v21
	v_add_f32_e32 v4, v4, v18
	s_delay_alu instid0(VALU_DEP_1) | instskip(NEXT) | instid1(VALU_DEP_1)
	v_add_f32_e32 v4, v11, v4
	v_add_f32_e32 v11, v22, v4
	s_delay_alu instid0(VALU_DEP_1) | instskip(NEXT) | instid1(VALU_DEP_1)
	v_mul_f32_e32 v14, v9, v11
	v_dual_sub_f32 v21, v22, v11 :: v_dual_mul_f32 v18, v17, v14
	s_delay_alu instid0(VALU_DEP_1) | instskip(NEXT) | instid1(VALU_DEP_2)
	v_add_f32_e32 v4, v4, v21
	v_fma_f32 v17, v14, v17, -v18
	s_delay_alu instid0(VALU_DEP_1) | instskip(NEXT) | instid1(VALU_DEP_1)
	v_fmac_f32_e32 v17, v14, v13
	v_add_f32_e32 v13, v18, v17
	s_delay_alu instid0(VALU_DEP_1) | instskip(NEXT) | instid1(VALU_DEP_1)
	v_sub_f32_e32 v20, v11, v13
	v_dual_sub_f32 v11, v11, v20 :: v_dual_sub_f32 v18, v13, v18
	s_delay_alu instid0(VALU_DEP_1) | instskip(NEXT) | instid1(VALU_DEP_1)
	v_sub_f32_e32 v11, v11, v13
	v_dual_sub_f32 v13, v18, v17 :: v_dual_add_f32 v4, v4, v11
	s_delay_alu instid0(VALU_DEP_1) | instskip(NEXT) | instid1(VALU_DEP_1)
	v_dual_add_f32 v11, v19, v14 :: v_dual_add_f32 v4, v13, v4
	v_sub_f32_e32 v13, v11, v19
	s_delay_alu instid0(VALU_DEP_1) | instskip(NEXT) | instid1(VALU_DEP_1)
	v_dual_sub_f32 v13, v14, v13 :: v_dual_add_f32 v4, v20, v4
	v_mul_f32_e32 v4, v9, v4
	s_delay_alu instid0(VALU_DEP_1) | instskip(NEXT) | instid1(VALU_DEP_1)
	v_add_f32_e32 v4, v13, v4
	v_add_f32_e32 v9, v11, v4
	s_delay_alu instid0(VALU_DEP_1) | instskip(SKIP_1) | instid1(VALU_DEP_1)
	v_mul_f32_e32 v13, v9, v9
	s_wait_alu 0xfffe
	v_fmaak_f32 v14, s1, v13, 0x3ecc95a3
	v_mul_f32_e32 v17, v9, v13
	s_delay_alu instid0(VALU_DEP_2) | instskip(SKIP_2) | instid1(VALU_DEP_3)
	v_fmaak_f32 v13, v13, v14, 0x3f2aaada
	v_ldexp_f32 v14, v9, 1
	v_sub_f32_e32 v9, v9, v11
	v_mul_f32_e32 v13, v17, v13
	v_mul_f32_e32 v17, 0x3f317218, v3
	s_delay_alu instid0(VALU_DEP_2) | instskip(NEXT) | instid1(VALU_DEP_1)
	v_add_f32_e32 v11, v14, v13
	v_dual_sub_f32 v4, v4, v9 :: v_dual_sub_f32 v9, v11, v14
	s_delay_alu instid0(VALU_DEP_3) | instskip(NEXT) | instid1(VALU_DEP_2)
	v_fma_f32 v14, 0x3f317218, v3, -v17
	v_ldexp_f32 v4, v4, 1
	s_delay_alu instid0(VALU_DEP_3) | instskip(NEXT) | instid1(VALU_DEP_1)
	v_sub_f32_e32 v9, v13, v9
	v_dual_fmamk_f32 v3, v3, 0xb102e308, v14 :: v_dual_add_f32 v4, v4, v9
	s_delay_alu instid0(VALU_DEP_1) | instskip(NEXT) | instid1(VALU_DEP_2)
	v_add_f32_e32 v9, v17, v3
	v_add_f32_e32 v13, v11, v4
	s_delay_alu instid0(VALU_DEP_2) | instskip(NEXT) | instid1(VALU_DEP_1)
	v_sub_f32_e32 v17, v9, v17
	v_sub_f32_e32 v3, v3, v17
	s_delay_alu instid0(VALU_DEP_3) | instskip(NEXT) | instid1(VALU_DEP_1)
	v_add_f32_e32 v14, v9, v13
	v_dual_sub_f32 v18, v14, v9 :: v_dual_sub_f32 v11, v13, v11
	s_delay_alu instid0(VALU_DEP_1) | instskip(NEXT) | instid1(VALU_DEP_1)
	v_dual_sub_f32 v4, v4, v11 :: v_dual_sub_f32 v11, v13, v18
	v_add_f32_e32 v13, v3, v4
	v_sub_f32_e32 v19, v14, v18
	s_delay_alu instid0(VALU_DEP_1) | instskip(NEXT) | instid1(VALU_DEP_1)
	v_sub_f32_e32 v9, v9, v19
	v_add_f32_e32 v9, v11, v9
	s_delay_alu instid0(VALU_DEP_4) | instskip(NEXT) | instid1(VALU_DEP_2)
	v_sub_f32_e32 v11, v13, v3
	v_add_f32_e32 v9, v13, v9
	s_delay_alu instid0(VALU_DEP_2) | instskip(NEXT) | instid1(VALU_DEP_2)
	v_sub_f32_e32 v13, v13, v11
	v_dual_sub_f32 v4, v4, v11 :: v_dual_add_f32 v17, v14, v9
	s_delay_alu instid0(VALU_DEP_2) | instskip(NEXT) | instid1(VALU_DEP_2)
	v_sub_f32_e32 v3, v3, v13
	v_sub_f32_e32 v11, v17, v14
	s_delay_alu instid0(VALU_DEP_2) | instskip(NEXT) | instid1(VALU_DEP_2)
	v_add_f32_e32 v3, v4, v3
	v_sub_f32_e32 v4, v9, v11
	s_delay_alu instid0(VALU_DEP_1) | instskip(NEXT) | instid1(VALU_DEP_1)
	v_add_f32_e32 v3, v3, v4
	v_add_f32_e32 v3, v17, v3
	s_wait_alu 0xfffd
	s_delay_alu instid0(VALU_DEP_1) | instskip(SKIP_2) | instid1(VALU_DEP_2)
	v_cndmask_b32_e32 v3, 0x7f800000, v3, vcc_lo
	v_cmp_gt_f32_e64 vcc_lo, 0x33800000, |v6|
	s_wait_alu 0xfffd
	v_cndmask_b32_e32 v3, v3, v6, vcc_lo
	s_delay_alu instid0(VALU_DEP_1)
	v_add_f32_e32 v9, v2, v3
.LBB93_213:
	s_wait_alu 0xfffe
	s_or_b32 exec_lo, exec_lo, s0
	s_delay_alu instid0(VALU_DEP_1) | instskip(SKIP_1) | instid1(VALU_DEP_2)
	v_max_num_f32_e32 v2, v9, v9
	v_cmp_u_f32_e32 vcc_lo, v9, v9
	v_min_num_f32_e32 v3, v2, v10
	v_max_num_f32_e32 v2, v2, v10
	s_wait_alu 0xfffd
	s_delay_alu instid0(VALU_DEP_2) | instskip(NEXT) | instid1(VALU_DEP_2)
	v_dual_mov_b32 v10, v9 :: v_dual_cndmask_b32 v3, v3, v9
	v_cndmask_b32_e32 v2, v2, v9, vcc_lo
	s_delay_alu instid0(VALU_DEP_2) | instskip(NEXT) | instid1(VALU_DEP_2)
	v_cndmask_b32_e64 v3, v3, v12, s4
	v_cndmask_b32_e64 v2, v2, v12, s4
	s_delay_alu instid0(VALU_DEP_2) | instskip(NEXT) | instid1(VALU_DEP_2)
	v_cmp_class_f32_e64 s0, v3, 0x1f8
	v_cmp_neq_f32_e32 vcc_lo, v3, v2
	s_or_b32 s1, vcc_lo, s0
	s_wait_alu 0xfffe
	s_and_saveexec_b32 s0, s1
	s_cbranch_execz .LBB93_215
; %bb.214:
	v_sub_f32_e32 v3, v3, v2
	s_mov_b32 s1, 0x3e9b6dac
	s_delay_alu instid0(VALU_DEP_1) | instskip(SKIP_1) | instid1(VALU_DEP_2)
	v_mul_f32_e32 v4, 0x3fb8aa3b, v3
	v_cmp_ngt_f32_e32 vcc_lo, 0xc2ce8ed0, v3
	v_fma_f32 v6, 0x3fb8aa3b, v3, -v4
	v_rndne_f32_e32 v10, v4
	s_delay_alu instid0(VALU_DEP_2) | instskip(NEXT) | instid1(VALU_DEP_2)
	v_fmamk_f32 v6, v3, 0x32a5705f, v6
	v_sub_f32_e32 v4, v4, v10
	s_delay_alu instid0(VALU_DEP_1) | instskip(SKIP_1) | instid1(VALU_DEP_2)
	v_add_f32_e32 v4, v4, v6
	v_cvt_i32_f32_e32 v6, v10
	v_exp_f32_e32 v4, v4
	s_delay_alu instid0(TRANS32_DEP_1) | instskip(SKIP_1) | instid1(VALU_DEP_1)
	v_ldexp_f32 v4, v4, v6
	s_wait_alu 0xfffd
	v_cndmask_b32_e32 v4, 0, v4, vcc_lo
	v_cmp_nlt_f32_e32 vcc_lo, 0x42b17218, v3
	s_wait_alu 0xfffd
	s_delay_alu instid0(VALU_DEP_2) | instskip(NEXT) | instid1(VALU_DEP_1)
	v_cndmask_b32_e32 v6, 0x7f800000, v4, vcc_lo
	v_add_f32_e32 v10, 1.0, v6
	s_delay_alu instid0(VALU_DEP_1) | instskip(NEXT) | instid1(VALU_DEP_1)
	v_cvt_f64_f32_e32 v[3:4], v10
	v_frexp_exp_i32_f64_e32 v3, v[3:4]
	v_frexp_mant_f32_e32 v4, v10
	s_delay_alu instid0(VALU_DEP_1) | instskip(SKIP_1) | instid1(VALU_DEP_1)
	v_cmp_gt_f32_e32 vcc_lo, 0x3f2aaaab, v4
	v_add_f32_e32 v4, -1.0, v10
	v_sub_f32_e32 v12, v4, v10
	v_sub_f32_e32 v4, v6, v4
	s_delay_alu instid0(VALU_DEP_2) | instskip(NEXT) | instid1(VALU_DEP_1)
	v_add_f32_e32 v12, 1.0, v12
	v_add_f32_e32 v4, v4, v12
	s_wait_alu 0xfffd
	v_subrev_co_ci_u32_e64 v3, null, 0, v3, vcc_lo
	s_delay_alu instid0(VALU_DEP_1) | instskip(SKIP_1) | instid1(VALU_DEP_2)
	v_sub_nc_u32_e32 v11, 0, v3
	v_cvt_f32_i32_e32 v3, v3
	v_ldexp_f32 v10, v10, v11
	v_ldexp_f32 v4, v4, v11
	s_delay_alu instid0(VALU_DEP_2) | instskip(NEXT) | instid1(VALU_DEP_1)
	v_add_f32_e32 v13, 1.0, v10
	v_dual_add_f32 v11, -1.0, v10 :: v_dual_add_f32 v12, -1.0, v13
	s_delay_alu instid0(VALU_DEP_1) | instskip(NEXT) | instid1(VALU_DEP_2)
	v_add_f32_e32 v14, 1.0, v11
	v_sub_f32_e32 v12, v10, v12
	s_delay_alu instid0(VALU_DEP_2) | instskip(NEXT) | instid1(VALU_DEP_2)
	v_sub_f32_e32 v10, v10, v14
	v_add_f32_e32 v12, v4, v12
	s_delay_alu instid0(VALU_DEP_1) | instskip(NEXT) | instid1(VALU_DEP_3)
	v_add_f32_e32 v14, v13, v12
	v_add_f32_e32 v4, v4, v10
	s_delay_alu instid0(VALU_DEP_2) | instskip(NEXT) | instid1(VALU_DEP_1)
	v_rcp_f32_e32 v10, v14
	v_add_f32_e32 v17, v11, v4
	v_sub_f32_e32 v13, v13, v14
	v_cmp_neq_f32_e32 vcc_lo, 0x7f800000, v6
	s_delay_alu instid0(VALU_DEP_3) | instskip(NEXT) | instid1(VALU_DEP_3)
	v_sub_f32_e32 v11, v11, v17
	v_add_f32_e32 v12, v12, v13
	s_delay_alu instid0(TRANS32_DEP_1) | instskip(SKIP_1) | instid1(VALU_DEP_1)
	v_mul_f32_e32 v18, v17, v10
	s_wait_dscnt 0x0
	v_dual_add_f32 v4, v4, v11 :: v_dual_mul_f32 v19, v14, v18
	s_delay_alu instid0(VALU_DEP_1) | instskip(NEXT) | instid1(VALU_DEP_1)
	v_fma_f32 v13, v18, v14, -v19
	v_fmac_f32_e32 v13, v18, v12
	s_delay_alu instid0(VALU_DEP_1) | instskip(NEXT) | instid1(VALU_DEP_1)
	v_add_f32_e32 v20, v19, v13
	v_sub_f32_e32 v21, v17, v20
	v_sub_f32_e32 v11, v20, v19
	s_delay_alu instid0(VALU_DEP_2) | instskip(NEXT) | instid1(VALU_DEP_2)
	v_sub_f32_e32 v17, v17, v21
	v_sub_f32_e32 v11, v11, v13
	s_delay_alu instid0(VALU_DEP_2) | instskip(NEXT) | instid1(VALU_DEP_1)
	v_sub_f32_e32 v17, v17, v20
	v_add_f32_e32 v4, v4, v17
	s_delay_alu instid0(VALU_DEP_1) | instskip(NEXT) | instid1(VALU_DEP_1)
	v_add_f32_e32 v4, v11, v4
	v_add_f32_e32 v11, v21, v4
	s_delay_alu instid0(VALU_DEP_1) | instskip(NEXT) | instid1(VALU_DEP_1)
	v_mul_f32_e32 v13, v10, v11
	v_dual_sub_f32 v20, v21, v11 :: v_dual_mul_f32 v17, v14, v13
	s_delay_alu instid0(VALU_DEP_1) | instskip(NEXT) | instid1(VALU_DEP_2)
	v_add_f32_e32 v4, v4, v20
	v_fma_f32 v14, v13, v14, -v17
	s_delay_alu instid0(VALU_DEP_1) | instskip(NEXT) | instid1(VALU_DEP_1)
	v_fmac_f32_e32 v14, v13, v12
	v_add_f32_e32 v12, v17, v14
	s_delay_alu instid0(VALU_DEP_1) | instskip(SKIP_1) | instid1(VALU_DEP_2)
	v_sub_f32_e32 v19, v11, v12
	v_sub_f32_e32 v17, v12, v17
	;; [unrolled: 1-line block ×3, first 2 shown]
	s_delay_alu instid0(VALU_DEP_1) | instskip(NEXT) | instid1(VALU_DEP_1)
	v_dual_sub_f32 v11, v11, v12 :: v_dual_sub_f32 v12, v17, v14
	v_dual_add_f32 v4, v4, v11 :: v_dual_add_f32 v11, v18, v13
	s_delay_alu instid0(VALU_DEP_1) | instskip(NEXT) | instid1(VALU_DEP_2)
	v_add_f32_e32 v4, v12, v4
	v_sub_f32_e32 v12, v11, v18
	s_delay_alu instid0(VALU_DEP_2) | instskip(NEXT) | instid1(VALU_DEP_2)
	v_add_f32_e32 v4, v19, v4
	v_sub_f32_e32 v12, v13, v12
	s_delay_alu instid0(VALU_DEP_2) | instskip(NEXT) | instid1(VALU_DEP_1)
	v_mul_f32_e32 v4, v10, v4
	v_add_f32_e32 v4, v12, v4
	s_delay_alu instid0(VALU_DEP_1) | instskip(NEXT) | instid1(VALU_DEP_1)
	v_add_f32_e32 v10, v11, v4
	v_mul_f32_e32 v12, v10, v10
	s_wait_alu 0xfffe
	s_delay_alu instid0(VALU_DEP_1) | instskip(SKIP_1) | instid1(VALU_DEP_2)
	v_fmaak_f32 v13, s1, v12, 0x3ecc95a3
	v_mul_f32_e32 v14, v10, v12
	v_fmaak_f32 v12, v12, v13, 0x3f2aaada
	v_ldexp_f32 v13, v10, 1
	v_sub_f32_e32 v10, v10, v11
	s_delay_alu instid0(VALU_DEP_3) | instskip(SKIP_1) | instid1(VALU_DEP_2)
	v_mul_f32_e32 v12, v14, v12
	v_mul_f32_e32 v14, 0x3f317218, v3
	v_dual_sub_f32 v4, v4, v10 :: v_dual_add_f32 v11, v13, v12
	s_delay_alu instid0(VALU_DEP_1) | instskip(NEXT) | instid1(VALU_DEP_2)
	v_ldexp_f32 v4, v4, 1
	v_sub_f32_e32 v10, v11, v13
	s_delay_alu instid0(VALU_DEP_4) | instskip(NEXT) | instid1(VALU_DEP_1)
	v_fma_f32 v13, 0x3f317218, v3, -v14
	v_dual_sub_f32 v10, v12, v10 :: v_dual_fmamk_f32 v3, v3, 0xb102e308, v13
	s_delay_alu instid0(VALU_DEP_1) | instskip(NEXT) | instid1(VALU_DEP_2)
	v_add_f32_e32 v4, v4, v10
	v_add_f32_e32 v10, v14, v3
	s_delay_alu instid0(VALU_DEP_2) | instskip(NEXT) | instid1(VALU_DEP_2)
	v_add_f32_e32 v12, v11, v4
	v_sub_f32_e32 v14, v10, v14
	s_delay_alu instid0(VALU_DEP_2) | instskip(SKIP_1) | instid1(VALU_DEP_3)
	v_add_f32_e32 v13, v10, v12
	v_sub_f32_e32 v11, v12, v11
	v_sub_f32_e32 v3, v3, v14
	s_delay_alu instid0(VALU_DEP_2) | instskip(NEXT) | instid1(VALU_DEP_1)
	v_dual_sub_f32 v17, v13, v10 :: v_dual_sub_f32 v4, v4, v11
	v_sub_f32_e32 v18, v13, v17
	s_delay_alu instid0(VALU_DEP_2) | instskip(NEXT) | instid1(VALU_DEP_2)
	v_dual_sub_f32 v11, v12, v17 :: v_dual_add_f32 v12, v3, v4
	v_sub_f32_e32 v10, v10, v18
	s_delay_alu instid0(VALU_DEP_1) | instskip(NEXT) | instid1(VALU_DEP_1)
	v_dual_add_f32 v10, v11, v10 :: v_dual_sub_f32 v11, v12, v3
	v_add_f32_e32 v10, v12, v10
	s_delay_alu instid0(VALU_DEP_2) | instskip(SKIP_1) | instid1(VALU_DEP_2)
	v_sub_f32_e32 v12, v12, v11
	v_sub_f32_e32 v4, v4, v11
	v_dual_add_f32 v14, v13, v10 :: v_dual_sub_f32 v3, v3, v12
	s_delay_alu instid0(VALU_DEP_1) | instskip(NEXT) | instid1(VALU_DEP_2)
	v_sub_f32_e32 v11, v14, v13
	v_add_f32_e32 v3, v4, v3
	s_delay_alu instid0(VALU_DEP_2) | instskip(NEXT) | instid1(VALU_DEP_1)
	v_sub_f32_e32 v4, v10, v11
	v_add_f32_e32 v3, v3, v4
	s_delay_alu instid0(VALU_DEP_1) | instskip(SKIP_1) | instid1(VALU_DEP_1)
	v_add_f32_e32 v3, v14, v3
	s_wait_alu 0xfffd
	v_cndmask_b32_e32 v3, 0x7f800000, v3, vcc_lo
	v_cmp_gt_f32_e64 vcc_lo, 0x33800000, |v6|
	s_wait_alu 0xfffd
	s_delay_alu instid0(VALU_DEP_2) | instskip(NEXT) | instid1(VALU_DEP_1)
	v_cndmask_b32_e32 v3, v3, v6, vcc_lo
	v_add_f32_e32 v10, v2, v3
.LBB93_215:
	s_wait_alu 0xfffe
	s_or_b32 exec_lo, exec_lo, s0
	v_mov_b32_e32 v6, v1
	s_mov_b32 s0, exec_lo
	v_cmpx_eq_u32_e32 0xff, v0
	s_cbranch_execz .LBB93_217
; %bb.216:
	v_dual_mov_b32 v3, 0 :: v_dual_mov_b32 v2, 2
	v_mov_b32_e32 v1, v10
	global_store_b64 v3, v[1:2], s[28:29] offset:256 scope:SCOPE_DEV
.LBB93_217:
	s_wait_alu 0xfffe
	s_or_b32 exec_lo, exec_lo, s0
.LBB93_218:
	s_add_nc_u64 s[0:1], s[12:13], s[24:25]
	s_and_b32 vcc_lo, exec_lo, s30
	s_wait_alu 0xfffe
	s_add_nc_u64 s[0:1], s[0:1], s[26:27]
	s_mov_b32 s2, -1
	s_wait_storecnt 0x0
	s_wait_loadcnt_dscnt 0x0
	s_barrier_signal -1
	s_barrier_wait -1
	global_inv scope:SCOPE_SE
	s_cbranch_vccz .LBB93_220
; %bb.219:
	ds_store_2addr_b64 v16, v[5:6], v[7:8] offset1:1
	ds_store_b64 v16, v[9:10] offset:16
	s_wait_loadcnt_dscnt 0x0
	s_barrier_signal -1
	s_barrier_wait -1
	global_inv scope:SCOPE_SE
	ds_load_2addr_stride64_b32 v[1:2], v15 offset1:4
	ds_load_2addr_stride64_b32 v[3:4], v15 offset0:8 offset1:12
	ds_load_2addr_stride64_b32 v[11:12], v15 offset0:16 offset1:20
	s_mov_b32 s2, 0
	s_wait_dscnt 0x2
	s_clause 0x1
	global_store_b32 v15, v1, s[0:1]
	global_store_b32 v15, v2, s[0:1] offset:1024
	s_wait_dscnt 0x1
	s_clause 0x1
	global_store_b32 v15, v3, s[0:1] offset:2048
	global_store_b32 v15, v4, s[0:1] offset:3072
	s_wait_dscnt 0x0
	s_clause 0x1
	global_store_b32 v15, v11, s[0:1] offset:4096
	global_store_b32 v15, v12, s[0:1] offset:5120
.LBB93_220:
	s_wait_alu 0xfffe
	s_and_not1_b32 vcc_lo, exec_lo, s2
	s_wait_alu 0xfffe
	s_cbranch_vccnz .LBB93_253
; %bb.221:
	ds_store_2addr_b64 v16, v[5:6], v[7:8] offset1:1
	ds_store_b64 v16, v[9:10] offset:16
	s_wait_storecnt 0x0
	s_wait_loadcnt_dscnt 0x0
	s_barrier_signal -1
	s_barrier_wait -1
	global_inv scope:SCOPE_SE
	ds_load_2addr_stride64_b32 v[2:3], v15 offset1:4
	ds_load_2addr_stride64_b32 v[4:5], v15 offset0:8 offset1:12
	ds_load_2addr_stride64_b32 v[6:7], v15 offset0:16 offset1:20
	v_add_co_u32 v8, s0, s0, v15
	v_mov_b32_e32 v1, 0
	s_wait_alu 0xf1ff
	v_add_co_ci_u32_e64 v9, null, s1, 0, s0
	s_mov_b32 s0, exec_lo
	v_cmpx_gt_u32_e64 s10, v0
	s_cbranch_execz .LBB93_223
; %bb.222:
	s_wait_dscnt 0x2
	global_store_b32 v[8:9], v2, off
.LBB93_223:
	s_wait_alu 0xfffe
	s_or_b32 exec_lo, exec_lo, s0
	v_or_b32_e32 v10, 0x100, v0
	s_mov_b32 s0, exec_lo
	s_delay_alu instid0(VALU_DEP_1)
	v_cmpx_gt_u32_e64 s10, v10
	s_cbranch_execz .LBB93_225
; %bb.224:
	s_wait_dscnt 0x2
	global_store_b32 v[8:9], v3, off offset:1024
.LBB93_225:
	s_wait_alu 0xfffe
	s_or_b32 exec_lo, exec_lo, s0
	v_or_b32_e32 v10, 0x200, v0
	s_mov_b32 s0, exec_lo
	s_delay_alu instid0(VALU_DEP_1)
	v_cmpx_gt_u32_e64 s10, v10
	s_cbranch_execz .LBB93_227
; %bb.226:
	s_wait_dscnt 0x1
	global_store_b32 v[8:9], v4, off offset:2048
.LBB93_227:
	;; [unrolled: 11-line block ×5, first 2 shown]
	s_wait_alu 0xfffe
	s_or_b32 exec_lo, exec_lo, s0
	s_wait_kmcnt 0x0
	v_cmp_lt_u64_e64 s0, s[22:23], 2
	s_and_b32 vcc_lo, exec_lo, s0
	s_wait_alu 0xfffe
	s_cbranch_vccnz .LBB93_253
; %bb.234:
	s_add_nc_u64 s[0:1], s[10:11], -1
	s_mov_b32 s3, 0
	s_mov_b64 s[4:5], 0xaaaaaaab
	s_wait_alu 0xfffe
	s_mov_b32 s6, s0
	s_mov_b32 s7, s3
	;; [unrolled: 1-line block ×3, first 2 shown]
	s_wait_alu 0xfffe
	s_mul_u64 s[8:9], s[6:7], s[4:5]
	s_mul_u64 s[4:5], s[2:3], s[4:5]
	s_wait_alu 0xfffe
	s_mov_b32 s8, s9
	s_mov_b32 s9, s3
	s_mov_b64 s[10:11], 0xaaaaaaaa
	s_wait_alu 0xfffe
	s_add_nc_u64 s[4:5], s[4:5], s[8:9]
	s_mul_u64 s[6:7], s[6:7], s[10:11]
	s_wait_alu 0xfffe
	s_mov_b32 s8, s5
	s_mov_b32 s5, s3
	s_wait_alu 0xfffe
	s_add_nc_u64 s[4:5], s[6:7], s[4:5]
	s_mul_u64 s[6:7], s[2:3], s[10:11]
	s_wait_alu 0xfffe
	s_mov_b32 s4, s5
	s_mov_b32 s5, s3
	s_wait_alu 0xfffe
	s_add_nc_u64 s[2:3], s[8:9], s[4:5]
	s_wait_alu 0xfffe
	s_add_nc_u64 s[2:3], s[6:7], s[2:3]
	s_wait_alu 0xfffe
	s_lshr_b64 s[2:3], s[2:3], 2
	s_wait_alu 0xfffe
	v_cmp_eq_u64_e32 vcc_lo, s[2:3], v[0:1]
	s_and_saveexec_b32 s2, vcc_lo
	s_cbranch_execz .LBB93_253
; %bb.235:
	v_mul_u32_u24_e32 v1, 6, v0
	v_mul_hi_u32_u24_e32 v8, 6, v0
	s_delay_alu instid0(VALU_DEP_2) | instskip(SKIP_1) | instid1(VALU_DEP_2)
	v_sub_co_u32 v0, vcc_lo, s0, v1
	s_wait_alu 0xfffd
	v_sub_co_ci_u32_e64 v1, null, s1, v8, vcc_lo
	s_mov_b32 s0, exec_lo
	v_cmpx_lt_i64_e32 2, v[0:1]
	s_wait_alu 0xfffe
	s_xor_b32 s0, exec_lo, s0
	s_cbranch_execz .LBB93_245
; %bb.236:
	s_mov_b32 s1, exec_lo
	v_cmpx_lt_i64_e32 3, v[0:1]
	s_wait_alu 0xfffe
	s_xor_b32 s1, exec_lo, s1
	s_cbranch_execz .LBB93_242
; %bb.237:
	;; [unrolled: 6-line block ×3, first 2 shown]
	v_mov_b32_e32 v0, 0
	s_wait_dscnt 0x0
	global_store_b32 v0, v7, s[18:19]
                                        ; implicit-def: $vgpr6_vgpr7
.LBB93_239:
	s_wait_alu 0xfffe
	s_and_not1_saveexec_b32 s2, s2
	s_cbranch_execz .LBB93_241
; %bb.240:
	v_mov_b32_e32 v0, 0
	s_wait_dscnt 0x0
	global_store_b32 v0, v6, s[18:19]
.LBB93_241:
	s_wait_alu 0xfffe
	s_or_b32 exec_lo, exec_lo, s2
                                        ; implicit-def: $vgpr4_vgpr5
.LBB93_242:
	s_wait_alu 0xfffe
	s_and_not1_saveexec_b32 s1, s1
	s_cbranch_execz .LBB93_244
; %bb.243:
	v_mov_b32_e32 v0, 0
	s_wait_dscnt 0x1
	global_store_b32 v0, v5, s[18:19]
.LBB93_244:
	s_wait_alu 0xfffe
	s_or_b32 exec_lo, exec_lo, s1
                                        ; implicit-def: $vgpr0_vgpr1
                                        ; implicit-def: $vgpr4_vgpr5
                                        ; implicit-def: $vgpr2_vgpr3
.LBB93_245:
	s_wait_alu 0xfffe
	s_and_not1_saveexec_b32 s0, s0
	s_cbranch_execz .LBB93_253
; %bb.246:
	s_mov_b32 s0, exec_lo
	v_cmpx_lt_i64_e32 1, v[0:1]
	s_wait_alu 0xfffe
	s_xor_b32 s0, exec_lo, s0
	s_cbranch_execz .LBB93_248
; %bb.247:
	v_mov_b32_e32 v0, 0
                                        ; implicit-def: $vgpr2_vgpr3
	s_wait_dscnt 0x1
	global_store_b32 v0, v4, s[18:19]
                                        ; implicit-def: $vgpr0_vgpr1
.LBB93_248:
	s_wait_alu 0xfffe
	s_and_not1_saveexec_b32 s0, s0
	s_cbranch_execz .LBB93_253
; %bb.249:
	s_mov_b32 s0, exec_lo
	v_cmpx_ne_u64_e32 1, v[0:1]
	s_wait_alu 0xfffe
	s_xor_b32 s0, exec_lo, s0
	s_cbranch_execz .LBB93_251
; %bb.250:
	v_mov_b32_e32 v0, 0
	s_wait_dscnt 0x2
	global_store_b32 v0, v2, s[18:19]
                                        ; implicit-def: $vgpr2_vgpr3
.LBB93_251:
	s_wait_alu 0xfffe
	s_and_not1_saveexec_b32 s0, s0
	s_cbranch_execz .LBB93_253
; %bb.252:
	v_mov_b32_e32 v0, 0
	s_wait_dscnt 0x2
	global_store_b32 v0, v3, s[18:19]
.LBB93_253:
	s_endpgm
	.section	.rodata,"a",@progbits
	.p2align	6, 0x0
	.amdhsa_kernel _ZN7rocprim17ROCPRIM_400000_NS6detail17trampoline_kernelINS0_14default_configENS1_20scan_config_selectorIfEEZZNS1_9scan_implILNS1_25lookback_scan_determinismE0ELb0ELb0ES3_PKfPffZZZN2at6native31launch_logcumsumexp_cuda_kernelERKNSB_10TensorBaseESF_lENKUlvE_clEvENKUlvE0_clEvEUlffE_fEEDaPvRmT3_T4_T5_mT6_P12ihipStream_tbENKUlT_T0_E_clISt17integral_constantIbLb0EESW_EEDaSR_SS_EUlSR_E_NS1_11comp_targetILNS1_3genE10ELNS1_11target_archE1201ELNS1_3gpuE5ELNS1_3repE0EEENS1_30default_config_static_selectorELNS0_4arch9wavefront6targetE0EEEvT1_
		.amdhsa_group_segment_fixed_size 6144
		.amdhsa_private_segment_fixed_size 0
		.amdhsa_kernarg_size 96
		.amdhsa_user_sgpr_count 2
		.amdhsa_user_sgpr_dispatch_ptr 0
		.amdhsa_user_sgpr_queue_ptr 0
		.amdhsa_user_sgpr_kernarg_segment_ptr 1
		.amdhsa_user_sgpr_dispatch_id 0
		.amdhsa_user_sgpr_private_segment_size 0
		.amdhsa_wavefront_size32 1
		.amdhsa_uses_dynamic_stack 0
		.amdhsa_enable_private_segment 0
		.amdhsa_system_sgpr_workgroup_id_x 1
		.amdhsa_system_sgpr_workgroup_id_y 0
		.amdhsa_system_sgpr_workgroup_id_z 0
		.amdhsa_system_sgpr_workgroup_info 0
		.amdhsa_system_vgpr_workitem_id 0
		.amdhsa_next_free_vgpr 48
		.amdhsa_next_free_sgpr 31
		.amdhsa_reserve_vcc 1
		.amdhsa_float_round_mode_32 0
		.amdhsa_float_round_mode_16_64 0
		.amdhsa_float_denorm_mode_32 3
		.amdhsa_float_denorm_mode_16_64 3
		.amdhsa_fp16_overflow 0
		.amdhsa_workgroup_processor_mode 1
		.amdhsa_memory_ordered 1
		.amdhsa_forward_progress 1
		.amdhsa_inst_pref_size 255
		.amdhsa_round_robin_scheduling 0
		.amdhsa_exception_fp_ieee_invalid_op 0
		.amdhsa_exception_fp_denorm_src 0
		.amdhsa_exception_fp_ieee_div_zero 0
		.amdhsa_exception_fp_ieee_overflow 0
		.amdhsa_exception_fp_ieee_underflow 0
		.amdhsa_exception_fp_ieee_inexact 0
		.amdhsa_exception_int_div_zero 0
	.end_amdhsa_kernel
	.section	.text._ZN7rocprim17ROCPRIM_400000_NS6detail17trampoline_kernelINS0_14default_configENS1_20scan_config_selectorIfEEZZNS1_9scan_implILNS1_25lookback_scan_determinismE0ELb0ELb0ES3_PKfPffZZZN2at6native31launch_logcumsumexp_cuda_kernelERKNSB_10TensorBaseESF_lENKUlvE_clEvENKUlvE0_clEvEUlffE_fEEDaPvRmT3_T4_T5_mT6_P12ihipStream_tbENKUlT_T0_E_clISt17integral_constantIbLb0EESW_EEDaSR_SS_EUlSR_E_NS1_11comp_targetILNS1_3genE10ELNS1_11target_archE1201ELNS1_3gpuE5ELNS1_3repE0EEENS1_30default_config_static_selectorELNS0_4arch9wavefront6targetE0EEEvT1_,"axG",@progbits,_ZN7rocprim17ROCPRIM_400000_NS6detail17trampoline_kernelINS0_14default_configENS1_20scan_config_selectorIfEEZZNS1_9scan_implILNS1_25lookback_scan_determinismE0ELb0ELb0ES3_PKfPffZZZN2at6native31launch_logcumsumexp_cuda_kernelERKNSB_10TensorBaseESF_lENKUlvE_clEvENKUlvE0_clEvEUlffE_fEEDaPvRmT3_T4_T5_mT6_P12ihipStream_tbENKUlT_T0_E_clISt17integral_constantIbLb0EESW_EEDaSR_SS_EUlSR_E_NS1_11comp_targetILNS1_3genE10ELNS1_11target_archE1201ELNS1_3gpuE5ELNS1_3repE0EEENS1_30default_config_static_selectorELNS0_4arch9wavefront6targetE0EEEvT1_,comdat
.Lfunc_end93:
	.size	_ZN7rocprim17ROCPRIM_400000_NS6detail17trampoline_kernelINS0_14default_configENS1_20scan_config_selectorIfEEZZNS1_9scan_implILNS1_25lookback_scan_determinismE0ELb0ELb0ES3_PKfPffZZZN2at6native31launch_logcumsumexp_cuda_kernelERKNSB_10TensorBaseESF_lENKUlvE_clEvENKUlvE0_clEvEUlffE_fEEDaPvRmT3_T4_T5_mT6_P12ihipStream_tbENKUlT_T0_E_clISt17integral_constantIbLb0EESW_EEDaSR_SS_EUlSR_E_NS1_11comp_targetILNS1_3genE10ELNS1_11target_archE1201ELNS1_3gpuE5ELNS1_3repE0EEENS1_30default_config_static_selectorELNS0_4arch9wavefront6targetE0EEEvT1_, .Lfunc_end93-_ZN7rocprim17ROCPRIM_400000_NS6detail17trampoline_kernelINS0_14default_configENS1_20scan_config_selectorIfEEZZNS1_9scan_implILNS1_25lookback_scan_determinismE0ELb0ELb0ES3_PKfPffZZZN2at6native31launch_logcumsumexp_cuda_kernelERKNSB_10TensorBaseESF_lENKUlvE_clEvENKUlvE0_clEvEUlffE_fEEDaPvRmT3_T4_T5_mT6_P12ihipStream_tbENKUlT_T0_E_clISt17integral_constantIbLb0EESW_EEDaSR_SS_EUlSR_E_NS1_11comp_targetILNS1_3genE10ELNS1_11target_archE1201ELNS1_3gpuE5ELNS1_3repE0EEENS1_30default_config_static_selectorELNS0_4arch9wavefront6targetE0EEEvT1_
                                        ; -- End function
	.set _ZN7rocprim17ROCPRIM_400000_NS6detail17trampoline_kernelINS0_14default_configENS1_20scan_config_selectorIfEEZZNS1_9scan_implILNS1_25lookback_scan_determinismE0ELb0ELb0ES3_PKfPffZZZN2at6native31launch_logcumsumexp_cuda_kernelERKNSB_10TensorBaseESF_lENKUlvE_clEvENKUlvE0_clEvEUlffE_fEEDaPvRmT3_T4_T5_mT6_P12ihipStream_tbENKUlT_T0_E_clISt17integral_constantIbLb0EESW_EEDaSR_SS_EUlSR_E_NS1_11comp_targetILNS1_3genE10ELNS1_11target_archE1201ELNS1_3gpuE5ELNS1_3repE0EEENS1_30default_config_static_selectorELNS0_4arch9wavefront6targetE0EEEvT1_.num_vgpr, 48
	.set _ZN7rocprim17ROCPRIM_400000_NS6detail17trampoline_kernelINS0_14default_configENS1_20scan_config_selectorIfEEZZNS1_9scan_implILNS1_25lookback_scan_determinismE0ELb0ELb0ES3_PKfPffZZZN2at6native31launch_logcumsumexp_cuda_kernelERKNSB_10TensorBaseESF_lENKUlvE_clEvENKUlvE0_clEvEUlffE_fEEDaPvRmT3_T4_T5_mT6_P12ihipStream_tbENKUlT_T0_E_clISt17integral_constantIbLb0EESW_EEDaSR_SS_EUlSR_E_NS1_11comp_targetILNS1_3genE10ELNS1_11target_archE1201ELNS1_3gpuE5ELNS1_3repE0EEENS1_30default_config_static_selectorELNS0_4arch9wavefront6targetE0EEEvT1_.num_agpr, 0
	.set _ZN7rocprim17ROCPRIM_400000_NS6detail17trampoline_kernelINS0_14default_configENS1_20scan_config_selectorIfEEZZNS1_9scan_implILNS1_25lookback_scan_determinismE0ELb0ELb0ES3_PKfPffZZZN2at6native31launch_logcumsumexp_cuda_kernelERKNSB_10TensorBaseESF_lENKUlvE_clEvENKUlvE0_clEvEUlffE_fEEDaPvRmT3_T4_T5_mT6_P12ihipStream_tbENKUlT_T0_E_clISt17integral_constantIbLb0EESW_EEDaSR_SS_EUlSR_E_NS1_11comp_targetILNS1_3genE10ELNS1_11target_archE1201ELNS1_3gpuE5ELNS1_3repE0EEENS1_30default_config_static_selectorELNS0_4arch9wavefront6targetE0EEEvT1_.numbered_sgpr, 31
	.set _ZN7rocprim17ROCPRIM_400000_NS6detail17trampoline_kernelINS0_14default_configENS1_20scan_config_selectorIfEEZZNS1_9scan_implILNS1_25lookback_scan_determinismE0ELb0ELb0ES3_PKfPffZZZN2at6native31launch_logcumsumexp_cuda_kernelERKNSB_10TensorBaseESF_lENKUlvE_clEvENKUlvE0_clEvEUlffE_fEEDaPvRmT3_T4_T5_mT6_P12ihipStream_tbENKUlT_T0_E_clISt17integral_constantIbLb0EESW_EEDaSR_SS_EUlSR_E_NS1_11comp_targetILNS1_3genE10ELNS1_11target_archE1201ELNS1_3gpuE5ELNS1_3repE0EEENS1_30default_config_static_selectorELNS0_4arch9wavefront6targetE0EEEvT1_.num_named_barrier, 0
	.set _ZN7rocprim17ROCPRIM_400000_NS6detail17trampoline_kernelINS0_14default_configENS1_20scan_config_selectorIfEEZZNS1_9scan_implILNS1_25lookback_scan_determinismE0ELb0ELb0ES3_PKfPffZZZN2at6native31launch_logcumsumexp_cuda_kernelERKNSB_10TensorBaseESF_lENKUlvE_clEvENKUlvE0_clEvEUlffE_fEEDaPvRmT3_T4_T5_mT6_P12ihipStream_tbENKUlT_T0_E_clISt17integral_constantIbLb0EESW_EEDaSR_SS_EUlSR_E_NS1_11comp_targetILNS1_3genE10ELNS1_11target_archE1201ELNS1_3gpuE5ELNS1_3repE0EEENS1_30default_config_static_selectorELNS0_4arch9wavefront6targetE0EEEvT1_.private_seg_size, 0
	.set _ZN7rocprim17ROCPRIM_400000_NS6detail17trampoline_kernelINS0_14default_configENS1_20scan_config_selectorIfEEZZNS1_9scan_implILNS1_25lookback_scan_determinismE0ELb0ELb0ES3_PKfPffZZZN2at6native31launch_logcumsumexp_cuda_kernelERKNSB_10TensorBaseESF_lENKUlvE_clEvENKUlvE0_clEvEUlffE_fEEDaPvRmT3_T4_T5_mT6_P12ihipStream_tbENKUlT_T0_E_clISt17integral_constantIbLb0EESW_EEDaSR_SS_EUlSR_E_NS1_11comp_targetILNS1_3genE10ELNS1_11target_archE1201ELNS1_3gpuE5ELNS1_3repE0EEENS1_30default_config_static_selectorELNS0_4arch9wavefront6targetE0EEEvT1_.uses_vcc, 1
	.set _ZN7rocprim17ROCPRIM_400000_NS6detail17trampoline_kernelINS0_14default_configENS1_20scan_config_selectorIfEEZZNS1_9scan_implILNS1_25lookback_scan_determinismE0ELb0ELb0ES3_PKfPffZZZN2at6native31launch_logcumsumexp_cuda_kernelERKNSB_10TensorBaseESF_lENKUlvE_clEvENKUlvE0_clEvEUlffE_fEEDaPvRmT3_T4_T5_mT6_P12ihipStream_tbENKUlT_T0_E_clISt17integral_constantIbLb0EESW_EEDaSR_SS_EUlSR_E_NS1_11comp_targetILNS1_3genE10ELNS1_11target_archE1201ELNS1_3gpuE5ELNS1_3repE0EEENS1_30default_config_static_selectorELNS0_4arch9wavefront6targetE0EEEvT1_.uses_flat_scratch, 0
	.set _ZN7rocprim17ROCPRIM_400000_NS6detail17trampoline_kernelINS0_14default_configENS1_20scan_config_selectorIfEEZZNS1_9scan_implILNS1_25lookback_scan_determinismE0ELb0ELb0ES3_PKfPffZZZN2at6native31launch_logcumsumexp_cuda_kernelERKNSB_10TensorBaseESF_lENKUlvE_clEvENKUlvE0_clEvEUlffE_fEEDaPvRmT3_T4_T5_mT6_P12ihipStream_tbENKUlT_T0_E_clISt17integral_constantIbLb0EESW_EEDaSR_SS_EUlSR_E_NS1_11comp_targetILNS1_3genE10ELNS1_11target_archE1201ELNS1_3gpuE5ELNS1_3repE0EEENS1_30default_config_static_selectorELNS0_4arch9wavefront6targetE0EEEvT1_.has_dyn_sized_stack, 0
	.set _ZN7rocprim17ROCPRIM_400000_NS6detail17trampoline_kernelINS0_14default_configENS1_20scan_config_selectorIfEEZZNS1_9scan_implILNS1_25lookback_scan_determinismE0ELb0ELb0ES3_PKfPffZZZN2at6native31launch_logcumsumexp_cuda_kernelERKNSB_10TensorBaseESF_lENKUlvE_clEvENKUlvE0_clEvEUlffE_fEEDaPvRmT3_T4_T5_mT6_P12ihipStream_tbENKUlT_T0_E_clISt17integral_constantIbLb0EESW_EEDaSR_SS_EUlSR_E_NS1_11comp_targetILNS1_3genE10ELNS1_11target_archE1201ELNS1_3gpuE5ELNS1_3repE0EEENS1_30default_config_static_selectorELNS0_4arch9wavefront6targetE0EEEvT1_.has_recursion, 0
	.set _ZN7rocprim17ROCPRIM_400000_NS6detail17trampoline_kernelINS0_14default_configENS1_20scan_config_selectorIfEEZZNS1_9scan_implILNS1_25lookback_scan_determinismE0ELb0ELb0ES3_PKfPffZZZN2at6native31launch_logcumsumexp_cuda_kernelERKNSB_10TensorBaseESF_lENKUlvE_clEvENKUlvE0_clEvEUlffE_fEEDaPvRmT3_T4_T5_mT6_P12ihipStream_tbENKUlT_T0_E_clISt17integral_constantIbLb0EESW_EEDaSR_SS_EUlSR_E_NS1_11comp_targetILNS1_3genE10ELNS1_11target_archE1201ELNS1_3gpuE5ELNS1_3repE0EEENS1_30default_config_static_selectorELNS0_4arch9wavefront6targetE0EEEvT1_.has_indirect_call, 0
	.section	.AMDGPU.csdata,"",@progbits
; Kernel info:
; codeLenInByte = 54616
; TotalNumSgprs: 33
; NumVgprs: 48
; ScratchSize: 0
; MemoryBound: 0
; FloatMode: 240
; IeeeMode: 1
; LDSByteSize: 6144 bytes/workgroup (compile time only)
; SGPRBlocks: 0
; VGPRBlocks: 5
; NumSGPRsForWavesPerEU: 33
; NumVGPRsForWavesPerEU: 48
; Occupancy: 16
; WaveLimiterHint : 1
; COMPUTE_PGM_RSRC2:SCRATCH_EN: 0
; COMPUTE_PGM_RSRC2:USER_SGPR: 2
; COMPUTE_PGM_RSRC2:TRAP_HANDLER: 0
; COMPUTE_PGM_RSRC2:TGID_X_EN: 1
; COMPUTE_PGM_RSRC2:TGID_Y_EN: 0
; COMPUTE_PGM_RSRC2:TGID_Z_EN: 0
; COMPUTE_PGM_RSRC2:TIDIG_COMP_CNT: 0
	.section	.text._ZN7rocprim17ROCPRIM_400000_NS6detail17trampoline_kernelINS0_14default_configENS1_20scan_config_selectorIfEEZZNS1_9scan_implILNS1_25lookback_scan_determinismE0ELb0ELb0ES3_PKfPffZZZN2at6native31launch_logcumsumexp_cuda_kernelERKNSB_10TensorBaseESF_lENKUlvE_clEvENKUlvE0_clEvEUlffE_fEEDaPvRmT3_T4_T5_mT6_P12ihipStream_tbENKUlT_T0_E_clISt17integral_constantIbLb0EESW_EEDaSR_SS_EUlSR_E_NS1_11comp_targetILNS1_3genE10ELNS1_11target_archE1200ELNS1_3gpuE4ELNS1_3repE0EEENS1_30default_config_static_selectorELNS0_4arch9wavefront6targetE0EEEvT1_,"axG",@progbits,_ZN7rocprim17ROCPRIM_400000_NS6detail17trampoline_kernelINS0_14default_configENS1_20scan_config_selectorIfEEZZNS1_9scan_implILNS1_25lookback_scan_determinismE0ELb0ELb0ES3_PKfPffZZZN2at6native31launch_logcumsumexp_cuda_kernelERKNSB_10TensorBaseESF_lENKUlvE_clEvENKUlvE0_clEvEUlffE_fEEDaPvRmT3_T4_T5_mT6_P12ihipStream_tbENKUlT_T0_E_clISt17integral_constantIbLb0EESW_EEDaSR_SS_EUlSR_E_NS1_11comp_targetILNS1_3genE10ELNS1_11target_archE1200ELNS1_3gpuE4ELNS1_3repE0EEENS1_30default_config_static_selectorELNS0_4arch9wavefront6targetE0EEEvT1_,comdat
	.globl	_ZN7rocprim17ROCPRIM_400000_NS6detail17trampoline_kernelINS0_14default_configENS1_20scan_config_selectorIfEEZZNS1_9scan_implILNS1_25lookback_scan_determinismE0ELb0ELb0ES3_PKfPffZZZN2at6native31launch_logcumsumexp_cuda_kernelERKNSB_10TensorBaseESF_lENKUlvE_clEvENKUlvE0_clEvEUlffE_fEEDaPvRmT3_T4_T5_mT6_P12ihipStream_tbENKUlT_T0_E_clISt17integral_constantIbLb0EESW_EEDaSR_SS_EUlSR_E_NS1_11comp_targetILNS1_3genE10ELNS1_11target_archE1200ELNS1_3gpuE4ELNS1_3repE0EEENS1_30default_config_static_selectorELNS0_4arch9wavefront6targetE0EEEvT1_ ; -- Begin function _ZN7rocprim17ROCPRIM_400000_NS6detail17trampoline_kernelINS0_14default_configENS1_20scan_config_selectorIfEEZZNS1_9scan_implILNS1_25lookback_scan_determinismE0ELb0ELb0ES3_PKfPffZZZN2at6native31launch_logcumsumexp_cuda_kernelERKNSB_10TensorBaseESF_lENKUlvE_clEvENKUlvE0_clEvEUlffE_fEEDaPvRmT3_T4_T5_mT6_P12ihipStream_tbENKUlT_T0_E_clISt17integral_constantIbLb0EESW_EEDaSR_SS_EUlSR_E_NS1_11comp_targetILNS1_3genE10ELNS1_11target_archE1200ELNS1_3gpuE4ELNS1_3repE0EEENS1_30default_config_static_selectorELNS0_4arch9wavefront6targetE0EEEvT1_
	.p2align	8
	.type	_ZN7rocprim17ROCPRIM_400000_NS6detail17trampoline_kernelINS0_14default_configENS1_20scan_config_selectorIfEEZZNS1_9scan_implILNS1_25lookback_scan_determinismE0ELb0ELb0ES3_PKfPffZZZN2at6native31launch_logcumsumexp_cuda_kernelERKNSB_10TensorBaseESF_lENKUlvE_clEvENKUlvE0_clEvEUlffE_fEEDaPvRmT3_T4_T5_mT6_P12ihipStream_tbENKUlT_T0_E_clISt17integral_constantIbLb0EESW_EEDaSR_SS_EUlSR_E_NS1_11comp_targetILNS1_3genE10ELNS1_11target_archE1200ELNS1_3gpuE4ELNS1_3repE0EEENS1_30default_config_static_selectorELNS0_4arch9wavefront6targetE0EEEvT1_,@function
_ZN7rocprim17ROCPRIM_400000_NS6detail17trampoline_kernelINS0_14default_configENS1_20scan_config_selectorIfEEZZNS1_9scan_implILNS1_25lookback_scan_determinismE0ELb0ELb0ES3_PKfPffZZZN2at6native31launch_logcumsumexp_cuda_kernelERKNSB_10TensorBaseESF_lENKUlvE_clEvENKUlvE0_clEvEUlffE_fEEDaPvRmT3_T4_T5_mT6_P12ihipStream_tbENKUlT_T0_E_clISt17integral_constantIbLb0EESW_EEDaSR_SS_EUlSR_E_NS1_11comp_targetILNS1_3genE10ELNS1_11target_archE1200ELNS1_3gpuE4ELNS1_3repE0EEENS1_30default_config_static_selectorELNS0_4arch9wavefront6targetE0EEEvT1_: ; @_ZN7rocprim17ROCPRIM_400000_NS6detail17trampoline_kernelINS0_14default_configENS1_20scan_config_selectorIfEEZZNS1_9scan_implILNS1_25lookback_scan_determinismE0ELb0ELb0ES3_PKfPffZZZN2at6native31launch_logcumsumexp_cuda_kernelERKNSB_10TensorBaseESF_lENKUlvE_clEvENKUlvE0_clEvEUlffE_fEEDaPvRmT3_T4_T5_mT6_P12ihipStream_tbENKUlT_T0_E_clISt17integral_constantIbLb0EESW_EEDaSR_SS_EUlSR_E_NS1_11comp_targetILNS1_3genE10ELNS1_11target_archE1200ELNS1_3gpuE4ELNS1_3repE0EEENS1_30default_config_static_selectorELNS0_4arch9wavefront6targetE0EEEvT1_
; %bb.0:
	.section	.rodata,"a",@progbits
	.p2align	6, 0x0
	.amdhsa_kernel _ZN7rocprim17ROCPRIM_400000_NS6detail17trampoline_kernelINS0_14default_configENS1_20scan_config_selectorIfEEZZNS1_9scan_implILNS1_25lookback_scan_determinismE0ELb0ELb0ES3_PKfPffZZZN2at6native31launch_logcumsumexp_cuda_kernelERKNSB_10TensorBaseESF_lENKUlvE_clEvENKUlvE0_clEvEUlffE_fEEDaPvRmT3_T4_T5_mT6_P12ihipStream_tbENKUlT_T0_E_clISt17integral_constantIbLb0EESW_EEDaSR_SS_EUlSR_E_NS1_11comp_targetILNS1_3genE10ELNS1_11target_archE1200ELNS1_3gpuE4ELNS1_3repE0EEENS1_30default_config_static_selectorELNS0_4arch9wavefront6targetE0EEEvT1_
		.amdhsa_group_segment_fixed_size 0
		.amdhsa_private_segment_fixed_size 0
		.amdhsa_kernarg_size 96
		.amdhsa_user_sgpr_count 2
		.amdhsa_user_sgpr_dispatch_ptr 0
		.amdhsa_user_sgpr_queue_ptr 0
		.amdhsa_user_sgpr_kernarg_segment_ptr 1
		.amdhsa_user_sgpr_dispatch_id 0
		.amdhsa_user_sgpr_private_segment_size 0
		.amdhsa_wavefront_size32 1
		.amdhsa_uses_dynamic_stack 0
		.amdhsa_enable_private_segment 0
		.amdhsa_system_sgpr_workgroup_id_x 1
		.amdhsa_system_sgpr_workgroup_id_y 0
		.amdhsa_system_sgpr_workgroup_id_z 0
		.amdhsa_system_sgpr_workgroup_info 0
		.amdhsa_system_vgpr_workitem_id 0
		.amdhsa_next_free_vgpr 1
		.amdhsa_next_free_sgpr 1
		.amdhsa_reserve_vcc 0
		.amdhsa_float_round_mode_32 0
		.amdhsa_float_round_mode_16_64 0
		.amdhsa_float_denorm_mode_32 3
		.amdhsa_float_denorm_mode_16_64 3
		.amdhsa_fp16_overflow 0
		.amdhsa_workgroup_processor_mode 1
		.amdhsa_memory_ordered 1
		.amdhsa_forward_progress 1
		.amdhsa_inst_pref_size 0
		.amdhsa_round_robin_scheduling 0
		.amdhsa_exception_fp_ieee_invalid_op 0
		.amdhsa_exception_fp_denorm_src 0
		.amdhsa_exception_fp_ieee_div_zero 0
		.amdhsa_exception_fp_ieee_overflow 0
		.amdhsa_exception_fp_ieee_underflow 0
		.amdhsa_exception_fp_ieee_inexact 0
		.amdhsa_exception_int_div_zero 0
	.end_amdhsa_kernel
	.section	.text._ZN7rocprim17ROCPRIM_400000_NS6detail17trampoline_kernelINS0_14default_configENS1_20scan_config_selectorIfEEZZNS1_9scan_implILNS1_25lookback_scan_determinismE0ELb0ELb0ES3_PKfPffZZZN2at6native31launch_logcumsumexp_cuda_kernelERKNSB_10TensorBaseESF_lENKUlvE_clEvENKUlvE0_clEvEUlffE_fEEDaPvRmT3_T4_T5_mT6_P12ihipStream_tbENKUlT_T0_E_clISt17integral_constantIbLb0EESW_EEDaSR_SS_EUlSR_E_NS1_11comp_targetILNS1_3genE10ELNS1_11target_archE1200ELNS1_3gpuE4ELNS1_3repE0EEENS1_30default_config_static_selectorELNS0_4arch9wavefront6targetE0EEEvT1_,"axG",@progbits,_ZN7rocprim17ROCPRIM_400000_NS6detail17trampoline_kernelINS0_14default_configENS1_20scan_config_selectorIfEEZZNS1_9scan_implILNS1_25lookback_scan_determinismE0ELb0ELb0ES3_PKfPffZZZN2at6native31launch_logcumsumexp_cuda_kernelERKNSB_10TensorBaseESF_lENKUlvE_clEvENKUlvE0_clEvEUlffE_fEEDaPvRmT3_T4_T5_mT6_P12ihipStream_tbENKUlT_T0_E_clISt17integral_constantIbLb0EESW_EEDaSR_SS_EUlSR_E_NS1_11comp_targetILNS1_3genE10ELNS1_11target_archE1200ELNS1_3gpuE4ELNS1_3repE0EEENS1_30default_config_static_selectorELNS0_4arch9wavefront6targetE0EEEvT1_,comdat
.Lfunc_end94:
	.size	_ZN7rocprim17ROCPRIM_400000_NS6detail17trampoline_kernelINS0_14default_configENS1_20scan_config_selectorIfEEZZNS1_9scan_implILNS1_25lookback_scan_determinismE0ELb0ELb0ES3_PKfPffZZZN2at6native31launch_logcumsumexp_cuda_kernelERKNSB_10TensorBaseESF_lENKUlvE_clEvENKUlvE0_clEvEUlffE_fEEDaPvRmT3_T4_T5_mT6_P12ihipStream_tbENKUlT_T0_E_clISt17integral_constantIbLb0EESW_EEDaSR_SS_EUlSR_E_NS1_11comp_targetILNS1_3genE10ELNS1_11target_archE1200ELNS1_3gpuE4ELNS1_3repE0EEENS1_30default_config_static_selectorELNS0_4arch9wavefront6targetE0EEEvT1_, .Lfunc_end94-_ZN7rocprim17ROCPRIM_400000_NS6detail17trampoline_kernelINS0_14default_configENS1_20scan_config_selectorIfEEZZNS1_9scan_implILNS1_25lookback_scan_determinismE0ELb0ELb0ES3_PKfPffZZZN2at6native31launch_logcumsumexp_cuda_kernelERKNSB_10TensorBaseESF_lENKUlvE_clEvENKUlvE0_clEvEUlffE_fEEDaPvRmT3_T4_T5_mT6_P12ihipStream_tbENKUlT_T0_E_clISt17integral_constantIbLb0EESW_EEDaSR_SS_EUlSR_E_NS1_11comp_targetILNS1_3genE10ELNS1_11target_archE1200ELNS1_3gpuE4ELNS1_3repE0EEENS1_30default_config_static_selectorELNS0_4arch9wavefront6targetE0EEEvT1_
                                        ; -- End function
	.set _ZN7rocprim17ROCPRIM_400000_NS6detail17trampoline_kernelINS0_14default_configENS1_20scan_config_selectorIfEEZZNS1_9scan_implILNS1_25lookback_scan_determinismE0ELb0ELb0ES3_PKfPffZZZN2at6native31launch_logcumsumexp_cuda_kernelERKNSB_10TensorBaseESF_lENKUlvE_clEvENKUlvE0_clEvEUlffE_fEEDaPvRmT3_T4_T5_mT6_P12ihipStream_tbENKUlT_T0_E_clISt17integral_constantIbLb0EESW_EEDaSR_SS_EUlSR_E_NS1_11comp_targetILNS1_3genE10ELNS1_11target_archE1200ELNS1_3gpuE4ELNS1_3repE0EEENS1_30default_config_static_selectorELNS0_4arch9wavefront6targetE0EEEvT1_.num_vgpr, 0
	.set _ZN7rocprim17ROCPRIM_400000_NS6detail17trampoline_kernelINS0_14default_configENS1_20scan_config_selectorIfEEZZNS1_9scan_implILNS1_25lookback_scan_determinismE0ELb0ELb0ES3_PKfPffZZZN2at6native31launch_logcumsumexp_cuda_kernelERKNSB_10TensorBaseESF_lENKUlvE_clEvENKUlvE0_clEvEUlffE_fEEDaPvRmT3_T4_T5_mT6_P12ihipStream_tbENKUlT_T0_E_clISt17integral_constantIbLb0EESW_EEDaSR_SS_EUlSR_E_NS1_11comp_targetILNS1_3genE10ELNS1_11target_archE1200ELNS1_3gpuE4ELNS1_3repE0EEENS1_30default_config_static_selectorELNS0_4arch9wavefront6targetE0EEEvT1_.num_agpr, 0
	.set _ZN7rocprim17ROCPRIM_400000_NS6detail17trampoline_kernelINS0_14default_configENS1_20scan_config_selectorIfEEZZNS1_9scan_implILNS1_25lookback_scan_determinismE0ELb0ELb0ES3_PKfPffZZZN2at6native31launch_logcumsumexp_cuda_kernelERKNSB_10TensorBaseESF_lENKUlvE_clEvENKUlvE0_clEvEUlffE_fEEDaPvRmT3_T4_T5_mT6_P12ihipStream_tbENKUlT_T0_E_clISt17integral_constantIbLb0EESW_EEDaSR_SS_EUlSR_E_NS1_11comp_targetILNS1_3genE10ELNS1_11target_archE1200ELNS1_3gpuE4ELNS1_3repE0EEENS1_30default_config_static_selectorELNS0_4arch9wavefront6targetE0EEEvT1_.numbered_sgpr, 0
	.set _ZN7rocprim17ROCPRIM_400000_NS6detail17trampoline_kernelINS0_14default_configENS1_20scan_config_selectorIfEEZZNS1_9scan_implILNS1_25lookback_scan_determinismE0ELb0ELb0ES3_PKfPffZZZN2at6native31launch_logcumsumexp_cuda_kernelERKNSB_10TensorBaseESF_lENKUlvE_clEvENKUlvE0_clEvEUlffE_fEEDaPvRmT3_T4_T5_mT6_P12ihipStream_tbENKUlT_T0_E_clISt17integral_constantIbLb0EESW_EEDaSR_SS_EUlSR_E_NS1_11comp_targetILNS1_3genE10ELNS1_11target_archE1200ELNS1_3gpuE4ELNS1_3repE0EEENS1_30default_config_static_selectorELNS0_4arch9wavefront6targetE0EEEvT1_.num_named_barrier, 0
	.set _ZN7rocprim17ROCPRIM_400000_NS6detail17trampoline_kernelINS0_14default_configENS1_20scan_config_selectorIfEEZZNS1_9scan_implILNS1_25lookback_scan_determinismE0ELb0ELb0ES3_PKfPffZZZN2at6native31launch_logcumsumexp_cuda_kernelERKNSB_10TensorBaseESF_lENKUlvE_clEvENKUlvE0_clEvEUlffE_fEEDaPvRmT3_T4_T5_mT6_P12ihipStream_tbENKUlT_T0_E_clISt17integral_constantIbLb0EESW_EEDaSR_SS_EUlSR_E_NS1_11comp_targetILNS1_3genE10ELNS1_11target_archE1200ELNS1_3gpuE4ELNS1_3repE0EEENS1_30default_config_static_selectorELNS0_4arch9wavefront6targetE0EEEvT1_.private_seg_size, 0
	.set _ZN7rocprim17ROCPRIM_400000_NS6detail17trampoline_kernelINS0_14default_configENS1_20scan_config_selectorIfEEZZNS1_9scan_implILNS1_25lookback_scan_determinismE0ELb0ELb0ES3_PKfPffZZZN2at6native31launch_logcumsumexp_cuda_kernelERKNSB_10TensorBaseESF_lENKUlvE_clEvENKUlvE0_clEvEUlffE_fEEDaPvRmT3_T4_T5_mT6_P12ihipStream_tbENKUlT_T0_E_clISt17integral_constantIbLb0EESW_EEDaSR_SS_EUlSR_E_NS1_11comp_targetILNS1_3genE10ELNS1_11target_archE1200ELNS1_3gpuE4ELNS1_3repE0EEENS1_30default_config_static_selectorELNS0_4arch9wavefront6targetE0EEEvT1_.uses_vcc, 0
	.set _ZN7rocprim17ROCPRIM_400000_NS6detail17trampoline_kernelINS0_14default_configENS1_20scan_config_selectorIfEEZZNS1_9scan_implILNS1_25lookback_scan_determinismE0ELb0ELb0ES3_PKfPffZZZN2at6native31launch_logcumsumexp_cuda_kernelERKNSB_10TensorBaseESF_lENKUlvE_clEvENKUlvE0_clEvEUlffE_fEEDaPvRmT3_T4_T5_mT6_P12ihipStream_tbENKUlT_T0_E_clISt17integral_constantIbLb0EESW_EEDaSR_SS_EUlSR_E_NS1_11comp_targetILNS1_3genE10ELNS1_11target_archE1200ELNS1_3gpuE4ELNS1_3repE0EEENS1_30default_config_static_selectorELNS0_4arch9wavefront6targetE0EEEvT1_.uses_flat_scratch, 0
	.set _ZN7rocprim17ROCPRIM_400000_NS6detail17trampoline_kernelINS0_14default_configENS1_20scan_config_selectorIfEEZZNS1_9scan_implILNS1_25lookback_scan_determinismE0ELb0ELb0ES3_PKfPffZZZN2at6native31launch_logcumsumexp_cuda_kernelERKNSB_10TensorBaseESF_lENKUlvE_clEvENKUlvE0_clEvEUlffE_fEEDaPvRmT3_T4_T5_mT6_P12ihipStream_tbENKUlT_T0_E_clISt17integral_constantIbLb0EESW_EEDaSR_SS_EUlSR_E_NS1_11comp_targetILNS1_3genE10ELNS1_11target_archE1200ELNS1_3gpuE4ELNS1_3repE0EEENS1_30default_config_static_selectorELNS0_4arch9wavefront6targetE0EEEvT1_.has_dyn_sized_stack, 0
	.set _ZN7rocprim17ROCPRIM_400000_NS6detail17trampoline_kernelINS0_14default_configENS1_20scan_config_selectorIfEEZZNS1_9scan_implILNS1_25lookback_scan_determinismE0ELb0ELb0ES3_PKfPffZZZN2at6native31launch_logcumsumexp_cuda_kernelERKNSB_10TensorBaseESF_lENKUlvE_clEvENKUlvE0_clEvEUlffE_fEEDaPvRmT3_T4_T5_mT6_P12ihipStream_tbENKUlT_T0_E_clISt17integral_constantIbLb0EESW_EEDaSR_SS_EUlSR_E_NS1_11comp_targetILNS1_3genE10ELNS1_11target_archE1200ELNS1_3gpuE4ELNS1_3repE0EEENS1_30default_config_static_selectorELNS0_4arch9wavefront6targetE0EEEvT1_.has_recursion, 0
	.set _ZN7rocprim17ROCPRIM_400000_NS6detail17trampoline_kernelINS0_14default_configENS1_20scan_config_selectorIfEEZZNS1_9scan_implILNS1_25lookback_scan_determinismE0ELb0ELb0ES3_PKfPffZZZN2at6native31launch_logcumsumexp_cuda_kernelERKNSB_10TensorBaseESF_lENKUlvE_clEvENKUlvE0_clEvEUlffE_fEEDaPvRmT3_T4_T5_mT6_P12ihipStream_tbENKUlT_T0_E_clISt17integral_constantIbLb0EESW_EEDaSR_SS_EUlSR_E_NS1_11comp_targetILNS1_3genE10ELNS1_11target_archE1200ELNS1_3gpuE4ELNS1_3repE0EEENS1_30default_config_static_selectorELNS0_4arch9wavefront6targetE0EEEvT1_.has_indirect_call, 0
	.section	.AMDGPU.csdata,"",@progbits
; Kernel info:
; codeLenInByte = 0
; TotalNumSgprs: 0
; NumVgprs: 0
; ScratchSize: 0
; MemoryBound: 0
; FloatMode: 240
; IeeeMode: 1
; LDSByteSize: 0 bytes/workgroup (compile time only)
; SGPRBlocks: 0
; VGPRBlocks: 0
; NumSGPRsForWavesPerEU: 1
; NumVGPRsForWavesPerEU: 1
; Occupancy: 16
; WaveLimiterHint : 0
; COMPUTE_PGM_RSRC2:SCRATCH_EN: 0
; COMPUTE_PGM_RSRC2:USER_SGPR: 2
; COMPUTE_PGM_RSRC2:TRAP_HANDLER: 0
; COMPUTE_PGM_RSRC2:TGID_X_EN: 1
; COMPUTE_PGM_RSRC2:TGID_Y_EN: 0
; COMPUTE_PGM_RSRC2:TGID_Z_EN: 0
; COMPUTE_PGM_RSRC2:TIDIG_COMP_CNT: 0
	.section	.text._ZN7rocprim17ROCPRIM_400000_NS6detail17trampoline_kernelINS0_14default_configENS1_20scan_config_selectorIfEEZZNS1_9scan_implILNS1_25lookback_scan_determinismE0ELb0ELb0ES3_PKfPffZZZN2at6native31launch_logcumsumexp_cuda_kernelERKNSB_10TensorBaseESF_lENKUlvE_clEvENKUlvE0_clEvEUlffE_fEEDaPvRmT3_T4_T5_mT6_P12ihipStream_tbENKUlT_T0_E_clISt17integral_constantIbLb0EESW_EEDaSR_SS_EUlSR_E_NS1_11comp_targetILNS1_3genE9ELNS1_11target_archE1100ELNS1_3gpuE3ELNS1_3repE0EEENS1_30default_config_static_selectorELNS0_4arch9wavefront6targetE0EEEvT1_,"axG",@progbits,_ZN7rocprim17ROCPRIM_400000_NS6detail17trampoline_kernelINS0_14default_configENS1_20scan_config_selectorIfEEZZNS1_9scan_implILNS1_25lookback_scan_determinismE0ELb0ELb0ES3_PKfPffZZZN2at6native31launch_logcumsumexp_cuda_kernelERKNSB_10TensorBaseESF_lENKUlvE_clEvENKUlvE0_clEvEUlffE_fEEDaPvRmT3_T4_T5_mT6_P12ihipStream_tbENKUlT_T0_E_clISt17integral_constantIbLb0EESW_EEDaSR_SS_EUlSR_E_NS1_11comp_targetILNS1_3genE9ELNS1_11target_archE1100ELNS1_3gpuE3ELNS1_3repE0EEENS1_30default_config_static_selectorELNS0_4arch9wavefront6targetE0EEEvT1_,comdat
	.globl	_ZN7rocprim17ROCPRIM_400000_NS6detail17trampoline_kernelINS0_14default_configENS1_20scan_config_selectorIfEEZZNS1_9scan_implILNS1_25lookback_scan_determinismE0ELb0ELb0ES3_PKfPffZZZN2at6native31launch_logcumsumexp_cuda_kernelERKNSB_10TensorBaseESF_lENKUlvE_clEvENKUlvE0_clEvEUlffE_fEEDaPvRmT3_T4_T5_mT6_P12ihipStream_tbENKUlT_T0_E_clISt17integral_constantIbLb0EESW_EEDaSR_SS_EUlSR_E_NS1_11comp_targetILNS1_3genE9ELNS1_11target_archE1100ELNS1_3gpuE3ELNS1_3repE0EEENS1_30default_config_static_selectorELNS0_4arch9wavefront6targetE0EEEvT1_ ; -- Begin function _ZN7rocprim17ROCPRIM_400000_NS6detail17trampoline_kernelINS0_14default_configENS1_20scan_config_selectorIfEEZZNS1_9scan_implILNS1_25lookback_scan_determinismE0ELb0ELb0ES3_PKfPffZZZN2at6native31launch_logcumsumexp_cuda_kernelERKNSB_10TensorBaseESF_lENKUlvE_clEvENKUlvE0_clEvEUlffE_fEEDaPvRmT3_T4_T5_mT6_P12ihipStream_tbENKUlT_T0_E_clISt17integral_constantIbLb0EESW_EEDaSR_SS_EUlSR_E_NS1_11comp_targetILNS1_3genE9ELNS1_11target_archE1100ELNS1_3gpuE3ELNS1_3repE0EEENS1_30default_config_static_selectorELNS0_4arch9wavefront6targetE0EEEvT1_
	.p2align	8
	.type	_ZN7rocprim17ROCPRIM_400000_NS6detail17trampoline_kernelINS0_14default_configENS1_20scan_config_selectorIfEEZZNS1_9scan_implILNS1_25lookback_scan_determinismE0ELb0ELb0ES3_PKfPffZZZN2at6native31launch_logcumsumexp_cuda_kernelERKNSB_10TensorBaseESF_lENKUlvE_clEvENKUlvE0_clEvEUlffE_fEEDaPvRmT3_T4_T5_mT6_P12ihipStream_tbENKUlT_T0_E_clISt17integral_constantIbLb0EESW_EEDaSR_SS_EUlSR_E_NS1_11comp_targetILNS1_3genE9ELNS1_11target_archE1100ELNS1_3gpuE3ELNS1_3repE0EEENS1_30default_config_static_selectorELNS0_4arch9wavefront6targetE0EEEvT1_,@function
_ZN7rocprim17ROCPRIM_400000_NS6detail17trampoline_kernelINS0_14default_configENS1_20scan_config_selectorIfEEZZNS1_9scan_implILNS1_25lookback_scan_determinismE0ELb0ELb0ES3_PKfPffZZZN2at6native31launch_logcumsumexp_cuda_kernelERKNSB_10TensorBaseESF_lENKUlvE_clEvENKUlvE0_clEvEUlffE_fEEDaPvRmT3_T4_T5_mT6_P12ihipStream_tbENKUlT_T0_E_clISt17integral_constantIbLb0EESW_EEDaSR_SS_EUlSR_E_NS1_11comp_targetILNS1_3genE9ELNS1_11target_archE1100ELNS1_3gpuE3ELNS1_3repE0EEENS1_30default_config_static_selectorELNS0_4arch9wavefront6targetE0EEEvT1_: ; @_ZN7rocprim17ROCPRIM_400000_NS6detail17trampoline_kernelINS0_14default_configENS1_20scan_config_selectorIfEEZZNS1_9scan_implILNS1_25lookback_scan_determinismE0ELb0ELb0ES3_PKfPffZZZN2at6native31launch_logcumsumexp_cuda_kernelERKNSB_10TensorBaseESF_lENKUlvE_clEvENKUlvE0_clEvEUlffE_fEEDaPvRmT3_T4_T5_mT6_P12ihipStream_tbENKUlT_T0_E_clISt17integral_constantIbLb0EESW_EEDaSR_SS_EUlSR_E_NS1_11comp_targetILNS1_3genE9ELNS1_11target_archE1100ELNS1_3gpuE3ELNS1_3repE0EEENS1_30default_config_static_selectorELNS0_4arch9wavefront6targetE0EEEvT1_
; %bb.0:
	.section	.rodata,"a",@progbits
	.p2align	6, 0x0
	.amdhsa_kernel _ZN7rocprim17ROCPRIM_400000_NS6detail17trampoline_kernelINS0_14default_configENS1_20scan_config_selectorIfEEZZNS1_9scan_implILNS1_25lookback_scan_determinismE0ELb0ELb0ES3_PKfPffZZZN2at6native31launch_logcumsumexp_cuda_kernelERKNSB_10TensorBaseESF_lENKUlvE_clEvENKUlvE0_clEvEUlffE_fEEDaPvRmT3_T4_T5_mT6_P12ihipStream_tbENKUlT_T0_E_clISt17integral_constantIbLb0EESW_EEDaSR_SS_EUlSR_E_NS1_11comp_targetILNS1_3genE9ELNS1_11target_archE1100ELNS1_3gpuE3ELNS1_3repE0EEENS1_30default_config_static_selectorELNS0_4arch9wavefront6targetE0EEEvT1_
		.amdhsa_group_segment_fixed_size 0
		.amdhsa_private_segment_fixed_size 0
		.amdhsa_kernarg_size 96
		.amdhsa_user_sgpr_count 2
		.amdhsa_user_sgpr_dispatch_ptr 0
		.amdhsa_user_sgpr_queue_ptr 0
		.amdhsa_user_sgpr_kernarg_segment_ptr 1
		.amdhsa_user_sgpr_dispatch_id 0
		.amdhsa_user_sgpr_private_segment_size 0
		.amdhsa_wavefront_size32 1
		.amdhsa_uses_dynamic_stack 0
		.amdhsa_enable_private_segment 0
		.amdhsa_system_sgpr_workgroup_id_x 1
		.amdhsa_system_sgpr_workgroup_id_y 0
		.amdhsa_system_sgpr_workgroup_id_z 0
		.amdhsa_system_sgpr_workgroup_info 0
		.amdhsa_system_vgpr_workitem_id 0
		.amdhsa_next_free_vgpr 1
		.amdhsa_next_free_sgpr 1
		.amdhsa_reserve_vcc 0
		.amdhsa_float_round_mode_32 0
		.amdhsa_float_round_mode_16_64 0
		.amdhsa_float_denorm_mode_32 3
		.amdhsa_float_denorm_mode_16_64 3
		.amdhsa_fp16_overflow 0
		.amdhsa_workgroup_processor_mode 1
		.amdhsa_memory_ordered 1
		.amdhsa_forward_progress 1
		.amdhsa_inst_pref_size 0
		.amdhsa_round_robin_scheduling 0
		.amdhsa_exception_fp_ieee_invalid_op 0
		.amdhsa_exception_fp_denorm_src 0
		.amdhsa_exception_fp_ieee_div_zero 0
		.amdhsa_exception_fp_ieee_overflow 0
		.amdhsa_exception_fp_ieee_underflow 0
		.amdhsa_exception_fp_ieee_inexact 0
		.amdhsa_exception_int_div_zero 0
	.end_amdhsa_kernel
	.section	.text._ZN7rocprim17ROCPRIM_400000_NS6detail17trampoline_kernelINS0_14default_configENS1_20scan_config_selectorIfEEZZNS1_9scan_implILNS1_25lookback_scan_determinismE0ELb0ELb0ES3_PKfPffZZZN2at6native31launch_logcumsumexp_cuda_kernelERKNSB_10TensorBaseESF_lENKUlvE_clEvENKUlvE0_clEvEUlffE_fEEDaPvRmT3_T4_T5_mT6_P12ihipStream_tbENKUlT_T0_E_clISt17integral_constantIbLb0EESW_EEDaSR_SS_EUlSR_E_NS1_11comp_targetILNS1_3genE9ELNS1_11target_archE1100ELNS1_3gpuE3ELNS1_3repE0EEENS1_30default_config_static_selectorELNS0_4arch9wavefront6targetE0EEEvT1_,"axG",@progbits,_ZN7rocprim17ROCPRIM_400000_NS6detail17trampoline_kernelINS0_14default_configENS1_20scan_config_selectorIfEEZZNS1_9scan_implILNS1_25lookback_scan_determinismE0ELb0ELb0ES3_PKfPffZZZN2at6native31launch_logcumsumexp_cuda_kernelERKNSB_10TensorBaseESF_lENKUlvE_clEvENKUlvE0_clEvEUlffE_fEEDaPvRmT3_T4_T5_mT6_P12ihipStream_tbENKUlT_T0_E_clISt17integral_constantIbLb0EESW_EEDaSR_SS_EUlSR_E_NS1_11comp_targetILNS1_3genE9ELNS1_11target_archE1100ELNS1_3gpuE3ELNS1_3repE0EEENS1_30default_config_static_selectorELNS0_4arch9wavefront6targetE0EEEvT1_,comdat
.Lfunc_end95:
	.size	_ZN7rocprim17ROCPRIM_400000_NS6detail17trampoline_kernelINS0_14default_configENS1_20scan_config_selectorIfEEZZNS1_9scan_implILNS1_25lookback_scan_determinismE0ELb0ELb0ES3_PKfPffZZZN2at6native31launch_logcumsumexp_cuda_kernelERKNSB_10TensorBaseESF_lENKUlvE_clEvENKUlvE0_clEvEUlffE_fEEDaPvRmT3_T4_T5_mT6_P12ihipStream_tbENKUlT_T0_E_clISt17integral_constantIbLb0EESW_EEDaSR_SS_EUlSR_E_NS1_11comp_targetILNS1_3genE9ELNS1_11target_archE1100ELNS1_3gpuE3ELNS1_3repE0EEENS1_30default_config_static_selectorELNS0_4arch9wavefront6targetE0EEEvT1_, .Lfunc_end95-_ZN7rocprim17ROCPRIM_400000_NS6detail17trampoline_kernelINS0_14default_configENS1_20scan_config_selectorIfEEZZNS1_9scan_implILNS1_25lookback_scan_determinismE0ELb0ELb0ES3_PKfPffZZZN2at6native31launch_logcumsumexp_cuda_kernelERKNSB_10TensorBaseESF_lENKUlvE_clEvENKUlvE0_clEvEUlffE_fEEDaPvRmT3_T4_T5_mT6_P12ihipStream_tbENKUlT_T0_E_clISt17integral_constantIbLb0EESW_EEDaSR_SS_EUlSR_E_NS1_11comp_targetILNS1_3genE9ELNS1_11target_archE1100ELNS1_3gpuE3ELNS1_3repE0EEENS1_30default_config_static_selectorELNS0_4arch9wavefront6targetE0EEEvT1_
                                        ; -- End function
	.set _ZN7rocprim17ROCPRIM_400000_NS6detail17trampoline_kernelINS0_14default_configENS1_20scan_config_selectorIfEEZZNS1_9scan_implILNS1_25lookback_scan_determinismE0ELb0ELb0ES3_PKfPffZZZN2at6native31launch_logcumsumexp_cuda_kernelERKNSB_10TensorBaseESF_lENKUlvE_clEvENKUlvE0_clEvEUlffE_fEEDaPvRmT3_T4_T5_mT6_P12ihipStream_tbENKUlT_T0_E_clISt17integral_constantIbLb0EESW_EEDaSR_SS_EUlSR_E_NS1_11comp_targetILNS1_3genE9ELNS1_11target_archE1100ELNS1_3gpuE3ELNS1_3repE0EEENS1_30default_config_static_selectorELNS0_4arch9wavefront6targetE0EEEvT1_.num_vgpr, 0
	.set _ZN7rocprim17ROCPRIM_400000_NS6detail17trampoline_kernelINS0_14default_configENS1_20scan_config_selectorIfEEZZNS1_9scan_implILNS1_25lookback_scan_determinismE0ELb0ELb0ES3_PKfPffZZZN2at6native31launch_logcumsumexp_cuda_kernelERKNSB_10TensorBaseESF_lENKUlvE_clEvENKUlvE0_clEvEUlffE_fEEDaPvRmT3_T4_T5_mT6_P12ihipStream_tbENKUlT_T0_E_clISt17integral_constantIbLb0EESW_EEDaSR_SS_EUlSR_E_NS1_11comp_targetILNS1_3genE9ELNS1_11target_archE1100ELNS1_3gpuE3ELNS1_3repE0EEENS1_30default_config_static_selectorELNS0_4arch9wavefront6targetE0EEEvT1_.num_agpr, 0
	.set _ZN7rocprim17ROCPRIM_400000_NS6detail17trampoline_kernelINS0_14default_configENS1_20scan_config_selectorIfEEZZNS1_9scan_implILNS1_25lookback_scan_determinismE0ELb0ELb0ES3_PKfPffZZZN2at6native31launch_logcumsumexp_cuda_kernelERKNSB_10TensorBaseESF_lENKUlvE_clEvENKUlvE0_clEvEUlffE_fEEDaPvRmT3_T4_T5_mT6_P12ihipStream_tbENKUlT_T0_E_clISt17integral_constantIbLb0EESW_EEDaSR_SS_EUlSR_E_NS1_11comp_targetILNS1_3genE9ELNS1_11target_archE1100ELNS1_3gpuE3ELNS1_3repE0EEENS1_30default_config_static_selectorELNS0_4arch9wavefront6targetE0EEEvT1_.numbered_sgpr, 0
	.set _ZN7rocprim17ROCPRIM_400000_NS6detail17trampoline_kernelINS0_14default_configENS1_20scan_config_selectorIfEEZZNS1_9scan_implILNS1_25lookback_scan_determinismE0ELb0ELb0ES3_PKfPffZZZN2at6native31launch_logcumsumexp_cuda_kernelERKNSB_10TensorBaseESF_lENKUlvE_clEvENKUlvE0_clEvEUlffE_fEEDaPvRmT3_T4_T5_mT6_P12ihipStream_tbENKUlT_T0_E_clISt17integral_constantIbLb0EESW_EEDaSR_SS_EUlSR_E_NS1_11comp_targetILNS1_3genE9ELNS1_11target_archE1100ELNS1_3gpuE3ELNS1_3repE0EEENS1_30default_config_static_selectorELNS0_4arch9wavefront6targetE0EEEvT1_.num_named_barrier, 0
	.set _ZN7rocprim17ROCPRIM_400000_NS6detail17trampoline_kernelINS0_14default_configENS1_20scan_config_selectorIfEEZZNS1_9scan_implILNS1_25lookback_scan_determinismE0ELb0ELb0ES3_PKfPffZZZN2at6native31launch_logcumsumexp_cuda_kernelERKNSB_10TensorBaseESF_lENKUlvE_clEvENKUlvE0_clEvEUlffE_fEEDaPvRmT3_T4_T5_mT6_P12ihipStream_tbENKUlT_T0_E_clISt17integral_constantIbLb0EESW_EEDaSR_SS_EUlSR_E_NS1_11comp_targetILNS1_3genE9ELNS1_11target_archE1100ELNS1_3gpuE3ELNS1_3repE0EEENS1_30default_config_static_selectorELNS0_4arch9wavefront6targetE0EEEvT1_.private_seg_size, 0
	.set _ZN7rocprim17ROCPRIM_400000_NS6detail17trampoline_kernelINS0_14default_configENS1_20scan_config_selectorIfEEZZNS1_9scan_implILNS1_25lookback_scan_determinismE0ELb0ELb0ES3_PKfPffZZZN2at6native31launch_logcumsumexp_cuda_kernelERKNSB_10TensorBaseESF_lENKUlvE_clEvENKUlvE0_clEvEUlffE_fEEDaPvRmT3_T4_T5_mT6_P12ihipStream_tbENKUlT_T0_E_clISt17integral_constantIbLb0EESW_EEDaSR_SS_EUlSR_E_NS1_11comp_targetILNS1_3genE9ELNS1_11target_archE1100ELNS1_3gpuE3ELNS1_3repE0EEENS1_30default_config_static_selectorELNS0_4arch9wavefront6targetE0EEEvT1_.uses_vcc, 0
	.set _ZN7rocprim17ROCPRIM_400000_NS6detail17trampoline_kernelINS0_14default_configENS1_20scan_config_selectorIfEEZZNS1_9scan_implILNS1_25lookback_scan_determinismE0ELb0ELb0ES3_PKfPffZZZN2at6native31launch_logcumsumexp_cuda_kernelERKNSB_10TensorBaseESF_lENKUlvE_clEvENKUlvE0_clEvEUlffE_fEEDaPvRmT3_T4_T5_mT6_P12ihipStream_tbENKUlT_T0_E_clISt17integral_constantIbLb0EESW_EEDaSR_SS_EUlSR_E_NS1_11comp_targetILNS1_3genE9ELNS1_11target_archE1100ELNS1_3gpuE3ELNS1_3repE0EEENS1_30default_config_static_selectorELNS0_4arch9wavefront6targetE0EEEvT1_.uses_flat_scratch, 0
	.set _ZN7rocprim17ROCPRIM_400000_NS6detail17trampoline_kernelINS0_14default_configENS1_20scan_config_selectorIfEEZZNS1_9scan_implILNS1_25lookback_scan_determinismE0ELb0ELb0ES3_PKfPffZZZN2at6native31launch_logcumsumexp_cuda_kernelERKNSB_10TensorBaseESF_lENKUlvE_clEvENKUlvE0_clEvEUlffE_fEEDaPvRmT3_T4_T5_mT6_P12ihipStream_tbENKUlT_T0_E_clISt17integral_constantIbLb0EESW_EEDaSR_SS_EUlSR_E_NS1_11comp_targetILNS1_3genE9ELNS1_11target_archE1100ELNS1_3gpuE3ELNS1_3repE0EEENS1_30default_config_static_selectorELNS0_4arch9wavefront6targetE0EEEvT1_.has_dyn_sized_stack, 0
	.set _ZN7rocprim17ROCPRIM_400000_NS6detail17trampoline_kernelINS0_14default_configENS1_20scan_config_selectorIfEEZZNS1_9scan_implILNS1_25lookback_scan_determinismE0ELb0ELb0ES3_PKfPffZZZN2at6native31launch_logcumsumexp_cuda_kernelERKNSB_10TensorBaseESF_lENKUlvE_clEvENKUlvE0_clEvEUlffE_fEEDaPvRmT3_T4_T5_mT6_P12ihipStream_tbENKUlT_T0_E_clISt17integral_constantIbLb0EESW_EEDaSR_SS_EUlSR_E_NS1_11comp_targetILNS1_3genE9ELNS1_11target_archE1100ELNS1_3gpuE3ELNS1_3repE0EEENS1_30default_config_static_selectorELNS0_4arch9wavefront6targetE0EEEvT1_.has_recursion, 0
	.set _ZN7rocprim17ROCPRIM_400000_NS6detail17trampoline_kernelINS0_14default_configENS1_20scan_config_selectorIfEEZZNS1_9scan_implILNS1_25lookback_scan_determinismE0ELb0ELb0ES3_PKfPffZZZN2at6native31launch_logcumsumexp_cuda_kernelERKNSB_10TensorBaseESF_lENKUlvE_clEvENKUlvE0_clEvEUlffE_fEEDaPvRmT3_T4_T5_mT6_P12ihipStream_tbENKUlT_T0_E_clISt17integral_constantIbLb0EESW_EEDaSR_SS_EUlSR_E_NS1_11comp_targetILNS1_3genE9ELNS1_11target_archE1100ELNS1_3gpuE3ELNS1_3repE0EEENS1_30default_config_static_selectorELNS0_4arch9wavefront6targetE0EEEvT1_.has_indirect_call, 0
	.section	.AMDGPU.csdata,"",@progbits
; Kernel info:
; codeLenInByte = 0
; TotalNumSgprs: 0
; NumVgprs: 0
; ScratchSize: 0
; MemoryBound: 0
; FloatMode: 240
; IeeeMode: 1
; LDSByteSize: 0 bytes/workgroup (compile time only)
; SGPRBlocks: 0
; VGPRBlocks: 0
; NumSGPRsForWavesPerEU: 1
; NumVGPRsForWavesPerEU: 1
; Occupancy: 16
; WaveLimiterHint : 0
; COMPUTE_PGM_RSRC2:SCRATCH_EN: 0
; COMPUTE_PGM_RSRC2:USER_SGPR: 2
; COMPUTE_PGM_RSRC2:TRAP_HANDLER: 0
; COMPUTE_PGM_RSRC2:TGID_X_EN: 1
; COMPUTE_PGM_RSRC2:TGID_Y_EN: 0
; COMPUTE_PGM_RSRC2:TGID_Z_EN: 0
; COMPUTE_PGM_RSRC2:TIDIG_COMP_CNT: 0
	.section	.text._ZN7rocprim17ROCPRIM_400000_NS6detail17trampoline_kernelINS0_14default_configENS1_20scan_config_selectorIfEEZZNS1_9scan_implILNS1_25lookback_scan_determinismE0ELb0ELb0ES3_PKfPffZZZN2at6native31launch_logcumsumexp_cuda_kernelERKNSB_10TensorBaseESF_lENKUlvE_clEvENKUlvE0_clEvEUlffE_fEEDaPvRmT3_T4_T5_mT6_P12ihipStream_tbENKUlT_T0_E_clISt17integral_constantIbLb0EESW_EEDaSR_SS_EUlSR_E_NS1_11comp_targetILNS1_3genE8ELNS1_11target_archE1030ELNS1_3gpuE2ELNS1_3repE0EEENS1_30default_config_static_selectorELNS0_4arch9wavefront6targetE0EEEvT1_,"axG",@progbits,_ZN7rocprim17ROCPRIM_400000_NS6detail17trampoline_kernelINS0_14default_configENS1_20scan_config_selectorIfEEZZNS1_9scan_implILNS1_25lookback_scan_determinismE0ELb0ELb0ES3_PKfPffZZZN2at6native31launch_logcumsumexp_cuda_kernelERKNSB_10TensorBaseESF_lENKUlvE_clEvENKUlvE0_clEvEUlffE_fEEDaPvRmT3_T4_T5_mT6_P12ihipStream_tbENKUlT_T0_E_clISt17integral_constantIbLb0EESW_EEDaSR_SS_EUlSR_E_NS1_11comp_targetILNS1_3genE8ELNS1_11target_archE1030ELNS1_3gpuE2ELNS1_3repE0EEENS1_30default_config_static_selectorELNS0_4arch9wavefront6targetE0EEEvT1_,comdat
	.globl	_ZN7rocprim17ROCPRIM_400000_NS6detail17trampoline_kernelINS0_14default_configENS1_20scan_config_selectorIfEEZZNS1_9scan_implILNS1_25lookback_scan_determinismE0ELb0ELb0ES3_PKfPffZZZN2at6native31launch_logcumsumexp_cuda_kernelERKNSB_10TensorBaseESF_lENKUlvE_clEvENKUlvE0_clEvEUlffE_fEEDaPvRmT3_T4_T5_mT6_P12ihipStream_tbENKUlT_T0_E_clISt17integral_constantIbLb0EESW_EEDaSR_SS_EUlSR_E_NS1_11comp_targetILNS1_3genE8ELNS1_11target_archE1030ELNS1_3gpuE2ELNS1_3repE0EEENS1_30default_config_static_selectorELNS0_4arch9wavefront6targetE0EEEvT1_ ; -- Begin function _ZN7rocprim17ROCPRIM_400000_NS6detail17trampoline_kernelINS0_14default_configENS1_20scan_config_selectorIfEEZZNS1_9scan_implILNS1_25lookback_scan_determinismE0ELb0ELb0ES3_PKfPffZZZN2at6native31launch_logcumsumexp_cuda_kernelERKNSB_10TensorBaseESF_lENKUlvE_clEvENKUlvE0_clEvEUlffE_fEEDaPvRmT3_T4_T5_mT6_P12ihipStream_tbENKUlT_T0_E_clISt17integral_constantIbLb0EESW_EEDaSR_SS_EUlSR_E_NS1_11comp_targetILNS1_3genE8ELNS1_11target_archE1030ELNS1_3gpuE2ELNS1_3repE0EEENS1_30default_config_static_selectorELNS0_4arch9wavefront6targetE0EEEvT1_
	.p2align	8
	.type	_ZN7rocprim17ROCPRIM_400000_NS6detail17trampoline_kernelINS0_14default_configENS1_20scan_config_selectorIfEEZZNS1_9scan_implILNS1_25lookback_scan_determinismE0ELb0ELb0ES3_PKfPffZZZN2at6native31launch_logcumsumexp_cuda_kernelERKNSB_10TensorBaseESF_lENKUlvE_clEvENKUlvE0_clEvEUlffE_fEEDaPvRmT3_T4_T5_mT6_P12ihipStream_tbENKUlT_T0_E_clISt17integral_constantIbLb0EESW_EEDaSR_SS_EUlSR_E_NS1_11comp_targetILNS1_3genE8ELNS1_11target_archE1030ELNS1_3gpuE2ELNS1_3repE0EEENS1_30default_config_static_selectorELNS0_4arch9wavefront6targetE0EEEvT1_,@function
_ZN7rocprim17ROCPRIM_400000_NS6detail17trampoline_kernelINS0_14default_configENS1_20scan_config_selectorIfEEZZNS1_9scan_implILNS1_25lookback_scan_determinismE0ELb0ELb0ES3_PKfPffZZZN2at6native31launch_logcumsumexp_cuda_kernelERKNSB_10TensorBaseESF_lENKUlvE_clEvENKUlvE0_clEvEUlffE_fEEDaPvRmT3_T4_T5_mT6_P12ihipStream_tbENKUlT_T0_E_clISt17integral_constantIbLb0EESW_EEDaSR_SS_EUlSR_E_NS1_11comp_targetILNS1_3genE8ELNS1_11target_archE1030ELNS1_3gpuE2ELNS1_3repE0EEENS1_30default_config_static_selectorELNS0_4arch9wavefront6targetE0EEEvT1_: ; @_ZN7rocprim17ROCPRIM_400000_NS6detail17trampoline_kernelINS0_14default_configENS1_20scan_config_selectorIfEEZZNS1_9scan_implILNS1_25lookback_scan_determinismE0ELb0ELb0ES3_PKfPffZZZN2at6native31launch_logcumsumexp_cuda_kernelERKNSB_10TensorBaseESF_lENKUlvE_clEvENKUlvE0_clEvEUlffE_fEEDaPvRmT3_T4_T5_mT6_P12ihipStream_tbENKUlT_T0_E_clISt17integral_constantIbLb0EESW_EEDaSR_SS_EUlSR_E_NS1_11comp_targetILNS1_3genE8ELNS1_11target_archE1030ELNS1_3gpuE2ELNS1_3repE0EEENS1_30default_config_static_selectorELNS0_4arch9wavefront6targetE0EEEvT1_
; %bb.0:
	.section	.rodata,"a",@progbits
	.p2align	6, 0x0
	.amdhsa_kernel _ZN7rocprim17ROCPRIM_400000_NS6detail17trampoline_kernelINS0_14default_configENS1_20scan_config_selectorIfEEZZNS1_9scan_implILNS1_25lookback_scan_determinismE0ELb0ELb0ES3_PKfPffZZZN2at6native31launch_logcumsumexp_cuda_kernelERKNSB_10TensorBaseESF_lENKUlvE_clEvENKUlvE0_clEvEUlffE_fEEDaPvRmT3_T4_T5_mT6_P12ihipStream_tbENKUlT_T0_E_clISt17integral_constantIbLb0EESW_EEDaSR_SS_EUlSR_E_NS1_11comp_targetILNS1_3genE8ELNS1_11target_archE1030ELNS1_3gpuE2ELNS1_3repE0EEENS1_30default_config_static_selectorELNS0_4arch9wavefront6targetE0EEEvT1_
		.amdhsa_group_segment_fixed_size 0
		.amdhsa_private_segment_fixed_size 0
		.amdhsa_kernarg_size 96
		.amdhsa_user_sgpr_count 2
		.amdhsa_user_sgpr_dispatch_ptr 0
		.amdhsa_user_sgpr_queue_ptr 0
		.amdhsa_user_sgpr_kernarg_segment_ptr 1
		.amdhsa_user_sgpr_dispatch_id 0
		.amdhsa_user_sgpr_private_segment_size 0
		.amdhsa_wavefront_size32 1
		.amdhsa_uses_dynamic_stack 0
		.amdhsa_enable_private_segment 0
		.amdhsa_system_sgpr_workgroup_id_x 1
		.amdhsa_system_sgpr_workgroup_id_y 0
		.amdhsa_system_sgpr_workgroup_id_z 0
		.amdhsa_system_sgpr_workgroup_info 0
		.amdhsa_system_vgpr_workitem_id 0
		.amdhsa_next_free_vgpr 1
		.amdhsa_next_free_sgpr 1
		.amdhsa_reserve_vcc 0
		.amdhsa_float_round_mode_32 0
		.amdhsa_float_round_mode_16_64 0
		.amdhsa_float_denorm_mode_32 3
		.amdhsa_float_denorm_mode_16_64 3
		.amdhsa_fp16_overflow 0
		.amdhsa_workgroup_processor_mode 1
		.amdhsa_memory_ordered 1
		.amdhsa_forward_progress 1
		.amdhsa_inst_pref_size 0
		.amdhsa_round_robin_scheduling 0
		.amdhsa_exception_fp_ieee_invalid_op 0
		.amdhsa_exception_fp_denorm_src 0
		.amdhsa_exception_fp_ieee_div_zero 0
		.amdhsa_exception_fp_ieee_overflow 0
		.amdhsa_exception_fp_ieee_underflow 0
		.amdhsa_exception_fp_ieee_inexact 0
		.amdhsa_exception_int_div_zero 0
	.end_amdhsa_kernel
	.section	.text._ZN7rocprim17ROCPRIM_400000_NS6detail17trampoline_kernelINS0_14default_configENS1_20scan_config_selectorIfEEZZNS1_9scan_implILNS1_25lookback_scan_determinismE0ELb0ELb0ES3_PKfPffZZZN2at6native31launch_logcumsumexp_cuda_kernelERKNSB_10TensorBaseESF_lENKUlvE_clEvENKUlvE0_clEvEUlffE_fEEDaPvRmT3_T4_T5_mT6_P12ihipStream_tbENKUlT_T0_E_clISt17integral_constantIbLb0EESW_EEDaSR_SS_EUlSR_E_NS1_11comp_targetILNS1_3genE8ELNS1_11target_archE1030ELNS1_3gpuE2ELNS1_3repE0EEENS1_30default_config_static_selectorELNS0_4arch9wavefront6targetE0EEEvT1_,"axG",@progbits,_ZN7rocprim17ROCPRIM_400000_NS6detail17trampoline_kernelINS0_14default_configENS1_20scan_config_selectorIfEEZZNS1_9scan_implILNS1_25lookback_scan_determinismE0ELb0ELb0ES3_PKfPffZZZN2at6native31launch_logcumsumexp_cuda_kernelERKNSB_10TensorBaseESF_lENKUlvE_clEvENKUlvE0_clEvEUlffE_fEEDaPvRmT3_T4_T5_mT6_P12ihipStream_tbENKUlT_T0_E_clISt17integral_constantIbLb0EESW_EEDaSR_SS_EUlSR_E_NS1_11comp_targetILNS1_3genE8ELNS1_11target_archE1030ELNS1_3gpuE2ELNS1_3repE0EEENS1_30default_config_static_selectorELNS0_4arch9wavefront6targetE0EEEvT1_,comdat
.Lfunc_end96:
	.size	_ZN7rocprim17ROCPRIM_400000_NS6detail17trampoline_kernelINS0_14default_configENS1_20scan_config_selectorIfEEZZNS1_9scan_implILNS1_25lookback_scan_determinismE0ELb0ELb0ES3_PKfPffZZZN2at6native31launch_logcumsumexp_cuda_kernelERKNSB_10TensorBaseESF_lENKUlvE_clEvENKUlvE0_clEvEUlffE_fEEDaPvRmT3_T4_T5_mT6_P12ihipStream_tbENKUlT_T0_E_clISt17integral_constantIbLb0EESW_EEDaSR_SS_EUlSR_E_NS1_11comp_targetILNS1_3genE8ELNS1_11target_archE1030ELNS1_3gpuE2ELNS1_3repE0EEENS1_30default_config_static_selectorELNS0_4arch9wavefront6targetE0EEEvT1_, .Lfunc_end96-_ZN7rocprim17ROCPRIM_400000_NS6detail17trampoline_kernelINS0_14default_configENS1_20scan_config_selectorIfEEZZNS1_9scan_implILNS1_25lookback_scan_determinismE0ELb0ELb0ES3_PKfPffZZZN2at6native31launch_logcumsumexp_cuda_kernelERKNSB_10TensorBaseESF_lENKUlvE_clEvENKUlvE0_clEvEUlffE_fEEDaPvRmT3_T4_T5_mT6_P12ihipStream_tbENKUlT_T0_E_clISt17integral_constantIbLb0EESW_EEDaSR_SS_EUlSR_E_NS1_11comp_targetILNS1_3genE8ELNS1_11target_archE1030ELNS1_3gpuE2ELNS1_3repE0EEENS1_30default_config_static_selectorELNS0_4arch9wavefront6targetE0EEEvT1_
                                        ; -- End function
	.set _ZN7rocprim17ROCPRIM_400000_NS6detail17trampoline_kernelINS0_14default_configENS1_20scan_config_selectorIfEEZZNS1_9scan_implILNS1_25lookback_scan_determinismE0ELb0ELb0ES3_PKfPffZZZN2at6native31launch_logcumsumexp_cuda_kernelERKNSB_10TensorBaseESF_lENKUlvE_clEvENKUlvE0_clEvEUlffE_fEEDaPvRmT3_T4_T5_mT6_P12ihipStream_tbENKUlT_T0_E_clISt17integral_constantIbLb0EESW_EEDaSR_SS_EUlSR_E_NS1_11comp_targetILNS1_3genE8ELNS1_11target_archE1030ELNS1_3gpuE2ELNS1_3repE0EEENS1_30default_config_static_selectorELNS0_4arch9wavefront6targetE0EEEvT1_.num_vgpr, 0
	.set _ZN7rocprim17ROCPRIM_400000_NS6detail17trampoline_kernelINS0_14default_configENS1_20scan_config_selectorIfEEZZNS1_9scan_implILNS1_25lookback_scan_determinismE0ELb0ELb0ES3_PKfPffZZZN2at6native31launch_logcumsumexp_cuda_kernelERKNSB_10TensorBaseESF_lENKUlvE_clEvENKUlvE0_clEvEUlffE_fEEDaPvRmT3_T4_T5_mT6_P12ihipStream_tbENKUlT_T0_E_clISt17integral_constantIbLb0EESW_EEDaSR_SS_EUlSR_E_NS1_11comp_targetILNS1_3genE8ELNS1_11target_archE1030ELNS1_3gpuE2ELNS1_3repE0EEENS1_30default_config_static_selectorELNS0_4arch9wavefront6targetE0EEEvT1_.num_agpr, 0
	.set _ZN7rocprim17ROCPRIM_400000_NS6detail17trampoline_kernelINS0_14default_configENS1_20scan_config_selectorIfEEZZNS1_9scan_implILNS1_25lookback_scan_determinismE0ELb0ELb0ES3_PKfPffZZZN2at6native31launch_logcumsumexp_cuda_kernelERKNSB_10TensorBaseESF_lENKUlvE_clEvENKUlvE0_clEvEUlffE_fEEDaPvRmT3_T4_T5_mT6_P12ihipStream_tbENKUlT_T0_E_clISt17integral_constantIbLb0EESW_EEDaSR_SS_EUlSR_E_NS1_11comp_targetILNS1_3genE8ELNS1_11target_archE1030ELNS1_3gpuE2ELNS1_3repE0EEENS1_30default_config_static_selectorELNS0_4arch9wavefront6targetE0EEEvT1_.numbered_sgpr, 0
	.set _ZN7rocprim17ROCPRIM_400000_NS6detail17trampoline_kernelINS0_14default_configENS1_20scan_config_selectorIfEEZZNS1_9scan_implILNS1_25lookback_scan_determinismE0ELb0ELb0ES3_PKfPffZZZN2at6native31launch_logcumsumexp_cuda_kernelERKNSB_10TensorBaseESF_lENKUlvE_clEvENKUlvE0_clEvEUlffE_fEEDaPvRmT3_T4_T5_mT6_P12ihipStream_tbENKUlT_T0_E_clISt17integral_constantIbLb0EESW_EEDaSR_SS_EUlSR_E_NS1_11comp_targetILNS1_3genE8ELNS1_11target_archE1030ELNS1_3gpuE2ELNS1_3repE0EEENS1_30default_config_static_selectorELNS0_4arch9wavefront6targetE0EEEvT1_.num_named_barrier, 0
	.set _ZN7rocprim17ROCPRIM_400000_NS6detail17trampoline_kernelINS0_14default_configENS1_20scan_config_selectorIfEEZZNS1_9scan_implILNS1_25lookback_scan_determinismE0ELb0ELb0ES3_PKfPffZZZN2at6native31launch_logcumsumexp_cuda_kernelERKNSB_10TensorBaseESF_lENKUlvE_clEvENKUlvE0_clEvEUlffE_fEEDaPvRmT3_T4_T5_mT6_P12ihipStream_tbENKUlT_T0_E_clISt17integral_constantIbLb0EESW_EEDaSR_SS_EUlSR_E_NS1_11comp_targetILNS1_3genE8ELNS1_11target_archE1030ELNS1_3gpuE2ELNS1_3repE0EEENS1_30default_config_static_selectorELNS0_4arch9wavefront6targetE0EEEvT1_.private_seg_size, 0
	.set _ZN7rocprim17ROCPRIM_400000_NS6detail17trampoline_kernelINS0_14default_configENS1_20scan_config_selectorIfEEZZNS1_9scan_implILNS1_25lookback_scan_determinismE0ELb0ELb0ES3_PKfPffZZZN2at6native31launch_logcumsumexp_cuda_kernelERKNSB_10TensorBaseESF_lENKUlvE_clEvENKUlvE0_clEvEUlffE_fEEDaPvRmT3_T4_T5_mT6_P12ihipStream_tbENKUlT_T0_E_clISt17integral_constantIbLb0EESW_EEDaSR_SS_EUlSR_E_NS1_11comp_targetILNS1_3genE8ELNS1_11target_archE1030ELNS1_3gpuE2ELNS1_3repE0EEENS1_30default_config_static_selectorELNS0_4arch9wavefront6targetE0EEEvT1_.uses_vcc, 0
	.set _ZN7rocprim17ROCPRIM_400000_NS6detail17trampoline_kernelINS0_14default_configENS1_20scan_config_selectorIfEEZZNS1_9scan_implILNS1_25lookback_scan_determinismE0ELb0ELb0ES3_PKfPffZZZN2at6native31launch_logcumsumexp_cuda_kernelERKNSB_10TensorBaseESF_lENKUlvE_clEvENKUlvE0_clEvEUlffE_fEEDaPvRmT3_T4_T5_mT6_P12ihipStream_tbENKUlT_T0_E_clISt17integral_constantIbLb0EESW_EEDaSR_SS_EUlSR_E_NS1_11comp_targetILNS1_3genE8ELNS1_11target_archE1030ELNS1_3gpuE2ELNS1_3repE0EEENS1_30default_config_static_selectorELNS0_4arch9wavefront6targetE0EEEvT1_.uses_flat_scratch, 0
	.set _ZN7rocprim17ROCPRIM_400000_NS6detail17trampoline_kernelINS0_14default_configENS1_20scan_config_selectorIfEEZZNS1_9scan_implILNS1_25lookback_scan_determinismE0ELb0ELb0ES3_PKfPffZZZN2at6native31launch_logcumsumexp_cuda_kernelERKNSB_10TensorBaseESF_lENKUlvE_clEvENKUlvE0_clEvEUlffE_fEEDaPvRmT3_T4_T5_mT6_P12ihipStream_tbENKUlT_T0_E_clISt17integral_constantIbLb0EESW_EEDaSR_SS_EUlSR_E_NS1_11comp_targetILNS1_3genE8ELNS1_11target_archE1030ELNS1_3gpuE2ELNS1_3repE0EEENS1_30default_config_static_selectorELNS0_4arch9wavefront6targetE0EEEvT1_.has_dyn_sized_stack, 0
	.set _ZN7rocprim17ROCPRIM_400000_NS6detail17trampoline_kernelINS0_14default_configENS1_20scan_config_selectorIfEEZZNS1_9scan_implILNS1_25lookback_scan_determinismE0ELb0ELb0ES3_PKfPffZZZN2at6native31launch_logcumsumexp_cuda_kernelERKNSB_10TensorBaseESF_lENKUlvE_clEvENKUlvE0_clEvEUlffE_fEEDaPvRmT3_T4_T5_mT6_P12ihipStream_tbENKUlT_T0_E_clISt17integral_constantIbLb0EESW_EEDaSR_SS_EUlSR_E_NS1_11comp_targetILNS1_3genE8ELNS1_11target_archE1030ELNS1_3gpuE2ELNS1_3repE0EEENS1_30default_config_static_selectorELNS0_4arch9wavefront6targetE0EEEvT1_.has_recursion, 0
	.set _ZN7rocprim17ROCPRIM_400000_NS6detail17trampoline_kernelINS0_14default_configENS1_20scan_config_selectorIfEEZZNS1_9scan_implILNS1_25lookback_scan_determinismE0ELb0ELb0ES3_PKfPffZZZN2at6native31launch_logcumsumexp_cuda_kernelERKNSB_10TensorBaseESF_lENKUlvE_clEvENKUlvE0_clEvEUlffE_fEEDaPvRmT3_T4_T5_mT6_P12ihipStream_tbENKUlT_T0_E_clISt17integral_constantIbLb0EESW_EEDaSR_SS_EUlSR_E_NS1_11comp_targetILNS1_3genE8ELNS1_11target_archE1030ELNS1_3gpuE2ELNS1_3repE0EEENS1_30default_config_static_selectorELNS0_4arch9wavefront6targetE0EEEvT1_.has_indirect_call, 0
	.section	.AMDGPU.csdata,"",@progbits
; Kernel info:
; codeLenInByte = 0
; TotalNumSgprs: 0
; NumVgprs: 0
; ScratchSize: 0
; MemoryBound: 0
; FloatMode: 240
; IeeeMode: 1
; LDSByteSize: 0 bytes/workgroup (compile time only)
; SGPRBlocks: 0
; VGPRBlocks: 0
; NumSGPRsForWavesPerEU: 1
; NumVGPRsForWavesPerEU: 1
; Occupancy: 16
; WaveLimiterHint : 0
; COMPUTE_PGM_RSRC2:SCRATCH_EN: 0
; COMPUTE_PGM_RSRC2:USER_SGPR: 2
; COMPUTE_PGM_RSRC2:TRAP_HANDLER: 0
; COMPUTE_PGM_RSRC2:TGID_X_EN: 1
; COMPUTE_PGM_RSRC2:TGID_Y_EN: 0
; COMPUTE_PGM_RSRC2:TGID_Z_EN: 0
; COMPUTE_PGM_RSRC2:TIDIG_COMP_CNT: 0
	.section	.text._ZN7rocprim17ROCPRIM_400000_NS6detail17trampoline_kernelINS0_14default_configENS1_25transform_config_selectorIfLb1EEEZNS1_14transform_implILb1ES3_S5_PfS7_NS0_8identityIfEEEE10hipError_tT2_T3_mT4_P12ihipStream_tbEUlT_E_NS1_11comp_targetILNS1_3genE0ELNS1_11target_archE4294967295ELNS1_3gpuE0ELNS1_3repE0EEENS1_30default_config_static_selectorELNS0_4arch9wavefront6targetE0EEEvT1_,"axG",@progbits,_ZN7rocprim17ROCPRIM_400000_NS6detail17trampoline_kernelINS0_14default_configENS1_25transform_config_selectorIfLb1EEEZNS1_14transform_implILb1ES3_S5_PfS7_NS0_8identityIfEEEE10hipError_tT2_T3_mT4_P12ihipStream_tbEUlT_E_NS1_11comp_targetILNS1_3genE0ELNS1_11target_archE4294967295ELNS1_3gpuE0ELNS1_3repE0EEENS1_30default_config_static_selectorELNS0_4arch9wavefront6targetE0EEEvT1_,comdat
	.protected	_ZN7rocprim17ROCPRIM_400000_NS6detail17trampoline_kernelINS0_14default_configENS1_25transform_config_selectorIfLb1EEEZNS1_14transform_implILb1ES3_S5_PfS7_NS0_8identityIfEEEE10hipError_tT2_T3_mT4_P12ihipStream_tbEUlT_E_NS1_11comp_targetILNS1_3genE0ELNS1_11target_archE4294967295ELNS1_3gpuE0ELNS1_3repE0EEENS1_30default_config_static_selectorELNS0_4arch9wavefront6targetE0EEEvT1_ ; -- Begin function _ZN7rocprim17ROCPRIM_400000_NS6detail17trampoline_kernelINS0_14default_configENS1_25transform_config_selectorIfLb1EEEZNS1_14transform_implILb1ES3_S5_PfS7_NS0_8identityIfEEEE10hipError_tT2_T3_mT4_P12ihipStream_tbEUlT_E_NS1_11comp_targetILNS1_3genE0ELNS1_11target_archE4294967295ELNS1_3gpuE0ELNS1_3repE0EEENS1_30default_config_static_selectorELNS0_4arch9wavefront6targetE0EEEvT1_
	.globl	_ZN7rocprim17ROCPRIM_400000_NS6detail17trampoline_kernelINS0_14default_configENS1_25transform_config_selectorIfLb1EEEZNS1_14transform_implILb1ES3_S5_PfS7_NS0_8identityIfEEEE10hipError_tT2_T3_mT4_P12ihipStream_tbEUlT_E_NS1_11comp_targetILNS1_3genE0ELNS1_11target_archE4294967295ELNS1_3gpuE0ELNS1_3repE0EEENS1_30default_config_static_selectorELNS0_4arch9wavefront6targetE0EEEvT1_
	.p2align	8
	.type	_ZN7rocprim17ROCPRIM_400000_NS6detail17trampoline_kernelINS0_14default_configENS1_25transform_config_selectorIfLb1EEEZNS1_14transform_implILb1ES3_S5_PfS7_NS0_8identityIfEEEE10hipError_tT2_T3_mT4_P12ihipStream_tbEUlT_E_NS1_11comp_targetILNS1_3genE0ELNS1_11target_archE4294967295ELNS1_3gpuE0ELNS1_3repE0EEENS1_30default_config_static_selectorELNS0_4arch9wavefront6targetE0EEEvT1_,@function
_ZN7rocprim17ROCPRIM_400000_NS6detail17trampoline_kernelINS0_14default_configENS1_25transform_config_selectorIfLb1EEEZNS1_14transform_implILb1ES3_S5_PfS7_NS0_8identityIfEEEE10hipError_tT2_T3_mT4_P12ihipStream_tbEUlT_E_NS1_11comp_targetILNS1_3genE0ELNS1_11target_archE4294967295ELNS1_3gpuE0ELNS1_3repE0EEENS1_30default_config_static_selectorELNS0_4arch9wavefront6targetE0EEEvT1_: ; @_ZN7rocprim17ROCPRIM_400000_NS6detail17trampoline_kernelINS0_14default_configENS1_25transform_config_selectorIfLb1EEEZNS1_14transform_implILb1ES3_S5_PfS7_NS0_8identityIfEEEE10hipError_tT2_T3_mT4_P12ihipStream_tbEUlT_E_NS1_11comp_targetILNS1_3genE0ELNS1_11target_archE4294967295ELNS1_3gpuE0ELNS1_3repE0EEENS1_30default_config_static_selectorELNS0_4arch9wavefront6targetE0EEEvT1_
; %bb.0:
	.section	.rodata,"a",@progbits
	.p2align	6, 0x0
	.amdhsa_kernel _ZN7rocprim17ROCPRIM_400000_NS6detail17trampoline_kernelINS0_14default_configENS1_25transform_config_selectorIfLb1EEEZNS1_14transform_implILb1ES3_S5_PfS7_NS0_8identityIfEEEE10hipError_tT2_T3_mT4_P12ihipStream_tbEUlT_E_NS1_11comp_targetILNS1_3genE0ELNS1_11target_archE4294967295ELNS1_3gpuE0ELNS1_3repE0EEENS1_30default_config_static_selectorELNS0_4arch9wavefront6targetE0EEEvT1_
		.amdhsa_group_segment_fixed_size 0
		.amdhsa_private_segment_fixed_size 0
		.amdhsa_kernarg_size 40
		.amdhsa_user_sgpr_count 2
		.amdhsa_user_sgpr_dispatch_ptr 0
		.amdhsa_user_sgpr_queue_ptr 0
		.amdhsa_user_sgpr_kernarg_segment_ptr 1
		.amdhsa_user_sgpr_dispatch_id 0
		.amdhsa_user_sgpr_private_segment_size 0
		.amdhsa_wavefront_size32 1
		.amdhsa_uses_dynamic_stack 0
		.amdhsa_enable_private_segment 0
		.amdhsa_system_sgpr_workgroup_id_x 1
		.amdhsa_system_sgpr_workgroup_id_y 0
		.amdhsa_system_sgpr_workgroup_id_z 0
		.amdhsa_system_sgpr_workgroup_info 0
		.amdhsa_system_vgpr_workitem_id 0
		.amdhsa_next_free_vgpr 1
		.amdhsa_next_free_sgpr 1
		.amdhsa_reserve_vcc 0
		.amdhsa_float_round_mode_32 0
		.amdhsa_float_round_mode_16_64 0
		.amdhsa_float_denorm_mode_32 3
		.amdhsa_float_denorm_mode_16_64 3
		.amdhsa_fp16_overflow 0
		.amdhsa_workgroup_processor_mode 1
		.amdhsa_memory_ordered 1
		.amdhsa_forward_progress 1
		.amdhsa_inst_pref_size 0
		.amdhsa_round_robin_scheduling 0
		.amdhsa_exception_fp_ieee_invalid_op 0
		.amdhsa_exception_fp_denorm_src 0
		.amdhsa_exception_fp_ieee_div_zero 0
		.amdhsa_exception_fp_ieee_overflow 0
		.amdhsa_exception_fp_ieee_underflow 0
		.amdhsa_exception_fp_ieee_inexact 0
		.amdhsa_exception_int_div_zero 0
	.end_amdhsa_kernel
	.section	.text._ZN7rocprim17ROCPRIM_400000_NS6detail17trampoline_kernelINS0_14default_configENS1_25transform_config_selectorIfLb1EEEZNS1_14transform_implILb1ES3_S5_PfS7_NS0_8identityIfEEEE10hipError_tT2_T3_mT4_P12ihipStream_tbEUlT_E_NS1_11comp_targetILNS1_3genE0ELNS1_11target_archE4294967295ELNS1_3gpuE0ELNS1_3repE0EEENS1_30default_config_static_selectorELNS0_4arch9wavefront6targetE0EEEvT1_,"axG",@progbits,_ZN7rocprim17ROCPRIM_400000_NS6detail17trampoline_kernelINS0_14default_configENS1_25transform_config_selectorIfLb1EEEZNS1_14transform_implILb1ES3_S5_PfS7_NS0_8identityIfEEEE10hipError_tT2_T3_mT4_P12ihipStream_tbEUlT_E_NS1_11comp_targetILNS1_3genE0ELNS1_11target_archE4294967295ELNS1_3gpuE0ELNS1_3repE0EEENS1_30default_config_static_selectorELNS0_4arch9wavefront6targetE0EEEvT1_,comdat
.Lfunc_end97:
	.size	_ZN7rocprim17ROCPRIM_400000_NS6detail17trampoline_kernelINS0_14default_configENS1_25transform_config_selectorIfLb1EEEZNS1_14transform_implILb1ES3_S5_PfS7_NS0_8identityIfEEEE10hipError_tT2_T3_mT4_P12ihipStream_tbEUlT_E_NS1_11comp_targetILNS1_3genE0ELNS1_11target_archE4294967295ELNS1_3gpuE0ELNS1_3repE0EEENS1_30default_config_static_selectorELNS0_4arch9wavefront6targetE0EEEvT1_, .Lfunc_end97-_ZN7rocprim17ROCPRIM_400000_NS6detail17trampoline_kernelINS0_14default_configENS1_25transform_config_selectorIfLb1EEEZNS1_14transform_implILb1ES3_S5_PfS7_NS0_8identityIfEEEE10hipError_tT2_T3_mT4_P12ihipStream_tbEUlT_E_NS1_11comp_targetILNS1_3genE0ELNS1_11target_archE4294967295ELNS1_3gpuE0ELNS1_3repE0EEENS1_30default_config_static_selectorELNS0_4arch9wavefront6targetE0EEEvT1_
                                        ; -- End function
	.set _ZN7rocprim17ROCPRIM_400000_NS6detail17trampoline_kernelINS0_14default_configENS1_25transform_config_selectorIfLb1EEEZNS1_14transform_implILb1ES3_S5_PfS7_NS0_8identityIfEEEE10hipError_tT2_T3_mT4_P12ihipStream_tbEUlT_E_NS1_11comp_targetILNS1_3genE0ELNS1_11target_archE4294967295ELNS1_3gpuE0ELNS1_3repE0EEENS1_30default_config_static_selectorELNS0_4arch9wavefront6targetE0EEEvT1_.num_vgpr, 0
	.set _ZN7rocprim17ROCPRIM_400000_NS6detail17trampoline_kernelINS0_14default_configENS1_25transform_config_selectorIfLb1EEEZNS1_14transform_implILb1ES3_S5_PfS7_NS0_8identityIfEEEE10hipError_tT2_T3_mT4_P12ihipStream_tbEUlT_E_NS1_11comp_targetILNS1_3genE0ELNS1_11target_archE4294967295ELNS1_3gpuE0ELNS1_3repE0EEENS1_30default_config_static_selectorELNS0_4arch9wavefront6targetE0EEEvT1_.num_agpr, 0
	.set _ZN7rocprim17ROCPRIM_400000_NS6detail17trampoline_kernelINS0_14default_configENS1_25transform_config_selectorIfLb1EEEZNS1_14transform_implILb1ES3_S5_PfS7_NS0_8identityIfEEEE10hipError_tT2_T3_mT4_P12ihipStream_tbEUlT_E_NS1_11comp_targetILNS1_3genE0ELNS1_11target_archE4294967295ELNS1_3gpuE0ELNS1_3repE0EEENS1_30default_config_static_selectorELNS0_4arch9wavefront6targetE0EEEvT1_.numbered_sgpr, 0
	.set _ZN7rocprim17ROCPRIM_400000_NS6detail17trampoline_kernelINS0_14default_configENS1_25transform_config_selectorIfLb1EEEZNS1_14transform_implILb1ES3_S5_PfS7_NS0_8identityIfEEEE10hipError_tT2_T3_mT4_P12ihipStream_tbEUlT_E_NS1_11comp_targetILNS1_3genE0ELNS1_11target_archE4294967295ELNS1_3gpuE0ELNS1_3repE0EEENS1_30default_config_static_selectorELNS0_4arch9wavefront6targetE0EEEvT1_.num_named_barrier, 0
	.set _ZN7rocprim17ROCPRIM_400000_NS6detail17trampoline_kernelINS0_14default_configENS1_25transform_config_selectorIfLb1EEEZNS1_14transform_implILb1ES3_S5_PfS7_NS0_8identityIfEEEE10hipError_tT2_T3_mT4_P12ihipStream_tbEUlT_E_NS1_11comp_targetILNS1_3genE0ELNS1_11target_archE4294967295ELNS1_3gpuE0ELNS1_3repE0EEENS1_30default_config_static_selectorELNS0_4arch9wavefront6targetE0EEEvT1_.private_seg_size, 0
	.set _ZN7rocprim17ROCPRIM_400000_NS6detail17trampoline_kernelINS0_14default_configENS1_25transform_config_selectorIfLb1EEEZNS1_14transform_implILb1ES3_S5_PfS7_NS0_8identityIfEEEE10hipError_tT2_T3_mT4_P12ihipStream_tbEUlT_E_NS1_11comp_targetILNS1_3genE0ELNS1_11target_archE4294967295ELNS1_3gpuE0ELNS1_3repE0EEENS1_30default_config_static_selectorELNS0_4arch9wavefront6targetE0EEEvT1_.uses_vcc, 0
	.set _ZN7rocprim17ROCPRIM_400000_NS6detail17trampoline_kernelINS0_14default_configENS1_25transform_config_selectorIfLb1EEEZNS1_14transform_implILb1ES3_S5_PfS7_NS0_8identityIfEEEE10hipError_tT2_T3_mT4_P12ihipStream_tbEUlT_E_NS1_11comp_targetILNS1_3genE0ELNS1_11target_archE4294967295ELNS1_3gpuE0ELNS1_3repE0EEENS1_30default_config_static_selectorELNS0_4arch9wavefront6targetE0EEEvT1_.uses_flat_scratch, 0
	.set _ZN7rocprim17ROCPRIM_400000_NS6detail17trampoline_kernelINS0_14default_configENS1_25transform_config_selectorIfLb1EEEZNS1_14transform_implILb1ES3_S5_PfS7_NS0_8identityIfEEEE10hipError_tT2_T3_mT4_P12ihipStream_tbEUlT_E_NS1_11comp_targetILNS1_3genE0ELNS1_11target_archE4294967295ELNS1_3gpuE0ELNS1_3repE0EEENS1_30default_config_static_selectorELNS0_4arch9wavefront6targetE0EEEvT1_.has_dyn_sized_stack, 0
	.set _ZN7rocprim17ROCPRIM_400000_NS6detail17trampoline_kernelINS0_14default_configENS1_25transform_config_selectorIfLb1EEEZNS1_14transform_implILb1ES3_S5_PfS7_NS0_8identityIfEEEE10hipError_tT2_T3_mT4_P12ihipStream_tbEUlT_E_NS1_11comp_targetILNS1_3genE0ELNS1_11target_archE4294967295ELNS1_3gpuE0ELNS1_3repE0EEENS1_30default_config_static_selectorELNS0_4arch9wavefront6targetE0EEEvT1_.has_recursion, 0
	.set _ZN7rocprim17ROCPRIM_400000_NS6detail17trampoline_kernelINS0_14default_configENS1_25transform_config_selectorIfLb1EEEZNS1_14transform_implILb1ES3_S5_PfS7_NS0_8identityIfEEEE10hipError_tT2_T3_mT4_P12ihipStream_tbEUlT_E_NS1_11comp_targetILNS1_3genE0ELNS1_11target_archE4294967295ELNS1_3gpuE0ELNS1_3repE0EEENS1_30default_config_static_selectorELNS0_4arch9wavefront6targetE0EEEvT1_.has_indirect_call, 0
	.section	.AMDGPU.csdata,"",@progbits
; Kernel info:
; codeLenInByte = 0
; TotalNumSgprs: 0
; NumVgprs: 0
; ScratchSize: 0
; MemoryBound: 0
; FloatMode: 240
; IeeeMode: 1
; LDSByteSize: 0 bytes/workgroup (compile time only)
; SGPRBlocks: 0
; VGPRBlocks: 0
; NumSGPRsForWavesPerEU: 1
; NumVGPRsForWavesPerEU: 1
; Occupancy: 16
; WaveLimiterHint : 0
; COMPUTE_PGM_RSRC2:SCRATCH_EN: 0
; COMPUTE_PGM_RSRC2:USER_SGPR: 2
; COMPUTE_PGM_RSRC2:TRAP_HANDLER: 0
; COMPUTE_PGM_RSRC2:TGID_X_EN: 1
; COMPUTE_PGM_RSRC2:TGID_Y_EN: 0
; COMPUTE_PGM_RSRC2:TGID_Z_EN: 0
; COMPUTE_PGM_RSRC2:TIDIG_COMP_CNT: 0
	.section	.text._ZN7rocprim17ROCPRIM_400000_NS6detail17trampoline_kernelINS0_14default_configENS1_25transform_config_selectorIfLb1EEEZNS1_14transform_implILb1ES3_S5_PfS7_NS0_8identityIfEEEE10hipError_tT2_T3_mT4_P12ihipStream_tbEUlT_E_NS1_11comp_targetILNS1_3genE10ELNS1_11target_archE1201ELNS1_3gpuE5ELNS1_3repE0EEENS1_30default_config_static_selectorELNS0_4arch9wavefront6targetE0EEEvT1_,"axG",@progbits,_ZN7rocprim17ROCPRIM_400000_NS6detail17trampoline_kernelINS0_14default_configENS1_25transform_config_selectorIfLb1EEEZNS1_14transform_implILb1ES3_S5_PfS7_NS0_8identityIfEEEE10hipError_tT2_T3_mT4_P12ihipStream_tbEUlT_E_NS1_11comp_targetILNS1_3genE10ELNS1_11target_archE1201ELNS1_3gpuE5ELNS1_3repE0EEENS1_30default_config_static_selectorELNS0_4arch9wavefront6targetE0EEEvT1_,comdat
	.protected	_ZN7rocprim17ROCPRIM_400000_NS6detail17trampoline_kernelINS0_14default_configENS1_25transform_config_selectorIfLb1EEEZNS1_14transform_implILb1ES3_S5_PfS7_NS0_8identityIfEEEE10hipError_tT2_T3_mT4_P12ihipStream_tbEUlT_E_NS1_11comp_targetILNS1_3genE10ELNS1_11target_archE1201ELNS1_3gpuE5ELNS1_3repE0EEENS1_30default_config_static_selectorELNS0_4arch9wavefront6targetE0EEEvT1_ ; -- Begin function _ZN7rocprim17ROCPRIM_400000_NS6detail17trampoline_kernelINS0_14default_configENS1_25transform_config_selectorIfLb1EEEZNS1_14transform_implILb1ES3_S5_PfS7_NS0_8identityIfEEEE10hipError_tT2_T3_mT4_P12ihipStream_tbEUlT_E_NS1_11comp_targetILNS1_3genE10ELNS1_11target_archE1201ELNS1_3gpuE5ELNS1_3repE0EEENS1_30default_config_static_selectorELNS0_4arch9wavefront6targetE0EEEvT1_
	.globl	_ZN7rocprim17ROCPRIM_400000_NS6detail17trampoline_kernelINS0_14default_configENS1_25transform_config_selectorIfLb1EEEZNS1_14transform_implILb1ES3_S5_PfS7_NS0_8identityIfEEEE10hipError_tT2_T3_mT4_P12ihipStream_tbEUlT_E_NS1_11comp_targetILNS1_3genE10ELNS1_11target_archE1201ELNS1_3gpuE5ELNS1_3repE0EEENS1_30default_config_static_selectorELNS0_4arch9wavefront6targetE0EEEvT1_
	.p2align	8
	.type	_ZN7rocprim17ROCPRIM_400000_NS6detail17trampoline_kernelINS0_14default_configENS1_25transform_config_selectorIfLb1EEEZNS1_14transform_implILb1ES3_S5_PfS7_NS0_8identityIfEEEE10hipError_tT2_T3_mT4_P12ihipStream_tbEUlT_E_NS1_11comp_targetILNS1_3genE10ELNS1_11target_archE1201ELNS1_3gpuE5ELNS1_3repE0EEENS1_30default_config_static_selectorELNS0_4arch9wavefront6targetE0EEEvT1_,@function
_ZN7rocprim17ROCPRIM_400000_NS6detail17trampoline_kernelINS0_14default_configENS1_25transform_config_selectorIfLb1EEEZNS1_14transform_implILb1ES3_S5_PfS7_NS0_8identityIfEEEE10hipError_tT2_T3_mT4_P12ihipStream_tbEUlT_E_NS1_11comp_targetILNS1_3genE10ELNS1_11target_archE1201ELNS1_3gpuE5ELNS1_3repE0EEENS1_30default_config_static_selectorELNS0_4arch9wavefront6targetE0EEEvT1_: ; @_ZN7rocprim17ROCPRIM_400000_NS6detail17trampoline_kernelINS0_14default_configENS1_25transform_config_selectorIfLb1EEEZNS1_14transform_implILb1ES3_S5_PfS7_NS0_8identityIfEEEE10hipError_tT2_T3_mT4_P12ihipStream_tbEUlT_E_NS1_11comp_targetILNS1_3genE10ELNS1_11target_archE1201ELNS1_3gpuE5ELNS1_3repE0EEENS1_30default_config_static_selectorELNS0_4arch9wavefront6targetE0EEEvT1_
; %bb.0:
	s_clause 0x1
	s_load_b256 s[4:11], s[0:1], 0x0
	s_load_b32 s12, s[0:1], 0x28
	s_lshl_b32 s0, ttmp9, 11
	s_mov_b32 s1, 0
	s_wait_kmcnt 0x0
	s_mov_b32 s9, -1
	s_lshl_b64 s[2:3], s[6:7], 2
	s_add_co_i32 s12, s12, -1
	s_add_nc_u64 s[6:7], s[4:5], s[2:3]
	s_lshl_b64 s[4:5], s[0:1], 2
	s_add_nc_u64 s[2:3], s[10:11], s[2:3]
	s_cmp_lg_u32 ttmp9, s12
	s_add_nc_u64 s[6:7], s[6:7], s[4:5]
	s_cbranch_scc0 .LBB98_2
; %bb.1:
	v_lshlrev_b32_e32 v3, 3, v0
	s_add_nc_u64 s[10:11], s[2:3], s[4:5]
	s_mov_b32 s9, 0
	global_load_b64 v[1:2], v3, s[6:7] th:TH_LOAD_NT
	s_wait_loadcnt 0x0
	global_store_b64 v3, v[1:2], s[10:11]
.LBB98_2:
	s_and_not1_b32 vcc_lo, exec_lo, s9
	s_cbranch_vccnz .LBB98_11
; %bb.3:
	v_mov_b32_e32 v1, 0
	s_sub_co_i32 s1, s8, s0
	s_delay_alu instid0(SALU_CYCLE_1) | instskip(NEXT) | instid1(VALU_DEP_2)
	v_cmp_gt_u32_e32 vcc_lo, s1, v0
	v_mov_b32_e32 v2, v1
	s_and_saveexec_b32 s0, vcc_lo
	s_cbranch_execz .LBB98_5
; %bb.4:
	v_dual_mov_b32 v3, v1 :: v_dual_lshlrev_b32 v2, 2, v0
	global_load_b32 v2, v2, s[6:7]
	s_wait_loadcnt 0x0
	v_mov_b32_e32 v1, v2
	v_mov_b32_e32 v2, v3
.LBB98_5:
	s_wait_alu 0xfffe
	s_or_b32 exec_lo, exec_lo, s0
	v_or_b32_e32 v3, 0x400, v0
	s_delay_alu instid0(VALU_DEP_1) | instskip(SKIP_2) | instid1(SALU_CYCLE_1)
	v_cmp_gt_u32_e64 s0, s1, v3
	v_cmp_le_u32_e64 s1, s1, v3
	s_and_saveexec_b32 s8, s1
	s_xor_b32 s1, exec_lo, s8
	s_wait_alu 0xfffe
	s_and_not1_saveexec_b32 s1, s1
	s_cbranch_execz .LBB98_7
; %bb.6:
	v_lshlrev_b32_e32 v2, 2, v0
	global_load_b32 v2, v2, s[6:7] offset:4096
.LBB98_7:
	s_wait_alu 0xfffe
	s_or_b32 exec_lo, exec_lo, s1
	v_dual_cndmask_b32 v3, 0, v1 :: v_dual_lshlrev_b32 v0, 2, v0
	s_add_nc_u64 s[2:3], s[2:3], s[4:5]
	s_delay_alu instid0(VALU_DEP_1) | instid1(SALU_CYCLE_1)
	v_add_co_u32 v0, s1, s2, v0
	s_wait_alu 0xf1ff
	v_add_co_ci_u32_e64 v1, null, s3, 0, s1
	s_and_saveexec_b32 s1, vcc_lo
	s_cbranch_execz .LBB98_9
; %bb.8:
	global_store_b32 v[0:1], v3, off
.LBB98_9:
	s_wait_alu 0xfffe
	s_or_b32 exec_lo, exec_lo, s1
	s_and_saveexec_b32 s1, s0
	s_cbranch_execz .LBB98_11
; %bb.10:
	s_wait_loadcnt 0x0
	v_cndmask_b32_e64 v2, 0, v2, s0
	global_store_b32 v[0:1], v2, off offset:4096
.LBB98_11:
	s_endpgm
	.section	.rodata,"a",@progbits
	.p2align	6, 0x0
	.amdhsa_kernel _ZN7rocprim17ROCPRIM_400000_NS6detail17trampoline_kernelINS0_14default_configENS1_25transform_config_selectorIfLb1EEEZNS1_14transform_implILb1ES3_S5_PfS7_NS0_8identityIfEEEE10hipError_tT2_T3_mT4_P12ihipStream_tbEUlT_E_NS1_11comp_targetILNS1_3genE10ELNS1_11target_archE1201ELNS1_3gpuE5ELNS1_3repE0EEENS1_30default_config_static_selectorELNS0_4arch9wavefront6targetE0EEEvT1_
		.amdhsa_group_segment_fixed_size 0
		.amdhsa_private_segment_fixed_size 0
		.amdhsa_kernarg_size 296
		.amdhsa_user_sgpr_count 2
		.amdhsa_user_sgpr_dispatch_ptr 0
		.amdhsa_user_sgpr_queue_ptr 0
		.amdhsa_user_sgpr_kernarg_segment_ptr 1
		.amdhsa_user_sgpr_dispatch_id 0
		.amdhsa_user_sgpr_private_segment_size 0
		.amdhsa_wavefront_size32 1
		.amdhsa_uses_dynamic_stack 0
		.amdhsa_enable_private_segment 0
		.amdhsa_system_sgpr_workgroup_id_x 1
		.amdhsa_system_sgpr_workgroup_id_y 0
		.amdhsa_system_sgpr_workgroup_id_z 0
		.amdhsa_system_sgpr_workgroup_info 0
		.amdhsa_system_vgpr_workitem_id 0
		.amdhsa_next_free_vgpr 4
		.amdhsa_next_free_sgpr 13
		.amdhsa_reserve_vcc 1
		.amdhsa_float_round_mode_32 0
		.amdhsa_float_round_mode_16_64 0
		.amdhsa_float_denorm_mode_32 3
		.amdhsa_float_denorm_mode_16_64 3
		.amdhsa_fp16_overflow 0
		.amdhsa_workgroup_processor_mode 1
		.amdhsa_memory_ordered 1
		.amdhsa_forward_progress 1
		.amdhsa_inst_pref_size 3
		.amdhsa_round_robin_scheduling 0
		.amdhsa_exception_fp_ieee_invalid_op 0
		.amdhsa_exception_fp_denorm_src 0
		.amdhsa_exception_fp_ieee_div_zero 0
		.amdhsa_exception_fp_ieee_overflow 0
		.amdhsa_exception_fp_ieee_underflow 0
		.amdhsa_exception_fp_ieee_inexact 0
		.amdhsa_exception_int_div_zero 0
	.end_amdhsa_kernel
	.section	.text._ZN7rocprim17ROCPRIM_400000_NS6detail17trampoline_kernelINS0_14default_configENS1_25transform_config_selectorIfLb1EEEZNS1_14transform_implILb1ES3_S5_PfS7_NS0_8identityIfEEEE10hipError_tT2_T3_mT4_P12ihipStream_tbEUlT_E_NS1_11comp_targetILNS1_3genE10ELNS1_11target_archE1201ELNS1_3gpuE5ELNS1_3repE0EEENS1_30default_config_static_selectorELNS0_4arch9wavefront6targetE0EEEvT1_,"axG",@progbits,_ZN7rocprim17ROCPRIM_400000_NS6detail17trampoline_kernelINS0_14default_configENS1_25transform_config_selectorIfLb1EEEZNS1_14transform_implILb1ES3_S5_PfS7_NS0_8identityIfEEEE10hipError_tT2_T3_mT4_P12ihipStream_tbEUlT_E_NS1_11comp_targetILNS1_3genE10ELNS1_11target_archE1201ELNS1_3gpuE5ELNS1_3repE0EEENS1_30default_config_static_selectorELNS0_4arch9wavefront6targetE0EEEvT1_,comdat
.Lfunc_end98:
	.size	_ZN7rocprim17ROCPRIM_400000_NS6detail17trampoline_kernelINS0_14default_configENS1_25transform_config_selectorIfLb1EEEZNS1_14transform_implILb1ES3_S5_PfS7_NS0_8identityIfEEEE10hipError_tT2_T3_mT4_P12ihipStream_tbEUlT_E_NS1_11comp_targetILNS1_3genE10ELNS1_11target_archE1201ELNS1_3gpuE5ELNS1_3repE0EEENS1_30default_config_static_selectorELNS0_4arch9wavefront6targetE0EEEvT1_, .Lfunc_end98-_ZN7rocprim17ROCPRIM_400000_NS6detail17trampoline_kernelINS0_14default_configENS1_25transform_config_selectorIfLb1EEEZNS1_14transform_implILb1ES3_S5_PfS7_NS0_8identityIfEEEE10hipError_tT2_T3_mT4_P12ihipStream_tbEUlT_E_NS1_11comp_targetILNS1_3genE10ELNS1_11target_archE1201ELNS1_3gpuE5ELNS1_3repE0EEENS1_30default_config_static_selectorELNS0_4arch9wavefront6targetE0EEEvT1_
                                        ; -- End function
	.set _ZN7rocprim17ROCPRIM_400000_NS6detail17trampoline_kernelINS0_14default_configENS1_25transform_config_selectorIfLb1EEEZNS1_14transform_implILb1ES3_S5_PfS7_NS0_8identityIfEEEE10hipError_tT2_T3_mT4_P12ihipStream_tbEUlT_E_NS1_11comp_targetILNS1_3genE10ELNS1_11target_archE1201ELNS1_3gpuE5ELNS1_3repE0EEENS1_30default_config_static_selectorELNS0_4arch9wavefront6targetE0EEEvT1_.num_vgpr, 4
	.set _ZN7rocprim17ROCPRIM_400000_NS6detail17trampoline_kernelINS0_14default_configENS1_25transform_config_selectorIfLb1EEEZNS1_14transform_implILb1ES3_S5_PfS7_NS0_8identityIfEEEE10hipError_tT2_T3_mT4_P12ihipStream_tbEUlT_E_NS1_11comp_targetILNS1_3genE10ELNS1_11target_archE1201ELNS1_3gpuE5ELNS1_3repE0EEENS1_30default_config_static_selectorELNS0_4arch9wavefront6targetE0EEEvT1_.num_agpr, 0
	.set _ZN7rocprim17ROCPRIM_400000_NS6detail17trampoline_kernelINS0_14default_configENS1_25transform_config_selectorIfLb1EEEZNS1_14transform_implILb1ES3_S5_PfS7_NS0_8identityIfEEEE10hipError_tT2_T3_mT4_P12ihipStream_tbEUlT_E_NS1_11comp_targetILNS1_3genE10ELNS1_11target_archE1201ELNS1_3gpuE5ELNS1_3repE0EEENS1_30default_config_static_selectorELNS0_4arch9wavefront6targetE0EEEvT1_.numbered_sgpr, 13
	.set _ZN7rocprim17ROCPRIM_400000_NS6detail17trampoline_kernelINS0_14default_configENS1_25transform_config_selectorIfLb1EEEZNS1_14transform_implILb1ES3_S5_PfS7_NS0_8identityIfEEEE10hipError_tT2_T3_mT4_P12ihipStream_tbEUlT_E_NS1_11comp_targetILNS1_3genE10ELNS1_11target_archE1201ELNS1_3gpuE5ELNS1_3repE0EEENS1_30default_config_static_selectorELNS0_4arch9wavefront6targetE0EEEvT1_.num_named_barrier, 0
	.set _ZN7rocprim17ROCPRIM_400000_NS6detail17trampoline_kernelINS0_14default_configENS1_25transform_config_selectorIfLb1EEEZNS1_14transform_implILb1ES3_S5_PfS7_NS0_8identityIfEEEE10hipError_tT2_T3_mT4_P12ihipStream_tbEUlT_E_NS1_11comp_targetILNS1_3genE10ELNS1_11target_archE1201ELNS1_3gpuE5ELNS1_3repE0EEENS1_30default_config_static_selectorELNS0_4arch9wavefront6targetE0EEEvT1_.private_seg_size, 0
	.set _ZN7rocprim17ROCPRIM_400000_NS6detail17trampoline_kernelINS0_14default_configENS1_25transform_config_selectorIfLb1EEEZNS1_14transform_implILb1ES3_S5_PfS7_NS0_8identityIfEEEE10hipError_tT2_T3_mT4_P12ihipStream_tbEUlT_E_NS1_11comp_targetILNS1_3genE10ELNS1_11target_archE1201ELNS1_3gpuE5ELNS1_3repE0EEENS1_30default_config_static_selectorELNS0_4arch9wavefront6targetE0EEEvT1_.uses_vcc, 1
	.set _ZN7rocprim17ROCPRIM_400000_NS6detail17trampoline_kernelINS0_14default_configENS1_25transform_config_selectorIfLb1EEEZNS1_14transform_implILb1ES3_S5_PfS7_NS0_8identityIfEEEE10hipError_tT2_T3_mT4_P12ihipStream_tbEUlT_E_NS1_11comp_targetILNS1_3genE10ELNS1_11target_archE1201ELNS1_3gpuE5ELNS1_3repE0EEENS1_30default_config_static_selectorELNS0_4arch9wavefront6targetE0EEEvT1_.uses_flat_scratch, 0
	.set _ZN7rocprim17ROCPRIM_400000_NS6detail17trampoline_kernelINS0_14default_configENS1_25transform_config_selectorIfLb1EEEZNS1_14transform_implILb1ES3_S5_PfS7_NS0_8identityIfEEEE10hipError_tT2_T3_mT4_P12ihipStream_tbEUlT_E_NS1_11comp_targetILNS1_3genE10ELNS1_11target_archE1201ELNS1_3gpuE5ELNS1_3repE0EEENS1_30default_config_static_selectorELNS0_4arch9wavefront6targetE0EEEvT1_.has_dyn_sized_stack, 0
	.set _ZN7rocprim17ROCPRIM_400000_NS6detail17trampoline_kernelINS0_14default_configENS1_25transform_config_selectorIfLb1EEEZNS1_14transform_implILb1ES3_S5_PfS7_NS0_8identityIfEEEE10hipError_tT2_T3_mT4_P12ihipStream_tbEUlT_E_NS1_11comp_targetILNS1_3genE10ELNS1_11target_archE1201ELNS1_3gpuE5ELNS1_3repE0EEENS1_30default_config_static_selectorELNS0_4arch9wavefront6targetE0EEEvT1_.has_recursion, 0
	.set _ZN7rocprim17ROCPRIM_400000_NS6detail17trampoline_kernelINS0_14default_configENS1_25transform_config_selectorIfLb1EEEZNS1_14transform_implILb1ES3_S5_PfS7_NS0_8identityIfEEEE10hipError_tT2_T3_mT4_P12ihipStream_tbEUlT_E_NS1_11comp_targetILNS1_3genE10ELNS1_11target_archE1201ELNS1_3gpuE5ELNS1_3repE0EEENS1_30default_config_static_selectorELNS0_4arch9wavefront6targetE0EEEvT1_.has_indirect_call, 0
	.section	.AMDGPU.csdata,"",@progbits
; Kernel info:
; codeLenInByte = 356
; TotalNumSgprs: 15
; NumVgprs: 4
; ScratchSize: 0
; MemoryBound: 0
; FloatMode: 240
; IeeeMode: 1
; LDSByteSize: 0 bytes/workgroup (compile time only)
; SGPRBlocks: 0
; VGPRBlocks: 0
; NumSGPRsForWavesPerEU: 15
; NumVGPRsForWavesPerEU: 4
; Occupancy: 16
; WaveLimiterHint : 0
; COMPUTE_PGM_RSRC2:SCRATCH_EN: 0
; COMPUTE_PGM_RSRC2:USER_SGPR: 2
; COMPUTE_PGM_RSRC2:TRAP_HANDLER: 0
; COMPUTE_PGM_RSRC2:TGID_X_EN: 1
; COMPUTE_PGM_RSRC2:TGID_Y_EN: 0
; COMPUTE_PGM_RSRC2:TGID_Z_EN: 0
; COMPUTE_PGM_RSRC2:TIDIG_COMP_CNT: 0
	.section	.text._ZN7rocprim17ROCPRIM_400000_NS6detail17trampoline_kernelINS0_14default_configENS1_25transform_config_selectorIfLb1EEEZNS1_14transform_implILb1ES3_S5_PfS7_NS0_8identityIfEEEE10hipError_tT2_T3_mT4_P12ihipStream_tbEUlT_E_NS1_11comp_targetILNS1_3genE5ELNS1_11target_archE942ELNS1_3gpuE9ELNS1_3repE0EEENS1_30default_config_static_selectorELNS0_4arch9wavefront6targetE0EEEvT1_,"axG",@progbits,_ZN7rocprim17ROCPRIM_400000_NS6detail17trampoline_kernelINS0_14default_configENS1_25transform_config_selectorIfLb1EEEZNS1_14transform_implILb1ES3_S5_PfS7_NS0_8identityIfEEEE10hipError_tT2_T3_mT4_P12ihipStream_tbEUlT_E_NS1_11comp_targetILNS1_3genE5ELNS1_11target_archE942ELNS1_3gpuE9ELNS1_3repE0EEENS1_30default_config_static_selectorELNS0_4arch9wavefront6targetE0EEEvT1_,comdat
	.protected	_ZN7rocprim17ROCPRIM_400000_NS6detail17trampoline_kernelINS0_14default_configENS1_25transform_config_selectorIfLb1EEEZNS1_14transform_implILb1ES3_S5_PfS7_NS0_8identityIfEEEE10hipError_tT2_T3_mT4_P12ihipStream_tbEUlT_E_NS1_11comp_targetILNS1_3genE5ELNS1_11target_archE942ELNS1_3gpuE9ELNS1_3repE0EEENS1_30default_config_static_selectorELNS0_4arch9wavefront6targetE0EEEvT1_ ; -- Begin function _ZN7rocprim17ROCPRIM_400000_NS6detail17trampoline_kernelINS0_14default_configENS1_25transform_config_selectorIfLb1EEEZNS1_14transform_implILb1ES3_S5_PfS7_NS0_8identityIfEEEE10hipError_tT2_T3_mT4_P12ihipStream_tbEUlT_E_NS1_11comp_targetILNS1_3genE5ELNS1_11target_archE942ELNS1_3gpuE9ELNS1_3repE0EEENS1_30default_config_static_selectorELNS0_4arch9wavefront6targetE0EEEvT1_
	.globl	_ZN7rocprim17ROCPRIM_400000_NS6detail17trampoline_kernelINS0_14default_configENS1_25transform_config_selectorIfLb1EEEZNS1_14transform_implILb1ES3_S5_PfS7_NS0_8identityIfEEEE10hipError_tT2_T3_mT4_P12ihipStream_tbEUlT_E_NS1_11comp_targetILNS1_3genE5ELNS1_11target_archE942ELNS1_3gpuE9ELNS1_3repE0EEENS1_30default_config_static_selectorELNS0_4arch9wavefront6targetE0EEEvT1_
	.p2align	8
	.type	_ZN7rocprim17ROCPRIM_400000_NS6detail17trampoline_kernelINS0_14default_configENS1_25transform_config_selectorIfLb1EEEZNS1_14transform_implILb1ES3_S5_PfS7_NS0_8identityIfEEEE10hipError_tT2_T3_mT4_P12ihipStream_tbEUlT_E_NS1_11comp_targetILNS1_3genE5ELNS1_11target_archE942ELNS1_3gpuE9ELNS1_3repE0EEENS1_30default_config_static_selectorELNS0_4arch9wavefront6targetE0EEEvT1_,@function
_ZN7rocprim17ROCPRIM_400000_NS6detail17trampoline_kernelINS0_14default_configENS1_25transform_config_selectorIfLb1EEEZNS1_14transform_implILb1ES3_S5_PfS7_NS0_8identityIfEEEE10hipError_tT2_T3_mT4_P12ihipStream_tbEUlT_E_NS1_11comp_targetILNS1_3genE5ELNS1_11target_archE942ELNS1_3gpuE9ELNS1_3repE0EEENS1_30default_config_static_selectorELNS0_4arch9wavefront6targetE0EEEvT1_: ; @_ZN7rocprim17ROCPRIM_400000_NS6detail17trampoline_kernelINS0_14default_configENS1_25transform_config_selectorIfLb1EEEZNS1_14transform_implILb1ES3_S5_PfS7_NS0_8identityIfEEEE10hipError_tT2_T3_mT4_P12ihipStream_tbEUlT_E_NS1_11comp_targetILNS1_3genE5ELNS1_11target_archE942ELNS1_3gpuE9ELNS1_3repE0EEENS1_30default_config_static_selectorELNS0_4arch9wavefront6targetE0EEEvT1_
; %bb.0:
	.section	.rodata,"a",@progbits
	.p2align	6, 0x0
	.amdhsa_kernel _ZN7rocprim17ROCPRIM_400000_NS6detail17trampoline_kernelINS0_14default_configENS1_25transform_config_selectorIfLb1EEEZNS1_14transform_implILb1ES3_S5_PfS7_NS0_8identityIfEEEE10hipError_tT2_T3_mT4_P12ihipStream_tbEUlT_E_NS1_11comp_targetILNS1_3genE5ELNS1_11target_archE942ELNS1_3gpuE9ELNS1_3repE0EEENS1_30default_config_static_selectorELNS0_4arch9wavefront6targetE0EEEvT1_
		.amdhsa_group_segment_fixed_size 0
		.amdhsa_private_segment_fixed_size 0
		.amdhsa_kernarg_size 40
		.amdhsa_user_sgpr_count 2
		.amdhsa_user_sgpr_dispatch_ptr 0
		.amdhsa_user_sgpr_queue_ptr 0
		.amdhsa_user_sgpr_kernarg_segment_ptr 1
		.amdhsa_user_sgpr_dispatch_id 0
		.amdhsa_user_sgpr_private_segment_size 0
		.amdhsa_wavefront_size32 1
		.amdhsa_uses_dynamic_stack 0
		.amdhsa_enable_private_segment 0
		.amdhsa_system_sgpr_workgroup_id_x 1
		.amdhsa_system_sgpr_workgroup_id_y 0
		.amdhsa_system_sgpr_workgroup_id_z 0
		.amdhsa_system_sgpr_workgroup_info 0
		.amdhsa_system_vgpr_workitem_id 0
		.amdhsa_next_free_vgpr 1
		.amdhsa_next_free_sgpr 1
		.amdhsa_reserve_vcc 0
		.amdhsa_float_round_mode_32 0
		.amdhsa_float_round_mode_16_64 0
		.amdhsa_float_denorm_mode_32 3
		.amdhsa_float_denorm_mode_16_64 3
		.amdhsa_fp16_overflow 0
		.amdhsa_workgroup_processor_mode 1
		.amdhsa_memory_ordered 1
		.amdhsa_forward_progress 1
		.amdhsa_inst_pref_size 0
		.amdhsa_round_robin_scheduling 0
		.amdhsa_exception_fp_ieee_invalid_op 0
		.amdhsa_exception_fp_denorm_src 0
		.amdhsa_exception_fp_ieee_div_zero 0
		.amdhsa_exception_fp_ieee_overflow 0
		.amdhsa_exception_fp_ieee_underflow 0
		.amdhsa_exception_fp_ieee_inexact 0
		.amdhsa_exception_int_div_zero 0
	.end_amdhsa_kernel
	.section	.text._ZN7rocprim17ROCPRIM_400000_NS6detail17trampoline_kernelINS0_14default_configENS1_25transform_config_selectorIfLb1EEEZNS1_14transform_implILb1ES3_S5_PfS7_NS0_8identityIfEEEE10hipError_tT2_T3_mT4_P12ihipStream_tbEUlT_E_NS1_11comp_targetILNS1_3genE5ELNS1_11target_archE942ELNS1_3gpuE9ELNS1_3repE0EEENS1_30default_config_static_selectorELNS0_4arch9wavefront6targetE0EEEvT1_,"axG",@progbits,_ZN7rocprim17ROCPRIM_400000_NS6detail17trampoline_kernelINS0_14default_configENS1_25transform_config_selectorIfLb1EEEZNS1_14transform_implILb1ES3_S5_PfS7_NS0_8identityIfEEEE10hipError_tT2_T3_mT4_P12ihipStream_tbEUlT_E_NS1_11comp_targetILNS1_3genE5ELNS1_11target_archE942ELNS1_3gpuE9ELNS1_3repE0EEENS1_30default_config_static_selectorELNS0_4arch9wavefront6targetE0EEEvT1_,comdat
.Lfunc_end99:
	.size	_ZN7rocprim17ROCPRIM_400000_NS6detail17trampoline_kernelINS0_14default_configENS1_25transform_config_selectorIfLb1EEEZNS1_14transform_implILb1ES3_S5_PfS7_NS0_8identityIfEEEE10hipError_tT2_T3_mT4_P12ihipStream_tbEUlT_E_NS1_11comp_targetILNS1_3genE5ELNS1_11target_archE942ELNS1_3gpuE9ELNS1_3repE0EEENS1_30default_config_static_selectorELNS0_4arch9wavefront6targetE0EEEvT1_, .Lfunc_end99-_ZN7rocprim17ROCPRIM_400000_NS6detail17trampoline_kernelINS0_14default_configENS1_25transform_config_selectorIfLb1EEEZNS1_14transform_implILb1ES3_S5_PfS7_NS0_8identityIfEEEE10hipError_tT2_T3_mT4_P12ihipStream_tbEUlT_E_NS1_11comp_targetILNS1_3genE5ELNS1_11target_archE942ELNS1_3gpuE9ELNS1_3repE0EEENS1_30default_config_static_selectorELNS0_4arch9wavefront6targetE0EEEvT1_
                                        ; -- End function
	.set _ZN7rocprim17ROCPRIM_400000_NS6detail17trampoline_kernelINS0_14default_configENS1_25transform_config_selectorIfLb1EEEZNS1_14transform_implILb1ES3_S5_PfS7_NS0_8identityIfEEEE10hipError_tT2_T3_mT4_P12ihipStream_tbEUlT_E_NS1_11comp_targetILNS1_3genE5ELNS1_11target_archE942ELNS1_3gpuE9ELNS1_3repE0EEENS1_30default_config_static_selectorELNS0_4arch9wavefront6targetE0EEEvT1_.num_vgpr, 0
	.set _ZN7rocprim17ROCPRIM_400000_NS6detail17trampoline_kernelINS0_14default_configENS1_25transform_config_selectorIfLb1EEEZNS1_14transform_implILb1ES3_S5_PfS7_NS0_8identityIfEEEE10hipError_tT2_T3_mT4_P12ihipStream_tbEUlT_E_NS1_11comp_targetILNS1_3genE5ELNS1_11target_archE942ELNS1_3gpuE9ELNS1_3repE0EEENS1_30default_config_static_selectorELNS0_4arch9wavefront6targetE0EEEvT1_.num_agpr, 0
	.set _ZN7rocprim17ROCPRIM_400000_NS6detail17trampoline_kernelINS0_14default_configENS1_25transform_config_selectorIfLb1EEEZNS1_14transform_implILb1ES3_S5_PfS7_NS0_8identityIfEEEE10hipError_tT2_T3_mT4_P12ihipStream_tbEUlT_E_NS1_11comp_targetILNS1_3genE5ELNS1_11target_archE942ELNS1_3gpuE9ELNS1_3repE0EEENS1_30default_config_static_selectorELNS0_4arch9wavefront6targetE0EEEvT1_.numbered_sgpr, 0
	.set _ZN7rocprim17ROCPRIM_400000_NS6detail17trampoline_kernelINS0_14default_configENS1_25transform_config_selectorIfLb1EEEZNS1_14transform_implILb1ES3_S5_PfS7_NS0_8identityIfEEEE10hipError_tT2_T3_mT4_P12ihipStream_tbEUlT_E_NS1_11comp_targetILNS1_3genE5ELNS1_11target_archE942ELNS1_3gpuE9ELNS1_3repE0EEENS1_30default_config_static_selectorELNS0_4arch9wavefront6targetE0EEEvT1_.num_named_barrier, 0
	.set _ZN7rocprim17ROCPRIM_400000_NS6detail17trampoline_kernelINS0_14default_configENS1_25transform_config_selectorIfLb1EEEZNS1_14transform_implILb1ES3_S5_PfS7_NS0_8identityIfEEEE10hipError_tT2_T3_mT4_P12ihipStream_tbEUlT_E_NS1_11comp_targetILNS1_3genE5ELNS1_11target_archE942ELNS1_3gpuE9ELNS1_3repE0EEENS1_30default_config_static_selectorELNS0_4arch9wavefront6targetE0EEEvT1_.private_seg_size, 0
	.set _ZN7rocprim17ROCPRIM_400000_NS6detail17trampoline_kernelINS0_14default_configENS1_25transform_config_selectorIfLb1EEEZNS1_14transform_implILb1ES3_S5_PfS7_NS0_8identityIfEEEE10hipError_tT2_T3_mT4_P12ihipStream_tbEUlT_E_NS1_11comp_targetILNS1_3genE5ELNS1_11target_archE942ELNS1_3gpuE9ELNS1_3repE0EEENS1_30default_config_static_selectorELNS0_4arch9wavefront6targetE0EEEvT1_.uses_vcc, 0
	.set _ZN7rocprim17ROCPRIM_400000_NS6detail17trampoline_kernelINS0_14default_configENS1_25transform_config_selectorIfLb1EEEZNS1_14transform_implILb1ES3_S5_PfS7_NS0_8identityIfEEEE10hipError_tT2_T3_mT4_P12ihipStream_tbEUlT_E_NS1_11comp_targetILNS1_3genE5ELNS1_11target_archE942ELNS1_3gpuE9ELNS1_3repE0EEENS1_30default_config_static_selectorELNS0_4arch9wavefront6targetE0EEEvT1_.uses_flat_scratch, 0
	.set _ZN7rocprim17ROCPRIM_400000_NS6detail17trampoline_kernelINS0_14default_configENS1_25transform_config_selectorIfLb1EEEZNS1_14transform_implILb1ES3_S5_PfS7_NS0_8identityIfEEEE10hipError_tT2_T3_mT4_P12ihipStream_tbEUlT_E_NS1_11comp_targetILNS1_3genE5ELNS1_11target_archE942ELNS1_3gpuE9ELNS1_3repE0EEENS1_30default_config_static_selectorELNS0_4arch9wavefront6targetE0EEEvT1_.has_dyn_sized_stack, 0
	.set _ZN7rocprim17ROCPRIM_400000_NS6detail17trampoline_kernelINS0_14default_configENS1_25transform_config_selectorIfLb1EEEZNS1_14transform_implILb1ES3_S5_PfS7_NS0_8identityIfEEEE10hipError_tT2_T3_mT4_P12ihipStream_tbEUlT_E_NS1_11comp_targetILNS1_3genE5ELNS1_11target_archE942ELNS1_3gpuE9ELNS1_3repE0EEENS1_30default_config_static_selectorELNS0_4arch9wavefront6targetE0EEEvT1_.has_recursion, 0
	.set _ZN7rocprim17ROCPRIM_400000_NS6detail17trampoline_kernelINS0_14default_configENS1_25transform_config_selectorIfLb1EEEZNS1_14transform_implILb1ES3_S5_PfS7_NS0_8identityIfEEEE10hipError_tT2_T3_mT4_P12ihipStream_tbEUlT_E_NS1_11comp_targetILNS1_3genE5ELNS1_11target_archE942ELNS1_3gpuE9ELNS1_3repE0EEENS1_30default_config_static_selectorELNS0_4arch9wavefront6targetE0EEEvT1_.has_indirect_call, 0
	.section	.AMDGPU.csdata,"",@progbits
; Kernel info:
; codeLenInByte = 0
; TotalNumSgprs: 0
; NumVgprs: 0
; ScratchSize: 0
; MemoryBound: 0
; FloatMode: 240
; IeeeMode: 1
; LDSByteSize: 0 bytes/workgroup (compile time only)
; SGPRBlocks: 0
; VGPRBlocks: 0
; NumSGPRsForWavesPerEU: 1
; NumVGPRsForWavesPerEU: 1
; Occupancy: 16
; WaveLimiterHint : 0
; COMPUTE_PGM_RSRC2:SCRATCH_EN: 0
; COMPUTE_PGM_RSRC2:USER_SGPR: 2
; COMPUTE_PGM_RSRC2:TRAP_HANDLER: 0
; COMPUTE_PGM_RSRC2:TGID_X_EN: 1
; COMPUTE_PGM_RSRC2:TGID_Y_EN: 0
; COMPUTE_PGM_RSRC2:TGID_Z_EN: 0
; COMPUTE_PGM_RSRC2:TIDIG_COMP_CNT: 0
	.section	.text._ZN7rocprim17ROCPRIM_400000_NS6detail17trampoline_kernelINS0_14default_configENS1_25transform_config_selectorIfLb1EEEZNS1_14transform_implILb1ES3_S5_PfS7_NS0_8identityIfEEEE10hipError_tT2_T3_mT4_P12ihipStream_tbEUlT_E_NS1_11comp_targetILNS1_3genE4ELNS1_11target_archE910ELNS1_3gpuE8ELNS1_3repE0EEENS1_30default_config_static_selectorELNS0_4arch9wavefront6targetE0EEEvT1_,"axG",@progbits,_ZN7rocprim17ROCPRIM_400000_NS6detail17trampoline_kernelINS0_14default_configENS1_25transform_config_selectorIfLb1EEEZNS1_14transform_implILb1ES3_S5_PfS7_NS0_8identityIfEEEE10hipError_tT2_T3_mT4_P12ihipStream_tbEUlT_E_NS1_11comp_targetILNS1_3genE4ELNS1_11target_archE910ELNS1_3gpuE8ELNS1_3repE0EEENS1_30default_config_static_selectorELNS0_4arch9wavefront6targetE0EEEvT1_,comdat
	.protected	_ZN7rocprim17ROCPRIM_400000_NS6detail17trampoline_kernelINS0_14default_configENS1_25transform_config_selectorIfLb1EEEZNS1_14transform_implILb1ES3_S5_PfS7_NS0_8identityIfEEEE10hipError_tT2_T3_mT4_P12ihipStream_tbEUlT_E_NS1_11comp_targetILNS1_3genE4ELNS1_11target_archE910ELNS1_3gpuE8ELNS1_3repE0EEENS1_30default_config_static_selectorELNS0_4arch9wavefront6targetE0EEEvT1_ ; -- Begin function _ZN7rocprim17ROCPRIM_400000_NS6detail17trampoline_kernelINS0_14default_configENS1_25transform_config_selectorIfLb1EEEZNS1_14transform_implILb1ES3_S5_PfS7_NS0_8identityIfEEEE10hipError_tT2_T3_mT4_P12ihipStream_tbEUlT_E_NS1_11comp_targetILNS1_3genE4ELNS1_11target_archE910ELNS1_3gpuE8ELNS1_3repE0EEENS1_30default_config_static_selectorELNS0_4arch9wavefront6targetE0EEEvT1_
	.globl	_ZN7rocprim17ROCPRIM_400000_NS6detail17trampoline_kernelINS0_14default_configENS1_25transform_config_selectorIfLb1EEEZNS1_14transform_implILb1ES3_S5_PfS7_NS0_8identityIfEEEE10hipError_tT2_T3_mT4_P12ihipStream_tbEUlT_E_NS1_11comp_targetILNS1_3genE4ELNS1_11target_archE910ELNS1_3gpuE8ELNS1_3repE0EEENS1_30default_config_static_selectorELNS0_4arch9wavefront6targetE0EEEvT1_
	.p2align	8
	.type	_ZN7rocprim17ROCPRIM_400000_NS6detail17trampoline_kernelINS0_14default_configENS1_25transform_config_selectorIfLb1EEEZNS1_14transform_implILb1ES3_S5_PfS7_NS0_8identityIfEEEE10hipError_tT2_T3_mT4_P12ihipStream_tbEUlT_E_NS1_11comp_targetILNS1_3genE4ELNS1_11target_archE910ELNS1_3gpuE8ELNS1_3repE0EEENS1_30default_config_static_selectorELNS0_4arch9wavefront6targetE0EEEvT1_,@function
_ZN7rocprim17ROCPRIM_400000_NS6detail17trampoline_kernelINS0_14default_configENS1_25transform_config_selectorIfLb1EEEZNS1_14transform_implILb1ES3_S5_PfS7_NS0_8identityIfEEEE10hipError_tT2_T3_mT4_P12ihipStream_tbEUlT_E_NS1_11comp_targetILNS1_3genE4ELNS1_11target_archE910ELNS1_3gpuE8ELNS1_3repE0EEENS1_30default_config_static_selectorELNS0_4arch9wavefront6targetE0EEEvT1_: ; @_ZN7rocprim17ROCPRIM_400000_NS6detail17trampoline_kernelINS0_14default_configENS1_25transform_config_selectorIfLb1EEEZNS1_14transform_implILb1ES3_S5_PfS7_NS0_8identityIfEEEE10hipError_tT2_T3_mT4_P12ihipStream_tbEUlT_E_NS1_11comp_targetILNS1_3genE4ELNS1_11target_archE910ELNS1_3gpuE8ELNS1_3repE0EEENS1_30default_config_static_selectorELNS0_4arch9wavefront6targetE0EEEvT1_
; %bb.0:
	.section	.rodata,"a",@progbits
	.p2align	6, 0x0
	.amdhsa_kernel _ZN7rocprim17ROCPRIM_400000_NS6detail17trampoline_kernelINS0_14default_configENS1_25transform_config_selectorIfLb1EEEZNS1_14transform_implILb1ES3_S5_PfS7_NS0_8identityIfEEEE10hipError_tT2_T3_mT4_P12ihipStream_tbEUlT_E_NS1_11comp_targetILNS1_3genE4ELNS1_11target_archE910ELNS1_3gpuE8ELNS1_3repE0EEENS1_30default_config_static_selectorELNS0_4arch9wavefront6targetE0EEEvT1_
		.amdhsa_group_segment_fixed_size 0
		.amdhsa_private_segment_fixed_size 0
		.amdhsa_kernarg_size 40
		.amdhsa_user_sgpr_count 2
		.amdhsa_user_sgpr_dispatch_ptr 0
		.amdhsa_user_sgpr_queue_ptr 0
		.amdhsa_user_sgpr_kernarg_segment_ptr 1
		.amdhsa_user_sgpr_dispatch_id 0
		.amdhsa_user_sgpr_private_segment_size 0
		.amdhsa_wavefront_size32 1
		.amdhsa_uses_dynamic_stack 0
		.amdhsa_enable_private_segment 0
		.amdhsa_system_sgpr_workgroup_id_x 1
		.amdhsa_system_sgpr_workgroup_id_y 0
		.amdhsa_system_sgpr_workgroup_id_z 0
		.amdhsa_system_sgpr_workgroup_info 0
		.amdhsa_system_vgpr_workitem_id 0
		.amdhsa_next_free_vgpr 1
		.amdhsa_next_free_sgpr 1
		.amdhsa_reserve_vcc 0
		.amdhsa_float_round_mode_32 0
		.amdhsa_float_round_mode_16_64 0
		.amdhsa_float_denorm_mode_32 3
		.amdhsa_float_denorm_mode_16_64 3
		.amdhsa_fp16_overflow 0
		.amdhsa_workgroup_processor_mode 1
		.amdhsa_memory_ordered 1
		.amdhsa_forward_progress 1
		.amdhsa_inst_pref_size 0
		.amdhsa_round_robin_scheduling 0
		.amdhsa_exception_fp_ieee_invalid_op 0
		.amdhsa_exception_fp_denorm_src 0
		.amdhsa_exception_fp_ieee_div_zero 0
		.amdhsa_exception_fp_ieee_overflow 0
		.amdhsa_exception_fp_ieee_underflow 0
		.amdhsa_exception_fp_ieee_inexact 0
		.amdhsa_exception_int_div_zero 0
	.end_amdhsa_kernel
	.section	.text._ZN7rocprim17ROCPRIM_400000_NS6detail17trampoline_kernelINS0_14default_configENS1_25transform_config_selectorIfLb1EEEZNS1_14transform_implILb1ES3_S5_PfS7_NS0_8identityIfEEEE10hipError_tT2_T3_mT4_P12ihipStream_tbEUlT_E_NS1_11comp_targetILNS1_3genE4ELNS1_11target_archE910ELNS1_3gpuE8ELNS1_3repE0EEENS1_30default_config_static_selectorELNS0_4arch9wavefront6targetE0EEEvT1_,"axG",@progbits,_ZN7rocprim17ROCPRIM_400000_NS6detail17trampoline_kernelINS0_14default_configENS1_25transform_config_selectorIfLb1EEEZNS1_14transform_implILb1ES3_S5_PfS7_NS0_8identityIfEEEE10hipError_tT2_T3_mT4_P12ihipStream_tbEUlT_E_NS1_11comp_targetILNS1_3genE4ELNS1_11target_archE910ELNS1_3gpuE8ELNS1_3repE0EEENS1_30default_config_static_selectorELNS0_4arch9wavefront6targetE0EEEvT1_,comdat
.Lfunc_end100:
	.size	_ZN7rocprim17ROCPRIM_400000_NS6detail17trampoline_kernelINS0_14default_configENS1_25transform_config_selectorIfLb1EEEZNS1_14transform_implILb1ES3_S5_PfS7_NS0_8identityIfEEEE10hipError_tT2_T3_mT4_P12ihipStream_tbEUlT_E_NS1_11comp_targetILNS1_3genE4ELNS1_11target_archE910ELNS1_3gpuE8ELNS1_3repE0EEENS1_30default_config_static_selectorELNS0_4arch9wavefront6targetE0EEEvT1_, .Lfunc_end100-_ZN7rocprim17ROCPRIM_400000_NS6detail17trampoline_kernelINS0_14default_configENS1_25transform_config_selectorIfLb1EEEZNS1_14transform_implILb1ES3_S5_PfS7_NS0_8identityIfEEEE10hipError_tT2_T3_mT4_P12ihipStream_tbEUlT_E_NS1_11comp_targetILNS1_3genE4ELNS1_11target_archE910ELNS1_3gpuE8ELNS1_3repE0EEENS1_30default_config_static_selectorELNS0_4arch9wavefront6targetE0EEEvT1_
                                        ; -- End function
	.set _ZN7rocprim17ROCPRIM_400000_NS6detail17trampoline_kernelINS0_14default_configENS1_25transform_config_selectorIfLb1EEEZNS1_14transform_implILb1ES3_S5_PfS7_NS0_8identityIfEEEE10hipError_tT2_T3_mT4_P12ihipStream_tbEUlT_E_NS1_11comp_targetILNS1_3genE4ELNS1_11target_archE910ELNS1_3gpuE8ELNS1_3repE0EEENS1_30default_config_static_selectorELNS0_4arch9wavefront6targetE0EEEvT1_.num_vgpr, 0
	.set _ZN7rocprim17ROCPRIM_400000_NS6detail17trampoline_kernelINS0_14default_configENS1_25transform_config_selectorIfLb1EEEZNS1_14transform_implILb1ES3_S5_PfS7_NS0_8identityIfEEEE10hipError_tT2_T3_mT4_P12ihipStream_tbEUlT_E_NS1_11comp_targetILNS1_3genE4ELNS1_11target_archE910ELNS1_3gpuE8ELNS1_3repE0EEENS1_30default_config_static_selectorELNS0_4arch9wavefront6targetE0EEEvT1_.num_agpr, 0
	.set _ZN7rocprim17ROCPRIM_400000_NS6detail17trampoline_kernelINS0_14default_configENS1_25transform_config_selectorIfLb1EEEZNS1_14transform_implILb1ES3_S5_PfS7_NS0_8identityIfEEEE10hipError_tT2_T3_mT4_P12ihipStream_tbEUlT_E_NS1_11comp_targetILNS1_3genE4ELNS1_11target_archE910ELNS1_3gpuE8ELNS1_3repE0EEENS1_30default_config_static_selectorELNS0_4arch9wavefront6targetE0EEEvT1_.numbered_sgpr, 0
	.set _ZN7rocprim17ROCPRIM_400000_NS6detail17trampoline_kernelINS0_14default_configENS1_25transform_config_selectorIfLb1EEEZNS1_14transform_implILb1ES3_S5_PfS7_NS0_8identityIfEEEE10hipError_tT2_T3_mT4_P12ihipStream_tbEUlT_E_NS1_11comp_targetILNS1_3genE4ELNS1_11target_archE910ELNS1_3gpuE8ELNS1_3repE0EEENS1_30default_config_static_selectorELNS0_4arch9wavefront6targetE0EEEvT1_.num_named_barrier, 0
	.set _ZN7rocprim17ROCPRIM_400000_NS6detail17trampoline_kernelINS0_14default_configENS1_25transform_config_selectorIfLb1EEEZNS1_14transform_implILb1ES3_S5_PfS7_NS0_8identityIfEEEE10hipError_tT2_T3_mT4_P12ihipStream_tbEUlT_E_NS1_11comp_targetILNS1_3genE4ELNS1_11target_archE910ELNS1_3gpuE8ELNS1_3repE0EEENS1_30default_config_static_selectorELNS0_4arch9wavefront6targetE0EEEvT1_.private_seg_size, 0
	.set _ZN7rocprim17ROCPRIM_400000_NS6detail17trampoline_kernelINS0_14default_configENS1_25transform_config_selectorIfLb1EEEZNS1_14transform_implILb1ES3_S5_PfS7_NS0_8identityIfEEEE10hipError_tT2_T3_mT4_P12ihipStream_tbEUlT_E_NS1_11comp_targetILNS1_3genE4ELNS1_11target_archE910ELNS1_3gpuE8ELNS1_3repE0EEENS1_30default_config_static_selectorELNS0_4arch9wavefront6targetE0EEEvT1_.uses_vcc, 0
	.set _ZN7rocprim17ROCPRIM_400000_NS6detail17trampoline_kernelINS0_14default_configENS1_25transform_config_selectorIfLb1EEEZNS1_14transform_implILb1ES3_S5_PfS7_NS0_8identityIfEEEE10hipError_tT2_T3_mT4_P12ihipStream_tbEUlT_E_NS1_11comp_targetILNS1_3genE4ELNS1_11target_archE910ELNS1_3gpuE8ELNS1_3repE0EEENS1_30default_config_static_selectorELNS0_4arch9wavefront6targetE0EEEvT1_.uses_flat_scratch, 0
	.set _ZN7rocprim17ROCPRIM_400000_NS6detail17trampoline_kernelINS0_14default_configENS1_25transform_config_selectorIfLb1EEEZNS1_14transform_implILb1ES3_S5_PfS7_NS0_8identityIfEEEE10hipError_tT2_T3_mT4_P12ihipStream_tbEUlT_E_NS1_11comp_targetILNS1_3genE4ELNS1_11target_archE910ELNS1_3gpuE8ELNS1_3repE0EEENS1_30default_config_static_selectorELNS0_4arch9wavefront6targetE0EEEvT1_.has_dyn_sized_stack, 0
	.set _ZN7rocprim17ROCPRIM_400000_NS6detail17trampoline_kernelINS0_14default_configENS1_25transform_config_selectorIfLb1EEEZNS1_14transform_implILb1ES3_S5_PfS7_NS0_8identityIfEEEE10hipError_tT2_T3_mT4_P12ihipStream_tbEUlT_E_NS1_11comp_targetILNS1_3genE4ELNS1_11target_archE910ELNS1_3gpuE8ELNS1_3repE0EEENS1_30default_config_static_selectorELNS0_4arch9wavefront6targetE0EEEvT1_.has_recursion, 0
	.set _ZN7rocprim17ROCPRIM_400000_NS6detail17trampoline_kernelINS0_14default_configENS1_25transform_config_selectorIfLb1EEEZNS1_14transform_implILb1ES3_S5_PfS7_NS0_8identityIfEEEE10hipError_tT2_T3_mT4_P12ihipStream_tbEUlT_E_NS1_11comp_targetILNS1_3genE4ELNS1_11target_archE910ELNS1_3gpuE8ELNS1_3repE0EEENS1_30default_config_static_selectorELNS0_4arch9wavefront6targetE0EEEvT1_.has_indirect_call, 0
	.section	.AMDGPU.csdata,"",@progbits
; Kernel info:
; codeLenInByte = 0
; TotalNumSgprs: 0
; NumVgprs: 0
; ScratchSize: 0
; MemoryBound: 0
; FloatMode: 240
; IeeeMode: 1
; LDSByteSize: 0 bytes/workgroup (compile time only)
; SGPRBlocks: 0
; VGPRBlocks: 0
; NumSGPRsForWavesPerEU: 1
; NumVGPRsForWavesPerEU: 1
; Occupancy: 16
; WaveLimiterHint : 0
; COMPUTE_PGM_RSRC2:SCRATCH_EN: 0
; COMPUTE_PGM_RSRC2:USER_SGPR: 2
; COMPUTE_PGM_RSRC2:TRAP_HANDLER: 0
; COMPUTE_PGM_RSRC2:TGID_X_EN: 1
; COMPUTE_PGM_RSRC2:TGID_Y_EN: 0
; COMPUTE_PGM_RSRC2:TGID_Z_EN: 0
; COMPUTE_PGM_RSRC2:TIDIG_COMP_CNT: 0
	.section	.text._ZN7rocprim17ROCPRIM_400000_NS6detail17trampoline_kernelINS0_14default_configENS1_25transform_config_selectorIfLb1EEEZNS1_14transform_implILb1ES3_S5_PfS7_NS0_8identityIfEEEE10hipError_tT2_T3_mT4_P12ihipStream_tbEUlT_E_NS1_11comp_targetILNS1_3genE3ELNS1_11target_archE908ELNS1_3gpuE7ELNS1_3repE0EEENS1_30default_config_static_selectorELNS0_4arch9wavefront6targetE0EEEvT1_,"axG",@progbits,_ZN7rocprim17ROCPRIM_400000_NS6detail17trampoline_kernelINS0_14default_configENS1_25transform_config_selectorIfLb1EEEZNS1_14transform_implILb1ES3_S5_PfS7_NS0_8identityIfEEEE10hipError_tT2_T3_mT4_P12ihipStream_tbEUlT_E_NS1_11comp_targetILNS1_3genE3ELNS1_11target_archE908ELNS1_3gpuE7ELNS1_3repE0EEENS1_30default_config_static_selectorELNS0_4arch9wavefront6targetE0EEEvT1_,comdat
	.protected	_ZN7rocprim17ROCPRIM_400000_NS6detail17trampoline_kernelINS0_14default_configENS1_25transform_config_selectorIfLb1EEEZNS1_14transform_implILb1ES3_S5_PfS7_NS0_8identityIfEEEE10hipError_tT2_T3_mT4_P12ihipStream_tbEUlT_E_NS1_11comp_targetILNS1_3genE3ELNS1_11target_archE908ELNS1_3gpuE7ELNS1_3repE0EEENS1_30default_config_static_selectorELNS0_4arch9wavefront6targetE0EEEvT1_ ; -- Begin function _ZN7rocprim17ROCPRIM_400000_NS6detail17trampoline_kernelINS0_14default_configENS1_25transform_config_selectorIfLb1EEEZNS1_14transform_implILb1ES3_S5_PfS7_NS0_8identityIfEEEE10hipError_tT2_T3_mT4_P12ihipStream_tbEUlT_E_NS1_11comp_targetILNS1_3genE3ELNS1_11target_archE908ELNS1_3gpuE7ELNS1_3repE0EEENS1_30default_config_static_selectorELNS0_4arch9wavefront6targetE0EEEvT1_
	.globl	_ZN7rocprim17ROCPRIM_400000_NS6detail17trampoline_kernelINS0_14default_configENS1_25transform_config_selectorIfLb1EEEZNS1_14transform_implILb1ES3_S5_PfS7_NS0_8identityIfEEEE10hipError_tT2_T3_mT4_P12ihipStream_tbEUlT_E_NS1_11comp_targetILNS1_3genE3ELNS1_11target_archE908ELNS1_3gpuE7ELNS1_3repE0EEENS1_30default_config_static_selectorELNS0_4arch9wavefront6targetE0EEEvT1_
	.p2align	8
	.type	_ZN7rocprim17ROCPRIM_400000_NS6detail17trampoline_kernelINS0_14default_configENS1_25transform_config_selectorIfLb1EEEZNS1_14transform_implILb1ES3_S5_PfS7_NS0_8identityIfEEEE10hipError_tT2_T3_mT4_P12ihipStream_tbEUlT_E_NS1_11comp_targetILNS1_3genE3ELNS1_11target_archE908ELNS1_3gpuE7ELNS1_3repE0EEENS1_30default_config_static_selectorELNS0_4arch9wavefront6targetE0EEEvT1_,@function
_ZN7rocprim17ROCPRIM_400000_NS6detail17trampoline_kernelINS0_14default_configENS1_25transform_config_selectorIfLb1EEEZNS1_14transform_implILb1ES3_S5_PfS7_NS0_8identityIfEEEE10hipError_tT2_T3_mT4_P12ihipStream_tbEUlT_E_NS1_11comp_targetILNS1_3genE3ELNS1_11target_archE908ELNS1_3gpuE7ELNS1_3repE0EEENS1_30default_config_static_selectorELNS0_4arch9wavefront6targetE0EEEvT1_: ; @_ZN7rocprim17ROCPRIM_400000_NS6detail17trampoline_kernelINS0_14default_configENS1_25transform_config_selectorIfLb1EEEZNS1_14transform_implILb1ES3_S5_PfS7_NS0_8identityIfEEEE10hipError_tT2_T3_mT4_P12ihipStream_tbEUlT_E_NS1_11comp_targetILNS1_3genE3ELNS1_11target_archE908ELNS1_3gpuE7ELNS1_3repE0EEENS1_30default_config_static_selectorELNS0_4arch9wavefront6targetE0EEEvT1_
; %bb.0:
	.section	.rodata,"a",@progbits
	.p2align	6, 0x0
	.amdhsa_kernel _ZN7rocprim17ROCPRIM_400000_NS6detail17trampoline_kernelINS0_14default_configENS1_25transform_config_selectorIfLb1EEEZNS1_14transform_implILb1ES3_S5_PfS7_NS0_8identityIfEEEE10hipError_tT2_T3_mT4_P12ihipStream_tbEUlT_E_NS1_11comp_targetILNS1_3genE3ELNS1_11target_archE908ELNS1_3gpuE7ELNS1_3repE0EEENS1_30default_config_static_selectorELNS0_4arch9wavefront6targetE0EEEvT1_
		.amdhsa_group_segment_fixed_size 0
		.amdhsa_private_segment_fixed_size 0
		.amdhsa_kernarg_size 40
		.amdhsa_user_sgpr_count 2
		.amdhsa_user_sgpr_dispatch_ptr 0
		.amdhsa_user_sgpr_queue_ptr 0
		.amdhsa_user_sgpr_kernarg_segment_ptr 1
		.amdhsa_user_sgpr_dispatch_id 0
		.amdhsa_user_sgpr_private_segment_size 0
		.amdhsa_wavefront_size32 1
		.amdhsa_uses_dynamic_stack 0
		.amdhsa_enable_private_segment 0
		.amdhsa_system_sgpr_workgroup_id_x 1
		.amdhsa_system_sgpr_workgroup_id_y 0
		.amdhsa_system_sgpr_workgroup_id_z 0
		.amdhsa_system_sgpr_workgroup_info 0
		.amdhsa_system_vgpr_workitem_id 0
		.amdhsa_next_free_vgpr 1
		.amdhsa_next_free_sgpr 1
		.amdhsa_reserve_vcc 0
		.amdhsa_float_round_mode_32 0
		.amdhsa_float_round_mode_16_64 0
		.amdhsa_float_denorm_mode_32 3
		.amdhsa_float_denorm_mode_16_64 3
		.amdhsa_fp16_overflow 0
		.amdhsa_workgroup_processor_mode 1
		.amdhsa_memory_ordered 1
		.amdhsa_forward_progress 1
		.amdhsa_inst_pref_size 0
		.amdhsa_round_robin_scheduling 0
		.amdhsa_exception_fp_ieee_invalid_op 0
		.amdhsa_exception_fp_denorm_src 0
		.amdhsa_exception_fp_ieee_div_zero 0
		.amdhsa_exception_fp_ieee_overflow 0
		.amdhsa_exception_fp_ieee_underflow 0
		.amdhsa_exception_fp_ieee_inexact 0
		.amdhsa_exception_int_div_zero 0
	.end_amdhsa_kernel
	.section	.text._ZN7rocprim17ROCPRIM_400000_NS6detail17trampoline_kernelINS0_14default_configENS1_25transform_config_selectorIfLb1EEEZNS1_14transform_implILb1ES3_S5_PfS7_NS0_8identityIfEEEE10hipError_tT2_T3_mT4_P12ihipStream_tbEUlT_E_NS1_11comp_targetILNS1_3genE3ELNS1_11target_archE908ELNS1_3gpuE7ELNS1_3repE0EEENS1_30default_config_static_selectorELNS0_4arch9wavefront6targetE0EEEvT1_,"axG",@progbits,_ZN7rocprim17ROCPRIM_400000_NS6detail17trampoline_kernelINS0_14default_configENS1_25transform_config_selectorIfLb1EEEZNS1_14transform_implILb1ES3_S5_PfS7_NS0_8identityIfEEEE10hipError_tT2_T3_mT4_P12ihipStream_tbEUlT_E_NS1_11comp_targetILNS1_3genE3ELNS1_11target_archE908ELNS1_3gpuE7ELNS1_3repE0EEENS1_30default_config_static_selectorELNS0_4arch9wavefront6targetE0EEEvT1_,comdat
.Lfunc_end101:
	.size	_ZN7rocprim17ROCPRIM_400000_NS6detail17trampoline_kernelINS0_14default_configENS1_25transform_config_selectorIfLb1EEEZNS1_14transform_implILb1ES3_S5_PfS7_NS0_8identityIfEEEE10hipError_tT2_T3_mT4_P12ihipStream_tbEUlT_E_NS1_11comp_targetILNS1_3genE3ELNS1_11target_archE908ELNS1_3gpuE7ELNS1_3repE0EEENS1_30default_config_static_selectorELNS0_4arch9wavefront6targetE0EEEvT1_, .Lfunc_end101-_ZN7rocprim17ROCPRIM_400000_NS6detail17trampoline_kernelINS0_14default_configENS1_25transform_config_selectorIfLb1EEEZNS1_14transform_implILb1ES3_S5_PfS7_NS0_8identityIfEEEE10hipError_tT2_T3_mT4_P12ihipStream_tbEUlT_E_NS1_11comp_targetILNS1_3genE3ELNS1_11target_archE908ELNS1_3gpuE7ELNS1_3repE0EEENS1_30default_config_static_selectorELNS0_4arch9wavefront6targetE0EEEvT1_
                                        ; -- End function
	.set _ZN7rocprim17ROCPRIM_400000_NS6detail17trampoline_kernelINS0_14default_configENS1_25transform_config_selectorIfLb1EEEZNS1_14transform_implILb1ES3_S5_PfS7_NS0_8identityIfEEEE10hipError_tT2_T3_mT4_P12ihipStream_tbEUlT_E_NS1_11comp_targetILNS1_3genE3ELNS1_11target_archE908ELNS1_3gpuE7ELNS1_3repE0EEENS1_30default_config_static_selectorELNS0_4arch9wavefront6targetE0EEEvT1_.num_vgpr, 0
	.set _ZN7rocprim17ROCPRIM_400000_NS6detail17trampoline_kernelINS0_14default_configENS1_25transform_config_selectorIfLb1EEEZNS1_14transform_implILb1ES3_S5_PfS7_NS0_8identityIfEEEE10hipError_tT2_T3_mT4_P12ihipStream_tbEUlT_E_NS1_11comp_targetILNS1_3genE3ELNS1_11target_archE908ELNS1_3gpuE7ELNS1_3repE0EEENS1_30default_config_static_selectorELNS0_4arch9wavefront6targetE0EEEvT1_.num_agpr, 0
	.set _ZN7rocprim17ROCPRIM_400000_NS6detail17trampoline_kernelINS0_14default_configENS1_25transform_config_selectorIfLb1EEEZNS1_14transform_implILb1ES3_S5_PfS7_NS0_8identityIfEEEE10hipError_tT2_T3_mT4_P12ihipStream_tbEUlT_E_NS1_11comp_targetILNS1_3genE3ELNS1_11target_archE908ELNS1_3gpuE7ELNS1_3repE0EEENS1_30default_config_static_selectorELNS0_4arch9wavefront6targetE0EEEvT1_.numbered_sgpr, 0
	.set _ZN7rocprim17ROCPRIM_400000_NS6detail17trampoline_kernelINS0_14default_configENS1_25transform_config_selectorIfLb1EEEZNS1_14transform_implILb1ES3_S5_PfS7_NS0_8identityIfEEEE10hipError_tT2_T3_mT4_P12ihipStream_tbEUlT_E_NS1_11comp_targetILNS1_3genE3ELNS1_11target_archE908ELNS1_3gpuE7ELNS1_3repE0EEENS1_30default_config_static_selectorELNS0_4arch9wavefront6targetE0EEEvT1_.num_named_barrier, 0
	.set _ZN7rocprim17ROCPRIM_400000_NS6detail17trampoline_kernelINS0_14default_configENS1_25transform_config_selectorIfLb1EEEZNS1_14transform_implILb1ES3_S5_PfS7_NS0_8identityIfEEEE10hipError_tT2_T3_mT4_P12ihipStream_tbEUlT_E_NS1_11comp_targetILNS1_3genE3ELNS1_11target_archE908ELNS1_3gpuE7ELNS1_3repE0EEENS1_30default_config_static_selectorELNS0_4arch9wavefront6targetE0EEEvT1_.private_seg_size, 0
	.set _ZN7rocprim17ROCPRIM_400000_NS6detail17trampoline_kernelINS0_14default_configENS1_25transform_config_selectorIfLb1EEEZNS1_14transform_implILb1ES3_S5_PfS7_NS0_8identityIfEEEE10hipError_tT2_T3_mT4_P12ihipStream_tbEUlT_E_NS1_11comp_targetILNS1_3genE3ELNS1_11target_archE908ELNS1_3gpuE7ELNS1_3repE0EEENS1_30default_config_static_selectorELNS0_4arch9wavefront6targetE0EEEvT1_.uses_vcc, 0
	.set _ZN7rocprim17ROCPRIM_400000_NS6detail17trampoline_kernelINS0_14default_configENS1_25transform_config_selectorIfLb1EEEZNS1_14transform_implILb1ES3_S5_PfS7_NS0_8identityIfEEEE10hipError_tT2_T3_mT4_P12ihipStream_tbEUlT_E_NS1_11comp_targetILNS1_3genE3ELNS1_11target_archE908ELNS1_3gpuE7ELNS1_3repE0EEENS1_30default_config_static_selectorELNS0_4arch9wavefront6targetE0EEEvT1_.uses_flat_scratch, 0
	.set _ZN7rocprim17ROCPRIM_400000_NS6detail17trampoline_kernelINS0_14default_configENS1_25transform_config_selectorIfLb1EEEZNS1_14transform_implILb1ES3_S5_PfS7_NS0_8identityIfEEEE10hipError_tT2_T3_mT4_P12ihipStream_tbEUlT_E_NS1_11comp_targetILNS1_3genE3ELNS1_11target_archE908ELNS1_3gpuE7ELNS1_3repE0EEENS1_30default_config_static_selectorELNS0_4arch9wavefront6targetE0EEEvT1_.has_dyn_sized_stack, 0
	.set _ZN7rocprim17ROCPRIM_400000_NS6detail17trampoline_kernelINS0_14default_configENS1_25transform_config_selectorIfLb1EEEZNS1_14transform_implILb1ES3_S5_PfS7_NS0_8identityIfEEEE10hipError_tT2_T3_mT4_P12ihipStream_tbEUlT_E_NS1_11comp_targetILNS1_3genE3ELNS1_11target_archE908ELNS1_3gpuE7ELNS1_3repE0EEENS1_30default_config_static_selectorELNS0_4arch9wavefront6targetE0EEEvT1_.has_recursion, 0
	.set _ZN7rocprim17ROCPRIM_400000_NS6detail17trampoline_kernelINS0_14default_configENS1_25transform_config_selectorIfLb1EEEZNS1_14transform_implILb1ES3_S5_PfS7_NS0_8identityIfEEEE10hipError_tT2_T3_mT4_P12ihipStream_tbEUlT_E_NS1_11comp_targetILNS1_3genE3ELNS1_11target_archE908ELNS1_3gpuE7ELNS1_3repE0EEENS1_30default_config_static_selectorELNS0_4arch9wavefront6targetE0EEEvT1_.has_indirect_call, 0
	.section	.AMDGPU.csdata,"",@progbits
; Kernel info:
; codeLenInByte = 0
; TotalNumSgprs: 0
; NumVgprs: 0
; ScratchSize: 0
; MemoryBound: 0
; FloatMode: 240
; IeeeMode: 1
; LDSByteSize: 0 bytes/workgroup (compile time only)
; SGPRBlocks: 0
; VGPRBlocks: 0
; NumSGPRsForWavesPerEU: 1
; NumVGPRsForWavesPerEU: 1
; Occupancy: 16
; WaveLimiterHint : 0
; COMPUTE_PGM_RSRC2:SCRATCH_EN: 0
; COMPUTE_PGM_RSRC2:USER_SGPR: 2
; COMPUTE_PGM_RSRC2:TRAP_HANDLER: 0
; COMPUTE_PGM_RSRC2:TGID_X_EN: 1
; COMPUTE_PGM_RSRC2:TGID_Y_EN: 0
; COMPUTE_PGM_RSRC2:TGID_Z_EN: 0
; COMPUTE_PGM_RSRC2:TIDIG_COMP_CNT: 0
	.section	.text._ZN7rocprim17ROCPRIM_400000_NS6detail17trampoline_kernelINS0_14default_configENS1_25transform_config_selectorIfLb1EEEZNS1_14transform_implILb1ES3_S5_PfS7_NS0_8identityIfEEEE10hipError_tT2_T3_mT4_P12ihipStream_tbEUlT_E_NS1_11comp_targetILNS1_3genE2ELNS1_11target_archE906ELNS1_3gpuE6ELNS1_3repE0EEENS1_30default_config_static_selectorELNS0_4arch9wavefront6targetE0EEEvT1_,"axG",@progbits,_ZN7rocprim17ROCPRIM_400000_NS6detail17trampoline_kernelINS0_14default_configENS1_25transform_config_selectorIfLb1EEEZNS1_14transform_implILb1ES3_S5_PfS7_NS0_8identityIfEEEE10hipError_tT2_T3_mT4_P12ihipStream_tbEUlT_E_NS1_11comp_targetILNS1_3genE2ELNS1_11target_archE906ELNS1_3gpuE6ELNS1_3repE0EEENS1_30default_config_static_selectorELNS0_4arch9wavefront6targetE0EEEvT1_,comdat
	.protected	_ZN7rocprim17ROCPRIM_400000_NS6detail17trampoline_kernelINS0_14default_configENS1_25transform_config_selectorIfLb1EEEZNS1_14transform_implILb1ES3_S5_PfS7_NS0_8identityIfEEEE10hipError_tT2_T3_mT4_P12ihipStream_tbEUlT_E_NS1_11comp_targetILNS1_3genE2ELNS1_11target_archE906ELNS1_3gpuE6ELNS1_3repE0EEENS1_30default_config_static_selectorELNS0_4arch9wavefront6targetE0EEEvT1_ ; -- Begin function _ZN7rocprim17ROCPRIM_400000_NS6detail17trampoline_kernelINS0_14default_configENS1_25transform_config_selectorIfLb1EEEZNS1_14transform_implILb1ES3_S5_PfS7_NS0_8identityIfEEEE10hipError_tT2_T3_mT4_P12ihipStream_tbEUlT_E_NS1_11comp_targetILNS1_3genE2ELNS1_11target_archE906ELNS1_3gpuE6ELNS1_3repE0EEENS1_30default_config_static_selectorELNS0_4arch9wavefront6targetE0EEEvT1_
	.globl	_ZN7rocprim17ROCPRIM_400000_NS6detail17trampoline_kernelINS0_14default_configENS1_25transform_config_selectorIfLb1EEEZNS1_14transform_implILb1ES3_S5_PfS7_NS0_8identityIfEEEE10hipError_tT2_T3_mT4_P12ihipStream_tbEUlT_E_NS1_11comp_targetILNS1_3genE2ELNS1_11target_archE906ELNS1_3gpuE6ELNS1_3repE0EEENS1_30default_config_static_selectorELNS0_4arch9wavefront6targetE0EEEvT1_
	.p2align	8
	.type	_ZN7rocprim17ROCPRIM_400000_NS6detail17trampoline_kernelINS0_14default_configENS1_25transform_config_selectorIfLb1EEEZNS1_14transform_implILb1ES3_S5_PfS7_NS0_8identityIfEEEE10hipError_tT2_T3_mT4_P12ihipStream_tbEUlT_E_NS1_11comp_targetILNS1_3genE2ELNS1_11target_archE906ELNS1_3gpuE6ELNS1_3repE0EEENS1_30default_config_static_selectorELNS0_4arch9wavefront6targetE0EEEvT1_,@function
_ZN7rocprim17ROCPRIM_400000_NS6detail17trampoline_kernelINS0_14default_configENS1_25transform_config_selectorIfLb1EEEZNS1_14transform_implILb1ES3_S5_PfS7_NS0_8identityIfEEEE10hipError_tT2_T3_mT4_P12ihipStream_tbEUlT_E_NS1_11comp_targetILNS1_3genE2ELNS1_11target_archE906ELNS1_3gpuE6ELNS1_3repE0EEENS1_30default_config_static_selectorELNS0_4arch9wavefront6targetE0EEEvT1_: ; @_ZN7rocprim17ROCPRIM_400000_NS6detail17trampoline_kernelINS0_14default_configENS1_25transform_config_selectorIfLb1EEEZNS1_14transform_implILb1ES3_S5_PfS7_NS0_8identityIfEEEE10hipError_tT2_T3_mT4_P12ihipStream_tbEUlT_E_NS1_11comp_targetILNS1_3genE2ELNS1_11target_archE906ELNS1_3gpuE6ELNS1_3repE0EEENS1_30default_config_static_selectorELNS0_4arch9wavefront6targetE0EEEvT1_
; %bb.0:
	.section	.rodata,"a",@progbits
	.p2align	6, 0x0
	.amdhsa_kernel _ZN7rocprim17ROCPRIM_400000_NS6detail17trampoline_kernelINS0_14default_configENS1_25transform_config_selectorIfLb1EEEZNS1_14transform_implILb1ES3_S5_PfS7_NS0_8identityIfEEEE10hipError_tT2_T3_mT4_P12ihipStream_tbEUlT_E_NS1_11comp_targetILNS1_3genE2ELNS1_11target_archE906ELNS1_3gpuE6ELNS1_3repE0EEENS1_30default_config_static_selectorELNS0_4arch9wavefront6targetE0EEEvT1_
		.amdhsa_group_segment_fixed_size 0
		.amdhsa_private_segment_fixed_size 0
		.amdhsa_kernarg_size 40
		.amdhsa_user_sgpr_count 2
		.amdhsa_user_sgpr_dispatch_ptr 0
		.amdhsa_user_sgpr_queue_ptr 0
		.amdhsa_user_sgpr_kernarg_segment_ptr 1
		.amdhsa_user_sgpr_dispatch_id 0
		.amdhsa_user_sgpr_private_segment_size 0
		.amdhsa_wavefront_size32 1
		.amdhsa_uses_dynamic_stack 0
		.amdhsa_enable_private_segment 0
		.amdhsa_system_sgpr_workgroup_id_x 1
		.amdhsa_system_sgpr_workgroup_id_y 0
		.amdhsa_system_sgpr_workgroup_id_z 0
		.amdhsa_system_sgpr_workgroup_info 0
		.amdhsa_system_vgpr_workitem_id 0
		.amdhsa_next_free_vgpr 1
		.amdhsa_next_free_sgpr 1
		.amdhsa_reserve_vcc 0
		.amdhsa_float_round_mode_32 0
		.amdhsa_float_round_mode_16_64 0
		.amdhsa_float_denorm_mode_32 3
		.amdhsa_float_denorm_mode_16_64 3
		.amdhsa_fp16_overflow 0
		.amdhsa_workgroup_processor_mode 1
		.amdhsa_memory_ordered 1
		.amdhsa_forward_progress 1
		.amdhsa_inst_pref_size 0
		.amdhsa_round_robin_scheduling 0
		.amdhsa_exception_fp_ieee_invalid_op 0
		.amdhsa_exception_fp_denorm_src 0
		.amdhsa_exception_fp_ieee_div_zero 0
		.amdhsa_exception_fp_ieee_overflow 0
		.amdhsa_exception_fp_ieee_underflow 0
		.amdhsa_exception_fp_ieee_inexact 0
		.amdhsa_exception_int_div_zero 0
	.end_amdhsa_kernel
	.section	.text._ZN7rocprim17ROCPRIM_400000_NS6detail17trampoline_kernelINS0_14default_configENS1_25transform_config_selectorIfLb1EEEZNS1_14transform_implILb1ES3_S5_PfS7_NS0_8identityIfEEEE10hipError_tT2_T3_mT4_P12ihipStream_tbEUlT_E_NS1_11comp_targetILNS1_3genE2ELNS1_11target_archE906ELNS1_3gpuE6ELNS1_3repE0EEENS1_30default_config_static_selectorELNS0_4arch9wavefront6targetE0EEEvT1_,"axG",@progbits,_ZN7rocprim17ROCPRIM_400000_NS6detail17trampoline_kernelINS0_14default_configENS1_25transform_config_selectorIfLb1EEEZNS1_14transform_implILb1ES3_S5_PfS7_NS0_8identityIfEEEE10hipError_tT2_T3_mT4_P12ihipStream_tbEUlT_E_NS1_11comp_targetILNS1_3genE2ELNS1_11target_archE906ELNS1_3gpuE6ELNS1_3repE0EEENS1_30default_config_static_selectorELNS0_4arch9wavefront6targetE0EEEvT1_,comdat
.Lfunc_end102:
	.size	_ZN7rocprim17ROCPRIM_400000_NS6detail17trampoline_kernelINS0_14default_configENS1_25transform_config_selectorIfLb1EEEZNS1_14transform_implILb1ES3_S5_PfS7_NS0_8identityIfEEEE10hipError_tT2_T3_mT4_P12ihipStream_tbEUlT_E_NS1_11comp_targetILNS1_3genE2ELNS1_11target_archE906ELNS1_3gpuE6ELNS1_3repE0EEENS1_30default_config_static_selectorELNS0_4arch9wavefront6targetE0EEEvT1_, .Lfunc_end102-_ZN7rocprim17ROCPRIM_400000_NS6detail17trampoline_kernelINS0_14default_configENS1_25transform_config_selectorIfLb1EEEZNS1_14transform_implILb1ES3_S5_PfS7_NS0_8identityIfEEEE10hipError_tT2_T3_mT4_P12ihipStream_tbEUlT_E_NS1_11comp_targetILNS1_3genE2ELNS1_11target_archE906ELNS1_3gpuE6ELNS1_3repE0EEENS1_30default_config_static_selectorELNS0_4arch9wavefront6targetE0EEEvT1_
                                        ; -- End function
	.set _ZN7rocprim17ROCPRIM_400000_NS6detail17trampoline_kernelINS0_14default_configENS1_25transform_config_selectorIfLb1EEEZNS1_14transform_implILb1ES3_S5_PfS7_NS0_8identityIfEEEE10hipError_tT2_T3_mT4_P12ihipStream_tbEUlT_E_NS1_11comp_targetILNS1_3genE2ELNS1_11target_archE906ELNS1_3gpuE6ELNS1_3repE0EEENS1_30default_config_static_selectorELNS0_4arch9wavefront6targetE0EEEvT1_.num_vgpr, 0
	.set _ZN7rocprim17ROCPRIM_400000_NS6detail17trampoline_kernelINS0_14default_configENS1_25transform_config_selectorIfLb1EEEZNS1_14transform_implILb1ES3_S5_PfS7_NS0_8identityIfEEEE10hipError_tT2_T3_mT4_P12ihipStream_tbEUlT_E_NS1_11comp_targetILNS1_3genE2ELNS1_11target_archE906ELNS1_3gpuE6ELNS1_3repE0EEENS1_30default_config_static_selectorELNS0_4arch9wavefront6targetE0EEEvT1_.num_agpr, 0
	.set _ZN7rocprim17ROCPRIM_400000_NS6detail17trampoline_kernelINS0_14default_configENS1_25transform_config_selectorIfLb1EEEZNS1_14transform_implILb1ES3_S5_PfS7_NS0_8identityIfEEEE10hipError_tT2_T3_mT4_P12ihipStream_tbEUlT_E_NS1_11comp_targetILNS1_3genE2ELNS1_11target_archE906ELNS1_3gpuE6ELNS1_3repE0EEENS1_30default_config_static_selectorELNS0_4arch9wavefront6targetE0EEEvT1_.numbered_sgpr, 0
	.set _ZN7rocprim17ROCPRIM_400000_NS6detail17trampoline_kernelINS0_14default_configENS1_25transform_config_selectorIfLb1EEEZNS1_14transform_implILb1ES3_S5_PfS7_NS0_8identityIfEEEE10hipError_tT2_T3_mT4_P12ihipStream_tbEUlT_E_NS1_11comp_targetILNS1_3genE2ELNS1_11target_archE906ELNS1_3gpuE6ELNS1_3repE0EEENS1_30default_config_static_selectorELNS0_4arch9wavefront6targetE0EEEvT1_.num_named_barrier, 0
	.set _ZN7rocprim17ROCPRIM_400000_NS6detail17trampoline_kernelINS0_14default_configENS1_25transform_config_selectorIfLb1EEEZNS1_14transform_implILb1ES3_S5_PfS7_NS0_8identityIfEEEE10hipError_tT2_T3_mT4_P12ihipStream_tbEUlT_E_NS1_11comp_targetILNS1_3genE2ELNS1_11target_archE906ELNS1_3gpuE6ELNS1_3repE0EEENS1_30default_config_static_selectorELNS0_4arch9wavefront6targetE0EEEvT1_.private_seg_size, 0
	.set _ZN7rocprim17ROCPRIM_400000_NS6detail17trampoline_kernelINS0_14default_configENS1_25transform_config_selectorIfLb1EEEZNS1_14transform_implILb1ES3_S5_PfS7_NS0_8identityIfEEEE10hipError_tT2_T3_mT4_P12ihipStream_tbEUlT_E_NS1_11comp_targetILNS1_3genE2ELNS1_11target_archE906ELNS1_3gpuE6ELNS1_3repE0EEENS1_30default_config_static_selectorELNS0_4arch9wavefront6targetE0EEEvT1_.uses_vcc, 0
	.set _ZN7rocprim17ROCPRIM_400000_NS6detail17trampoline_kernelINS0_14default_configENS1_25transform_config_selectorIfLb1EEEZNS1_14transform_implILb1ES3_S5_PfS7_NS0_8identityIfEEEE10hipError_tT2_T3_mT4_P12ihipStream_tbEUlT_E_NS1_11comp_targetILNS1_3genE2ELNS1_11target_archE906ELNS1_3gpuE6ELNS1_3repE0EEENS1_30default_config_static_selectorELNS0_4arch9wavefront6targetE0EEEvT1_.uses_flat_scratch, 0
	.set _ZN7rocprim17ROCPRIM_400000_NS6detail17trampoline_kernelINS0_14default_configENS1_25transform_config_selectorIfLb1EEEZNS1_14transform_implILb1ES3_S5_PfS7_NS0_8identityIfEEEE10hipError_tT2_T3_mT4_P12ihipStream_tbEUlT_E_NS1_11comp_targetILNS1_3genE2ELNS1_11target_archE906ELNS1_3gpuE6ELNS1_3repE0EEENS1_30default_config_static_selectorELNS0_4arch9wavefront6targetE0EEEvT1_.has_dyn_sized_stack, 0
	.set _ZN7rocprim17ROCPRIM_400000_NS6detail17trampoline_kernelINS0_14default_configENS1_25transform_config_selectorIfLb1EEEZNS1_14transform_implILb1ES3_S5_PfS7_NS0_8identityIfEEEE10hipError_tT2_T3_mT4_P12ihipStream_tbEUlT_E_NS1_11comp_targetILNS1_3genE2ELNS1_11target_archE906ELNS1_3gpuE6ELNS1_3repE0EEENS1_30default_config_static_selectorELNS0_4arch9wavefront6targetE0EEEvT1_.has_recursion, 0
	.set _ZN7rocprim17ROCPRIM_400000_NS6detail17trampoline_kernelINS0_14default_configENS1_25transform_config_selectorIfLb1EEEZNS1_14transform_implILb1ES3_S5_PfS7_NS0_8identityIfEEEE10hipError_tT2_T3_mT4_P12ihipStream_tbEUlT_E_NS1_11comp_targetILNS1_3genE2ELNS1_11target_archE906ELNS1_3gpuE6ELNS1_3repE0EEENS1_30default_config_static_selectorELNS0_4arch9wavefront6targetE0EEEvT1_.has_indirect_call, 0
	.section	.AMDGPU.csdata,"",@progbits
; Kernel info:
; codeLenInByte = 0
; TotalNumSgprs: 0
; NumVgprs: 0
; ScratchSize: 0
; MemoryBound: 0
; FloatMode: 240
; IeeeMode: 1
; LDSByteSize: 0 bytes/workgroup (compile time only)
; SGPRBlocks: 0
; VGPRBlocks: 0
; NumSGPRsForWavesPerEU: 1
; NumVGPRsForWavesPerEU: 1
; Occupancy: 16
; WaveLimiterHint : 0
; COMPUTE_PGM_RSRC2:SCRATCH_EN: 0
; COMPUTE_PGM_RSRC2:USER_SGPR: 2
; COMPUTE_PGM_RSRC2:TRAP_HANDLER: 0
; COMPUTE_PGM_RSRC2:TGID_X_EN: 1
; COMPUTE_PGM_RSRC2:TGID_Y_EN: 0
; COMPUTE_PGM_RSRC2:TGID_Z_EN: 0
; COMPUTE_PGM_RSRC2:TIDIG_COMP_CNT: 0
	.section	.text._ZN7rocprim17ROCPRIM_400000_NS6detail17trampoline_kernelINS0_14default_configENS1_25transform_config_selectorIfLb1EEEZNS1_14transform_implILb1ES3_S5_PfS7_NS0_8identityIfEEEE10hipError_tT2_T3_mT4_P12ihipStream_tbEUlT_E_NS1_11comp_targetILNS1_3genE9ELNS1_11target_archE1100ELNS1_3gpuE3ELNS1_3repE0EEENS1_30default_config_static_selectorELNS0_4arch9wavefront6targetE0EEEvT1_,"axG",@progbits,_ZN7rocprim17ROCPRIM_400000_NS6detail17trampoline_kernelINS0_14default_configENS1_25transform_config_selectorIfLb1EEEZNS1_14transform_implILb1ES3_S5_PfS7_NS0_8identityIfEEEE10hipError_tT2_T3_mT4_P12ihipStream_tbEUlT_E_NS1_11comp_targetILNS1_3genE9ELNS1_11target_archE1100ELNS1_3gpuE3ELNS1_3repE0EEENS1_30default_config_static_selectorELNS0_4arch9wavefront6targetE0EEEvT1_,comdat
	.protected	_ZN7rocprim17ROCPRIM_400000_NS6detail17trampoline_kernelINS0_14default_configENS1_25transform_config_selectorIfLb1EEEZNS1_14transform_implILb1ES3_S5_PfS7_NS0_8identityIfEEEE10hipError_tT2_T3_mT4_P12ihipStream_tbEUlT_E_NS1_11comp_targetILNS1_3genE9ELNS1_11target_archE1100ELNS1_3gpuE3ELNS1_3repE0EEENS1_30default_config_static_selectorELNS0_4arch9wavefront6targetE0EEEvT1_ ; -- Begin function _ZN7rocprim17ROCPRIM_400000_NS6detail17trampoline_kernelINS0_14default_configENS1_25transform_config_selectorIfLb1EEEZNS1_14transform_implILb1ES3_S5_PfS7_NS0_8identityIfEEEE10hipError_tT2_T3_mT4_P12ihipStream_tbEUlT_E_NS1_11comp_targetILNS1_3genE9ELNS1_11target_archE1100ELNS1_3gpuE3ELNS1_3repE0EEENS1_30default_config_static_selectorELNS0_4arch9wavefront6targetE0EEEvT1_
	.globl	_ZN7rocprim17ROCPRIM_400000_NS6detail17trampoline_kernelINS0_14default_configENS1_25transform_config_selectorIfLb1EEEZNS1_14transform_implILb1ES3_S5_PfS7_NS0_8identityIfEEEE10hipError_tT2_T3_mT4_P12ihipStream_tbEUlT_E_NS1_11comp_targetILNS1_3genE9ELNS1_11target_archE1100ELNS1_3gpuE3ELNS1_3repE0EEENS1_30default_config_static_selectorELNS0_4arch9wavefront6targetE0EEEvT1_
	.p2align	8
	.type	_ZN7rocprim17ROCPRIM_400000_NS6detail17trampoline_kernelINS0_14default_configENS1_25transform_config_selectorIfLb1EEEZNS1_14transform_implILb1ES3_S5_PfS7_NS0_8identityIfEEEE10hipError_tT2_T3_mT4_P12ihipStream_tbEUlT_E_NS1_11comp_targetILNS1_3genE9ELNS1_11target_archE1100ELNS1_3gpuE3ELNS1_3repE0EEENS1_30default_config_static_selectorELNS0_4arch9wavefront6targetE0EEEvT1_,@function
_ZN7rocprim17ROCPRIM_400000_NS6detail17trampoline_kernelINS0_14default_configENS1_25transform_config_selectorIfLb1EEEZNS1_14transform_implILb1ES3_S5_PfS7_NS0_8identityIfEEEE10hipError_tT2_T3_mT4_P12ihipStream_tbEUlT_E_NS1_11comp_targetILNS1_3genE9ELNS1_11target_archE1100ELNS1_3gpuE3ELNS1_3repE0EEENS1_30default_config_static_selectorELNS0_4arch9wavefront6targetE0EEEvT1_: ; @_ZN7rocprim17ROCPRIM_400000_NS6detail17trampoline_kernelINS0_14default_configENS1_25transform_config_selectorIfLb1EEEZNS1_14transform_implILb1ES3_S5_PfS7_NS0_8identityIfEEEE10hipError_tT2_T3_mT4_P12ihipStream_tbEUlT_E_NS1_11comp_targetILNS1_3genE9ELNS1_11target_archE1100ELNS1_3gpuE3ELNS1_3repE0EEENS1_30default_config_static_selectorELNS0_4arch9wavefront6targetE0EEEvT1_
; %bb.0:
	.section	.rodata,"a",@progbits
	.p2align	6, 0x0
	.amdhsa_kernel _ZN7rocprim17ROCPRIM_400000_NS6detail17trampoline_kernelINS0_14default_configENS1_25transform_config_selectorIfLb1EEEZNS1_14transform_implILb1ES3_S5_PfS7_NS0_8identityIfEEEE10hipError_tT2_T3_mT4_P12ihipStream_tbEUlT_E_NS1_11comp_targetILNS1_3genE9ELNS1_11target_archE1100ELNS1_3gpuE3ELNS1_3repE0EEENS1_30default_config_static_selectorELNS0_4arch9wavefront6targetE0EEEvT1_
		.amdhsa_group_segment_fixed_size 0
		.amdhsa_private_segment_fixed_size 0
		.amdhsa_kernarg_size 40
		.amdhsa_user_sgpr_count 2
		.amdhsa_user_sgpr_dispatch_ptr 0
		.amdhsa_user_sgpr_queue_ptr 0
		.amdhsa_user_sgpr_kernarg_segment_ptr 1
		.amdhsa_user_sgpr_dispatch_id 0
		.amdhsa_user_sgpr_private_segment_size 0
		.amdhsa_wavefront_size32 1
		.amdhsa_uses_dynamic_stack 0
		.amdhsa_enable_private_segment 0
		.amdhsa_system_sgpr_workgroup_id_x 1
		.amdhsa_system_sgpr_workgroup_id_y 0
		.amdhsa_system_sgpr_workgroup_id_z 0
		.amdhsa_system_sgpr_workgroup_info 0
		.amdhsa_system_vgpr_workitem_id 0
		.amdhsa_next_free_vgpr 1
		.amdhsa_next_free_sgpr 1
		.amdhsa_reserve_vcc 0
		.amdhsa_float_round_mode_32 0
		.amdhsa_float_round_mode_16_64 0
		.amdhsa_float_denorm_mode_32 3
		.amdhsa_float_denorm_mode_16_64 3
		.amdhsa_fp16_overflow 0
		.amdhsa_workgroup_processor_mode 1
		.amdhsa_memory_ordered 1
		.amdhsa_forward_progress 1
		.amdhsa_inst_pref_size 0
		.amdhsa_round_robin_scheduling 0
		.amdhsa_exception_fp_ieee_invalid_op 0
		.amdhsa_exception_fp_denorm_src 0
		.amdhsa_exception_fp_ieee_div_zero 0
		.amdhsa_exception_fp_ieee_overflow 0
		.amdhsa_exception_fp_ieee_underflow 0
		.amdhsa_exception_fp_ieee_inexact 0
		.amdhsa_exception_int_div_zero 0
	.end_amdhsa_kernel
	.section	.text._ZN7rocprim17ROCPRIM_400000_NS6detail17trampoline_kernelINS0_14default_configENS1_25transform_config_selectorIfLb1EEEZNS1_14transform_implILb1ES3_S5_PfS7_NS0_8identityIfEEEE10hipError_tT2_T3_mT4_P12ihipStream_tbEUlT_E_NS1_11comp_targetILNS1_3genE9ELNS1_11target_archE1100ELNS1_3gpuE3ELNS1_3repE0EEENS1_30default_config_static_selectorELNS0_4arch9wavefront6targetE0EEEvT1_,"axG",@progbits,_ZN7rocprim17ROCPRIM_400000_NS6detail17trampoline_kernelINS0_14default_configENS1_25transform_config_selectorIfLb1EEEZNS1_14transform_implILb1ES3_S5_PfS7_NS0_8identityIfEEEE10hipError_tT2_T3_mT4_P12ihipStream_tbEUlT_E_NS1_11comp_targetILNS1_3genE9ELNS1_11target_archE1100ELNS1_3gpuE3ELNS1_3repE0EEENS1_30default_config_static_selectorELNS0_4arch9wavefront6targetE0EEEvT1_,comdat
.Lfunc_end103:
	.size	_ZN7rocprim17ROCPRIM_400000_NS6detail17trampoline_kernelINS0_14default_configENS1_25transform_config_selectorIfLb1EEEZNS1_14transform_implILb1ES3_S5_PfS7_NS0_8identityIfEEEE10hipError_tT2_T3_mT4_P12ihipStream_tbEUlT_E_NS1_11comp_targetILNS1_3genE9ELNS1_11target_archE1100ELNS1_3gpuE3ELNS1_3repE0EEENS1_30default_config_static_selectorELNS0_4arch9wavefront6targetE0EEEvT1_, .Lfunc_end103-_ZN7rocprim17ROCPRIM_400000_NS6detail17trampoline_kernelINS0_14default_configENS1_25transform_config_selectorIfLb1EEEZNS1_14transform_implILb1ES3_S5_PfS7_NS0_8identityIfEEEE10hipError_tT2_T3_mT4_P12ihipStream_tbEUlT_E_NS1_11comp_targetILNS1_3genE9ELNS1_11target_archE1100ELNS1_3gpuE3ELNS1_3repE0EEENS1_30default_config_static_selectorELNS0_4arch9wavefront6targetE0EEEvT1_
                                        ; -- End function
	.set _ZN7rocprim17ROCPRIM_400000_NS6detail17trampoline_kernelINS0_14default_configENS1_25transform_config_selectorIfLb1EEEZNS1_14transform_implILb1ES3_S5_PfS7_NS0_8identityIfEEEE10hipError_tT2_T3_mT4_P12ihipStream_tbEUlT_E_NS1_11comp_targetILNS1_3genE9ELNS1_11target_archE1100ELNS1_3gpuE3ELNS1_3repE0EEENS1_30default_config_static_selectorELNS0_4arch9wavefront6targetE0EEEvT1_.num_vgpr, 0
	.set _ZN7rocprim17ROCPRIM_400000_NS6detail17trampoline_kernelINS0_14default_configENS1_25transform_config_selectorIfLb1EEEZNS1_14transform_implILb1ES3_S5_PfS7_NS0_8identityIfEEEE10hipError_tT2_T3_mT4_P12ihipStream_tbEUlT_E_NS1_11comp_targetILNS1_3genE9ELNS1_11target_archE1100ELNS1_3gpuE3ELNS1_3repE0EEENS1_30default_config_static_selectorELNS0_4arch9wavefront6targetE0EEEvT1_.num_agpr, 0
	.set _ZN7rocprim17ROCPRIM_400000_NS6detail17trampoline_kernelINS0_14default_configENS1_25transform_config_selectorIfLb1EEEZNS1_14transform_implILb1ES3_S5_PfS7_NS0_8identityIfEEEE10hipError_tT2_T3_mT4_P12ihipStream_tbEUlT_E_NS1_11comp_targetILNS1_3genE9ELNS1_11target_archE1100ELNS1_3gpuE3ELNS1_3repE0EEENS1_30default_config_static_selectorELNS0_4arch9wavefront6targetE0EEEvT1_.numbered_sgpr, 0
	.set _ZN7rocprim17ROCPRIM_400000_NS6detail17trampoline_kernelINS0_14default_configENS1_25transform_config_selectorIfLb1EEEZNS1_14transform_implILb1ES3_S5_PfS7_NS0_8identityIfEEEE10hipError_tT2_T3_mT4_P12ihipStream_tbEUlT_E_NS1_11comp_targetILNS1_3genE9ELNS1_11target_archE1100ELNS1_3gpuE3ELNS1_3repE0EEENS1_30default_config_static_selectorELNS0_4arch9wavefront6targetE0EEEvT1_.num_named_barrier, 0
	.set _ZN7rocprim17ROCPRIM_400000_NS6detail17trampoline_kernelINS0_14default_configENS1_25transform_config_selectorIfLb1EEEZNS1_14transform_implILb1ES3_S5_PfS7_NS0_8identityIfEEEE10hipError_tT2_T3_mT4_P12ihipStream_tbEUlT_E_NS1_11comp_targetILNS1_3genE9ELNS1_11target_archE1100ELNS1_3gpuE3ELNS1_3repE0EEENS1_30default_config_static_selectorELNS0_4arch9wavefront6targetE0EEEvT1_.private_seg_size, 0
	.set _ZN7rocprim17ROCPRIM_400000_NS6detail17trampoline_kernelINS0_14default_configENS1_25transform_config_selectorIfLb1EEEZNS1_14transform_implILb1ES3_S5_PfS7_NS0_8identityIfEEEE10hipError_tT2_T3_mT4_P12ihipStream_tbEUlT_E_NS1_11comp_targetILNS1_3genE9ELNS1_11target_archE1100ELNS1_3gpuE3ELNS1_3repE0EEENS1_30default_config_static_selectorELNS0_4arch9wavefront6targetE0EEEvT1_.uses_vcc, 0
	.set _ZN7rocprim17ROCPRIM_400000_NS6detail17trampoline_kernelINS0_14default_configENS1_25transform_config_selectorIfLb1EEEZNS1_14transform_implILb1ES3_S5_PfS7_NS0_8identityIfEEEE10hipError_tT2_T3_mT4_P12ihipStream_tbEUlT_E_NS1_11comp_targetILNS1_3genE9ELNS1_11target_archE1100ELNS1_3gpuE3ELNS1_3repE0EEENS1_30default_config_static_selectorELNS0_4arch9wavefront6targetE0EEEvT1_.uses_flat_scratch, 0
	.set _ZN7rocprim17ROCPRIM_400000_NS6detail17trampoline_kernelINS0_14default_configENS1_25transform_config_selectorIfLb1EEEZNS1_14transform_implILb1ES3_S5_PfS7_NS0_8identityIfEEEE10hipError_tT2_T3_mT4_P12ihipStream_tbEUlT_E_NS1_11comp_targetILNS1_3genE9ELNS1_11target_archE1100ELNS1_3gpuE3ELNS1_3repE0EEENS1_30default_config_static_selectorELNS0_4arch9wavefront6targetE0EEEvT1_.has_dyn_sized_stack, 0
	.set _ZN7rocprim17ROCPRIM_400000_NS6detail17trampoline_kernelINS0_14default_configENS1_25transform_config_selectorIfLb1EEEZNS1_14transform_implILb1ES3_S5_PfS7_NS0_8identityIfEEEE10hipError_tT2_T3_mT4_P12ihipStream_tbEUlT_E_NS1_11comp_targetILNS1_3genE9ELNS1_11target_archE1100ELNS1_3gpuE3ELNS1_3repE0EEENS1_30default_config_static_selectorELNS0_4arch9wavefront6targetE0EEEvT1_.has_recursion, 0
	.set _ZN7rocprim17ROCPRIM_400000_NS6detail17trampoline_kernelINS0_14default_configENS1_25transform_config_selectorIfLb1EEEZNS1_14transform_implILb1ES3_S5_PfS7_NS0_8identityIfEEEE10hipError_tT2_T3_mT4_P12ihipStream_tbEUlT_E_NS1_11comp_targetILNS1_3genE9ELNS1_11target_archE1100ELNS1_3gpuE3ELNS1_3repE0EEENS1_30default_config_static_selectorELNS0_4arch9wavefront6targetE0EEEvT1_.has_indirect_call, 0
	.section	.AMDGPU.csdata,"",@progbits
; Kernel info:
; codeLenInByte = 0
; TotalNumSgprs: 0
; NumVgprs: 0
; ScratchSize: 0
; MemoryBound: 0
; FloatMode: 240
; IeeeMode: 1
; LDSByteSize: 0 bytes/workgroup (compile time only)
; SGPRBlocks: 0
; VGPRBlocks: 0
; NumSGPRsForWavesPerEU: 1
; NumVGPRsForWavesPerEU: 1
; Occupancy: 16
; WaveLimiterHint : 0
; COMPUTE_PGM_RSRC2:SCRATCH_EN: 0
; COMPUTE_PGM_RSRC2:USER_SGPR: 2
; COMPUTE_PGM_RSRC2:TRAP_HANDLER: 0
; COMPUTE_PGM_RSRC2:TGID_X_EN: 1
; COMPUTE_PGM_RSRC2:TGID_Y_EN: 0
; COMPUTE_PGM_RSRC2:TGID_Z_EN: 0
; COMPUTE_PGM_RSRC2:TIDIG_COMP_CNT: 0
	.section	.text._ZN7rocprim17ROCPRIM_400000_NS6detail17trampoline_kernelINS0_14default_configENS1_25transform_config_selectorIfLb1EEEZNS1_14transform_implILb1ES3_S5_PfS7_NS0_8identityIfEEEE10hipError_tT2_T3_mT4_P12ihipStream_tbEUlT_E_NS1_11comp_targetILNS1_3genE8ELNS1_11target_archE1030ELNS1_3gpuE2ELNS1_3repE0EEENS1_30default_config_static_selectorELNS0_4arch9wavefront6targetE0EEEvT1_,"axG",@progbits,_ZN7rocprim17ROCPRIM_400000_NS6detail17trampoline_kernelINS0_14default_configENS1_25transform_config_selectorIfLb1EEEZNS1_14transform_implILb1ES3_S5_PfS7_NS0_8identityIfEEEE10hipError_tT2_T3_mT4_P12ihipStream_tbEUlT_E_NS1_11comp_targetILNS1_3genE8ELNS1_11target_archE1030ELNS1_3gpuE2ELNS1_3repE0EEENS1_30default_config_static_selectorELNS0_4arch9wavefront6targetE0EEEvT1_,comdat
	.protected	_ZN7rocprim17ROCPRIM_400000_NS6detail17trampoline_kernelINS0_14default_configENS1_25transform_config_selectorIfLb1EEEZNS1_14transform_implILb1ES3_S5_PfS7_NS0_8identityIfEEEE10hipError_tT2_T3_mT4_P12ihipStream_tbEUlT_E_NS1_11comp_targetILNS1_3genE8ELNS1_11target_archE1030ELNS1_3gpuE2ELNS1_3repE0EEENS1_30default_config_static_selectorELNS0_4arch9wavefront6targetE0EEEvT1_ ; -- Begin function _ZN7rocprim17ROCPRIM_400000_NS6detail17trampoline_kernelINS0_14default_configENS1_25transform_config_selectorIfLb1EEEZNS1_14transform_implILb1ES3_S5_PfS7_NS0_8identityIfEEEE10hipError_tT2_T3_mT4_P12ihipStream_tbEUlT_E_NS1_11comp_targetILNS1_3genE8ELNS1_11target_archE1030ELNS1_3gpuE2ELNS1_3repE0EEENS1_30default_config_static_selectorELNS0_4arch9wavefront6targetE0EEEvT1_
	.globl	_ZN7rocprim17ROCPRIM_400000_NS6detail17trampoline_kernelINS0_14default_configENS1_25transform_config_selectorIfLb1EEEZNS1_14transform_implILb1ES3_S5_PfS7_NS0_8identityIfEEEE10hipError_tT2_T3_mT4_P12ihipStream_tbEUlT_E_NS1_11comp_targetILNS1_3genE8ELNS1_11target_archE1030ELNS1_3gpuE2ELNS1_3repE0EEENS1_30default_config_static_selectorELNS0_4arch9wavefront6targetE0EEEvT1_
	.p2align	8
	.type	_ZN7rocprim17ROCPRIM_400000_NS6detail17trampoline_kernelINS0_14default_configENS1_25transform_config_selectorIfLb1EEEZNS1_14transform_implILb1ES3_S5_PfS7_NS0_8identityIfEEEE10hipError_tT2_T3_mT4_P12ihipStream_tbEUlT_E_NS1_11comp_targetILNS1_3genE8ELNS1_11target_archE1030ELNS1_3gpuE2ELNS1_3repE0EEENS1_30default_config_static_selectorELNS0_4arch9wavefront6targetE0EEEvT1_,@function
_ZN7rocprim17ROCPRIM_400000_NS6detail17trampoline_kernelINS0_14default_configENS1_25transform_config_selectorIfLb1EEEZNS1_14transform_implILb1ES3_S5_PfS7_NS0_8identityIfEEEE10hipError_tT2_T3_mT4_P12ihipStream_tbEUlT_E_NS1_11comp_targetILNS1_3genE8ELNS1_11target_archE1030ELNS1_3gpuE2ELNS1_3repE0EEENS1_30default_config_static_selectorELNS0_4arch9wavefront6targetE0EEEvT1_: ; @_ZN7rocprim17ROCPRIM_400000_NS6detail17trampoline_kernelINS0_14default_configENS1_25transform_config_selectorIfLb1EEEZNS1_14transform_implILb1ES3_S5_PfS7_NS0_8identityIfEEEE10hipError_tT2_T3_mT4_P12ihipStream_tbEUlT_E_NS1_11comp_targetILNS1_3genE8ELNS1_11target_archE1030ELNS1_3gpuE2ELNS1_3repE0EEENS1_30default_config_static_selectorELNS0_4arch9wavefront6targetE0EEEvT1_
; %bb.0:
	.section	.rodata,"a",@progbits
	.p2align	6, 0x0
	.amdhsa_kernel _ZN7rocprim17ROCPRIM_400000_NS6detail17trampoline_kernelINS0_14default_configENS1_25transform_config_selectorIfLb1EEEZNS1_14transform_implILb1ES3_S5_PfS7_NS0_8identityIfEEEE10hipError_tT2_T3_mT4_P12ihipStream_tbEUlT_E_NS1_11comp_targetILNS1_3genE8ELNS1_11target_archE1030ELNS1_3gpuE2ELNS1_3repE0EEENS1_30default_config_static_selectorELNS0_4arch9wavefront6targetE0EEEvT1_
		.amdhsa_group_segment_fixed_size 0
		.amdhsa_private_segment_fixed_size 0
		.amdhsa_kernarg_size 40
		.amdhsa_user_sgpr_count 2
		.amdhsa_user_sgpr_dispatch_ptr 0
		.amdhsa_user_sgpr_queue_ptr 0
		.amdhsa_user_sgpr_kernarg_segment_ptr 1
		.amdhsa_user_sgpr_dispatch_id 0
		.amdhsa_user_sgpr_private_segment_size 0
		.amdhsa_wavefront_size32 1
		.amdhsa_uses_dynamic_stack 0
		.amdhsa_enable_private_segment 0
		.amdhsa_system_sgpr_workgroup_id_x 1
		.amdhsa_system_sgpr_workgroup_id_y 0
		.amdhsa_system_sgpr_workgroup_id_z 0
		.amdhsa_system_sgpr_workgroup_info 0
		.amdhsa_system_vgpr_workitem_id 0
		.amdhsa_next_free_vgpr 1
		.amdhsa_next_free_sgpr 1
		.amdhsa_reserve_vcc 0
		.amdhsa_float_round_mode_32 0
		.amdhsa_float_round_mode_16_64 0
		.amdhsa_float_denorm_mode_32 3
		.amdhsa_float_denorm_mode_16_64 3
		.amdhsa_fp16_overflow 0
		.amdhsa_workgroup_processor_mode 1
		.amdhsa_memory_ordered 1
		.amdhsa_forward_progress 1
		.amdhsa_inst_pref_size 0
		.amdhsa_round_robin_scheduling 0
		.amdhsa_exception_fp_ieee_invalid_op 0
		.amdhsa_exception_fp_denorm_src 0
		.amdhsa_exception_fp_ieee_div_zero 0
		.amdhsa_exception_fp_ieee_overflow 0
		.amdhsa_exception_fp_ieee_underflow 0
		.amdhsa_exception_fp_ieee_inexact 0
		.amdhsa_exception_int_div_zero 0
	.end_amdhsa_kernel
	.section	.text._ZN7rocprim17ROCPRIM_400000_NS6detail17trampoline_kernelINS0_14default_configENS1_25transform_config_selectorIfLb1EEEZNS1_14transform_implILb1ES3_S5_PfS7_NS0_8identityIfEEEE10hipError_tT2_T3_mT4_P12ihipStream_tbEUlT_E_NS1_11comp_targetILNS1_3genE8ELNS1_11target_archE1030ELNS1_3gpuE2ELNS1_3repE0EEENS1_30default_config_static_selectorELNS0_4arch9wavefront6targetE0EEEvT1_,"axG",@progbits,_ZN7rocprim17ROCPRIM_400000_NS6detail17trampoline_kernelINS0_14default_configENS1_25transform_config_selectorIfLb1EEEZNS1_14transform_implILb1ES3_S5_PfS7_NS0_8identityIfEEEE10hipError_tT2_T3_mT4_P12ihipStream_tbEUlT_E_NS1_11comp_targetILNS1_3genE8ELNS1_11target_archE1030ELNS1_3gpuE2ELNS1_3repE0EEENS1_30default_config_static_selectorELNS0_4arch9wavefront6targetE0EEEvT1_,comdat
.Lfunc_end104:
	.size	_ZN7rocprim17ROCPRIM_400000_NS6detail17trampoline_kernelINS0_14default_configENS1_25transform_config_selectorIfLb1EEEZNS1_14transform_implILb1ES3_S5_PfS7_NS0_8identityIfEEEE10hipError_tT2_T3_mT4_P12ihipStream_tbEUlT_E_NS1_11comp_targetILNS1_3genE8ELNS1_11target_archE1030ELNS1_3gpuE2ELNS1_3repE0EEENS1_30default_config_static_selectorELNS0_4arch9wavefront6targetE0EEEvT1_, .Lfunc_end104-_ZN7rocprim17ROCPRIM_400000_NS6detail17trampoline_kernelINS0_14default_configENS1_25transform_config_selectorIfLb1EEEZNS1_14transform_implILb1ES3_S5_PfS7_NS0_8identityIfEEEE10hipError_tT2_T3_mT4_P12ihipStream_tbEUlT_E_NS1_11comp_targetILNS1_3genE8ELNS1_11target_archE1030ELNS1_3gpuE2ELNS1_3repE0EEENS1_30default_config_static_selectorELNS0_4arch9wavefront6targetE0EEEvT1_
                                        ; -- End function
	.set _ZN7rocprim17ROCPRIM_400000_NS6detail17trampoline_kernelINS0_14default_configENS1_25transform_config_selectorIfLb1EEEZNS1_14transform_implILb1ES3_S5_PfS7_NS0_8identityIfEEEE10hipError_tT2_T3_mT4_P12ihipStream_tbEUlT_E_NS1_11comp_targetILNS1_3genE8ELNS1_11target_archE1030ELNS1_3gpuE2ELNS1_3repE0EEENS1_30default_config_static_selectorELNS0_4arch9wavefront6targetE0EEEvT1_.num_vgpr, 0
	.set _ZN7rocprim17ROCPRIM_400000_NS6detail17trampoline_kernelINS0_14default_configENS1_25transform_config_selectorIfLb1EEEZNS1_14transform_implILb1ES3_S5_PfS7_NS0_8identityIfEEEE10hipError_tT2_T3_mT4_P12ihipStream_tbEUlT_E_NS1_11comp_targetILNS1_3genE8ELNS1_11target_archE1030ELNS1_3gpuE2ELNS1_3repE0EEENS1_30default_config_static_selectorELNS0_4arch9wavefront6targetE0EEEvT1_.num_agpr, 0
	.set _ZN7rocprim17ROCPRIM_400000_NS6detail17trampoline_kernelINS0_14default_configENS1_25transform_config_selectorIfLb1EEEZNS1_14transform_implILb1ES3_S5_PfS7_NS0_8identityIfEEEE10hipError_tT2_T3_mT4_P12ihipStream_tbEUlT_E_NS1_11comp_targetILNS1_3genE8ELNS1_11target_archE1030ELNS1_3gpuE2ELNS1_3repE0EEENS1_30default_config_static_selectorELNS0_4arch9wavefront6targetE0EEEvT1_.numbered_sgpr, 0
	.set _ZN7rocprim17ROCPRIM_400000_NS6detail17trampoline_kernelINS0_14default_configENS1_25transform_config_selectorIfLb1EEEZNS1_14transform_implILb1ES3_S5_PfS7_NS0_8identityIfEEEE10hipError_tT2_T3_mT4_P12ihipStream_tbEUlT_E_NS1_11comp_targetILNS1_3genE8ELNS1_11target_archE1030ELNS1_3gpuE2ELNS1_3repE0EEENS1_30default_config_static_selectorELNS0_4arch9wavefront6targetE0EEEvT1_.num_named_barrier, 0
	.set _ZN7rocprim17ROCPRIM_400000_NS6detail17trampoline_kernelINS0_14default_configENS1_25transform_config_selectorIfLb1EEEZNS1_14transform_implILb1ES3_S5_PfS7_NS0_8identityIfEEEE10hipError_tT2_T3_mT4_P12ihipStream_tbEUlT_E_NS1_11comp_targetILNS1_3genE8ELNS1_11target_archE1030ELNS1_3gpuE2ELNS1_3repE0EEENS1_30default_config_static_selectorELNS0_4arch9wavefront6targetE0EEEvT1_.private_seg_size, 0
	.set _ZN7rocprim17ROCPRIM_400000_NS6detail17trampoline_kernelINS0_14default_configENS1_25transform_config_selectorIfLb1EEEZNS1_14transform_implILb1ES3_S5_PfS7_NS0_8identityIfEEEE10hipError_tT2_T3_mT4_P12ihipStream_tbEUlT_E_NS1_11comp_targetILNS1_3genE8ELNS1_11target_archE1030ELNS1_3gpuE2ELNS1_3repE0EEENS1_30default_config_static_selectorELNS0_4arch9wavefront6targetE0EEEvT1_.uses_vcc, 0
	.set _ZN7rocprim17ROCPRIM_400000_NS6detail17trampoline_kernelINS0_14default_configENS1_25transform_config_selectorIfLb1EEEZNS1_14transform_implILb1ES3_S5_PfS7_NS0_8identityIfEEEE10hipError_tT2_T3_mT4_P12ihipStream_tbEUlT_E_NS1_11comp_targetILNS1_3genE8ELNS1_11target_archE1030ELNS1_3gpuE2ELNS1_3repE0EEENS1_30default_config_static_selectorELNS0_4arch9wavefront6targetE0EEEvT1_.uses_flat_scratch, 0
	.set _ZN7rocprim17ROCPRIM_400000_NS6detail17trampoline_kernelINS0_14default_configENS1_25transform_config_selectorIfLb1EEEZNS1_14transform_implILb1ES3_S5_PfS7_NS0_8identityIfEEEE10hipError_tT2_T3_mT4_P12ihipStream_tbEUlT_E_NS1_11comp_targetILNS1_3genE8ELNS1_11target_archE1030ELNS1_3gpuE2ELNS1_3repE0EEENS1_30default_config_static_selectorELNS0_4arch9wavefront6targetE0EEEvT1_.has_dyn_sized_stack, 0
	.set _ZN7rocprim17ROCPRIM_400000_NS6detail17trampoline_kernelINS0_14default_configENS1_25transform_config_selectorIfLb1EEEZNS1_14transform_implILb1ES3_S5_PfS7_NS0_8identityIfEEEE10hipError_tT2_T3_mT4_P12ihipStream_tbEUlT_E_NS1_11comp_targetILNS1_3genE8ELNS1_11target_archE1030ELNS1_3gpuE2ELNS1_3repE0EEENS1_30default_config_static_selectorELNS0_4arch9wavefront6targetE0EEEvT1_.has_recursion, 0
	.set _ZN7rocprim17ROCPRIM_400000_NS6detail17trampoline_kernelINS0_14default_configENS1_25transform_config_selectorIfLb1EEEZNS1_14transform_implILb1ES3_S5_PfS7_NS0_8identityIfEEEE10hipError_tT2_T3_mT4_P12ihipStream_tbEUlT_E_NS1_11comp_targetILNS1_3genE8ELNS1_11target_archE1030ELNS1_3gpuE2ELNS1_3repE0EEENS1_30default_config_static_selectorELNS0_4arch9wavefront6targetE0EEEvT1_.has_indirect_call, 0
	.section	.AMDGPU.csdata,"",@progbits
; Kernel info:
; codeLenInByte = 0
; TotalNumSgprs: 0
; NumVgprs: 0
; ScratchSize: 0
; MemoryBound: 0
; FloatMode: 240
; IeeeMode: 1
; LDSByteSize: 0 bytes/workgroup (compile time only)
; SGPRBlocks: 0
; VGPRBlocks: 0
; NumSGPRsForWavesPerEU: 1
; NumVGPRsForWavesPerEU: 1
; Occupancy: 16
; WaveLimiterHint : 0
; COMPUTE_PGM_RSRC2:SCRATCH_EN: 0
; COMPUTE_PGM_RSRC2:USER_SGPR: 2
; COMPUTE_PGM_RSRC2:TRAP_HANDLER: 0
; COMPUTE_PGM_RSRC2:TGID_X_EN: 1
; COMPUTE_PGM_RSRC2:TGID_Y_EN: 0
; COMPUTE_PGM_RSRC2:TGID_Z_EN: 0
; COMPUTE_PGM_RSRC2:TIDIG_COMP_CNT: 0
	.section	.text._ZN7rocprim17ROCPRIM_400000_NS6detail17trampoline_kernelINS0_14default_configENS1_20scan_config_selectorIfEEZZNS1_9scan_implILNS1_25lookback_scan_determinismE0ELb0ELb0ES3_PKfPffZZZN2at6native31launch_logcumsumexp_cuda_kernelERKNSB_10TensorBaseESF_lENKUlvE_clEvENKUlvE0_clEvEUlffE_fEEDaPvRmT3_T4_T5_mT6_P12ihipStream_tbENKUlT_T0_E_clISt17integral_constantIbLb0EESW_EEDaSR_SS_EUlSR_E0_NS1_11comp_targetILNS1_3genE0ELNS1_11target_archE4294967295ELNS1_3gpuE0ELNS1_3repE0EEENS1_30default_config_static_selectorELNS0_4arch9wavefront6targetE0EEEvT1_,"axG",@progbits,_ZN7rocprim17ROCPRIM_400000_NS6detail17trampoline_kernelINS0_14default_configENS1_20scan_config_selectorIfEEZZNS1_9scan_implILNS1_25lookback_scan_determinismE0ELb0ELb0ES3_PKfPffZZZN2at6native31launch_logcumsumexp_cuda_kernelERKNSB_10TensorBaseESF_lENKUlvE_clEvENKUlvE0_clEvEUlffE_fEEDaPvRmT3_T4_T5_mT6_P12ihipStream_tbENKUlT_T0_E_clISt17integral_constantIbLb0EESW_EEDaSR_SS_EUlSR_E0_NS1_11comp_targetILNS1_3genE0ELNS1_11target_archE4294967295ELNS1_3gpuE0ELNS1_3repE0EEENS1_30default_config_static_selectorELNS0_4arch9wavefront6targetE0EEEvT1_,comdat
	.globl	_ZN7rocprim17ROCPRIM_400000_NS6detail17trampoline_kernelINS0_14default_configENS1_20scan_config_selectorIfEEZZNS1_9scan_implILNS1_25lookback_scan_determinismE0ELb0ELb0ES3_PKfPffZZZN2at6native31launch_logcumsumexp_cuda_kernelERKNSB_10TensorBaseESF_lENKUlvE_clEvENKUlvE0_clEvEUlffE_fEEDaPvRmT3_T4_T5_mT6_P12ihipStream_tbENKUlT_T0_E_clISt17integral_constantIbLb0EESW_EEDaSR_SS_EUlSR_E0_NS1_11comp_targetILNS1_3genE0ELNS1_11target_archE4294967295ELNS1_3gpuE0ELNS1_3repE0EEENS1_30default_config_static_selectorELNS0_4arch9wavefront6targetE0EEEvT1_ ; -- Begin function _ZN7rocprim17ROCPRIM_400000_NS6detail17trampoline_kernelINS0_14default_configENS1_20scan_config_selectorIfEEZZNS1_9scan_implILNS1_25lookback_scan_determinismE0ELb0ELb0ES3_PKfPffZZZN2at6native31launch_logcumsumexp_cuda_kernelERKNSB_10TensorBaseESF_lENKUlvE_clEvENKUlvE0_clEvEUlffE_fEEDaPvRmT3_T4_T5_mT6_P12ihipStream_tbENKUlT_T0_E_clISt17integral_constantIbLb0EESW_EEDaSR_SS_EUlSR_E0_NS1_11comp_targetILNS1_3genE0ELNS1_11target_archE4294967295ELNS1_3gpuE0ELNS1_3repE0EEENS1_30default_config_static_selectorELNS0_4arch9wavefront6targetE0EEEvT1_
	.p2align	8
	.type	_ZN7rocprim17ROCPRIM_400000_NS6detail17trampoline_kernelINS0_14default_configENS1_20scan_config_selectorIfEEZZNS1_9scan_implILNS1_25lookback_scan_determinismE0ELb0ELb0ES3_PKfPffZZZN2at6native31launch_logcumsumexp_cuda_kernelERKNSB_10TensorBaseESF_lENKUlvE_clEvENKUlvE0_clEvEUlffE_fEEDaPvRmT3_T4_T5_mT6_P12ihipStream_tbENKUlT_T0_E_clISt17integral_constantIbLb0EESW_EEDaSR_SS_EUlSR_E0_NS1_11comp_targetILNS1_3genE0ELNS1_11target_archE4294967295ELNS1_3gpuE0ELNS1_3repE0EEENS1_30default_config_static_selectorELNS0_4arch9wavefront6targetE0EEEvT1_,@function
_ZN7rocprim17ROCPRIM_400000_NS6detail17trampoline_kernelINS0_14default_configENS1_20scan_config_selectorIfEEZZNS1_9scan_implILNS1_25lookback_scan_determinismE0ELb0ELb0ES3_PKfPffZZZN2at6native31launch_logcumsumexp_cuda_kernelERKNSB_10TensorBaseESF_lENKUlvE_clEvENKUlvE0_clEvEUlffE_fEEDaPvRmT3_T4_T5_mT6_P12ihipStream_tbENKUlT_T0_E_clISt17integral_constantIbLb0EESW_EEDaSR_SS_EUlSR_E0_NS1_11comp_targetILNS1_3genE0ELNS1_11target_archE4294967295ELNS1_3gpuE0ELNS1_3repE0EEENS1_30default_config_static_selectorELNS0_4arch9wavefront6targetE0EEEvT1_: ; @_ZN7rocprim17ROCPRIM_400000_NS6detail17trampoline_kernelINS0_14default_configENS1_20scan_config_selectorIfEEZZNS1_9scan_implILNS1_25lookback_scan_determinismE0ELb0ELb0ES3_PKfPffZZZN2at6native31launch_logcumsumexp_cuda_kernelERKNSB_10TensorBaseESF_lENKUlvE_clEvENKUlvE0_clEvEUlffE_fEEDaPvRmT3_T4_T5_mT6_P12ihipStream_tbENKUlT_T0_E_clISt17integral_constantIbLb0EESW_EEDaSR_SS_EUlSR_E0_NS1_11comp_targetILNS1_3genE0ELNS1_11target_archE4294967295ELNS1_3gpuE0ELNS1_3repE0EEENS1_30default_config_static_selectorELNS0_4arch9wavefront6targetE0EEEvT1_
; %bb.0:
	.section	.rodata,"a",@progbits
	.p2align	6, 0x0
	.amdhsa_kernel _ZN7rocprim17ROCPRIM_400000_NS6detail17trampoline_kernelINS0_14default_configENS1_20scan_config_selectorIfEEZZNS1_9scan_implILNS1_25lookback_scan_determinismE0ELb0ELb0ES3_PKfPffZZZN2at6native31launch_logcumsumexp_cuda_kernelERKNSB_10TensorBaseESF_lENKUlvE_clEvENKUlvE0_clEvEUlffE_fEEDaPvRmT3_T4_T5_mT6_P12ihipStream_tbENKUlT_T0_E_clISt17integral_constantIbLb0EESW_EEDaSR_SS_EUlSR_E0_NS1_11comp_targetILNS1_3genE0ELNS1_11target_archE4294967295ELNS1_3gpuE0ELNS1_3repE0EEENS1_30default_config_static_selectorELNS0_4arch9wavefront6targetE0EEEvT1_
		.amdhsa_group_segment_fixed_size 0
		.amdhsa_private_segment_fixed_size 0
		.amdhsa_kernarg_size 32
		.amdhsa_user_sgpr_count 2
		.amdhsa_user_sgpr_dispatch_ptr 0
		.amdhsa_user_sgpr_queue_ptr 0
		.amdhsa_user_sgpr_kernarg_segment_ptr 1
		.amdhsa_user_sgpr_dispatch_id 0
		.amdhsa_user_sgpr_private_segment_size 0
		.amdhsa_wavefront_size32 1
		.amdhsa_uses_dynamic_stack 0
		.amdhsa_enable_private_segment 0
		.amdhsa_system_sgpr_workgroup_id_x 1
		.amdhsa_system_sgpr_workgroup_id_y 0
		.amdhsa_system_sgpr_workgroup_id_z 0
		.amdhsa_system_sgpr_workgroup_info 0
		.amdhsa_system_vgpr_workitem_id 0
		.amdhsa_next_free_vgpr 1
		.amdhsa_next_free_sgpr 1
		.amdhsa_reserve_vcc 0
		.amdhsa_float_round_mode_32 0
		.amdhsa_float_round_mode_16_64 0
		.amdhsa_float_denorm_mode_32 3
		.amdhsa_float_denorm_mode_16_64 3
		.amdhsa_fp16_overflow 0
		.amdhsa_workgroup_processor_mode 1
		.amdhsa_memory_ordered 1
		.amdhsa_forward_progress 1
		.amdhsa_inst_pref_size 0
		.amdhsa_round_robin_scheduling 0
		.amdhsa_exception_fp_ieee_invalid_op 0
		.amdhsa_exception_fp_denorm_src 0
		.amdhsa_exception_fp_ieee_div_zero 0
		.amdhsa_exception_fp_ieee_overflow 0
		.amdhsa_exception_fp_ieee_underflow 0
		.amdhsa_exception_fp_ieee_inexact 0
		.amdhsa_exception_int_div_zero 0
	.end_amdhsa_kernel
	.section	.text._ZN7rocprim17ROCPRIM_400000_NS6detail17trampoline_kernelINS0_14default_configENS1_20scan_config_selectorIfEEZZNS1_9scan_implILNS1_25lookback_scan_determinismE0ELb0ELb0ES3_PKfPffZZZN2at6native31launch_logcumsumexp_cuda_kernelERKNSB_10TensorBaseESF_lENKUlvE_clEvENKUlvE0_clEvEUlffE_fEEDaPvRmT3_T4_T5_mT6_P12ihipStream_tbENKUlT_T0_E_clISt17integral_constantIbLb0EESW_EEDaSR_SS_EUlSR_E0_NS1_11comp_targetILNS1_3genE0ELNS1_11target_archE4294967295ELNS1_3gpuE0ELNS1_3repE0EEENS1_30default_config_static_selectorELNS0_4arch9wavefront6targetE0EEEvT1_,"axG",@progbits,_ZN7rocprim17ROCPRIM_400000_NS6detail17trampoline_kernelINS0_14default_configENS1_20scan_config_selectorIfEEZZNS1_9scan_implILNS1_25lookback_scan_determinismE0ELb0ELb0ES3_PKfPffZZZN2at6native31launch_logcumsumexp_cuda_kernelERKNSB_10TensorBaseESF_lENKUlvE_clEvENKUlvE0_clEvEUlffE_fEEDaPvRmT3_T4_T5_mT6_P12ihipStream_tbENKUlT_T0_E_clISt17integral_constantIbLb0EESW_EEDaSR_SS_EUlSR_E0_NS1_11comp_targetILNS1_3genE0ELNS1_11target_archE4294967295ELNS1_3gpuE0ELNS1_3repE0EEENS1_30default_config_static_selectorELNS0_4arch9wavefront6targetE0EEEvT1_,comdat
.Lfunc_end105:
	.size	_ZN7rocprim17ROCPRIM_400000_NS6detail17trampoline_kernelINS0_14default_configENS1_20scan_config_selectorIfEEZZNS1_9scan_implILNS1_25lookback_scan_determinismE0ELb0ELb0ES3_PKfPffZZZN2at6native31launch_logcumsumexp_cuda_kernelERKNSB_10TensorBaseESF_lENKUlvE_clEvENKUlvE0_clEvEUlffE_fEEDaPvRmT3_T4_T5_mT6_P12ihipStream_tbENKUlT_T0_E_clISt17integral_constantIbLb0EESW_EEDaSR_SS_EUlSR_E0_NS1_11comp_targetILNS1_3genE0ELNS1_11target_archE4294967295ELNS1_3gpuE0ELNS1_3repE0EEENS1_30default_config_static_selectorELNS0_4arch9wavefront6targetE0EEEvT1_, .Lfunc_end105-_ZN7rocprim17ROCPRIM_400000_NS6detail17trampoline_kernelINS0_14default_configENS1_20scan_config_selectorIfEEZZNS1_9scan_implILNS1_25lookback_scan_determinismE0ELb0ELb0ES3_PKfPffZZZN2at6native31launch_logcumsumexp_cuda_kernelERKNSB_10TensorBaseESF_lENKUlvE_clEvENKUlvE0_clEvEUlffE_fEEDaPvRmT3_T4_T5_mT6_P12ihipStream_tbENKUlT_T0_E_clISt17integral_constantIbLb0EESW_EEDaSR_SS_EUlSR_E0_NS1_11comp_targetILNS1_3genE0ELNS1_11target_archE4294967295ELNS1_3gpuE0ELNS1_3repE0EEENS1_30default_config_static_selectorELNS0_4arch9wavefront6targetE0EEEvT1_
                                        ; -- End function
	.set _ZN7rocprim17ROCPRIM_400000_NS6detail17trampoline_kernelINS0_14default_configENS1_20scan_config_selectorIfEEZZNS1_9scan_implILNS1_25lookback_scan_determinismE0ELb0ELb0ES3_PKfPffZZZN2at6native31launch_logcumsumexp_cuda_kernelERKNSB_10TensorBaseESF_lENKUlvE_clEvENKUlvE0_clEvEUlffE_fEEDaPvRmT3_T4_T5_mT6_P12ihipStream_tbENKUlT_T0_E_clISt17integral_constantIbLb0EESW_EEDaSR_SS_EUlSR_E0_NS1_11comp_targetILNS1_3genE0ELNS1_11target_archE4294967295ELNS1_3gpuE0ELNS1_3repE0EEENS1_30default_config_static_selectorELNS0_4arch9wavefront6targetE0EEEvT1_.num_vgpr, 0
	.set _ZN7rocprim17ROCPRIM_400000_NS6detail17trampoline_kernelINS0_14default_configENS1_20scan_config_selectorIfEEZZNS1_9scan_implILNS1_25lookback_scan_determinismE0ELb0ELb0ES3_PKfPffZZZN2at6native31launch_logcumsumexp_cuda_kernelERKNSB_10TensorBaseESF_lENKUlvE_clEvENKUlvE0_clEvEUlffE_fEEDaPvRmT3_T4_T5_mT6_P12ihipStream_tbENKUlT_T0_E_clISt17integral_constantIbLb0EESW_EEDaSR_SS_EUlSR_E0_NS1_11comp_targetILNS1_3genE0ELNS1_11target_archE4294967295ELNS1_3gpuE0ELNS1_3repE0EEENS1_30default_config_static_selectorELNS0_4arch9wavefront6targetE0EEEvT1_.num_agpr, 0
	.set _ZN7rocprim17ROCPRIM_400000_NS6detail17trampoline_kernelINS0_14default_configENS1_20scan_config_selectorIfEEZZNS1_9scan_implILNS1_25lookback_scan_determinismE0ELb0ELb0ES3_PKfPffZZZN2at6native31launch_logcumsumexp_cuda_kernelERKNSB_10TensorBaseESF_lENKUlvE_clEvENKUlvE0_clEvEUlffE_fEEDaPvRmT3_T4_T5_mT6_P12ihipStream_tbENKUlT_T0_E_clISt17integral_constantIbLb0EESW_EEDaSR_SS_EUlSR_E0_NS1_11comp_targetILNS1_3genE0ELNS1_11target_archE4294967295ELNS1_3gpuE0ELNS1_3repE0EEENS1_30default_config_static_selectorELNS0_4arch9wavefront6targetE0EEEvT1_.numbered_sgpr, 0
	.set _ZN7rocprim17ROCPRIM_400000_NS6detail17trampoline_kernelINS0_14default_configENS1_20scan_config_selectorIfEEZZNS1_9scan_implILNS1_25lookback_scan_determinismE0ELb0ELb0ES3_PKfPffZZZN2at6native31launch_logcumsumexp_cuda_kernelERKNSB_10TensorBaseESF_lENKUlvE_clEvENKUlvE0_clEvEUlffE_fEEDaPvRmT3_T4_T5_mT6_P12ihipStream_tbENKUlT_T0_E_clISt17integral_constantIbLb0EESW_EEDaSR_SS_EUlSR_E0_NS1_11comp_targetILNS1_3genE0ELNS1_11target_archE4294967295ELNS1_3gpuE0ELNS1_3repE0EEENS1_30default_config_static_selectorELNS0_4arch9wavefront6targetE0EEEvT1_.num_named_barrier, 0
	.set _ZN7rocprim17ROCPRIM_400000_NS6detail17trampoline_kernelINS0_14default_configENS1_20scan_config_selectorIfEEZZNS1_9scan_implILNS1_25lookback_scan_determinismE0ELb0ELb0ES3_PKfPffZZZN2at6native31launch_logcumsumexp_cuda_kernelERKNSB_10TensorBaseESF_lENKUlvE_clEvENKUlvE0_clEvEUlffE_fEEDaPvRmT3_T4_T5_mT6_P12ihipStream_tbENKUlT_T0_E_clISt17integral_constantIbLb0EESW_EEDaSR_SS_EUlSR_E0_NS1_11comp_targetILNS1_3genE0ELNS1_11target_archE4294967295ELNS1_3gpuE0ELNS1_3repE0EEENS1_30default_config_static_selectorELNS0_4arch9wavefront6targetE0EEEvT1_.private_seg_size, 0
	.set _ZN7rocprim17ROCPRIM_400000_NS6detail17trampoline_kernelINS0_14default_configENS1_20scan_config_selectorIfEEZZNS1_9scan_implILNS1_25lookback_scan_determinismE0ELb0ELb0ES3_PKfPffZZZN2at6native31launch_logcumsumexp_cuda_kernelERKNSB_10TensorBaseESF_lENKUlvE_clEvENKUlvE0_clEvEUlffE_fEEDaPvRmT3_T4_T5_mT6_P12ihipStream_tbENKUlT_T0_E_clISt17integral_constantIbLb0EESW_EEDaSR_SS_EUlSR_E0_NS1_11comp_targetILNS1_3genE0ELNS1_11target_archE4294967295ELNS1_3gpuE0ELNS1_3repE0EEENS1_30default_config_static_selectorELNS0_4arch9wavefront6targetE0EEEvT1_.uses_vcc, 0
	.set _ZN7rocprim17ROCPRIM_400000_NS6detail17trampoline_kernelINS0_14default_configENS1_20scan_config_selectorIfEEZZNS1_9scan_implILNS1_25lookback_scan_determinismE0ELb0ELb0ES3_PKfPffZZZN2at6native31launch_logcumsumexp_cuda_kernelERKNSB_10TensorBaseESF_lENKUlvE_clEvENKUlvE0_clEvEUlffE_fEEDaPvRmT3_T4_T5_mT6_P12ihipStream_tbENKUlT_T0_E_clISt17integral_constantIbLb0EESW_EEDaSR_SS_EUlSR_E0_NS1_11comp_targetILNS1_3genE0ELNS1_11target_archE4294967295ELNS1_3gpuE0ELNS1_3repE0EEENS1_30default_config_static_selectorELNS0_4arch9wavefront6targetE0EEEvT1_.uses_flat_scratch, 0
	.set _ZN7rocprim17ROCPRIM_400000_NS6detail17trampoline_kernelINS0_14default_configENS1_20scan_config_selectorIfEEZZNS1_9scan_implILNS1_25lookback_scan_determinismE0ELb0ELb0ES3_PKfPffZZZN2at6native31launch_logcumsumexp_cuda_kernelERKNSB_10TensorBaseESF_lENKUlvE_clEvENKUlvE0_clEvEUlffE_fEEDaPvRmT3_T4_T5_mT6_P12ihipStream_tbENKUlT_T0_E_clISt17integral_constantIbLb0EESW_EEDaSR_SS_EUlSR_E0_NS1_11comp_targetILNS1_3genE0ELNS1_11target_archE4294967295ELNS1_3gpuE0ELNS1_3repE0EEENS1_30default_config_static_selectorELNS0_4arch9wavefront6targetE0EEEvT1_.has_dyn_sized_stack, 0
	.set _ZN7rocprim17ROCPRIM_400000_NS6detail17trampoline_kernelINS0_14default_configENS1_20scan_config_selectorIfEEZZNS1_9scan_implILNS1_25lookback_scan_determinismE0ELb0ELb0ES3_PKfPffZZZN2at6native31launch_logcumsumexp_cuda_kernelERKNSB_10TensorBaseESF_lENKUlvE_clEvENKUlvE0_clEvEUlffE_fEEDaPvRmT3_T4_T5_mT6_P12ihipStream_tbENKUlT_T0_E_clISt17integral_constantIbLb0EESW_EEDaSR_SS_EUlSR_E0_NS1_11comp_targetILNS1_3genE0ELNS1_11target_archE4294967295ELNS1_3gpuE0ELNS1_3repE0EEENS1_30default_config_static_selectorELNS0_4arch9wavefront6targetE0EEEvT1_.has_recursion, 0
	.set _ZN7rocprim17ROCPRIM_400000_NS6detail17trampoline_kernelINS0_14default_configENS1_20scan_config_selectorIfEEZZNS1_9scan_implILNS1_25lookback_scan_determinismE0ELb0ELb0ES3_PKfPffZZZN2at6native31launch_logcumsumexp_cuda_kernelERKNSB_10TensorBaseESF_lENKUlvE_clEvENKUlvE0_clEvEUlffE_fEEDaPvRmT3_T4_T5_mT6_P12ihipStream_tbENKUlT_T0_E_clISt17integral_constantIbLb0EESW_EEDaSR_SS_EUlSR_E0_NS1_11comp_targetILNS1_3genE0ELNS1_11target_archE4294967295ELNS1_3gpuE0ELNS1_3repE0EEENS1_30default_config_static_selectorELNS0_4arch9wavefront6targetE0EEEvT1_.has_indirect_call, 0
	.section	.AMDGPU.csdata,"",@progbits
; Kernel info:
; codeLenInByte = 0
; TotalNumSgprs: 0
; NumVgprs: 0
; ScratchSize: 0
; MemoryBound: 0
; FloatMode: 240
; IeeeMode: 1
; LDSByteSize: 0 bytes/workgroup (compile time only)
; SGPRBlocks: 0
; VGPRBlocks: 0
; NumSGPRsForWavesPerEU: 1
; NumVGPRsForWavesPerEU: 1
; Occupancy: 16
; WaveLimiterHint : 0
; COMPUTE_PGM_RSRC2:SCRATCH_EN: 0
; COMPUTE_PGM_RSRC2:USER_SGPR: 2
; COMPUTE_PGM_RSRC2:TRAP_HANDLER: 0
; COMPUTE_PGM_RSRC2:TGID_X_EN: 1
; COMPUTE_PGM_RSRC2:TGID_Y_EN: 0
; COMPUTE_PGM_RSRC2:TGID_Z_EN: 0
; COMPUTE_PGM_RSRC2:TIDIG_COMP_CNT: 0
	.section	.text._ZN7rocprim17ROCPRIM_400000_NS6detail17trampoline_kernelINS0_14default_configENS1_20scan_config_selectorIfEEZZNS1_9scan_implILNS1_25lookback_scan_determinismE0ELb0ELb0ES3_PKfPffZZZN2at6native31launch_logcumsumexp_cuda_kernelERKNSB_10TensorBaseESF_lENKUlvE_clEvENKUlvE0_clEvEUlffE_fEEDaPvRmT3_T4_T5_mT6_P12ihipStream_tbENKUlT_T0_E_clISt17integral_constantIbLb0EESW_EEDaSR_SS_EUlSR_E0_NS1_11comp_targetILNS1_3genE5ELNS1_11target_archE942ELNS1_3gpuE9ELNS1_3repE0EEENS1_30default_config_static_selectorELNS0_4arch9wavefront6targetE0EEEvT1_,"axG",@progbits,_ZN7rocprim17ROCPRIM_400000_NS6detail17trampoline_kernelINS0_14default_configENS1_20scan_config_selectorIfEEZZNS1_9scan_implILNS1_25lookback_scan_determinismE0ELb0ELb0ES3_PKfPffZZZN2at6native31launch_logcumsumexp_cuda_kernelERKNSB_10TensorBaseESF_lENKUlvE_clEvENKUlvE0_clEvEUlffE_fEEDaPvRmT3_T4_T5_mT6_P12ihipStream_tbENKUlT_T0_E_clISt17integral_constantIbLb0EESW_EEDaSR_SS_EUlSR_E0_NS1_11comp_targetILNS1_3genE5ELNS1_11target_archE942ELNS1_3gpuE9ELNS1_3repE0EEENS1_30default_config_static_selectorELNS0_4arch9wavefront6targetE0EEEvT1_,comdat
	.globl	_ZN7rocprim17ROCPRIM_400000_NS6detail17trampoline_kernelINS0_14default_configENS1_20scan_config_selectorIfEEZZNS1_9scan_implILNS1_25lookback_scan_determinismE0ELb0ELb0ES3_PKfPffZZZN2at6native31launch_logcumsumexp_cuda_kernelERKNSB_10TensorBaseESF_lENKUlvE_clEvENKUlvE0_clEvEUlffE_fEEDaPvRmT3_T4_T5_mT6_P12ihipStream_tbENKUlT_T0_E_clISt17integral_constantIbLb0EESW_EEDaSR_SS_EUlSR_E0_NS1_11comp_targetILNS1_3genE5ELNS1_11target_archE942ELNS1_3gpuE9ELNS1_3repE0EEENS1_30default_config_static_selectorELNS0_4arch9wavefront6targetE0EEEvT1_ ; -- Begin function _ZN7rocprim17ROCPRIM_400000_NS6detail17trampoline_kernelINS0_14default_configENS1_20scan_config_selectorIfEEZZNS1_9scan_implILNS1_25lookback_scan_determinismE0ELb0ELb0ES3_PKfPffZZZN2at6native31launch_logcumsumexp_cuda_kernelERKNSB_10TensorBaseESF_lENKUlvE_clEvENKUlvE0_clEvEUlffE_fEEDaPvRmT3_T4_T5_mT6_P12ihipStream_tbENKUlT_T0_E_clISt17integral_constantIbLb0EESW_EEDaSR_SS_EUlSR_E0_NS1_11comp_targetILNS1_3genE5ELNS1_11target_archE942ELNS1_3gpuE9ELNS1_3repE0EEENS1_30default_config_static_selectorELNS0_4arch9wavefront6targetE0EEEvT1_
	.p2align	8
	.type	_ZN7rocprim17ROCPRIM_400000_NS6detail17trampoline_kernelINS0_14default_configENS1_20scan_config_selectorIfEEZZNS1_9scan_implILNS1_25lookback_scan_determinismE0ELb0ELb0ES3_PKfPffZZZN2at6native31launch_logcumsumexp_cuda_kernelERKNSB_10TensorBaseESF_lENKUlvE_clEvENKUlvE0_clEvEUlffE_fEEDaPvRmT3_T4_T5_mT6_P12ihipStream_tbENKUlT_T0_E_clISt17integral_constantIbLb0EESW_EEDaSR_SS_EUlSR_E0_NS1_11comp_targetILNS1_3genE5ELNS1_11target_archE942ELNS1_3gpuE9ELNS1_3repE0EEENS1_30default_config_static_selectorELNS0_4arch9wavefront6targetE0EEEvT1_,@function
_ZN7rocprim17ROCPRIM_400000_NS6detail17trampoline_kernelINS0_14default_configENS1_20scan_config_selectorIfEEZZNS1_9scan_implILNS1_25lookback_scan_determinismE0ELb0ELb0ES3_PKfPffZZZN2at6native31launch_logcumsumexp_cuda_kernelERKNSB_10TensorBaseESF_lENKUlvE_clEvENKUlvE0_clEvEUlffE_fEEDaPvRmT3_T4_T5_mT6_P12ihipStream_tbENKUlT_T0_E_clISt17integral_constantIbLb0EESW_EEDaSR_SS_EUlSR_E0_NS1_11comp_targetILNS1_3genE5ELNS1_11target_archE942ELNS1_3gpuE9ELNS1_3repE0EEENS1_30default_config_static_selectorELNS0_4arch9wavefront6targetE0EEEvT1_: ; @_ZN7rocprim17ROCPRIM_400000_NS6detail17trampoline_kernelINS0_14default_configENS1_20scan_config_selectorIfEEZZNS1_9scan_implILNS1_25lookback_scan_determinismE0ELb0ELb0ES3_PKfPffZZZN2at6native31launch_logcumsumexp_cuda_kernelERKNSB_10TensorBaseESF_lENKUlvE_clEvENKUlvE0_clEvEUlffE_fEEDaPvRmT3_T4_T5_mT6_P12ihipStream_tbENKUlT_T0_E_clISt17integral_constantIbLb0EESW_EEDaSR_SS_EUlSR_E0_NS1_11comp_targetILNS1_3genE5ELNS1_11target_archE942ELNS1_3gpuE9ELNS1_3repE0EEENS1_30default_config_static_selectorELNS0_4arch9wavefront6targetE0EEEvT1_
; %bb.0:
	.section	.rodata,"a",@progbits
	.p2align	6, 0x0
	.amdhsa_kernel _ZN7rocprim17ROCPRIM_400000_NS6detail17trampoline_kernelINS0_14default_configENS1_20scan_config_selectorIfEEZZNS1_9scan_implILNS1_25lookback_scan_determinismE0ELb0ELb0ES3_PKfPffZZZN2at6native31launch_logcumsumexp_cuda_kernelERKNSB_10TensorBaseESF_lENKUlvE_clEvENKUlvE0_clEvEUlffE_fEEDaPvRmT3_T4_T5_mT6_P12ihipStream_tbENKUlT_T0_E_clISt17integral_constantIbLb0EESW_EEDaSR_SS_EUlSR_E0_NS1_11comp_targetILNS1_3genE5ELNS1_11target_archE942ELNS1_3gpuE9ELNS1_3repE0EEENS1_30default_config_static_selectorELNS0_4arch9wavefront6targetE0EEEvT1_
		.amdhsa_group_segment_fixed_size 0
		.amdhsa_private_segment_fixed_size 0
		.amdhsa_kernarg_size 32
		.amdhsa_user_sgpr_count 2
		.amdhsa_user_sgpr_dispatch_ptr 0
		.amdhsa_user_sgpr_queue_ptr 0
		.amdhsa_user_sgpr_kernarg_segment_ptr 1
		.amdhsa_user_sgpr_dispatch_id 0
		.amdhsa_user_sgpr_private_segment_size 0
		.amdhsa_wavefront_size32 1
		.amdhsa_uses_dynamic_stack 0
		.amdhsa_enable_private_segment 0
		.amdhsa_system_sgpr_workgroup_id_x 1
		.amdhsa_system_sgpr_workgroup_id_y 0
		.amdhsa_system_sgpr_workgroup_id_z 0
		.amdhsa_system_sgpr_workgroup_info 0
		.amdhsa_system_vgpr_workitem_id 0
		.amdhsa_next_free_vgpr 1
		.amdhsa_next_free_sgpr 1
		.amdhsa_reserve_vcc 0
		.amdhsa_float_round_mode_32 0
		.amdhsa_float_round_mode_16_64 0
		.amdhsa_float_denorm_mode_32 3
		.amdhsa_float_denorm_mode_16_64 3
		.amdhsa_fp16_overflow 0
		.amdhsa_workgroup_processor_mode 1
		.amdhsa_memory_ordered 1
		.amdhsa_forward_progress 1
		.amdhsa_inst_pref_size 0
		.amdhsa_round_robin_scheduling 0
		.amdhsa_exception_fp_ieee_invalid_op 0
		.amdhsa_exception_fp_denorm_src 0
		.amdhsa_exception_fp_ieee_div_zero 0
		.amdhsa_exception_fp_ieee_overflow 0
		.amdhsa_exception_fp_ieee_underflow 0
		.amdhsa_exception_fp_ieee_inexact 0
		.amdhsa_exception_int_div_zero 0
	.end_amdhsa_kernel
	.section	.text._ZN7rocprim17ROCPRIM_400000_NS6detail17trampoline_kernelINS0_14default_configENS1_20scan_config_selectorIfEEZZNS1_9scan_implILNS1_25lookback_scan_determinismE0ELb0ELb0ES3_PKfPffZZZN2at6native31launch_logcumsumexp_cuda_kernelERKNSB_10TensorBaseESF_lENKUlvE_clEvENKUlvE0_clEvEUlffE_fEEDaPvRmT3_T4_T5_mT6_P12ihipStream_tbENKUlT_T0_E_clISt17integral_constantIbLb0EESW_EEDaSR_SS_EUlSR_E0_NS1_11comp_targetILNS1_3genE5ELNS1_11target_archE942ELNS1_3gpuE9ELNS1_3repE0EEENS1_30default_config_static_selectorELNS0_4arch9wavefront6targetE0EEEvT1_,"axG",@progbits,_ZN7rocprim17ROCPRIM_400000_NS6detail17trampoline_kernelINS0_14default_configENS1_20scan_config_selectorIfEEZZNS1_9scan_implILNS1_25lookback_scan_determinismE0ELb0ELb0ES3_PKfPffZZZN2at6native31launch_logcumsumexp_cuda_kernelERKNSB_10TensorBaseESF_lENKUlvE_clEvENKUlvE0_clEvEUlffE_fEEDaPvRmT3_T4_T5_mT6_P12ihipStream_tbENKUlT_T0_E_clISt17integral_constantIbLb0EESW_EEDaSR_SS_EUlSR_E0_NS1_11comp_targetILNS1_3genE5ELNS1_11target_archE942ELNS1_3gpuE9ELNS1_3repE0EEENS1_30default_config_static_selectorELNS0_4arch9wavefront6targetE0EEEvT1_,comdat
.Lfunc_end106:
	.size	_ZN7rocprim17ROCPRIM_400000_NS6detail17trampoline_kernelINS0_14default_configENS1_20scan_config_selectorIfEEZZNS1_9scan_implILNS1_25lookback_scan_determinismE0ELb0ELb0ES3_PKfPffZZZN2at6native31launch_logcumsumexp_cuda_kernelERKNSB_10TensorBaseESF_lENKUlvE_clEvENKUlvE0_clEvEUlffE_fEEDaPvRmT3_T4_T5_mT6_P12ihipStream_tbENKUlT_T0_E_clISt17integral_constantIbLb0EESW_EEDaSR_SS_EUlSR_E0_NS1_11comp_targetILNS1_3genE5ELNS1_11target_archE942ELNS1_3gpuE9ELNS1_3repE0EEENS1_30default_config_static_selectorELNS0_4arch9wavefront6targetE0EEEvT1_, .Lfunc_end106-_ZN7rocprim17ROCPRIM_400000_NS6detail17trampoline_kernelINS0_14default_configENS1_20scan_config_selectorIfEEZZNS1_9scan_implILNS1_25lookback_scan_determinismE0ELb0ELb0ES3_PKfPffZZZN2at6native31launch_logcumsumexp_cuda_kernelERKNSB_10TensorBaseESF_lENKUlvE_clEvENKUlvE0_clEvEUlffE_fEEDaPvRmT3_T4_T5_mT6_P12ihipStream_tbENKUlT_T0_E_clISt17integral_constantIbLb0EESW_EEDaSR_SS_EUlSR_E0_NS1_11comp_targetILNS1_3genE5ELNS1_11target_archE942ELNS1_3gpuE9ELNS1_3repE0EEENS1_30default_config_static_selectorELNS0_4arch9wavefront6targetE0EEEvT1_
                                        ; -- End function
	.set _ZN7rocprim17ROCPRIM_400000_NS6detail17trampoline_kernelINS0_14default_configENS1_20scan_config_selectorIfEEZZNS1_9scan_implILNS1_25lookback_scan_determinismE0ELb0ELb0ES3_PKfPffZZZN2at6native31launch_logcumsumexp_cuda_kernelERKNSB_10TensorBaseESF_lENKUlvE_clEvENKUlvE0_clEvEUlffE_fEEDaPvRmT3_T4_T5_mT6_P12ihipStream_tbENKUlT_T0_E_clISt17integral_constantIbLb0EESW_EEDaSR_SS_EUlSR_E0_NS1_11comp_targetILNS1_3genE5ELNS1_11target_archE942ELNS1_3gpuE9ELNS1_3repE0EEENS1_30default_config_static_selectorELNS0_4arch9wavefront6targetE0EEEvT1_.num_vgpr, 0
	.set _ZN7rocprim17ROCPRIM_400000_NS6detail17trampoline_kernelINS0_14default_configENS1_20scan_config_selectorIfEEZZNS1_9scan_implILNS1_25lookback_scan_determinismE0ELb0ELb0ES3_PKfPffZZZN2at6native31launch_logcumsumexp_cuda_kernelERKNSB_10TensorBaseESF_lENKUlvE_clEvENKUlvE0_clEvEUlffE_fEEDaPvRmT3_T4_T5_mT6_P12ihipStream_tbENKUlT_T0_E_clISt17integral_constantIbLb0EESW_EEDaSR_SS_EUlSR_E0_NS1_11comp_targetILNS1_3genE5ELNS1_11target_archE942ELNS1_3gpuE9ELNS1_3repE0EEENS1_30default_config_static_selectorELNS0_4arch9wavefront6targetE0EEEvT1_.num_agpr, 0
	.set _ZN7rocprim17ROCPRIM_400000_NS6detail17trampoline_kernelINS0_14default_configENS1_20scan_config_selectorIfEEZZNS1_9scan_implILNS1_25lookback_scan_determinismE0ELb0ELb0ES3_PKfPffZZZN2at6native31launch_logcumsumexp_cuda_kernelERKNSB_10TensorBaseESF_lENKUlvE_clEvENKUlvE0_clEvEUlffE_fEEDaPvRmT3_T4_T5_mT6_P12ihipStream_tbENKUlT_T0_E_clISt17integral_constantIbLb0EESW_EEDaSR_SS_EUlSR_E0_NS1_11comp_targetILNS1_3genE5ELNS1_11target_archE942ELNS1_3gpuE9ELNS1_3repE0EEENS1_30default_config_static_selectorELNS0_4arch9wavefront6targetE0EEEvT1_.numbered_sgpr, 0
	.set _ZN7rocprim17ROCPRIM_400000_NS6detail17trampoline_kernelINS0_14default_configENS1_20scan_config_selectorIfEEZZNS1_9scan_implILNS1_25lookback_scan_determinismE0ELb0ELb0ES3_PKfPffZZZN2at6native31launch_logcumsumexp_cuda_kernelERKNSB_10TensorBaseESF_lENKUlvE_clEvENKUlvE0_clEvEUlffE_fEEDaPvRmT3_T4_T5_mT6_P12ihipStream_tbENKUlT_T0_E_clISt17integral_constantIbLb0EESW_EEDaSR_SS_EUlSR_E0_NS1_11comp_targetILNS1_3genE5ELNS1_11target_archE942ELNS1_3gpuE9ELNS1_3repE0EEENS1_30default_config_static_selectorELNS0_4arch9wavefront6targetE0EEEvT1_.num_named_barrier, 0
	.set _ZN7rocprim17ROCPRIM_400000_NS6detail17trampoline_kernelINS0_14default_configENS1_20scan_config_selectorIfEEZZNS1_9scan_implILNS1_25lookback_scan_determinismE0ELb0ELb0ES3_PKfPffZZZN2at6native31launch_logcumsumexp_cuda_kernelERKNSB_10TensorBaseESF_lENKUlvE_clEvENKUlvE0_clEvEUlffE_fEEDaPvRmT3_T4_T5_mT6_P12ihipStream_tbENKUlT_T0_E_clISt17integral_constantIbLb0EESW_EEDaSR_SS_EUlSR_E0_NS1_11comp_targetILNS1_3genE5ELNS1_11target_archE942ELNS1_3gpuE9ELNS1_3repE0EEENS1_30default_config_static_selectorELNS0_4arch9wavefront6targetE0EEEvT1_.private_seg_size, 0
	.set _ZN7rocprim17ROCPRIM_400000_NS6detail17trampoline_kernelINS0_14default_configENS1_20scan_config_selectorIfEEZZNS1_9scan_implILNS1_25lookback_scan_determinismE0ELb0ELb0ES3_PKfPffZZZN2at6native31launch_logcumsumexp_cuda_kernelERKNSB_10TensorBaseESF_lENKUlvE_clEvENKUlvE0_clEvEUlffE_fEEDaPvRmT3_T4_T5_mT6_P12ihipStream_tbENKUlT_T0_E_clISt17integral_constantIbLb0EESW_EEDaSR_SS_EUlSR_E0_NS1_11comp_targetILNS1_3genE5ELNS1_11target_archE942ELNS1_3gpuE9ELNS1_3repE0EEENS1_30default_config_static_selectorELNS0_4arch9wavefront6targetE0EEEvT1_.uses_vcc, 0
	.set _ZN7rocprim17ROCPRIM_400000_NS6detail17trampoline_kernelINS0_14default_configENS1_20scan_config_selectorIfEEZZNS1_9scan_implILNS1_25lookback_scan_determinismE0ELb0ELb0ES3_PKfPffZZZN2at6native31launch_logcumsumexp_cuda_kernelERKNSB_10TensorBaseESF_lENKUlvE_clEvENKUlvE0_clEvEUlffE_fEEDaPvRmT3_T4_T5_mT6_P12ihipStream_tbENKUlT_T0_E_clISt17integral_constantIbLb0EESW_EEDaSR_SS_EUlSR_E0_NS1_11comp_targetILNS1_3genE5ELNS1_11target_archE942ELNS1_3gpuE9ELNS1_3repE0EEENS1_30default_config_static_selectorELNS0_4arch9wavefront6targetE0EEEvT1_.uses_flat_scratch, 0
	.set _ZN7rocprim17ROCPRIM_400000_NS6detail17trampoline_kernelINS0_14default_configENS1_20scan_config_selectorIfEEZZNS1_9scan_implILNS1_25lookback_scan_determinismE0ELb0ELb0ES3_PKfPffZZZN2at6native31launch_logcumsumexp_cuda_kernelERKNSB_10TensorBaseESF_lENKUlvE_clEvENKUlvE0_clEvEUlffE_fEEDaPvRmT3_T4_T5_mT6_P12ihipStream_tbENKUlT_T0_E_clISt17integral_constantIbLb0EESW_EEDaSR_SS_EUlSR_E0_NS1_11comp_targetILNS1_3genE5ELNS1_11target_archE942ELNS1_3gpuE9ELNS1_3repE0EEENS1_30default_config_static_selectorELNS0_4arch9wavefront6targetE0EEEvT1_.has_dyn_sized_stack, 0
	.set _ZN7rocprim17ROCPRIM_400000_NS6detail17trampoline_kernelINS0_14default_configENS1_20scan_config_selectorIfEEZZNS1_9scan_implILNS1_25lookback_scan_determinismE0ELb0ELb0ES3_PKfPffZZZN2at6native31launch_logcumsumexp_cuda_kernelERKNSB_10TensorBaseESF_lENKUlvE_clEvENKUlvE0_clEvEUlffE_fEEDaPvRmT3_T4_T5_mT6_P12ihipStream_tbENKUlT_T0_E_clISt17integral_constantIbLb0EESW_EEDaSR_SS_EUlSR_E0_NS1_11comp_targetILNS1_3genE5ELNS1_11target_archE942ELNS1_3gpuE9ELNS1_3repE0EEENS1_30default_config_static_selectorELNS0_4arch9wavefront6targetE0EEEvT1_.has_recursion, 0
	.set _ZN7rocprim17ROCPRIM_400000_NS6detail17trampoline_kernelINS0_14default_configENS1_20scan_config_selectorIfEEZZNS1_9scan_implILNS1_25lookback_scan_determinismE0ELb0ELb0ES3_PKfPffZZZN2at6native31launch_logcumsumexp_cuda_kernelERKNSB_10TensorBaseESF_lENKUlvE_clEvENKUlvE0_clEvEUlffE_fEEDaPvRmT3_T4_T5_mT6_P12ihipStream_tbENKUlT_T0_E_clISt17integral_constantIbLb0EESW_EEDaSR_SS_EUlSR_E0_NS1_11comp_targetILNS1_3genE5ELNS1_11target_archE942ELNS1_3gpuE9ELNS1_3repE0EEENS1_30default_config_static_selectorELNS0_4arch9wavefront6targetE0EEEvT1_.has_indirect_call, 0
	.section	.AMDGPU.csdata,"",@progbits
; Kernel info:
; codeLenInByte = 0
; TotalNumSgprs: 0
; NumVgprs: 0
; ScratchSize: 0
; MemoryBound: 0
; FloatMode: 240
; IeeeMode: 1
; LDSByteSize: 0 bytes/workgroup (compile time only)
; SGPRBlocks: 0
; VGPRBlocks: 0
; NumSGPRsForWavesPerEU: 1
; NumVGPRsForWavesPerEU: 1
; Occupancy: 16
; WaveLimiterHint : 0
; COMPUTE_PGM_RSRC2:SCRATCH_EN: 0
; COMPUTE_PGM_RSRC2:USER_SGPR: 2
; COMPUTE_PGM_RSRC2:TRAP_HANDLER: 0
; COMPUTE_PGM_RSRC2:TGID_X_EN: 1
; COMPUTE_PGM_RSRC2:TGID_Y_EN: 0
; COMPUTE_PGM_RSRC2:TGID_Z_EN: 0
; COMPUTE_PGM_RSRC2:TIDIG_COMP_CNT: 0
	.section	.text._ZN7rocprim17ROCPRIM_400000_NS6detail17trampoline_kernelINS0_14default_configENS1_20scan_config_selectorIfEEZZNS1_9scan_implILNS1_25lookback_scan_determinismE0ELb0ELb0ES3_PKfPffZZZN2at6native31launch_logcumsumexp_cuda_kernelERKNSB_10TensorBaseESF_lENKUlvE_clEvENKUlvE0_clEvEUlffE_fEEDaPvRmT3_T4_T5_mT6_P12ihipStream_tbENKUlT_T0_E_clISt17integral_constantIbLb0EESW_EEDaSR_SS_EUlSR_E0_NS1_11comp_targetILNS1_3genE4ELNS1_11target_archE910ELNS1_3gpuE8ELNS1_3repE0EEENS1_30default_config_static_selectorELNS0_4arch9wavefront6targetE0EEEvT1_,"axG",@progbits,_ZN7rocprim17ROCPRIM_400000_NS6detail17trampoline_kernelINS0_14default_configENS1_20scan_config_selectorIfEEZZNS1_9scan_implILNS1_25lookback_scan_determinismE0ELb0ELb0ES3_PKfPffZZZN2at6native31launch_logcumsumexp_cuda_kernelERKNSB_10TensorBaseESF_lENKUlvE_clEvENKUlvE0_clEvEUlffE_fEEDaPvRmT3_T4_T5_mT6_P12ihipStream_tbENKUlT_T0_E_clISt17integral_constantIbLb0EESW_EEDaSR_SS_EUlSR_E0_NS1_11comp_targetILNS1_3genE4ELNS1_11target_archE910ELNS1_3gpuE8ELNS1_3repE0EEENS1_30default_config_static_selectorELNS0_4arch9wavefront6targetE0EEEvT1_,comdat
	.globl	_ZN7rocprim17ROCPRIM_400000_NS6detail17trampoline_kernelINS0_14default_configENS1_20scan_config_selectorIfEEZZNS1_9scan_implILNS1_25lookback_scan_determinismE0ELb0ELb0ES3_PKfPffZZZN2at6native31launch_logcumsumexp_cuda_kernelERKNSB_10TensorBaseESF_lENKUlvE_clEvENKUlvE0_clEvEUlffE_fEEDaPvRmT3_T4_T5_mT6_P12ihipStream_tbENKUlT_T0_E_clISt17integral_constantIbLb0EESW_EEDaSR_SS_EUlSR_E0_NS1_11comp_targetILNS1_3genE4ELNS1_11target_archE910ELNS1_3gpuE8ELNS1_3repE0EEENS1_30default_config_static_selectorELNS0_4arch9wavefront6targetE0EEEvT1_ ; -- Begin function _ZN7rocprim17ROCPRIM_400000_NS6detail17trampoline_kernelINS0_14default_configENS1_20scan_config_selectorIfEEZZNS1_9scan_implILNS1_25lookback_scan_determinismE0ELb0ELb0ES3_PKfPffZZZN2at6native31launch_logcumsumexp_cuda_kernelERKNSB_10TensorBaseESF_lENKUlvE_clEvENKUlvE0_clEvEUlffE_fEEDaPvRmT3_T4_T5_mT6_P12ihipStream_tbENKUlT_T0_E_clISt17integral_constantIbLb0EESW_EEDaSR_SS_EUlSR_E0_NS1_11comp_targetILNS1_3genE4ELNS1_11target_archE910ELNS1_3gpuE8ELNS1_3repE0EEENS1_30default_config_static_selectorELNS0_4arch9wavefront6targetE0EEEvT1_
	.p2align	8
	.type	_ZN7rocprim17ROCPRIM_400000_NS6detail17trampoline_kernelINS0_14default_configENS1_20scan_config_selectorIfEEZZNS1_9scan_implILNS1_25lookback_scan_determinismE0ELb0ELb0ES3_PKfPffZZZN2at6native31launch_logcumsumexp_cuda_kernelERKNSB_10TensorBaseESF_lENKUlvE_clEvENKUlvE0_clEvEUlffE_fEEDaPvRmT3_T4_T5_mT6_P12ihipStream_tbENKUlT_T0_E_clISt17integral_constantIbLb0EESW_EEDaSR_SS_EUlSR_E0_NS1_11comp_targetILNS1_3genE4ELNS1_11target_archE910ELNS1_3gpuE8ELNS1_3repE0EEENS1_30default_config_static_selectorELNS0_4arch9wavefront6targetE0EEEvT1_,@function
_ZN7rocprim17ROCPRIM_400000_NS6detail17trampoline_kernelINS0_14default_configENS1_20scan_config_selectorIfEEZZNS1_9scan_implILNS1_25lookback_scan_determinismE0ELb0ELb0ES3_PKfPffZZZN2at6native31launch_logcumsumexp_cuda_kernelERKNSB_10TensorBaseESF_lENKUlvE_clEvENKUlvE0_clEvEUlffE_fEEDaPvRmT3_T4_T5_mT6_P12ihipStream_tbENKUlT_T0_E_clISt17integral_constantIbLb0EESW_EEDaSR_SS_EUlSR_E0_NS1_11comp_targetILNS1_3genE4ELNS1_11target_archE910ELNS1_3gpuE8ELNS1_3repE0EEENS1_30default_config_static_selectorELNS0_4arch9wavefront6targetE0EEEvT1_: ; @_ZN7rocprim17ROCPRIM_400000_NS6detail17trampoline_kernelINS0_14default_configENS1_20scan_config_selectorIfEEZZNS1_9scan_implILNS1_25lookback_scan_determinismE0ELb0ELb0ES3_PKfPffZZZN2at6native31launch_logcumsumexp_cuda_kernelERKNSB_10TensorBaseESF_lENKUlvE_clEvENKUlvE0_clEvEUlffE_fEEDaPvRmT3_T4_T5_mT6_P12ihipStream_tbENKUlT_T0_E_clISt17integral_constantIbLb0EESW_EEDaSR_SS_EUlSR_E0_NS1_11comp_targetILNS1_3genE4ELNS1_11target_archE910ELNS1_3gpuE8ELNS1_3repE0EEENS1_30default_config_static_selectorELNS0_4arch9wavefront6targetE0EEEvT1_
; %bb.0:
	.section	.rodata,"a",@progbits
	.p2align	6, 0x0
	.amdhsa_kernel _ZN7rocprim17ROCPRIM_400000_NS6detail17trampoline_kernelINS0_14default_configENS1_20scan_config_selectorIfEEZZNS1_9scan_implILNS1_25lookback_scan_determinismE0ELb0ELb0ES3_PKfPffZZZN2at6native31launch_logcumsumexp_cuda_kernelERKNSB_10TensorBaseESF_lENKUlvE_clEvENKUlvE0_clEvEUlffE_fEEDaPvRmT3_T4_T5_mT6_P12ihipStream_tbENKUlT_T0_E_clISt17integral_constantIbLb0EESW_EEDaSR_SS_EUlSR_E0_NS1_11comp_targetILNS1_3genE4ELNS1_11target_archE910ELNS1_3gpuE8ELNS1_3repE0EEENS1_30default_config_static_selectorELNS0_4arch9wavefront6targetE0EEEvT1_
		.amdhsa_group_segment_fixed_size 0
		.amdhsa_private_segment_fixed_size 0
		.amdhsa_kernarg_size 32
		.amdhsa_user_sgpr_count 2
		.amdhsa_user_sgpr_dispatch_ptr 0
		.amdhsa_user_sgpr_queue_ptr 0
		.amdhsa_user_sgpr_kernarg_segment_ptr 1
		.amdhsa_user_sgpr_dispatch_id 0
		.amdhsa_user_sgpr_private_segment_size 0
		.amdhsa_wavefront_size32 1
		.amdhsa_uses_dynamic_stack 0
		.amdhsa_enable_private_segment 0
		.amdhsa_system_sgpr_workgroup_id_x 1
		.amdhsa_system_sgpr_workgroup_id_y 0
		.amdhsa_system_sgpr_workgroup_id_z 0
		.amdhsa_system_sgpr_workgroup_info 0
		.amdhsa_system_vgpr_workitem_id 0
		.amdhsa_next_free_vgpr 1
		.amdhsa_next_free_sgpr 1
		.amdhsa_reserve_vcc 0
		.amdhsa_float_round_mode_32 0
		.amdhsa_float_round_mode_16_64 0
		.amdhsa_float_denorm_mode_32 3
		.amdhsa_float_denorm_mode_16_64 3
		.amdhsa_fp16_overflow 0
		.amdhsa_workgroup_processor_mode 1
		.amdhsa_memory_ordered 1
		.amdhsa_forward_progress 1
		.amdhsa_inst_pref_size 0
		.amdhsa_round_robin_scheduling 0
		.amdhsa_exception_fp_ieee_invalid_op 0
		.amdhsa_exception_fp_denorm_src 0
		.amdhsa_exception_fp_ieee_div_zero 0
		.amdhsa_exception_fp_ieee_overflow 0
		.amdhsa_exception_fp_ieee_underflow 0
		.amdhsa_exception_fp_ieee_inexact 0
		.amdhsa_exception_int_div_zero 0
	.end_amdhsa_kernel
	.section	.text._ZN7rocprim17ROCPRIM_400000_NS6detail17trampoline_kernelINS0_14default_configENS1_20scan_config_selectorIfEEZZNS1_9scan_implILNS1_25lookback_scan_determinismE0ELb0ELb0ES3_PKfPffZZZN2at6native31launch_logcumsumexp_cuda_kernelERKNSB_10TensorBaseESF_lENKUlvE_clEvENKUlvE0_clEvEUlffE_fEEDaPvRmT3_T4_T5_mT6_P12ihipStream_tbENKUlT_T0_E_clISt17integral_constantIbLb0EESW_EEDaSR_SS_EUlSR_E0_NS1_11comp_targetILNS1_3genE4ELNS1_11target_archE910ELNS1_3gpuE8ELNS1_3repE0EEENS1_30default_config_static_selectorELNS0_4arch9wavefront6targetE0EEEvT1_,"axG",@progbits,_ZN7rocprim17ROCPRIM_400000_NS6detail17trampoline_kernelINS0_14default_configENS1_20scan_config_selectorIfEEZZNS1_9scan_implILNS1_25lookback_scan_determinismE0ELb0ELb0ES3_PKfPffZZZN2at6native31launch_logcumsumexp_cuda_kernelERKNSB_10TensorBaseESF_lENKUlvE_clEvENKUlvE0_clEvEUlffE_fEEDaPvRmT3_T4_T5_mT6_P12ihipStream_tbENKUlT_T0_E_clISt17integral_constantIbLb0EESW_EEDaSR_SS_EUlSR_E0_NS1_11comp_targetILNS1_3genE4ELNS1_11target_archE910ELNS1_3gpuE8ELNS1_3repE0EEENS1_30default_config_static_selectorELNS0_4arch9wavefront6targetE0EEEvT1_,comdat
.Lfunc_end107:
	.size	_ZN7rocprim17ROCPRIM_400000_NS6detail17trampoline_kernelINS0_14default_configENS1_20scan_config_selectorIfEEZZNS1_9scan_implILNS1_25lookback_scan_determinismE0ELb0ELb0ES3_PKfPffZZZN2at6native31launch_logcumsumexp_cuda_kernelERKNSB_10TensorBaseESF_lENKUlvE_clEvENKUlvE0_clEvEUlffE_fEEDaPvRmT3_T4_T5_mT6_P12ihipStream_tbENKUlT_T0_E_clISt17integral_constantIbLb0EESW_EEDaSR_SS_EUlSR_E0_NS1_11comp_targetILNS1_3genE4ELNS1_11target_archE910ELNS1_3gpuE8ELNS1_3repE0EEENS1_30default_config_static_selectorELNS0_4arch9wavefront6targetE0EEEvT1_, .Lfunc_end107-_ZN7rocprim17ROCPRIM_400000_NS6detail17trampoline_kernelINS0_14default_configENS1_20scan_config_selectorIfEEZZNS1_9scan_implILNS1_25lookback_scan_determinismE0ELb0ELb0ES3_PKfPffZZZN2at6native31launch_logcumsumexp_cuda_kernelERKNSB_10TensorBaseESF_lENKUlvE_clEvENKUlvE0_clEvEUlffE_fEEDaPvRmT3_T4_T5_mT6_P12ihipStream_tbENKUlT_T0_E_clISt17integral_constantIbLb0EESW_EEDaSR_SS_EUlSR_E0_NS1_11comp_targetILNS1_3genE4ELNS1_11target_archE910ELNS1_3gpuE8ELNS1_3repE0EEENS1_30default_config_static_selectorELNS0_4arch9wavefront6targetE0EEEvT1_
                                        ; -- End function
	.set _ZN7rocprim17ROCPRIM_400000_NS6detail17trampoline_kernelINS0_14default_configENS1_20scan_config_selectorIfEEZZNS1_9scan_implILNS1_25lookback_scan_determinismE0ELb0ELb0ES3_PKfPffZZZN2at6native31launch_logcumsumexp_cuda_kernelERKNSB_10TensorBaseESF_lENKUlvE_clEvENKUlvE0_clEvEUlffE_fEEDaPvRmT3_T4_T5_mT6_P12ihipStream_tbENKUlT_T0_E_clISt17integral_constantIbLb0EESW_EEDaSR_SS_EUlSR_E0_NS1_11comp_targetILNS1_3genE4ELNS1_11target_archE910ELNS1_3gpuE8ELNS1_3repE0EEENS1_30default_config_static_selectorELNS0_4arch9wavefront6targetE0EEEvT1_.num_vgpr, 0
	.set _ZN7rocprim17ROCPRIM_400000_NS6detail17trampoline_kernelINS0_14default_configENS1_20scan_config_selectorIfEEZZNS1_9scan_implILNS1_25lookback_scan_determinismE0ELb0ELb0ES3_PKfPffZZZN2at6native31launch_logcumsumexp_cuda_kernelERKNSB_10TensorBaseESF_lENKUlvE_clEvENKUlvE0_clEvEUlffE_fEEDaPvRmT3_T4_T5_mT6_P12ihipStream_tbENKUlT_T0_E_clISt17integral_constantIbLb0EESW_EEDaSR_SS_EUlSR_E0_NS1_11comp_targetILNS1_3genE4ELNS1_11target_archE910ELNS1_3gpuE8ELNS1_3repE0EEENS1_30default_config_static_selectorELNS0_4arch9wavefront6targetE0EEEvT1_.num_agpr, 0
	.set _ZN7rocprim17ROCPRIM_400000_NS6detail17trampoline_kernelINS0_14default_configENS1_20scan_config_selectorIfEEZZNS1_9scan_implILNS1_25lookback_scan_determinismE0ELb0ELb0ES3_PKfPffZZZN2at6native31launch_logcumsumexp_cuda_kernelERKNSB_10TensorBaseESF_lENKUlvE_clEvENKUlvE0_clEvEUlffE_fEEDaPvRmT3_T4_T5_mT6_P12ihipStream_tbENKUlT_T0_E_clISt17integral_constantIbLb0EESW_EEDaSR_SS_EUlSR_E0_NS1_11comp_targetILNS1_3genE4ELNS1_11target_archE910ELNS1_3gpuE8ELNS1_3repE0EEENS1_30default_config_static_selectorELNS0_4arch9wavefront6targetE0EEEvT1_.numbered_sgpr, 0
	.set _ZN7rocprim17ROCPRIM_400000_NS6detail17trampoline_kernelINS0_14default_configENS1_20scan_config_selectorIfEEZZNS1_9scan_implILNS1_25lookback_scan_determinismE0ELb0ELb0ES3_PKfPffZZZN2at6native31launch_logcumsumexp_cuda_kernelERKNSB_10TensorBaseESF_lENKUlvE_clEvENKUlvE0_clEvEUlffE_fEEDaPvRmT3_T4_T5_mT6_P12ihipStream_tbENKUlT_T0_E_clISt17integral_constantIbLb0EESW_EEDaSR_SS_EUlSR_E0_NS1_11comp_targetILNS1_3genE4ELNS1_11target_archE910ELNS1_3gpuE8ELNS1_3repE0EEENS1_30default_config_static_selectorELNS0_4arch9wavefront6targetE0EEEvT1_.num_named_barrier, 0
	.set _ZN7rocprim17ROCPRIM_400000_NS6detail17trampoline_kernelINS0_14default_configENS1_20scan_config_selectorIfEEZZNS1_9scan_implILNS1_25lookback_scan_determinismE0ELb0ELb0ES3_PKfPffZZZN2at6native31launch_logcumsumexp_cuda_kernelERKNSB_10TensorBaseESF_lENKUlvE_clEvENKUlvE0_clEvEUlffE_fEEDaPvRmT3_T4_T5_mT6_P12ihipStream_tbENKUlT_T0_E_clISt17integral_constantIbLb0EESW_EEDaSR_SS_EUlSR_E0_NS1_11comp_targetILNS1_3genE4ELNS1_11target_archE910ELNS1_3gpuE8ELNS1_3repE0EEENS1_30default_config_static_selectorELNS0_4arch9wavefront6targetE0EEEvT1_.private_seg_size, 0
	.set _ZN7rocprim17ROCPRIM_400000_NS6detail17trampoline_kernelINS0_14default_configENS1_20scan_config_selectorIfEEZZNS1_9scan_implILNS1_25lookback_scan_determinismE0ELb0ELb0ES3_PKfPffZZZN2at6native31launch_logcumsumexp_cuda_kernelERKNSB_10TensorBaseESF_lENKUlvE_clEvENKUlvE0_clEvEUlffE_fEEDaPvRmT3_T4_T5_mT6_P12ihipStream_tbENKUlT_T0_E_clISt17integral_constantIbLb0EESW_EEDaSR_SS_EUlSR_E0_NS1_11comp_targetILNS1_3genE4ELNS1_11target_archE910ELNS1_3gpuE8ELNS1_3repE0EEENS1_30default_config_static_selectorELNS0_4arch9wavefront6targetE0EEEvT1_.uses_vcc, 0
	.set _ZN7rocprim17ROCPRIM_400000_NS6detail17trampoline_kernelINS0_14default_configENS1_20scan_config_selectorIfEEZZNS1_9scan_implILNS1_25lookback_scan_determinismE0ELb0ELb0ES3_PKfPffZZZN2at6native31launch_logcumsumexp_cuda_kernelERKNSB_10TensorBaseESF_lENKUlvE_clEvENKUlvE0_clEvEUlffE_fEEDaPvRmT3_T4_T5_mT6_P12ihipStream_tbENKUlT_T0_E_clISt17integral_constantIbLb0EESW_EEDaSR_SS_EUlSR_E0_NS1_11comp_targetILNS1_3genE4ELNS1_11target_archE910ELNS1_3gpuE8ELNS1_3repE0EEENS1_30default_config_static_selectorELNS0_4arch9wavefront6targetE0EEEvT1_.uses_flat_scratch, 0
	.set _ZN7rocprim17ROCPRIM_400000_NS6detail17trampoline_kernelINS0_14default_configENS1_20scan_config_selectorIfEEZZNS1_9scan_implILNS1_25lookback_scan_determinismE0ELb0ELb0ES3_PKfPffZZZN2at6native31launch_logcumsumexp_cuda_kernelERKNSB_10TensorBaseESF_lENKUlvE_clEvENKUlvE0_clEvEUlffE_fEEDaPvRmT3_T4_T5_mT6_P12ihipStream_tbENKUlT_T0_E_clISt17integral_constantIbLb0EESW_EEDaSR_SS_EUlSR_E0_NS1_11comp_targetILNS1_3genE4ELNS1_11target_archE910ELNS1_3gpuE8ELNS1_3repE0EEENS1_30default_config_static_selectorELNS0_4arch9wavefront6targetE0EEEvT1_.has_dyn_sized_stack, 0
	.set _ZN7rocprim17ROCPRIM_400000_NS6detail17trampoline_kernelINS0_14default_configENS1_20scan_config_selectorIfEEZZNS1_9scan_implILNS1_25lookback_scan_determinismE0ELb0ELb0ES3_PKfPffZZZN2at6native31launch_logcumsumexp_cuda_kernelERKNSB_10TensorBaseESF_lENKUlvE_clEvENKUlvE0_clEvEUlffE_fEEDaPvRmT3_T4_T5_mT6_P12ihipStream_tbENKUlT_T0_E_clISt17integral_constantIbLb0EESW_EEDaSR_SS_EUlSR_E0_NS1_11comp_targetILNS1_3genE4ELNS1_11target_archE910ELNS1_3gpuE8ELNS1_3repE0EEENS1_30default_config_static_selectorELNS0_4arch9wavefront6targetE0EEEvT1_.has_recursion, 0
	.set _ZN7rocprim17ROCPRIM_400000_NS6detail17trampoline_kernelINS0_14default_configENS1_20scan_config_selectorIfEEZZNS1_9scan_implILNS1_25lookback_scan_determinismE0ELb0ELb0ES3_PKfPffZZZN2at6native31launch_logcumsumexp_cuda_kernelERKNSB_10TensorBaseESF_lENKUlvE_clEvENKUlvE0_clEvEUlffE_fEEDaPvRmT3_T4_T5_mT6_P12ihipStream_tbENKUlT_T0_E_clISt17integral_constantIbLb0EESW_EEDaSR_SS_EUlSR_E0_NS1_11comp_targetILNS1_3genE4ELNS1_11target_archE910ELNS1_3gpuE8ELNS1_3repE0EEENS1_30default_config_static_selectorELNS0_4arch9wavefront6targetE0EEEvT1_.has_indirect_call, 0
	.section	.AMDGPU.csdata,"",@progbits
; Kernel info:
; codeLenInByte = 0
; TotalNumSgprs: 0
; NumVgprs: 0
; ScratchSize: 0
; MemoryBound: 0
; FloatMode: 240
; IeeeMode: 1
; LDSByteSize: 0 bytes/workgroup (compile time only)
; SGPRBlocks: 0
; VGPRBlocks: 0
; NumSGPRsForWavesPerEU: 1
; NumVGPRsForWavesPerEU: 1
; Occupancy: 16
; WaveLimiterHint : 0
; COMPUTE_PGM_RSRC2:SCRATCH_EN: 0
; COMPUTE_PGM_RSRC2:USER_SGPR: 2
; COMPUTE_PGM_RSRC2:TRAP_HANDLER: 0
; COMPUTE_PGM_RSRC2:TGID_X_EN: 1
; COMPUTE_PGM_RSRC2:TGID_Y_EN: 0
; COMPUTE_PGM_RSRC2:TGID_Z_EN: 0
; COMPUTE_PGM_RSRC2:TIDIG_COMP_CNT: 0
	.section	.text._ZN7rocprim17ROCPRIM_400000_NS6detail17trampoline_kernelINS0_14default_configENS1_20scan_config_selectorIfEEZZNS1_9scan_implILNS1_25lookback_scan_determinismE0ELb0ELb0ES3_PKfPffZZZN2at6native31launch_logcumsumexp_cuda_kernelERKNSB_10TensorBaseESF_lENKUlvE_clEvENKUlvE0_clEvEUlffE_fEEDaPvRmT3_T4_T5_mT6_P12ihipStream_tbENKUlT_T0_E_clISt17integral_constantIbLb0EESW_EEDaSR_SS_EUlSR_E0_NS1_11comp_targetILNS1_3genE3ELNS1_11target_archE908ELNS1_3gpuE7ELNS1_3repE0EEENS1_30default_config_static_selectorELNS0_4arch9wavefront6targetE0EEEvT1_,"axG",@progbits,_ZN7rocprim17ROCPRIM_400000_NS6detail17trampoline_kernelINS0_14default_configENS1_20scan_config_selectorIfEEZZNS1_9scan_implILNS1_25lookback_scan_determinismE0ELb0ELb0ES3_PKfPffZZZN2at6native31launch_logcumsumexp_cuda_kernelERKNSB_10TensorBaseESF_lENKUlvE_clEvENKUlvE0_clEvEUlffE_fEEDaPvRmT3_T4_T5_mT6_P12ihipStream_tbENKUlT_T0_E_clISt17integral_constantIbLb0EESW_EEDaSR_SS_EUlSR_E0_NS1_11comp_targetILNS1_3genE3ELNS1_11target_archE908ELNS1_3gpuE7ELNS1_3repE0EEENS1_30default_config_static_selectorELNS0_4arch9wavefront6targetE0EEEvT1_,comdat
	.globl	_ZN7rocprim17ROCPRIM_400000_NS6detail17trampoline_kernelINS0_14default_configENS1_20scan_config_selectorIfEEZZNS1_9scan_implILNS1_25lookback_scan_determinismE0ELb0ELb0ES3_PKfPffZZZN2at6native31launch_logcumsumexp_cuda_kernelERKNSB_10TensorBaseESF_lENKUlvE_clEvENKUlvE0_clEvEUlffE_fEEDaPvRmT3_T4_T5_mT6_P12ihipStream_tbENKUlT_T0_E_clISt17integral_constantIbLb0EESW_EEDaSR_SS_EUlSR_E0_NS1_11comp_targetILNS1_3genE3ELNS1_11target_archE908ELNS1_3gpuE7ELNS1_3repE0EEENS1_30default_config_static_selectorELNS0_4arch9wavefront6targetE0EEEvT1_ ; -- Begin function _ZN7rocprim17ROCPRIM_400000_NS6detail17trampoline_kernelINS0_14default_configENS1_20scan_config_selectorIfEEZZNS1_9scan_implILNS1_25lookback_scan_determinismE0ELb0ELb0ES3_PKfPffZZZN2at6native31launch_logcumsumexp_cuda_kernelERKNSB_10TensorBaseESF_lENKUlvE_clEvENKUlvE0_clEvEUlffE_fEEDaPvRmT3_T4_T5_mT6_P12ihipStream_tbENKUlT_T0_E_clISt17integral_constantIbLb0EESW_EEDaSR_SS_EUlSR_E0_NS1_11comp_targetILNS1_3genE3ELNS1_11target_archE908ELNS1_3gpuE7ELNS1_3repE0EEENS1_30default_config_static_selectorELNS0_4arch9wavefront6targetE0EEEvT1_
	.p2align	8
	.type	_ZN7rocprim17ROCPRIM_400000_NS6detail17trampoline_kernelINS0_14default_configENS1_20scan_config_selectorIfEEZZNS1_9scan_implILNS1_25lookback_scan_determinismE0ELb0ELb0ES3_PKfPffZZZN2at6native31launch_logcumsumexp_cuda_kernelERKNSB_10TensorBaseESF_lENKUlvE_clEvENKUlvE0_clEvEUlffE_fEEDaPvRmT3_T4_T5_mT6_P12ihipStream_tbENKUlT_T0_E_clISt17integral_constantIbLb0EESW_EEDaSR_SS_EUlSR_E0_NS1_11comp_targetILNS1_3genE3ELNS1_11target_archE908ELNS1_3gpuE7ELNS1_3repE0EEENS1_30default_config_static_selectorELNS0_4arch9wavefront6targetE0EEEvT1_,@function
_ZN7rocprim17ROCPRIM_400000_NS6detail17trampoline_kernelINS0_14default_configENS1_20scan_config_selectorIfEEZZNS1_9scan_implILNS1_25lookback_scan_determinismE0ELb0ELb0ES3_PKfPffZZZN2at6native31launch_logcumsumexp_cuda_kernelERKNSB_10TensorBaseESF_lENKUlvE_clEvENKUlvE0_clEvEUlffE_fEEDaPvRmT3_T4_T5_mT6_P12ihipStream_tbENKUlT_T0_E_clISt17integral_constantIbLb0EESW_EEDaSR_SS_EUlSR_E0_NS1_11comp_targetILNS1_3genE3ELNS1_11target_archE908ELNS1_3gpuE7ELNS1_3repE0EEENS1_30default_config_static_selectorELNS0_4arch9wavefront6targetE0EEEvT1_: ; @_ZN7rocprim17ROCPRIM_400000_NS6detail17trampoline_kernelINS0_14default_configENS1_20scan_config_selectorIfEEZZNS1_9scan_implILNS1_25lookback_scan_determinismE0ELb0ELb0ES3_PKfPffZZZN2at6native31launch_logcumsumexp_cuda_kernelERKNSB_10TensorBaseESF_lENKUlvE_clEvENKUlvE0_clEvEUlffE_fEEDaPvRmT3_T4_T5_mT6_P12ihipStream_tbENKUlT_T0_E_clISt17integral_constantIbLb0EESW_EEDaSR_SS_EUlSR_E0_NS1_11comp_targetILNS1_3genE3ELNS1_11target_archE908ELNS1_3gpuE7ELNS1_3repE0EEENS1_30default_config_static_selectorELNS0_4arch9wavefront6targetE0EEEvT1_
; %bb.0:
	.section	.rodata,"a",@progbits
	.p2align	6, 0x0
	.amdhsa_kernel _ZN7rocprim17ROCPRIM_400000_NS6detail17trampoline_kernelINS0_14default_configENS1_20scan_config_selectorIfEEZZNS1_9scan_implILNS1_25lookback_scan_determinismE0ELb0ELb0ES3_PKfPffZZZN2at6native31launch_logcumsumexp_cuda_kernelERKNSB_10TensorBaseESF_lENKUlvE_clEvENKUlvE0_clEvEUlffE_fEEDaPvRmT3_T4_T5_mT6_P12ihipStream_tbENKUlT_T0_E_clISt17integral_constantIbLb0EESW_EEDaSR_SS_EUlSR_E0_NS1_11comp_targetILNS1_3genE3ELNS1_11target_archE908ELNS1_3gpuE7ELNS1_3repE0EEENS1_30default_config_static_selectorELNS0_4arch9wavefront6targetE0EEEvT1_
		.amdhsa_group_segment_fixed_size 0
		.amdhsa_private_segment_fixed_size 0
		.amdhsa_kernarg_size 32
		.amdhsa_user_sgpr_count 2
		.amdhsa_user_sgpr_dispatch_ptr 0
		.amdhsa_user_sgpr_queue_ptr 0
		.amdhsa_user_sgpr_kernarg_segment_ptr 1
		.amdhsa_user_sgpr_dispatch_id 0
		.amdhsa_user_sgpr_private_segment_size 0
		.amdhsa_wavefront_size32 1
		.amdhsa_uses_dynamic_stack 0
		.amdhsa_enable_private_segment 0
		.amdhsa_system_sgpr_workgroup_id_x 1
		.amdhsa_system_sgpr_workgroup_id_y 0
		.amdhsa_system_sgpr_workgroup_id_z 0
		.amdhsa_system_sgpr_workgroup_info 0
		.amdhsa_system_vgpr_workitem_id 0
		.amdhsa_next_free_vgpr 1
		.amdhsa_next_free_sgpr 1
		.amdhsa_reserve_vcc 0
		.amdhsa_float_round_mode_32 0
		.amdhsa_float_round_mode_16_64 0
		.amdhsa_float_denorm_mode_32 3
		.amdhsa_float_denorm_mode_16_64 3
		.amdhsa_fp16_overflow 0
		.amdhsa_workgroup_processor_mode 1
		.amdhsa_memory_ordered 1
		.amdhsa_forward_progress 1
		.amdhsa_inst_pref_size 0
		.amdhsa_round_robin_scheduling 0
		.amdhsa_exception_fp_ieee_invalid_op 0
		.amdhsa_exception_fp_denorm_src 0
		.amdhsa_exception_fp_ieee_div_zero 0
		.amdhsa_exception_fp_ieee_overflow 0
		.amdhsa_exception_fp_ieee_underflow 0
		.amdhsa_exception_fp_ieee_inexact 0
		.amdhsa_exception_int_div_zero 0
	.end_amdhsa_kernel
	.section	.text._ZN7rocprim17ROCPRIM_400000_NS6detail17trampoline_kernelINS0_14default_configENS1_20scan_config_selectorIfEEZZNS1_9scan_implILNS1_25lookback_scan_determinismE0ELb0ELb0ES3_PKfPffZZZN2at6native31launch_logcumsumexp_cuda_kernelERKNSB_10TensorBaseESF_lENKUlvE_clEvENKUlvE0_clEvEUlffE_fEEDaPvRmT3_T4_T5_mT6_P12ihipStream_tbENKUlT_T0_E_clISt17integral_constantIbLb0EESW_EEDaSR_SS_EUlSR_E0_NS1_11comp_targetILNS1_3genE3ELNS1_11target_archE908ELNS1_3gpuE7ELNS1_3repE0EEENS1_30default_config_static_selectorELNS0_4arch9wavefront6targetE0EEEvT1_,"axG",@progbits,_ZN7rocprim17ROCPRIM_400000_NS6detail17trampoline_kernelINS0_14default_configENS1_20scan_config_selectorIfEEZZNS1_9scan_implILNS1_25lookback_scan_determinismE0ELb0ELb0ES3_PKfPffZZZN2at6native31launch_logcumsumexp_cuda_kernelERKNSB_10TensorBaseESF_lENKUlvE_clEvENKUlvE0_clEvEUlffE_fEEDaPvRmT3_T4_T5_mT6_P12ihipStream_tbENKUlT_T0_E_clISt17integral_constantIbLb0EESW_EEDaSR_SS_EUlSR_E0_NS1_11comp_targetILNS1_3genE3ELNS1_11target_archE908ELNS1_3gpuE7ELNS1_3repE0EEENS1_30default_config_static_selectorELNS0_4arch9wavefront6targetE0EEEvT1_,comdat
.Lfunc_end108:
	.size	_ZN7rocprim17ROCPRIM_400000_NS6detail17trampoline_kernelINS0_14default_configENS1_20scan_config_selectorIfEEZZNS1_9scan_implILNS1_25lookback_scan_determinismE0ELb0ELb0ES3_PKfPffZZZN2at6native31launch_logcumsumexp_cuda_kernelERKNSB_10TensorBaseESF_lENKUlvE_clEvENKUlvE0_clEvEUlffE_fEEDaPvRmT3_T4_T5_mT6_P12ihipStream_tbENKUlT_T0_E_clISt17integral_constantIbLb0EESW_EEDaSR_SS_EUlSR_E0_NS1_11comp_targetILNS1_3genE3ELNS1_11target_archE908ELNS1_3gpuE7ELNS1_3repE0EEENS1_30default_config_static_selectorELNS0_4arch9wavefront6targetE0EEEvT1_, .Lfunc_end108-_ZN7rocprim17ROCPRIM_400000_NS6detail17trampoline_kernelINS0_14default_configENS1_20scan_config_selectorIfEEZZNS1_9scan_implILNS1_25lookback_scan_determinismE0ELb0ELb0ES3_PKfPffZZZN2at6native31launch_logcumsumexp_cuda_kernelERKNSB_10TensorBaseESF_lENKUlvE_clEvENKUlvE0_clEvEUlffE_fEEDaPvRmT3_T4_T5_mT6_P12ihipStream_tbENKUlT_T0_E_clISt17integral_constantIbLb0EESW_EEDaSR_SS_EUlSR_E0_NS1_11comp_targetILNS1_3genE3ELNS1_11target_archE908ELNS1_3gpuE7ELNS1_3repE0EEENS1_30default_config_static_selectorELNS0_4arch9wavefront6targetE0EEEvT1_
                                        ; -- End function
	.set _ZN7rocprim17ROCPRIM_400000_NS6detail17trampoline_kernelINS0_14default_configENS1_20scan_config_selectorIfEEZZNS1_9scan_implILNS1_25lookback_scan_determinismE0ELb0ELb0ES3_PKfPffZZZN2at6native31launch_logcumsumexp_cuda_kernelERKNSB_10TensorBaseESF_lENKUlvE_clEvENKUlvE0_clEvEUlffE_fEEDaPvRmT3_T4_T5_mT6_P12ihipStream_tbENKUlT_T0_E_clISt17integral_constantIbLb0EESW_EEDaSR_SS_EUlSR_E0_NS1_11comp_targetILNS1_3genE3ELNS1_11target_archE908ELNS1_3gpuE7ELNS1_3repE0EEENS1_30default_config_static_selectorELNS0_4arch9wavefront6targetE0EEEvT1_.num_vgpr, 0
	.set _ZN7rocprim17ROCPRIM_400000_NS6detail17trampoline_kernelINS0_14default_configENS1_20scan_config_selectorIfEEZZNS1_9scan_implILNS1_25lookback_scan_determinismE0ELb0ELb0ES3_PKfPffZZZN2at6native31launch_logcumsumexp_cuda_kernelERKNSB_10TensorBaseESF_lENKUlvE_clEvENKUlvE0_clEvEUlffE_fEEDaPvRmT3_T4_T5_mT6_P12ihipStream_tbENKUlT_T0_E_clISt17integral_constantIbLb0EESW_EEDaSR_SS_EUlSR_E0_NS1_11comp_targetILNS1_3genE3ELNS1_11target_archE908ELNS1_3gpuE7ELNS1_3repE0EEENS1_30default_config_static_selectorELNS0_4arch9wavefront6targetE0EEEvT1_.num_agpr, 0
	.set _ZN7rocprim17ROCPRIM_400000_NS6detail17trampoline_kernelINS0_14default_configENS1_20scan_config_selectorIfEEZZNS1_9scan_implILNS1_25lookback_scan_determinismE0ELb0ELb0ES3_PKfPffZZZN2at6native31launch_logcumsumexp_cuda_kernelERKNSB_10TensorBaseESF_lENKUlvE_clEvENKUlvE0_clEvEUlffE_fEEDaPvRmT3_T4_T5_mT6_P12ihipStream_tbENKUlT_T0_E_clISt17integral_constantIbLb0EESW_EEDaSR_SS_EUlSR_E0_NS1_11comp_targetILNS1_3genE3ELNS1_11target_archE908ELNS1_3gpuE7ELNS1_3repE0EEENS1_30default_config_static_selectorELNS0_4arch9wavefront6targetE0EEEvT1_.numbered_sgpr, 0
	.set _ZN7rocprim17ROCPRIM_400000_NS6detail17trampoline_kernelINS0_14default_configENS1_20scan_config_selectorIfEEZZNS1_9scan_implILNS1_25lookback_scan_determinismE0ELb0ELb0ES3_PKfPffZZZN2at6native31launch_logcumsumexp_cuda_kernelERKNSB_10TensorBaseESF_lENKUlvE_clEvENKUlvE0_clEvEUlffE_fEEDaPvRmT3_T4_T5_mT6_P12ihipStream_tbENKUlT_T0_E_clISt17integral_constantIbLb0EESW_EEDaSR_SS_EUlSR_E0_NS1_11comp_targetILNS1_3genE3ELNS1_11target_archE908ELNS1_3gpuE7ELNS1_3repE0EEENS1_30default_config_static_selectorELNS0_4arch9wavefront6targetE0EEEvT1_.num_named_barrier, 0
	.set _ZN7rocprim17ROCPRIM_400000_NS6detail17trampoline_kernelINS0_14default_configENS1_20scan_config_selectorIfEEZZNS1_9scan_implILNS1_25lookback_scan_determinismE0ELb0ELb0ES3_PKfPffZZZN2at6native31launch_logcumsumexp_cuda_kernelERKNSB_10TensorBaseESF_lENKUlvE_clEvENKUlvE0_clEvEUlffE_fEEDaPvRmT3_T4_T5_mT6_P12ihipStream_tbENKUlT_T0_E_clISt17integral_constantIbLb0EESW_EEDaSR_SS_EUlSR_E0_NS1_11comp_targetILNS1_3genE3ELNS1_11target_archE908ELNS1_3gpuE7ELNS1_3repE0EEENS1_30default_config_static_selectorELNS0_4arch9wavefront6targetE0EEEvT1_.private_seg_size, 0
	.set _ZN7rocprim17ROCPRIM_400000_NS6detail17trampoline_kernelINS0_14default_configENS1_20scan_config_selectorIfEEZZNS1_9scan_implILNS1_25lookback_scan_determinismE0ELb0ELb0ES3_PKfPffZZZN2at6native31launch_logcumsumexp_cuda_kernelERKNSB_10TensorBaseESF_lENKUlvE_clEvENKUlvE0_clEvEUlffE_fEEDaPvRmT3_T4_T5_mT6_P12ihipStream_tbENKUlT_T0_E_clISt17integral_constantIbLb0EESW_EEDaSR_SS_EUlSR_E0_NS1_11comp_targetILNS1_3genE3ELNS1_11target_archE908ELNS1_3gpuE7ELNS1_3repE0EEENS1_30default_config_static_selectorELNS0_4arch9wavefront6targetE0EEEvT1_.uses_vcc, 0
	.set _ZN7rocprim17ROCPRIM_400000_NS6detail17trampoline_kernelINS0_14default_configENS1_20scan_config_selectorIfEEZZNS1_9scan_implILNS1_25lookback_scan_determinismE0ELb0ELb0ES3_PKfPffZZZN2at6native31launch_logcumsumexp_cuda_kernelERKNSB_10TensorBaseESF_lENKUlvE_clEvENKUlvE0_clEvEUlffE_fEEDaPvRmT3_T4_T5_mT6_P12ihipStream_tbENKUlT_T0_E_clISt17integral_constantIbLb0EESW_EEDaSR_SS_EUlSR_E0_NS1_11comp_targetILNS1_3genE3ELNS1_11target_archE908ELNS1_3gpuE7ELNS1_3repE0EEENS1_30default_config_static_selectorELNS0_4arch9wavefront6targetE0EEEvT1_.uses_flat_scratch, 0
	.set _ZN7rocprim17ROCPRIM_400000_NS6detail17trampoline_kernelINS0_14default_configENS1_20scan_config_selectorIfEEZZNS1_9scan_implILNS1_25lookback_scan_determinismE0ELb0ELb0ES3_PKfPffZZZN2at6native31launch_logcumsumexp_cuda_kernelERKNSB_10TensorBaseESF_lENKUlvE_clEvENKUlvE0_clEvEUlffE_fEEDaPvRmT3_T4_T5_mT6_P12ihipStream_tbENKUlT_T0_E_clISt17integral_constantIbLb0EESW_EEDaSR_SS_EUlSR_E0_NS1_11comp_targetILNS1_3genE3ELNS1_11target_archE908ELNS1_3gpuE7ELNS1_3repE0EEENS1_30default_config_static_selectorELNS0_4arch9wavefront6targetE0EEEvT1_.has_dyn_sized_stack, 0
	.set _ZN7rocprim17ROCPRIM_400000_NS6detail17trampoline_kernelINS0_14default_configENS1_20scan_config_selectorIfEEZZNS1_9scan_implILNS1_25lookback_scan_determinismE0ELb0ELb0ES3_PKfPffZZZN2at6native31launch_logcumsumexp_cuda_kernelERKNSB_10TensorBaseESF_lENKUlvE_clEvENKUlvE0_clEvEUlffE_fEEDaPvRmT3_T4_T5_mT6_P12ihipStream_tbENKUlT_T0_E_clISt17integral_constantIbLb0EESW_EEDaSR_SS_EUlSR_E0_NS1_11comp_targetILNS1_3genE3ELNS1_11target_archE908ELNS1_3gpuE7ELNS1_3repE0EEENS1_30default_config_static_selectorELNS0_4arch9wavefront6targetE0EEEvT1_.has_recursion, 0
	.set _ZN7rocprim17ROCPRIM_400000_NS6detail17trampoline_kernelINS0_14default_configENS1_20scan_config_selectorIfEEZZNS1_9scan_implILNS1_25lookback_scan_determinismE0ELb0ELb0ES3_PKfPffZZZN2at6native31launch_logcumsumexp_cuda_kernelERKNSB_10TensorBaseESF_lENKUlvE_clEvENKUlvE0_clEvEUlffE_fEEDaPvRmT3_T4_T5_mT6_P12ihipStream_tbENKUlT_T0_E_clISt17integral_constantIbLb0EESW_EEDaSR_SS_EUlSR_E0_NS1_11comp_targetILNS1_3genE3ELNS1_11target_archE908ELNS1_3gpuE7ELNS1_3repE0EEENS1_30default_config_static_selectorELNS0_4arch9wavefront6targetE0EEEvT1_.has_indirect_call, 0
	.section	.AMDGPU.csdata,"",@progbits
; Kernel info:
; codeLenInByte = 0
; TotalNumSgprs: 0
; NumVgprs: 0
; ScratchSize: 0
; MemoryBound: 0
; FloatMode: 240
; IeeeMode: 1
; LDSByteSize: 0 bytes/workgroup (compile time only)
; SGPRBlocks: 0
; VGPRBlocks: 0
; NumSGPRsForWavesPerEU: 1
; NumVGPRsForWavesPerEU: 1
; Occupancy: 16
; WaveLimiterHint : 0
; COMPUTE_PGM_RSRC2:SCRATCH_EN: 0
; COMPUTE_PGM_RSRC2:USER_SGPR: 2
; COMPUTE_PGM_RSRC2:TRAP_HANDLER: 0
; COMPUTE_PGM_RSRC2:TGID_X_EN: 1
; COMPUTE_PGM_RSRC2:TGID_Y_EN: 0
; COMPUTE_PGM_RSRC2:TGID_Z_EN: 0
; COMPUTE_PGM_RSRC2:TIDIG_COMP_CNT: 0
	.section	.text._ZN7rocprim17ROCPRIM_400000_NS6detail17trampoline_kernelINS0_14default_configENS1_20scan_config_selectorIfEEZZNS1_9scan_implILNS1_25lookback_scan_determinismE0ELb0ELb0ES3_PKfPffZZZN2at6native31launch_logcumsumexp_cuda_kernelERKNSB_10TensorBaseESF_lENKUlvE_clEvENKUlvE0_clEvEUlffE_fEEDaPvRmT3_T4_T5_mT6_P12ihipStream_tbENKUlT_T0_E_clISt17integral_constantIbLb0EESW_EEDaSR_SS_EUlSR_E0_NS1_11comp_targetILNS1_3genE2ELNS1_11target_archE906ELNS1_3gpuE6ELNS1_3repE0EEENS1_30default_config_static_selectorELNS0_4arch9wavefront6targetE0EEEvT1_,"axG",@progbits,_ZN7rocprim17ROCPRIM_400000_NS6detail17trampoline_kernelINS0_14default_configENS1_20scan_config_selectorIfEEZZNS1_9scan_implILNS1_25lookback_scan_determinismE0ELb0ELb0ES3_PKfPffZZZN2at6native31launch_logcumsumexp_cuda_kernelERKNSB_10TensorBaseESF_lENKUlvE_clEvENKUlvE0_clEvEUlffE_fEEDaPvRmT3_T4_T5_mT6_P12ihipStream_tbENKUlT_T0_E_clISt17integral_constantIbLb0EESW_EEDaSR_SS_EUlSR_E0_NS1_11comp_targetILNS1_3genE2ELNS1_11target_archE906ELNS1_3gpuE6ELNS1_3repE0EEENS1_30default_config_static_selectorELNS0_4arch9wavefront6targetE0EEEvT1_,comdat
	.globl	_ZN7rocprim17ROCPRIM_400000_NS6detail17trampoline_kernelINS0_14default_configENS1_20scan_config_selectorIfEEZZNS1_9scan_implILNS1_25lookback_scan_determinismE0ELb0ELb0ES3_PKfPffZZZN2at6native31launch_logcumsumexp_cuda_kernelERKNSB_10TensorBaseESF_lENKUlvE_clEvENKUlvE0_clEvEUlffE_fEEDaPvRmT3_T4_T5_mT6_P12ihipStream_tbENKUlT_T0_E_clISt17integral_constantIbLb0EESW_EEDaSR_SS_EUlSR_E0_NS1_11comp_targetILNS1_3genE2ELNS1_11target_archE906ELNS1_3gpuE6ELNS1_3repE0EEENS1_30default_config_static_selectorELNS0_4arch9wavefront6targetE0EEEvT1_ ; -- Begin function _ZN7rocprim17ROCPRIM_400000_NS6detail17trampoline_kernelINS0_14default_configENS1_20scan_config_selectorIfEEZZNS1_9scan_implILNS1_25lookback_scan_determinismE0ELb0ELb0ES3_PKfPffZZZN2at6native31launch_logcumsumexp_cuda_kernelERKNSB_10TensorBaseESF_lENKUlvE_clEvENKUlvE0_clEvEUlffE_fEEDaPvRmT3_T4_T5_mT6_P12ihipStream_tbENKUlT_T0_E_clISt17integral_constantIbLb0EESW_EEDaSR_SS_EUlSR_E0_NS1_11comp_targetILNS1_3genE2ELNS1_11target_archE906ELNS1_3gpuE6ELNS1_3repE0EEENS1_30default_config_static_selectorELNS0_4arch9wavefront6targetE0EEEvT1_
	.p2align	8
	.type	_ZN7rocprim17ROCPRIM_400000_NS6detail17trampoline_kernelINS0_14default_configENS1_20scan_config_selectorIfEEZZNS1_9scan_implILNS1_25lookback_scan_determinismE0ELb0ELb0ES3_PKfPffZZZN2at6native31launch_logcumsumexp_cuda_kernelERKNSB_10TensorBaseESF_lENKUlvE_clEvENKUlvE0_clEvEUlffE_fEEDaPvRmT3_T4_T5_mT6_P12ihipStream_tbENKUlT_T0_E_clISt17integral_constantIbLb0EESW_EEDaSR_SS_EUlSR_E0_NS1_11comp_targetILNS1_3genE2ELNS1_11target_archE906ELNS1_3gpuE6ELNS1_3repE0EEENS1_30default_config_static_selectorELNS0_4arch9wavefront6targetE0EEEvT1_,@function
_ZN7rocprim17ROCPRIM_400000_NS6detail17trampoline_kernelINS0_14default_configENS1_20scan_config_selectorIfEEZZNS1_9scan_implILNS1_25lookback_scan_determinismE0ELb0ELb0ES3_PKfPffZZZN2at6native31launch_logcumsumexp_cuda_kernelERKNSB_10TensorBaseESF_lENKUlvE_clEvENKUlvE0_clEvEUlffE_fEEDaPvRmT3_T4_T5_mT6_P12ihipStream_tbENKUlT_T0_E_clISt17integral_constantIbLb0EESW_EEDaSR_SS_EUlSR_E0_NS1_11comp_targetILNS1_3genE2ELNS1_11target_archE906ELNS1_3gpuE6ELNS1_3repE0EEENS1_30default_config_static_selectorELNS0_4arch9wavefront6targetE0EEEvT1_: ; @_ZN7rocprim17ROCPRIM_400000_NS6detail17trampoline_kernelINS0_14default_configENS1_20scan_config_selectorIfEEZZNS1_9scan_implILNS1_25lookback_scan_determinismE0ELb0ELb0ES3_PKfPffZZZN2at6native31launch_logcumsumexp_cuda_kernelERKNSB_10TensorBaseESF_lENKUlvE_clEvENKUlvE0_clEvEUlffE_fEEDaPvRmT3_T4_T5_mT6_P12ihipStream_tbENKUlT_T0_E_clISt17integral_constantIbLb0EESW_EEDaSR_SS_EUlSR_E0_NS1_11comp_targetILNS1_3genE2ELNS1_11target_archE906ELNS1_3gpuE6ELNS1_3repE0EEENS1_30default_config_static_selectorELNS0_4arch9wavefront6targetE0EEEvT1_
; %bb.0:
	.section	.rodata,"a",@progbits
	.p2align	6, 0x0
	.amdhsa_kernel _ZN7rocprim17ROCPRIM_400000_NS6detail17trampoline_kernelINS0_14default_configENS1_20scan_config_selectorIfEEZZNS1_9scan_implILNS1_25lookback_scan_determinismE0ELb0ELb0ES3_PKfPffZZZN2at6native31launch_logcumsumexp_cuda_kernelERKNSB_10TensorBaseESF_lENKUlvE_clEvENKUlvE0_clEvEUlffE_fEEDaPvRmT3_T4_T5_mT6_P12ihipStream_tbENKUlT_T0_E_clISt17integral_constantIbLb0EESW_EEDaSR_SS_EUlSR_E0_NS1_11comp_targetILNS1_3genE2ELNS1_11target_archE906ELNS1_3gpuE6ELNS1_3repE0EEENS1_30default_config_static_selectorELNS0_4arch9wavefront6targetE0EEEvT1_
		.amdhsa_group_segment_fixed_size 0
		.amdhsa_private_segment_fixed_size 0
		.amdhsa_kernarg_size 32
		.amdhsa_user_sgpr_count 2
		.amdhsa_user_sgpr_dispatch_ptr 0
		.amdhsa_user_sgpr_queue_ptr 0
		.amdhsa_user_sgpr_kernarg_segment_ptr 1
		.amdhsa_user_sgpr_dispatch_id 0
		.amdhsa_user_sgpr_private_segment_size 0
		.amdhsa_wavefront_size32 1
		.amdhsa_uses_dynamic_stack 0
		.amdhsa_enable_private_segment 0
		.amdhsa_system_sgpr_workgroup_id_x 1
		.amdhsa_system_sgpr_workgroup_id_y 0
		.amdhsa_system_sgpr_workgroup_id_z 0
		.amdhsa_system_sgpr_workgroup_info 0
		.amdhsa_system_vgpr_workitem_id 0
		.amdhsa_next_free_vgpr 1
		.amdhsa_next_free_sgpr 1
		.amdhsa_reserve_vcc 0
		.amdhsa_float_round_mode_32 0
		.amdhsa_float_round_mode_16_64 0
		.amdhsa_float_denorm_mode_32 3
		.amdhsa_float_denorm_mode_16_64 3
		.amdhsa_fp16_overflow 0
		.amdhsa_workgroup_processor_mode 1
		.amdhsa_memory_ordered 1
		.amdhsa_forward_progress 1
		.amdhsa_inst_pref_size 0
		.amdhsa_round_robin_scheduling 0
		.amdhsa_exception_fp_ieee_invalid_op 0
		.amdhsa_exception_fp_denorm_src 0
		.amdhsa_exception_fp_ieee_div_zero 0
		.amdhsa_exception_fp_ieee_overflow 0
		.amdhsa_exception_fp_ieee_underflow 0
		.amdhsa_exception_fp_ieee_inexact 0
		.amdhsa_exception_int_div_zero 0
	.end_amdhsa_kernel
	.section	.text._ZN7rocprim17ROCPRIM_400000_NS6detail17trampoline_kernelINS0_14default_configENS1_20scan_config_selectorIfEEZZNS1_9scan_implILNS1_25lookback_scan_determinismE0ELb0ELb0ES3_PKfPffZZZN2at6native31launch_logcumsumexp_cuda_kernelERKNSB_10TensorBaseESF_lENKUlvE_clEvENKUlvE0_clEvEUlffE_fEEDaPvRmT3_T4_T5_mT6_P12ihipStream_tbENKUlT_T0_E_clISt17integral_constantIbLb0EESW_EEDaSR_SS_EUlSR_E0_NS1_11comp_targetILNS1_3genE2ELNS1_11target_archE906ELNS1_3gpuE6ELNS1_3repE0EEENS1_30default_config_static_selectorELNS0_4arch9wavefront6targetE0EEEvT1_,"axG",@progbits,_ZN7rocprim17ROCPRIM_400000_NS6detail17trampoline_kernelINS0_14default_configENS1_20scan_config_selectorIfEEZZNS1_9scan_implILNS1_25lookback_scan_determinismE0ELb0ELb0ES3_PKfPffZZZN2at6native31launch_logcumsumexp_cuda_kernelERKNSB_10TensorBaseESF_lENKUlvE_clEvENKUlvE0_clEvEUlffE_fEEDaPvRmT3_T4_T5_mT6_P12ihipStream_tbENKUlT_T0_E_clISt17integral_constantIbLb0EESW_EEDaSR_SS_EUlSR_E0_NS1_11comp_targetILNS1_3genE2ELNS1_11target_archE906ELNS1_3gpuE6ELNS1_3repE0EEENS1_30default_config_static_selectorELNS0_4arch9wavefront6targetE0EEEvT1_,comdat
.Lfunc_end109:
	.size	_ZN7rocprim17ROCPRIM_400000_NS6detail17trampoline_kernelINS0_14default_configENS1_20scan_config_selectorIfEEZZNS1_9scan_implILNS1_25lookback_scan_determinismE0ELb0ELb0ES3_PKfPffZZZN2at6native31launch_logcumsumexp_cuda_kernelERKNSB_10TensorBaseESF_lENKUlvE_clEvENKUlvE0_clEvEUlffE_fEEDaPvRmT3_T4_T5_mT6_P12ihipStream_tbENKUlT_T0_E_clISt17integral_constantIbLb0EESW_EEDaSR_SS_EUlSR_E0_NS1_11comp_targetILNS1_3genE2ELNS1_11target_archE906ELNS1_3gpuE6ELNS1_3repE0EEENS1_30default_config_static_selectorELNS0_4arch9wavefront6targetE0EEEvT1_, .Lfunc_end109-_ZN7rocprim17ROCPRIM_400000_NS6detail17trampoline_kernelINS0_14default_configENS1_20scan_config_selectorIfEEZZNS1_9scan_implILNS1_25lookback_scan_determinismE0ELb0ELb0ES3_PKfPffZZZN2at6native31launch_logcumsumexp_cuda_kernelERKNSB_10TensorBaseESF_lENKUlvE_clEvENKUlvE0_clEvEUlffE_fEEDaPvRmT3_T4_T5_mT6_P12ihipStream_tbENKUlT_T0_E_clISt17integral_constantIbLb0EESW_EEDaSR_SS_EUlSR_E0_NS1_11comp_targetILNS1_3genE2ELNS1_11target_archE906ELNS1_3gpuE6ELNS1_3repE0EEENS1_30default_config_static_selectorELNS0_4arch9wavefront6targetE0EEEvT1_
                                        ; -- End function
	.set _ZN7rocprim17ROCPRIM_400000_NS6detail17trampoline_kernelINS0_14default_configENS1_20scan_config_selectorIfEEZZNS1_9scan_implILNS1_25lookback_scan_determinismE0ELb0ELb0ES3_PKfPffZZZN2at6native31launch_logcumsumexp_cuda_kernelERKNSB_10TensorBaseESF_lENKUlvE_clEvENKUlvE0_clEvEUlffE_fEEDaPvRmT3_T4_T5_mT6_P12ihipStream_tbENKUlT_T0_E_clISt17integral_constantIbLb0EESW_EEDaSR_SS_EUlSR_E0_NS1_11comp_targetILNS1_3genE2ELNS1_11target_archE906ELNS1_3gpuE6ELNS1_3repE0EEENS1_30default_config_static_selectorELNS0_4arch9wavefront6targetE0EEEvT1_.num_vgpr, 0
	.set _ZN7rocprim17ROCPRIM_400000_NS6detail17trampoline_kernelINS0_14default_configENS1_20scan_config_selectorIfEEZZNS1_9scan_implILNS1_25lookback_scan_determinismE0ELb0ELb0ES3_PKfPffZZZN2at6native31launch_logcumsumexp_cuda_kernelERKNSB_10TensorBaseESF_lENKUlvE_clEvENKUlvE0_clEvEUlffE_fEEDaPvRmT3_T4_T5_mT6_P12ihipStream_tbENKUlT_T0_E_clISt17integral_constantIbLb0EESW_EEDaSR_SS_EUlSR_E0_NS1_11comp_targetILNS1_3genE2ELNS1_11target_archE906ELNS1_3gpuE6ELNS1_3repE0EEENS1_30default_config_static_selectorELNS0_4arch9wavefront6targetE0EEEvT1_.num_agpr, 0
	.set _ZN7rocprim17ROCPRIM_400000_NS6detail17trampoline_kernelINS0_14default_configENS1_20scan_config_selectorIfEEZZNS1_9scan_implILNS1_25lookback_scan_determinismE0ELb0ELb0ES3_PKfPffZZZN2at6native31launch_logcumsumexp_cuda_kernelERKNSB_10TensorBaseESF_lENKUlvE_clEvENKUlvE0_clEvEUlffE_fEEDaPvRmT3_T4_T5_mT6_P12ihipStream_tbENKUlT_T0_E_clISt17integral_constantIbLb0EESW_EEDaSR_SS_EUlSR_E0_NS1_11comp_targetILNS1_3genE2ELNS1_11target_archE906ELNS1_3gpuE6ELNS1_3repE0EEENS1_30default_config_static_selectorELNS0_4arch9wavefront6targetE0EEEvT1_.numbered_sgpr, 0
	.set _ZN7rocprim17ROCPRIM_400000_NS6detail17trampoline_kernelINS0_14default_configENS1_20scan_config_selectorIfEEZZNS1_9scan_implILNS1_25lookback_scan_determinismE0ELb0ELb0ES3_PKfPffZZZN2at6native31launch_logcumsumexp_cuda_kernelERKNSB_10TensorBaseESF_lENKUlvE_clEvENKUlvE0_clEvEUlffE_fEEDaPvRmT3_T4_T5_mT6_P12ihipStream_tbENKUlT_T0_E_clISt17integral_constantIbLb0EESW_EEDaSR_SS_EUlSR_E0_NS1_11comp_targetILNS1_3genE2ELNS1_11target_archE906ELNS1_3gpuE6ELNS1_3repE0EEENS1_30default_config_static_selectorELNS0_4arch9wavefront6targetE0EEEvT1_.num_named_barrier, 0
	.set _ZN7rocprim17ROCPRIM_400000_NS6detail17trampoline_kernelINS0_14default_configENS1_20scan_config_selectorIfEEZZNS1_9scan_implILNS1_25lookback_scan_determinismE0ELb0ELb0ES3_PKfPffZZZN2at6native31launch_logcumsumexp_cuda_kernelERKNSB_10TensorBaseESF_lENKUlvE_clEvENKUlvE0_clEvEUlffE_fEEDaPvRmT3_T4_T5_mT6_P12ihipStream_tbENKUlT_T0_E_clISt17integral_constantIbLb0EESW_EEDaSR_SS_EUlSR_E0_NS1_11comp_targetILNS1_3genE2ELNS1_11target_archE906ELNS1_3gpuE6ELNS1_3repE0EEENS1_30default_config_static_selectorELNS0_4arch9wavefront6targetE0EEEvT1_.private_seg_size, 0
	.set _ZN7rocprim17ROCPRIM_400000_NS6detail17trampoline_kernelINS0_14default_configENS1_20scan_config_selectorIfEEZZNS1_9scan_implILNS1_25lookback_scan_determinismE0ELb0ELb0ES3_PKfPffZZZN2at6native31launch_logcumsumexp_cuda_kernelERKNSB_10TensorBaseESF_lENKUlvE_clEvENKUlvE0_clEvEUlffE_fEEDaPvRmT3_T4_T5_mT6_P12ihipStream_tbENKUlT_T0_E_clISt17integral_constantIbLb0EESW_EEDaSR_SS_EUlSR_E0_NS1_11comp_targetILNS1_3genE2ELNS1_11target_archE906ELNS1_3gpuE6ELNS1_3repE0EEENS1_30default_config_static_selectorELNS0_4arch9wavefront6targetE0EEEvT1_.uses_vcc, 0
	.set _ZN7rocprim17ROCPRIM_400000_NS6detail17trampoline_kernelINS0_14default_configENS1_20scan_config_selectorIfEEZZNS1_9scan_implILNS1_25lookback_scan_determinismE0ELb0ELb0ES3_PKfPffZZZN2at6native31launch_logcumsumexp_cuda_kernelERKNSB_10TensorBaseESF_lENKUlvE_clEvENKUlvE0_clEvEUlffE_fEEDaPvRmT3_T4_T5_mT6_P12ihipStream_tbENKUlT_T0_E_clISt17integral_constantIbLb0EESW_EEDaSR_SS_EUlSR_E0_NS1_11comp_targetILNS1_3genE2ELNS1_11target_archE906ELNS1_3gpuE6ELNS1_3repE0EEENS1_30default_config_static_selectorELNS0_4arch9wavefront6targetE0EEEvT1_.uses_flat_scratch, 0
	.set _ZN7rocprim17ROCPRIM_400000_NS6detail17trampoline_kernelINS0_14default_configENS1_20scan_config_selectorIfEEZZNS1_9scan_implILNS1_25lookback_scan_determinismE0ELb0ELb0ES3_PKfPffZZZN2at6native31launch_logcumsumexp_cuda_kernelERKNSB_10TensorBaseESF_lENKUlvE_clEvENKUlvE0_clEvEUlffE_fEEDaPvRmT3_T4_T5_mT6_P12ihipStream_tbENKUlT_T0_E_clISt17integral_constantIbLb0EESW_EEDaSR_SS_EUlSR_E0_NS1_11comp_targetILNS1_3genE2ELNS1_11target_archE906ELNS1_3gpuE6ELNS1_3repE0EEENS1_30default_config_static_selectorELNS0_4arch9wavefront6targetE0EEEvT1_.has_dyn_sized_stack, 0
	.set _ZN7rocprim17ROCPRIM_400000_NS6detail17trampoline_kernelINS0_14default_configENS1_20scan_config_selectorIfEEZZNS1_9scan_implILNS1_25lookback_scan_determinismE0ELb0ELb0ES3_PKfPffZZZN2at6native31launch_logcumsumexp_cuda_kernelERKNSB_10TensorBaseESF_lENKUlvE_clEvENKUlvE0_clEvEUlffE_fEEDaPvRmT3_T4_T5_mT6_P12ihipStream_tbENKUlT_T0_E_clISt17integral_constantIbLb0EESW_EEDaSR_SS_EUlSR_E0_NS1_11comp_targetILNS1_3genE2ELNS1_11target_archE906ELNS1_3gpuE6ELNS1_3repE0EEENS1_30default_config_static_selectorELNS0_4arch9wavefront6targetE0EEEvT1_.has_recursion, 0
	.set _ZN7rocprim17ROCPRIM_400000_NS6detail17trampoline_kernelINS0_14default_configENS1_20scan_config_selectorIfEEZZNS1_9scan_implILNS1_25lookback_scan_determinismE0ELb0ELb0ES3_PKfPffZZZN2at6native31launch_logcumsumexp_cuda_kernelERKNSB_10TensorBaseESF_lENKUlvE_clEvENKUlvE0_clEvEUlffE_fEEDaPvRmT3_T4_T5_mT6_P12ihipStream_tbENKUlT_T0_E_clISt17integral_constantIbLb0EESW_EEDaSR_SS_EUlSR_E0_NS1_11comp_targetILNS1_3genE2ELNS1_11target_archE906ELNS1_3gpuE6ELNS1_3repE0EEENS1_30default_config_static_selectorELNS0_4arch9wavefront6targetE0EEEvT1_.has_indirect_call, 0
	.section	.AMDGPU.csdata,"",@progbits
; Kernel info:
; codeLenInByte = 0
; TotalNumSgprs: 0
; NumVgprs: 0
; ScratchSize: 0
; MemoryBound: 0
; FloatMode: 240
; IeeeMode: 1
; LDSByteSize: 0 bytes/workgroup (compile time only)
; SGPRBlocks: 0
; VGPRBlocks: 0
; NumSGPRsForWavesPerEU: 1
; NumVGPRsForWavesPerEU: 1
; Occupancy: 16
; WaveLimiterHint : 0
; COMPUTE_PGM_RSRC2:SCRATCH_EN: 0
; COMPUTE_PGM_RSRC2:USER_SGPR: 2
; COMPUTE_PGM_RSRC2:TRAP_HANDLER: 0
; COMPUTE_PGM_RSRC2:TGID_X_EN: 1
; COMPUTE_PGM_RSRC2:TGID_Y_EN: 0
; COMPUTE_PGM_RSRC2:TGID_Z_EN: 0
; COMPUTE_PGM_RSRC2:TIDIG_COMP_CNT: 0
	.section	.text._ZN7rocprim17ROCPRIM_400000_NS6detail17trampoline_kernelINS0_14default_configENS1_20scan_config_selectorIfEEZZNS1_9scan_implILNS1_25lookback_scan_determinismE0ELb0ELb0ES3_PKfPffZZZN2at6native31launch_logcumsumexp_cuda_kernelERKNSB_10TensorBaseESF_lENKUlvE_clEvENKUlvE0_clEvEUlffE_fEEDaPvRmT3_T4_T5_mT6_P12ihipStream_tbENKUlT_T0_E_clISt17integral_constantIbLb0EESW_EEDaSR_SS_EUlSR_E0_NS1_11comp_targetILNS1_3genE10ELNS1_11target_archE1201ELNS1_3gpuE5ELNS1_3repE0EEENS1_30default_config_static_selectorELNS0_4arch9wavefront6targetE0EEEvT1_,"axG",@progbits,_ZN7rocprim17ROCPRIM_400000_NS6detail17trampoline_kernelINS0_14default_configENS1_20scan_config_selectorIfEEZZNS1_9scan_implILNS1_25lookback_scan_determinismE0ELb0ELb0ES3_PKfPffZZZN2at6native31launch_logcumsumexp_cuda_kernelERKNSB_10TensorBaseESF_lENKUlvE_clEvENKUlvE0_clEvEUlffE_fEEDaPvRmT3_T4_T5_mT6_P12ihipStream_tbENKUlT_T0_E_clISt17integral_constantIbLb0EESW_EEDaSR_SS_EUlSR_E0_NS1_11comp_targetILNS1_3genE10ELNS1_11target_archE1201ELNS1_3gpuE5ELNS1_3repE0EEENS1_30default_config_static_selectorELNS0_4arch9wavefront6targetE0EEEvT1_,comdat
	.globl	_ZN7rocprim17ROCPRIM_400000_NS6detail17trampoline_kernelINS0_14default_configENS1_20scan_config_selectorIfEEZZNS1_9scan_implILNS1_25lookback_scan_determinismE0ELb0ELb0ES3_PKfPffZZZN2at6native31launch_logcumsumexp_cuda_kernelERKNSB_10TensorBaseESF_lENKUlvE_clEvENKUlvE0_clEvEUlffE_fEEDaPvRmT3_T4_T5_mT6_P12ihipStream_tbENKUlT_T0_E_clISt17integral_constantIbLb0EESW_EEDaSR_SS_EUlSR_E0_NS1_11comp_targetILNS1_3genE10ELNS1_11target_archE1201ELNS1_3gpuE5ELNS1_3repE0EEENS1_30default_config_static_selectorELNS0_4arch9wavefront6targetE0EEEvT1_ ; -- Begin function _ZN7rocprim17ROCPRIM_400000_NS6detail17trampoline_kernelINS0_14default_configENS1_20scan_config_selectorIfEEZZNS1_9scan_implILNS1_25lookback_scan_determinismE0ELb0ELb0ES3_PKfPffZZZN2at6native31launch_logcumsumexp_cuda_kernelERKNSB_10TensorBaseESF_lENKUlvE_clEvENKUlvE0_clEvEUlffE_fEEDaPvRmT3_T4_T5_mT6_P12ihipStream_tbENKUlT_T0_E_clISt17integral_constantIbLb0EESW_EEDaSR_SS_EUlSR_E0_NS1_11comp_targetILNS1_3genE10ELNS1_11target_archE1201ELNS1_3gpuE5ELNS1_3repE0EEENS1_30default_config_static_selectorELNS0_4arch9wavefront6targetE0EEEvT1_
	.p2align	8
	.type	_ZN7rocprim17ROCPRIM_400000_NS6detail17trampoline_kernelINS0_14default_configENS1_20scan_config_selectorIfEEZZNS1_9scan_implILNS1_25lookback_scan_determinismE0ELb0ELb0ES3_PKfPffZZZN2at6native31launch_logcumsumexp_cuda_kernelERKNSB_10TensorBaseESF_lENKUlvE_clEvENKUlvE0_clEvEUlffE_fEEDaPvRmT3_T4_T5_mT6_P12ihipStream_tbENKUlT_T0_E_clISt17integral_constantIbLb0EESW_EEDaSR_SS_EUlSR_E0_NS1_11comp_targetILNS1_3genE10ELNS1_11target_archE1201ELNS1_3gpuE5ELNS1_3repE0EEENS1_30default_config_static_selectorELNS0_4arch9wavefront6targetE0EEEvT1_,@function
_ZN7rocprim17ROCPRIM_400000_NS6detail17trampoline_kernelINS0_14default_configENS1_20scan_config_selectorIfEEZZNS1_9scan_implILNS1_25lookback_scan_determinismE0ELb0ELb0ES3_PKfPffZZZN2at6native31launch_logcumsumexp_cuda_kernelERKNSB_10TensorBaseESF_lENKUlvE_clEvENKUlvE0_clEvEUlffE_fEEDaPvRmT3_T4_T5_mT6_P12ihipStream_tbENKUlT_T0_E_clISt17integral_constantIbLb0EESW_EEDaSR_SS_EUlSR_E0_NS1_11comp_targetILNS1_3genE10ELNS1_11target_archE1201ELNS1_3gpuE5ELNS1_3repE0EEENS1_30default_config_static_selectorELNS0_4arch9wavefront6targetE0EEEvT1_: ; @_ZN7rocprim17ROCPRIM_400000_NS6detail17trampoline_kernelINS0_14default_configENS1_20scan_config_selectorIfEEZZNS1_9scan_implILNS1_25lookback_scan_determinismE0ELb0ELb0ES3_PKfPffZZZN2at6native31launch_logcumsumexp_cuda_kernelERKNSB_10TensorBaseESF_lENKUlvE_clEvENKUlvE0_clEvEUlffE_fEEDaPvRmT3_T4_T5_mT6_P12ihipStream_tbENKUlT_T0_E_clISt17integral_constantIbLb0EESW_EEDaSR_SS_EUlSR_E0_NS1_11comp_targetILNS1_3genE10ELNS1_11target_archE1201ELNS1_3gpuE5ELNS1_3repE0EEENS1_30default_config_static_selectorELNS0_4arch9wavefront6targetE0EEEvT1_
; %bb.0:
	s_load_b128 s[12:15], s[0:1], 0x0
	v_lshlrev_b32_e32 v7, 2, v0
	s_wait_kmcnt 0x0
	s_load_b32 s4, s[12:13], 0x0
	v_cmp_gt_u32_e32 vcc_lo, s14, v0
	s_wait_kmcnt 0x0
	s_mov_b32 s5, s4
	s_mov_b32 s6, s4
	;; [unrolled: 1-line block ×5, first 2 shown]
	v_dual_mov_b32 v8, s4 :: v_dual_mov_b32 v1, s4
	v_dual_mov_b32 v2, s5 :: v_dual_mov_b32 v3, s6
	;; [unrolled: 1-line block ×3, first 2 shown]
	v_mov_b32_e32 v6, s9
	s_and_saveexec_b32 s2, vcc_lo
	s_cbranch_execz .LBB110_2
; %bb.1:
	global_load_b32 v8, v7, s[12:13]
	v_dual_mov_b32 v1, s4 :: v_dual_mov_b32 v2, s5
	v_dual_mov_b32 v3, s6 :: v_dual_mov_b32 v4, s7
	;; [unrolled: 1-line block ×3, first 2 shown]
.LBB110_2:
	s_or_b32 exec_lo, exec_lo, s2
	v_or_b32_e32 v1, 0x100, v0
	s_delay_alu instid0(VALU_DEP_1)
	v_cmp_gt_u32_e64 s2, s14, v1
	s_and_saveexec_b32 s3, s2
	s_cbranch_execz .LBB110_4
; %bb.3:
	global_load_b32 v2, v7, s[12:13] offset:1024
.LBB110_4:
	s_or_b32 exec_lo, exec_lo, s3
	v_or_b32_e32 v1, 0x200, v0
	s_delay_alu instid0(VALU_DEP_1)
	v_cmp_gt_u32_e64 s3, s14, v1
	s_and_saveexec_b32 s4, s3
	s_cbranch_execz .LBB110_6
; %bb.5:
	global_load_b32 v3, v7, s[12:13] offset:2048
.LBB110_6:
	s_wait_alu 0xfffe
	s_or_b32 exec_lo, exec_lo, s4
	v_or_b32_e32 v1, 0x300, v0
	s_delay_alu instid0(VALU_DEP_1)
	v_cmp_gt_u32_e64 s4, s14, v1
	s_and_saveexec_b32 s5, s4
	s_cbranch_execz .LBB110_8
; %bb.7:
	global_load_b32 v4, v7, s[12:13] offset:3072
.LBB110_8:
	s_wait_alu 0xfffe
	;; [unrolled: 10-line block ×3, first 2 shown]
	s_or_b32 exec_lo, exec_lo, s6
	v_or_b32_e32 v1, 0x500, v0
	s_delay_alu instid0(VALU_DEP_1)
	v_cmp_gt_u32_e64 s6, s14, v1
	v_cmp_le_u32_e64 s7, s14, v1
	s_and_saveexec_b32 s8, s7
	s_wait_alu 0xfffe
	s_xor_b32 s7, exec_lo, s8
	s_wait_alu 0xfffe
	s_and_not1_saveexec_b32 s7, s7
	s_cbranch_execz .LBB110_12
; %bb.11:
	v_lshlrev_b32_e32 v1, 2, v0
	global_load_b32 v6, v1, s[12:13] offset:5120
.LBB110_12:
	s_wait_alu 0xfffe
	s_or_b32 exec_lo, exec_lo, s7
	s_wait_loadcnt 0x0
	ds_store_2addr_stride64_b32 v7, v8, v2 offset1:4
	ds_store_2addr_stride64_b32 v7, v3, v4 offset0:8 offset1:12
	ds_store_2addr_stride64_b32 v7, v5, v6 offset0:16 offset1:20
	v_mad_u32_u24 v5, v0, 20, v7
	s_wait_dscnt 0x0
	s_barrier_signal -1
	s_barrier_wait -1
	global_inv scope:SCOPE_SE
	ds_load_2addr_b64 v[1:4], v5 offset1:1
	ds_load_b64 v[5:6], v5 offset:16
	s_wait_loadcnt_dscnt 0x0
	s_barrier_signal -1
	s_barrier_wait -1
	global_inv scope:SCOPE_SE
	v_dual_max_num_f32 v12, v2, v2 :: v_dual_max_num_f32 v15, v1, v1
	v_cmp_u_f32_e64 s12, v1, v1
	v_cmp_u_f32_e64 s7, v2, v2
	s_delay_alu instid0(VALU_DEP_3) | instskip(SKIP_1) | instid1(VALU_DEP_2)
	v_dual_mov_b32 v18, v1 :: v_dual_min_num_f32 v13, v15, v12
	v_max_num_f32_e32 v14, v15, v12
	v_cndmask_b32_e64 v8, v13, v1, s12
	s_delay_alu instid0(VALU_DEP_2) | instskip(SKIP_1) | instid1(VALU_DEP_2)
	v_cndmask_b32_e64 v10, v14, v1, s12
	s_wait_alu 0xf1ff
	v_cndmask_b32_e64 v9, v8, v2, s7
	s_delay_alu instid0(VALU_DEP_2) | instskip(NEXT) | instid1(VALU_DEP_2)
	v_cndmask_b32_e64 v8, v10, v2, s7
	v_cmp_class_f32_e64 s9, v9, 0x1f8
	s_delay_alu instid0(VALU_DEP_2)
	v_cmp_neq_f32_e64 s8, v9, v8
	s_or_b32 s8, s8, s9
	s_wait_alu 0xfffe
	s_and_saveexec_b32 s9, s8
	s_cbranch_execz .LBB110_14
; %bb.13:
	v_sub_f32_e32 v9, v9, v8
	s_delay_alu instid0(VALU_DEP_1) | instskip(NEXT) | instid1(VALU_DEP_1)
	v_mul_f32_e32 v10, 0x3fb8aa3b, v9
	v_fma_f32 v11, 0x3fb8aa3b, v9, -v10
	v_rndne_f32_e32 v16, v10
	s_delay_alu instid0(VALU_DEP_1) | instskip(NEXT) | instid1(VALU_DEP_1)
	v_dual_fmamk_f32 v11, v9, 0x32a5705f, v11 :: v_dual_sub_f32 v10, v10, v16
	v_add_f32_e32 v10, v10, v11
	v_cvt_i32_f32_e32 v11, v16
	v_cmp_ngt_f32_e64 s8, 0xc2ce8ed0, v9
	s_delay_alu instid0(VALU_DEP_3) | instskip(NEXT) | instid1(TRANS32_DEP_1)
	v_exp_f32_e32 v10, v10
	v_ldexp_f32 v10, v10, v11
	s_wait_alu 0xf1ff
	s_delay_alu instid0(VALU_DEP_1) | instskip(SKIP_2) | instid1(VALU_DEP_1)
	v_cndmask_b32_e64 v10, 0, v10, s8
	v_cmp_nlt_f32_e64 s8, 0x42b17218, v9
	s_wait_alu 0xf1ff
	v_cndmask_b32_e64 v11, 0x7f800000, v10, s8
	s_delay_alu instid0(VALU_DEP_1) | instskip(NEXT) | instid1(VALU_DEP_1)
	v_add_f32_e32 v16, 1.0, v11
	v_cvt_f64_f32_e32 v[9:10], v16
	s_delay_alu instid0(VALU_DEP_1) | instskip(SKIP_1) | instid1(VALU_DEP_1)
	v_frexp_exp_i32_f64_e32 v9, v[9:10]
	v_frexp_mant_f32_e32 v10, v16
	v_cmp_gt_f32_e64 s8, 0x3f2aaaab, v10
	v_add_f32_e32 v10, -1.0, v16
	s_delay_alu instid0(VALU_DEP_1) | instskip(SKIP_1) | instid1(VALU_DEP_3)
	v_sub_f32_e32 v18, v10, v16
	s_wait_alu 0xf1ff
	v_subrev_co_ci_u32_e64 v9, null, 0, v9, s8
	s_mov_b32 s8, 0x3e9b6dac
	v_sub_nc_u32_e32 v17, 0, v9
	v_cvt_f32_i32_e32 v9, v9
	s_delay_alu instid0(VALU_DEP_2) | instskip(NEXT) | instid1(VALU_DEP_1)
	v_ldexp_f32 v16, v16, v17
	v_dual_sub_f32 v10, v11, v10 :: v_dual_add_f32 v19, 1.0, v16
	v_add_f32_e32 v18, 1.0, v18
	s_delay_alu instid0(VALU_DEP_1) | instskip(NEXT) | instid1(VALU_DEP_3)
	v_add_f32_e32 v10, v10, v18
	v_add_f32_e32 v18, -1.0, v19
	s_delay_alu instid0(VALU_DEP_2) | instskip(NEXT) | instid1(VALU_DEP_2)
	v_ldexp_f32 v10, v10, v17
	v_dual_add_f32 v17, -1.0, v16 :: v_dual_sub_f32 v18, v16, v18
	s_delay_alu instid0(VALU_DEP_1) | instskip(NEXT) | instid1(VALU_DEP_2)
	v_add_f32_e32 v20, 1.0, v17
	v_add_f32_e32 v18, v10, v18
	s_delay_alu instid0(VALU_DEP_2) | instskip(NEXT) | instid1(VALU_DEP_2)
	v_sub_f32_e32 v16, v16, v20
	v_add_f32_e32 v20, v19, v18
	s_delay_alu instid0(VALU_DEP_2) | instskip(NEXT) | instid1(VALU_DEP_2)
	v_add_f32_e32 v10, v10, v16
	v_rcp_f32_e32 v16, v20
	v_sub_f32_e32 v19, v19, v20
	s_delay_alu instid0(VALU_DEP_1) | instskip(NEXT) | instid1(VALU_DEP_1)
	v_dual_add_f32 v21, v17, v10 :: v_dual_add_f32 v18, v18, v19
	v_sub_f32_e32 v17, v17, v21
	s_delay_alu instid0(TRANS32_DEP_1) | instskip(NEXT) | instid1(VALU_DEP_1)
	v_mul_f32_e32 v22, v21, v16
	v_dual_add_f32 v10, v10, v17 :: v_dual_mul_f32 v23, v20, v22
	s_delay_alu instid0(VALU_DEP_1) | instskip(NEXT) | instid1(VALU_DEP_1)
	v_fma_f32 v19, v22, v20, -v23
	v_fmac_f32_e32 v19, v22, v18
	s_delay_alu instid0(VALU_DEP_1) | instskip(NEXT) | instid1(VALU_DEP_1)
	v_add_f32_e32 v24, v23, v19
	v_sub_f32_e32 v25, v21, v24
	v_sub_f32_e32 v17, v24, v23
	s_delay_alu instid0(VALU_DEP_2) | instskip(NEXT) | instid1(VALU_DEP_2)
	v_sub_f32_e32 v21, v21, v25
	v_sub_f32_e32 v17, v17, v19
	s_delay_alu instid0(VALU_DEP_2) | instskip(NEXT) | instid1(VALU_DEP_1)
	v_sub_f32_e32 v21, v21, v24
	v_add_f32_e32 v10, v10, v21
	s_delay_alu instid0(VALU_DEP_1) | instskip(NEXT) | instid1(VALU_DEP_1)
	v_add_f32_e32 v10, v17, v10
	v_add_f32_e32 v17, v25, v10
	s_delay_alu instid0(VALU_DEP_1) | instskip(NEXT) | instid1(VALU_DEP_1)
	v_mul_f32_e32 v19, v16, v17
	v_dual_sub_f32 v24, v25, v17 :: v_dual_mul_f32 v21, v20, v19
	s_delay_alu instid0(VALU_DEP_1) | instskip(NEXT) | instid1(VALU_DEP_2)
	v_add_f32_e32 v10, v10, v24
	v_fma_f32 v20, v19, v20, -v21
	s_delay_alu instid0(VALU_DEP_1) | instskip(NEXT) | instid1(VALU_DEP_1)
	v_fmac_f32_e32 v20, v19, v18
	v_add_f32_e32 v18, v21, v20
	s_delay_alu instid0(VALU_DEP_1) | instskip(SKIP_1) | instid1(VALU_DEP_2)
	v_sub_f32_e32 v23, v17, v18
	v_sub_f32_e32 v21, v18, v21
	v_sub_f32_e32 v17, v17, v23
	s_delay_alu instid0(VALU_DEP_1) | instskip(NEXT) | instid1(VALU_DEP_3)
	v_sub_f32_e32 v17, v17, v18
	v_sub_f32_e32 v18, v21, v20
	s_delay_alu instid0(VALU_DEP_2) | instskip(SKIP_1) | instid1(VALU_DEP_2)
	v_add_f32_e32 v10, v10, v17
	v_add_f32_e32 v17, v22, v19
	v_add_f32_e32 v10, v18, v10
	s_delay_alu instid0(VALU_DEP_2) | instskip(NEXT) | instid1(VALU_DEP_2)
	v_sub_f32_e32 v18, v17, v22
	v_add_f32_e32 v10, v23, v10
	s_delay_alu instid0(VALU_DEP_2) | instskip(NEXT) | instid1(VALU_DEP_2)
	v_sub_f32_e32 v18, v19, v18
	v_mul_f32_e32 v10, v16, v10
	s_delay_alu instid0(VALU_DEP_1) | instskip(NEXT) | instid1(VALU_DEP_1)
	v_add_f32_e32 v10, v18, v10
	v_add_f32_e32 v16, v17, v10
	s_delay_alu instid0(VALU_DEP_1) | instskip(SKIP_1) | instid1(VALU_DEP_1)
	v_mul_f32_e32 v18, v16, v16
	s_wait_alu 0xfffe
	v_fmaak_f32 v19, s8, v18, 0x3ecc95a3
	v_mul_f32_e32 v20, v16, v18
	v_cmp_neq_f32_e64 s8, 0x7f800000, v11
	s_delay_alu instid0(VALU_DEP_3) | instskip(SKIP_2) | instid1(VALU_DEP_3)
	v_fmaak_f32 v18, v18, v19, 0x3f2aaada
	v_ldexp_f32 v19, v16, 1
	v_sub_f32_e32 v16, v16, v17
	v_mul_f32_e32 v18, v20, v18
	v_mul_f32_e32 v20, 0x3f317218, v9
	s_delay_alu instid0(VALU_DEP_2) | instskip(NEXT) | instid1(VALU_DEP_1)
	v_dual_sub_f32 v10, v10, v16 :: v_dual_add_f32 v17, v19, v18
	v_ldexp_f32 v10, v10, 1
	s_delay_alu instid0(VALU_DEP_2) | instskip(NEXT) | instid1(VALU_DEP_4)
	v_sub_f32_e32 v16, v17, v19
	v_fma_f32 v19, 0x3f317218, v9, -v20
	s_delay_alu instid0(VALU_DEP_1) | instskip(NEXT) | instid1(VALU_DEP_1)
	v_dual_sub_f32 v16, v18, v16 :: v_dual_fmamk_f32 v9, v9, 0xb102e308, v19
	v_add_f32_e32 v10, v10, v16
	s_delay_alu instid0(VALU_DEP_2) | instskip(NEXT) | instid1(VALU_DEP_2)
	v_add_f32_e32 v16, v20, v9
	v_add_f32_e32 v18, v17, v10
	s_delay_alu instid0(VALU_DEP_2) | instskip(NEXT) | instid1(VALU_DEP_2)
	v_sub_f32_e32 v20, v16, v20
	v_add_f32_e32 v19, v16, v18
	v_sub_f32_e32 v17, v18, v17
	s_delay_alu instid0(VALU_DEP_3) | instskip(NEXT) | instid1(VALU_DEP_2)
	v_sub_f32_e32 v9, v9, v20
	v_dual_sub_f32 v21, v19, v16 :: v_dual_sub_f32 v10, v10, v17
	s_delay_alu instid0(VALU_DEP_1) | instskip(NEXT) | instid1(VALU_DEP_2)
	v_sub_f32_e32 v22, v19, v21
	v_dual_sub_f32 v17, v18, v21 :: v_dual_add_f32 v18, v9, v10
	s_delay_alu instid0(VALU_DEP_2) | instskip(NEXT) | instid1(VALU_DEP_1)
	v_sub_f32_e32 v16, v16, v22
	v_dual_add_f32 v16, v17, v16 :: v_dual_sub_f32 v17, v18, v9
	s_delay_alu instid0(VALU_DEP_1) | instskip(NEXT) | instid1(VALU_DEP_2)
	v_add_f32_e32 v16, v18, v16
	v_sub_f32_e32 v18, v18, v17
	v_sub_f32_e32 v10, v10, v17
	s_delay_alu instid0(VALU_DEP_2) | instskip(NEXT) | instid1(VALU_DEP_1)
	v_dual_add_f32 v20, v19, v16 :: v_dual_sub_f32 v9, v9, v18
	v_sub_f32_e32 v17, v20, v19
	s_delay_alu instid0(VALU_DEP_2) | instskip(NEXT) | instid1(VALU_DEP_2)
	v_add_f32_e32 v9, v10, v9
	v_sub_f32_e32 v10, v16, v17
	s_delay_alu instid0(VALU_DEP_1) | instskip(NEXT) | instid1(VALU_DEP_1)
	v_add_f32_e32 v9, v9, v10
	v_add_f32_e32 v9, v20, v9
	s_wait_alu 0xf1ff
	s_delay_alu instid0(VALU_DEP_1) | instskip(SKIP_2) | instid1(VALU_DEP_1)
	v_cndmask_b32_e64 v9, 0x7f800000, v9, s8
	v_cmp_gt_f32_e64 s8, 0x33800000, |v11|
	s_wait_alu 0xf1ff
	v_cndmask_b32_e64 v9, v9, v11, s8
	s_delay_alu instid0(VALU_DEP_1)
	v_add_f32_e32 v18, v8, v9
.LBB110_14:
	s_wait_alu 0xfffe
	s_or_b32 exec_lo, exec_lo, s9
	s_delay_alu instid0(VALU_DEP_1) | instskip(SKIP_1) | instid1(VALU_DEP_2)
	v_dual_max_num_f32 v9, v18, v18 :: v_dual_max_num_f32 v8, v3, v3
	v_cmp_u_f32_e64 s8, v18, v18
	v_min_num_f32_e32 v10, v9, v8
	v_max_num_f32_e32 v9, v9, v8
	s_wait_alu 0xf1ff
	s_delay_alu instid0(VALU_DEP_2) | instskip(NEXT) | instid1(VALU_DEP_2)
	v_cndmask_b32_e64 v10, v10, v18, s8
	v_cndmask_b32_e64 v9, v9, v18, s8
	v_cmp_u_f32_e64 s8, v3, v3
	s_wait_alu 0xf1ff
	s_delay_alu instid0(VALU_DEP_1) | instskip(NEXT) | instid1(VALU_DEP_3)
	v_cndmask_b32_e64 v10, v10, v3, s8
	v_cndmask_b32_e64 v9, v9, v3, s8
	s_delay_alu instid0(VALU_DEP_2) | instskip(NEXT) | instid1(VALU_DEP_2)
	v_cmp_class_f32_e64 s10, v10, 0x1f8
	v_cmp_neq_f32_e64 s9, v10, v9
	s_or_b32 s9, s9, s10
	s_wait_alu 0xfffe
	s_and_saveexec_b32 s10, s9
	s_cbranch_execz .LBB110_16
; %bb.15:
	v_sub_f32_e32 v10, v10, v9
	s_delay_alu instid0(VALU_DEP_1) | instskip(NEXT) | instid1(VALU_DEP_1)
	v_mul_f32_e32 v11, 0x3fb8aa3b, v10
	v_fma_f32 v16, 0x3fb8aa3b, v10, -v11
	v_rndne_f32_e32 v17, v11
	s_delay_alu instid0(VALU_DEP_1) | instskip(NEXT) | instid1(VALU_DEP_1)
	v_dual_fmamk_f32 v16, v10, 0x32a5705f, v16 :: v_dual_sub_f32 v11, v11, v17
	v_add_f32_e32 v11, v11, v16
	v_cvt_i32_f32_e32 v16, v17
	v_cmp_ngt_f32_e64 s9, 0xc2ce8ed0, v10
	s_delay_alu instid0(VALU_DEP_3) | instskip(NEXT) | instid1(TRANS32_DEP_1)
	v_exp_f32_e32 v11, v11
	v_ldexp_f32 v11, v11, v16
	s_wait_alu 0xf1ff
	s_delay_alu instid0(VALU_DEP_1) | instskip(SKIP_2) | instid1(VALU_DEP_1)
	v_cndmask_b32_e64 v11, 0, v11, s9
	v_cmp_nlt_f32_e64 s9, 0x42b17218, v10
	s_wait_alu 0xf1ff
	v_cndmask_b32_e64 v16, 0x7f800000, v11, s9
	s_delay_alu instid0(VALU_DEP_1) | instskip(NEXT) | instid1(VALU_DEP_1)
	v_add_f32_e32 v17, 1.0, v16
	v_cvt_f64_f32_e32 v[10:11], v17
	s_delay_alu instid0(VALU_DEP_1) | instskip(SKIP_1) | instid1(VALU_DEP_1)
	v_frexp_exp_i32_f64_e32 v10, v[10:11]
	v_frexp_mant_f32_e32 v11, v17
	v_cmp_gt_f32_e64 s9, 0x3f2aaaab, v11
	v_add_f32_e32 v11, -1.0, v17
	s_delay_alu instid0(VALU_DEP_1) | instskip(SKIP_1) | instid1(VALU_DEP_3)
	v_sub_f32_e32 v19, v11, v17
	s_wait_alu 0xf1ff
	v_subrev_co_ci_u32_e64 v10, null, 0, v10, s9
	s_mov_b32 s9, 0x3e9b6dac
	v_sub_nc_u32_e32 v18, 0, v10
	v_cvt_f32_i32_e32 v10, v10
	s_delay_alu instid0(VALU_DEP_2) | instskip(NEXT) | instid1(VALU_DEP_1)
	v_ldexp_f32 v17, v17, v18
	v_dual_sub_f32 v11, v16, v11 :: v_dual_add_f32 v20, 1.0, v17
	v_add_f32_e32 v19, 1.0, v19
	s_delay_alu instid0(VALU_DEP_1) | instskip(NEXT) | instid1(VALU_DEP_3)
	v_add_f32_e32 v11, v11, v19
	v_add_f32_e32 v19, -1.0, v20
	s_delay_alu instid0(VALU_DEP_2) | instskip(NEXT) | instid1(VALU_DEP_2)
	v_ldexp_f32 v11, v11, v18
	v_dual_add_f32 v18, -1.0, v17 :: v_dual_sub_f32 v19, v17, v19
	s_delay_alu instid0(VALU_DEP_1) | instskip(NEXT) | instid1(VALU_DEP_2)
	v_add_f32_e32 v21, 1.0, v18
	v_add_f32_e32 v19, v11, v19
	s_delay_alu instid0(VALU_DEP_2) | instskip(NEXT) | instid1(VALU_DEP_2)
	v_sub_f32_e32 v17, v17, v21
	v_add_f32_e32 v21, v20, v19
	s_delay_alu instid0(VALU_DEP_2) | instskip(NEXT) | instid1(VALU_DEP_2)
	v_add_f32_e32 v11, v11, v17
	v_rcp_f32_e32 v17, v21
	v_sub_f32_e32 v20, v20, v21
	s_delay_alu instid0(VALU_DEP_1) | instskip(NEXT) | instid1(VALU_DEP_1)
	v_dual_add_f32 v22, v18, v11 :: v_dual_add_f32 v19, v19, v20
	v_sub_f32_e32 v18, v18, v22
	s_delay_alu instid0(TRANS32_DEP_1) | instskip(NEXT) | instid1(VALU_DEP_1)
	v_mul_f32_e32 v23, v22, v17
	v_dual_add_f32 v11, v11, v18 :: v_dual_mul_f32 v24, v21, v23
	s_delay_alu instid0(VALU_DEP_1) | instskip(NEXT) | instid1(VALU_DEP_1)
	v_fma_f32 v20, v23, v21, -v24
	v_fmac_f32_e32 v20, v23, v19
	s_delay_alu instid0(VALU_DEP_1) | instskip(NEXT) | instid1(VALU_DEP_1)
	v_add_f32_e32 v25, v24, v20
	v_sub_f32_e32 v26, v22, v25
	v_sub_f32_e32 v18, v25, v24
	s_delay_alu instid0(VALU_DEP_2) | instskip(NEXT) | instid1(VALU_DEP_2)
	v_sub_f32_e32 v22, v22, v26
	v_sub_f32_e32 v18, v18, v20
	s_delay_alu instid0(VALU_DEP_2) | instskip(NEXT) | instid1(VALU_DEP_1)
	v_sub_f32_e32 v22, v22, v25
	v_add_f32_e32 v11, v11, v22
	s_delay_alu instid0(VALU_DEP_1) | instskip(NEXT) | instid1(VALU_DEP_1)
	v_add_f32_e32 v11, v18, v11
	v_add_f32_e32 v18, v26, v11
	s_delay_alu instid0(VALU_DEP_1) | instskip(NEXT) | instid1(VALU_DEP_1)
	v_mul_f32_e32 v20, v17, v18
	v_dual_sub_f32 v25, v26, v18 :: v_dual_mul_f32 v22, v21, v20
	s_delay_alu instid0(VALU_DEP_1) | instskip(NEXT) | instid1(VALU_DEP_2)
	v_add_f32_e32 v11, v11, v25
	v_fma_f32 v21, v20, v21, -v22
	s_delay_alu instid0(VALU_DEP_1) | instskip(NEXT) | instid1(VALU_DEP_1)
	v_fmac_f32_e32 v21, v20, v19
	v_add_f32_e32 v19, v22, v21
	s_delay_alu instid0(VALU_DEP_1) | instskip(SKIP_1) | instid1(VALU_DEP_2)
	v_sub_f32_e32 v24, v18, v19
	v_sub_f32_e32 v22, v19, v22
	;; [unrolled: 1-line block ×3, first 2 shown]
	s_delay_alu instid0(VALU_DEP_1) | instskip(NEXT) | instid1(VALU_DEP_3)
	v_sub_f32_e32 v18, v18, v19
	v_sub_f32_e32 v19, v22, v21
	s_delay_alu instid0(VALU_DEP_2) | instskip(SKIP_1) | instid1(VALU_DEP_2)
	v_add_f32_e32 v11, v11, v18
	v_add_f32_e32 v18, v23, v20
	;; [unrolled: 1-line block ×3, first 2 shown]
	s_delay_alu instid0(VALU_DEP_2) | instskip(NEXT) | instid1(VALU_DEP_2)
	v_sub_f32_e32 v19, v18, v23
	v_add_f32_e32 v11, v24, v11
	s_delay_alu instid0(VALU_DEP_2) | instskip(NEXT) | instid1(VALU_DEP_2)
	v_sub_f32_e32 v19, v20, v19
	v_mul_f32_e32 v11, v17, v11
	s_delay_alu instid0(VALU_DEP_1) | instskip(NEXT) | instid1(VALU_DEP_1)
	v_add_f32_e32 v11, v19, v11
	v_add_f32_e32 v17, v18, v11
	s_delay_alu instid0(VALU_DEP_1) | instskip(SKIP_1) | instid1(VALU_DEP_1)
	v_mul_f32_e32 v19, v17, v17
	s_wait_alu 0xfffe
	v_fmaak_f32 v20, s9, v19, 0x3ecc95a3
	v_mul_f32_e32 v21, v17, v19
	v_cmp_neq_f32_e64 s9, 0x7f800000, v16
	s_delay_alu instid0(VALU_DEP_3) | instskip(SKIP_2) | instid1(VALU_DEP_3)
	v_fmaak_f32 v19, v19, v20, 0x3f2aaada
	v_ldexp_f32 v20, v17, 1
	v_sub_f32_e32 v17, v17, v18
	v_mul_f32_e32 v19, v21, v19
	v_mul_f32_e32 v21, 0x3f317218, v10
	s_delay_alu instid0(VALU_DEP_2) | instskip(NEXT) | instid1(VALU_DEP_1)
	v_dual_sub_f32 v11, v11, v17 :: v_dual_add_f32 v18, v20, v19
	v_ldexp_f32 v11, v11, 1
	s_delay_alu instid0(VALU_DEP_2) | instskip(NEXT) | instid1(VALU_DEP_4)
	v_sub_f32_e32 v17, v18, v20
	v_fma_f32 v20, 0x3f317218, v10, -v21
	s_delay_alu instid0(VALU_DEP_1) | instskip(NEXT) | instid1(VALU_DEP_1)
	v_dual_sub_f32 v17, v19, v17 :: v_dual_fmamk_f32 v10, v10, 0xb102e308, v20
	v_add_f32_e32 v11, v11, v17
	s_delay_alu instid0(VALU_DEP_2) | instskip(NEXT) | instid1(VALU_DEP_2)
	v_add_f32_e32 v17, v21, v10
	v_add_f32_e32 v19, v18, v11
	s_delay_alu instid0(VALU_DEP_2) | instskip(NEXT) | instid1(VALU_DEP_2)
	v_sub_f32_e32 v21, v17, v21
	v_add_f32_e32 v20, v17, v19
	v_sub_f32_e32 v18, v19, v18
	s_delay_alu instid0(VALU_DEP_3) | instskip(NEXT) | instid1(VALU_DEP_2)
	v_sub_f32_e32 v10, v10, v21
	v_dual_sub_f32 v22, v20, v17 :: v_dual_sub_f32 v11, v11, v18
	s_delay_alu instid0(VALU_DEP_1) | instskip(NEXT) | instid1(VALU_DEP_2)
	v_sub_f32_e32 v23, v20, v22
	v_dual_sub_f32 v18, v19, v22 :: v_dual_add_f32 v19, v10, v11
	s_delay_alu instid0(VALU_DEP_2) | instskip(NEXT) | instid1(VALU_DEP_1)
	v_sub_f32_e32 v17, v17, v23
	v_dual_add_f32 v17, v18, v17 :: v_dual_sub_f32 v18, v19, v10
	s_delay_alu instid0(VALU_DEP_1) | instskip(NEXT) | instid1(VALU_DEP_2)
	v_add_f32_e32 v17, v19, v17
	v_sub_f32_e32 v19, v19, v18
	v_sub_f32_e32 v11, v11, v18
	s_delay_alu instid0(VALU_DEP_2) | instskip(NEXT) | instid1(VALU_DEP_1)
	v_dual_add_f32 v21, v20, v17 :: v_dual_sub_f32 v10, v10, v19
	v_sub_f32_e32 v18, v21, v20
	s_delay_alu instid0(VALU_DEP_2) | instskip(NEXT) | instid1(VALU_DEP_2)
	v_add_f32_e32 v10, v11, v10
	v_sub_f32_e32 v11, v17, v18
	s_delay_alu instid0(VALU_DEP_1) | instskip(NEXT) | instid1(VALU_DEP_1)
	v_add_f32_e32 v10, v10, v11
	v_add_f32_e32 v10, v21, v10
	s_wait_alu 0xf1ff
	s_delay_alu instid0(VALU_DEP_1) | instskip(SKIP_2) | instid1(VALU_DEP_1)
	v_cndmask_b32_e64 v10, 0x7f800000, v10, s9
	v_cmp_gt_f32_e64 s9, 0x33800000, |v16|
	s_wait_alu 0xf1ff
	v_cndmask_b32_e64 v10, v10, v16, s9
	s_delay_alu instid0(VALU_DEP_1)
	v_add_f32_e32 v18, v9, v10
.LBB110_16:
	s_or_b32 exec_lo, exec_lo, s10
	s_delay_alu instid0(VALU_DEP_1) | instskip(SKIP_1) | instid1(VALU_DEP_2)
	v_dual_max_num_f32 v10, v18, v18 :: v_dual_max_num_f32 v9, v4, v4
	v_cmp_u_f32_e64 s9, v18, v18
	v_min_num_f32_e32 v11, v10, v9
	v_max_num_f32_e32 v10, v10, v9
	s_wait_alu 0xf1ff
	s_delay_alu instid0(VALU_DEP_2) | instskip(NEXT) | instid1(VALU_DEP_2)
	v_cndmask_b32_e64 v11, v11, v18, s9
	v_cndmask_b32_e64 v10, v10, v18, s9
	v_cmp_u_f32_e64 s9, v4, v4
	s_wait_alu 0xf1ff
	s_delay_alu instid0(VALU_DEP_1) | instskip(NEXT) | instid1(VALU_DEP_3)
	v_cndmask_b32_e64 v11, v11, v4, s9
	v_cndmask_b32_e64 v10, v10, v4, s9
	s_delay_alu instid0(VALU_DEP_2) | instskip(NEXT) | instid1(VALU_DEP_2)
	v_cmp_class_f32_e64 s11, v11, 0x1f8
	v_cmp_neq_f32_e64 s10, v11, v10
	s_or_b32 s10, s10, s11
	s_delay_alu instid0(SALU_CYCLE_1)
	s_and_saveexec_b32 s11, s10
	s_cbranch_execz .LBB110_18
; %bb.17:
	v_sub_f32_e32 v11, v11, v10
	s_delay_alu instid0(VALU_DEP_1) | instskip(NEXT) | instid1(VALU_DEP_1)
	v_mul_f32_e32 v16, 0x3fb8aa3b, v11
	v_fma_f32 v17, 0x3fb8aa3b, v11, -v16
	v_rndne_f32_e32 v18, v16
	s_delay_alu instid0(VALU_DEP_1) | instskip(NEXT) | instid1(VALU_DEP_1)
	v_dual_fmamk_f32 v17, v11, 0x32a5705f, v17 :: v_dual_sub_f32 v16, v16, v18
	v_add_f32_e32 v16, v16, v17
	v_cvt_i32_f32_e32 v17, v18
	v_cmp_ngt_f32_e64 s10, 0xc2ce8ed0, v11
	s_delay_alu instid0(VALU_DEP_3) | instskip(NEXT) | instid1(TRANS32_DEP_1)
	v_exp_f32_e32 v16, v16
	v_ldexp_f32 v16, v16, v17
	s_delay_alu instid0(VALU_DEP_1) | instskip(SKIP_2) | instid1(VALU_DEP_1)
	v_cndmask_b32_e64 v16, 0, v16, s10
	v_cmp_nlt_f32_e64 s10, 0x42b17218, v11
	s_wait_alu 0xf1ff
	v_cndmask_b32_e64 v11, 0x7f800000, v16, s10
	s_delay_alu instid0(VALU_DEP_1) | instskip(NEXT) | instid1(VALU_DEP_1)
	v_add_f32_e32 v18, 1.0, v11
	v_cvt_f64_f32_e32 v[16:17], v18
	s_delay_alu instid0(VALU_DEP_1) | instskip(SKIP_1) | instid1(VALU_DEP_1)
	v_frexp_exp_i32_f64_e32 v16, v[16:17]
	v_frexp_mant_f32_e32 v17, v18
	v_cmp_gt_f32_e64 s10, 0x3f2aaaab, v17
	v_add_f32_e32 v17, -1.0, v18
	s_delay_alu instid0(VALU_DEP_1) | instskip(SKIP_1) | instid1(VALU_DEP_3)
	v_dual_sub_f32 v20, v17, v18 :: v_dual_sub_f32 v17, v11, v17
	s_wait_alu 0xf1ff
	v_subrev_co_ci_u32_e64 v16, null, 0, v16, s10
	s_mov_b32 s10, 0x3e9b6dac
	v_sub_nc_u32_e32 v19, 0, v16
	v_cvt_f32_i32_e32 v16, v16
	s_delay_alu instid0(VALU_DEP_2) | instskip(NEXT) | instid1(VALU_DEP_1)
	v_ldexp_f32 v18, v18, v19
	v_dual_add_f32 v20, 1.0, v20 :: v_dual_add_f32 v21, 1.0, v18
	s_delay_alu instid0(VALU_DEP_1) | instskip(NEXT) | instid1(VALU_DEP_1)
	v_dual_add_f32 v17, v17, v20 :: v_dual_add_f32 v20, -1.0, v21
	v_ldexp_f32 v17, v17, v19
	s_delay_alu instid0(VALU_DEP_2) | instskip(NEXT) | instid1(VALU_DEP_1)
	v_dual_add_f32 v19, -1.0, v18 :: v_dual_sub_f32 v20, v18, v20
	v_add_f32_e32 v22, 1.0, v19
	s_delay_alu instid0(VALU_DEP_2) | instskip(NEXT) | instid1(VALU_DEP_2)
	v_add_f32_e32 v20, v17, v20
	v_sub_f32_e32 v18, v18, v22
	s_delay_alu instid0(VALU_DEP_1) | instskip(NEXT) | instid1(VALU_DEP_1)
	v_add_f32_e32 v17, v17, v18
	v_dual_add_f32 v23, v19, v17 :: v_dual_add_f32 v22, v21, v20
	s_delay_alu instid0(VALU_DEP_1) | instskip(NEXT) | instid1(VALU_DEP_2)
	v_sub_f32_e32 v19, v19, v23
	v_rcp_f32_e32 v18, v22
	v_sub_f32_e32 v21, v21, v22
	s_delay_alu instid0(VALU_DEP_1) | instskip(NEXT) | instid1(TRANS32_DEP_1)
	v_dual_add_f32 v17, v17, v19 :: v_dual_add_f32 v20, v20, v21
	v_mul_f32_e32 v24, v23, v18
	s_delay_alu instid0(VALU_DEP_1) | instskip(NEXT) | instid1(VALU_DEP_1)
	v_mul_f32_e32 v25, v22, v24
	v_fma_f32 v21, v24, v22, -v25
	s_delay_alu instid0(VALU_DEP_1) | instskip(NEXT) | instid1(VALU_DEP_1)
	v_fmac_f32_e32 v21, v24, v20
	v_add_f32_e32 v26, v25, v21
	s_delay_alu instid0(VALU_DEP_1) | instskip(NEXT) | instid1(VALU_DEP_1)
	v_sub_f32_e32 v27, v23, v26
	v_sub_f32_e32 v23, v23, v27
	;; [unrolled: 1-line block ×3, first 2 shown]
	s_delay_alu instid0(VALU_DEP_2) | instskip(NEXT) | instid1(VALU_DEP_2)
	v_sub_f32_e32 v23, v23, v26
	v_sub_f32_e32 v19, v19, v21
	s_delay_alu instid0(VALU_DEP_2) | instskip(NEXT) | instid1(VALU_DEP_1)
	v_add_f32_e32 v17, v17, v23
	v_add_f32_e32 v17, v19, v17
	s_delay_alu instid0(VALU_DEP_1) | instskip(NEXT) | instid1(VALU_DEP_1)
	v_add_f32_e32 v19, v27, v17
	v_mul_f32_e32 v21, v18, v19
	s_delay_alu instid0(VALU_DEP_1) | instskip(NEXT) | instid1(VALU_DEP_1)
	v_dual_sub_f32 v26, v27, v19 :: v_dual_mul_f32 v23, v22, v21
	v_add_f32_e32 v17, v17, v26
	s_delay_alu instid0(VALU_DEP_2) | instskip(NEXT) | instid1(VALU_DEP_1)
	v_fma_f32 v22, v21, v22, -v23
	v_fmac_f32_e32 v22, v21, v20
	s_delay_alu instid0(VALU_DEP_1) | instskip(NEXT) | instid1(VALU_DEP_1)
	v_add_f32_e32 v20, v23, v22
	v_sub_f32_e32 v25, v19, v20
	v_sub_f32_e32 v23, v20, v23
	s_delay_alu instid0(VALU_DEP_2) | instskip(NEXT) | instid1(VALU_DEP_1)
	v_sub_f32_e32 v19, v19, v25
	v_sub_f32_e32 v19, v19, v20
	s_delay_alu instid0(VALU_DEP_1) | instskip(SKIP_1) | instid1(VALU_DEP_1)
	v_dual_sub_f32 v20, v23, v22 :: v_dual_add_f32 v17, v17, v19
	v_add_f32_e32 v19, v24, v21
	v_dual_add_f32 v17, v20, v17 :: v_dual_sub_f32 v20, v19, v24
	s_delay_alu instid0(VALU_DEP_1) | instskip(NEXT) | instid1(VALU_DEP_1)
	v_add_f32_e32 v17, v25, v17
	v_dual_sub_f32 v20, v21, v20 :: v_dual_mul_f32 v17, v18, v17
	s_delay_alu instid0(VALU_DEP_1) | instskip(NEXT) | instid1(VALU_DEP_1)
	v_add_f32_e32 v17, v20, v17
	v_add_f32_e32 v18, v19, v17
	s_delay_alu instid0(VALU_DEP_1) | instskip(SKIP_1) | instid1(VALU_DEP_1)
	v_mul_f32_e32 v20, v18, v18
	s_wait_alu 0xfffe
	v_fmaak_f32 v21, s10, v20, 0x3ecc95a3
	v_mul_f32_e32 v22, v18, v20
	v_cmp_neq_f32_e64 s10, 0x7f800000, v11
	s_delay_alu instid0(VALU_DEP_3) | instskip(SKIP_2) | instid1(VALU_DEP_3)
	v_fmaak_f32 v20, v20, v21, 0x3f2aaada
	v_ldexp_f32 v21, v18, 1
	v_sub_f32_e32 v18, v18, v19
	v_mul_f32_e32 v20, v22, v20
	s_delay_alu instid0(VALU_DEP_2) | instskip(NEXT) | instid1(VALU_DEP_2)
	v_dual_mul_f32 v22, 0x3f317218, v16 :: v_dual_sub_f32 v17, v17, v18
	v_add_f32_e32 v19, v21, v20
	s_delay_alu instid0(VALU_DEP_2) | instskip(NEXT) | instid1(VALU_DEP_2)
	v_ldexp_f32 v17, v17, 1
	v_sub_f32_e32 v18, v19, v21
	s_delay_alu instid0(VALU_DEP_4) | instskip(NEXT) | instid1(VALU_DEP_2)
	v_fma_f32 v21, 0x3f317218, v16, -v22
	v_sub_f32_e32 v18, v20, v18
	s_delay_alu instid0(VALU_DEP_1) | instskip(NEXT) | instid1(VALU_DEP_1)
	v_dual_fmamk_f32 v16, v16, 0xb102e308, v21 :: v_dual_add_f32 v17, v17, v18
	v_add_f32_e32 v18, v22, v16
	s_delay_alu instid0(VALU_DEP_1) | instskip(NEXT) | instid1(VALU_DEP_1)
	v_sub_f32_e32 v22, v18, v22
	v_sub_f32_e32 v16, v16, v22
	s_delay_alu instid0(VALU_DEP_4) | instskip(NEXT) | instid1(VALU_DEP_1)
	v_add_f32_e32 v20, v19, v17
	v_sub_f32_e32 v19, v20, v19
	s_delay_alu instid0(VALU_DEP_1) | instskip(SKIP_1) | instid1(VALU_DEP_1)
	v_sub_f32_e32 v17, v17, v19
	v_add_f32_e32 v21, v18, v20
	v_sub_f32_e32 v23, v21, v18
	s_delay_alu instid0(VALU_DEP_1) | instskip(NEXT) | instid1(VALU_DEP_4)
	v_sub_f32_e32 v19, v20, v23
	v_add_f32_e32 v20, v16, v17
	v_sub_f32_e32 v24, v21, v23
	s_delay_alu instid0(VALU_DEP_1) | instskip(NEXT) | instid1(VALU_DEP_1)
	v_sub_f32_e32 v18, v18, v24
	v_dual_add_f32 v18, v19, v18 :: v_dual_sub_f32 v19, v20, v16
	s_delay_alu instid0(VALU_DEP_1) | instskip(SKIP_1) | instid1(VALU_DEP_2)
	v_dual_add_f32 v18, v20, v18 :: v_dual_sub_f32 v17, v17, v19
	v_sub_f32_e32 v20, v20, v19
	v_add_f32_e32 v22, v21, v18
	s_delay_alu instid0(VALU_DEP_1) | instskip(NEXT) | instid1(VALU_DEP_1)
	v_dual_sub_f32 v16, v16, v20 :: v_dual_sub_f32 v19, v22, v21
	v_dual_add_f32 v16, v17, v16 :: v_dual_sub_f32 v17, v18, v19
	s_delay_alu instid0(VALU_DEP_1) | instskip(NEXT) | instid1(VALU_DEP_1)
	v_add_f32_e32 v16, v16, v17
	v_add_f32_e32 v16, v22, v16
	s_wait_alu 0xf1ff
	s_delay_alu instid0(VALU_DEP_1) | instskip(SKIP_2) | instid1(VALU_DEP_1)
	v_cndmask_b32_e64 v16, 0x7f800000, v16, s10
	v_cmp_gt_f32_e64 s10, 0x33800000, |v11|
	s_wait_alu 0xf1ff
	v_cndmask_b32_e64 v11, v16, v11, s10
	s_delay_alu instid0(VALU_DEP_1)
	v_add_f32_e32 v18, v10, v11
.LBB110_18:
	s_or_b32 exec_lo, exec_lo, s11
	s_delay_alu instid0(VALU_DEP_1) | instskip(SKIP_1) | instid1(VALU_DEP_2)
	v_dual_max_num_f32 v11, v18, v18 :: v_dual_max_num_f32 v10, v5, v5
	v_cmp_u_f32_e64 s10, v18, v18
	v_min_num_f32_e32 v16, v11, v10
	v_max_num_f32_e32 v11, v11, v10
	s_wait_alu 0xf1ff
	s_delay_alu instid0(VALU_DEP_2) | instskip(NEXT) | instid1(VALU_DEP_2)
	v_cndmask_b32_e64 v16, v16, v18, s10
	v_cndmask_b32_e64 v11, v11, v18, s10
	v_cmp_u_f32_e64 s10, v5, v5
	s_wait_alu 0xf1ff
	s_delay_alu instid0(VALU_DEP_1) | instskip(NEXT) | instid1(VALU_DEP_3)
	v_cndmask_b32_e64 v16, v16, v5, s10
	v_cndmask_b32_e64 v11, v11, v5, s10
	s_delay_alu instid0(VALU_DEP_2) | instskip(NEXT) | instid1(VALU_DEP_2)
	v_cmp_class_f32_e64 s13, v16, 0x1f8
	v_cmp_neq_f32_e64 s11, v16, v11
	s_or_b32 s11, s11, s13
	s_wait_alu 0xfffe
	s_and_saveexec_b32 s13, s11
	s_cbranch_execz .LBB110_20
; %bb.19:
	v_sub_f32_e32 v16, v16, v11
	s_delay_alu instid0(VALU_DEP_1) | instskip(NEXT) | instid1(VALU_DEP_1)
	v_mul_f32_e32 v17, 0x3fb8aa3b, v16
	v_fma_f32 v18, 0x3fb8aa3b, v16, -v17
	v_rndne_f32_e32 v19, v17
	s_delay_alu instid0(VALU_DEP_1) | instskip(NEXT) | instid1(VALU_DEP_1)
	v_dual_fmamk_f32 v18, v16, 0x32a5705f, v18 :: v_dual_sub_f32 v17, v17, v19
	v_add_f32_e32 v17, v17, v18
	v_cvt_i32_f32_e32 v18, v19
	v_cmp_ngt_f32_e64 s11, 0xc2ce8ed0, v16
	s_delay_alu instid0(VALU_DEP_3) | instskip(NEXT) | instid1(TRANS32_DEP_1)
	v_exp_f32_e32 v17, v17
	v_ldexp_f32 v17, v17, v18
	s_wait_alu 0xf1ff
	s_delay_alu instid0(VALU_DEP_1) | instskip(SKIP_2) | instid1(VALU_DEP_1)
	v_cndmask_b32_e64 v17, 0, v17, s11
	v_cmp_nlt_f32_e64 s11, 0x42b17218, v16
	s_wait_alu 0xf1ff
	v_cndmask_b32_e64 v18, 0x7f800000, v17, s11
	s_delay_alu instid0(VALU_DEP_1) | instskip(NEXT) | instid1(VALU_DEP_1)
	v_add_f32_e32 v19, 1.0, v18
	v_cvt_f64_f32_e32 v[16:17], v19
	s_delay_alu instid0(VALU_DEP_1) | instskip(SKIP_1) | instid1(VALU_DEP_1)
	v_frexp_exp_i32_f64_e32 v16, v[16:17]
	v_frexp_mant_f32_e32 v17, v19
	v_cmp_gt_f32_e64 s11, 0x3f2aaaab, v17
	v_add_f32_e32 v17, -1.0, v19
	s_delay_alu instid0(VALU_DEP_1) | instskip(SKIP_1) | instid1(VALU_DEP_3)
	v_sub_f32_e32 v21, v17, v19
	s_wait_alu 0xf1ff
	v_subrev_co_ci_u32_e64 v16, null, 0, v16, s11
	s_mov_b32 s11, 0x3e9b6dac
	v_sub_nc_u32_e32 v20, 0, v16
	v_cvt_f32_i32_e32 v16, v16
	s_delay_alu instid0(VALU_DEP_2) | instskip(NEXT) | instid1(VALU_DEP_1)
	v_ldexp_f32 v19, v19, v20
	v_dual_sub_f32 v17, v18, v17 :: v_dual_add_f32 v22, 1.0, v19
	v_add_f32_e32 v21, 1.0, v21
	s_delay_alu instid0(VALU_DEP_1) | instskip(NEXT) | instid1(VALU_DEP_3)
	v_add_f32_e32 v17, v17, v21
	v_add_f32_e32 v21, -1.0, v22
	s_delay_alu instid0(VALU_DEP_2) | instskip(NEXT) | instid1(VALU_DEP_2)
	v_ldexp_f32 v17, v17, v20
	v_dual_add_f32 v20, -1.0, v19 :: v_dual_sub_f32 v21, v19, v21
	s_delay_alu instid0(VALU_DEP_1) | instskip(NEXT) | instid1(VALU_DEP_2)
	v_add_f32_e32 v23, 1.0, v20
	v_add_f32_e32 v21, v17, v21
	s_delay_alu instid0(VALU_DEP_2) | instskip(NEXT) | instid1(VALU_DEP_2)
	v_sub_f32_e32 v19, v19, v23
	v_add_f32_e32 v23, v22, v21
	s_delay_alu instid0(VALU_DEP_2) | instskip(NEXT) | instid1(VALU_DEP_2)
	v_add_f32_e32 v17, v17, v19
	v_rcp_f32_e32 v19, v23
	v_sub_f32_e32 v22, v22, v23
	s_delay_alu instid0(VALU_DEP_1) | instskip(NEXT) | instid1(VALU_DEP_1)
	v_dual_add_f32 v24, v20, v17 :: v_dual_add_f32 v21, v21, v22
	v_sub_f32_e32 v20, v20, v24
	s_delay_alu instid0(TRANS32_DEP_1) | instskip(NEXT) | instid1(VALU_DEP_1)
	v_mul_f32_e32 v25, v24, v19
	v_dual_add_f32 v17, v17, v20 :: v_dual_mul_f32 v26, v23, v25
	s_delay_alu instid0(VALU_DEP_1) | instskip(NEXT) | instid1(VALU_DEP_1)
	v_fma_f32 v22, v25, v23, -v26
	v_fmac_f32_e32 v22, v25, v21
	s_delay_alu instid0(VALU_DEP_1) | instskip(NEXT) | instid1(VALU_DEP_1)
	v_add_f32_e32 v27, v26, v22
	v_sub_f32_e32 v28, v24, v27
	v_sub_f32_e32 v20, v27, v26
	s_delay_alu instid0(VALU_DEP_2) | instskip(NEXT) | instid1(VALU_DEP_2)
	v_sub_f32_e32 v24, v24, v28
	v_sub_f32_e32 v20, v20, v22
	s_delay_alu instid0(VALU_DEP_2) | instskip(NEXT) | instid1(VALU_DEP_1)
	v_sub_f32_e32 v24, v24, v27
	v_add_f32_e32 v17, v17, v24
	s_delay_alu instid0(VALU_DEP_1) | instskip(NEXT) | instid1(VALU_DEP_1)
	v_add_f32_e32 v17, v20, v17
	v_add_f32_e32 v20, v28, v17
	s_delay_alu instid0(VALU_DEP_1) | instskip(NEXT) | instid1(VALU_DEP_1)
	v_mul_f32_e32 v22, v19, v20
	v_dual_sub_f32 v27, v28, v20 :: v_dual_mul_f32 v24, v23, v22
	s_delay_alu instid0(VALU_DEP_1) | instskip(NEXT) | instid1(VALU_DEP_2)
	v_add_f32_e32 v17, v17, v27
	v_fma_f32 v23, v22, v23, -v24
	s_delay_alu instid0(VALU_DEP_1) | instskip(NEXT) | instid1(VALU_DEP_1)
	v_fmac_f32_e32 v23, v22, v21
	v_add_f32_e32 v21, v24, v23
	s_delay_alu instid0(VALU_DEP_1) | instskip(SKIP_1) | instid1(VALU_DEP_2)
	v_sub_f32_e32 v26, v20, v21
	v_sub_f32_e32 v24, v21, v24
	;; [unrolled: 1-line block ×3, first 2 shown]
	s_delay_alu instid0(VALU_DEP_1) | instskip(NEXT) | instid1(VALU_DEP_3)
	v_sub_f32_e32 v20, v20, v21
	v_sub_f32_e32 v21, v24, v23
	s_delay_alu instid0(VALU_DEP_2) | instskip(SKIP_1) | instid1(VALU_DEP_2)
	v_add_f32_e32 v17, v17, v20
	v_add_f32_e32 v20, v25, v22
	;; [unrolled: 1-line block ×3, first 2 shown]
	s_delay_alu instid0(VALU_DEP_2) | instskip(NEXT) | instid1(VALU_DEP_2)
	v_sub_f32_e32 v21, v20, v25
	v_add_f32_e32 v17, v26, v17
	s_delay_alu instid0(VALU_DEP_2) | instskip(NEXT) | instid1(VALU_DEP_2)
	v_sub_f32_e32 v21, v22, v21
	v_mul_f32_e32 v17, v19, v17
	s_delay_alu instid0(VALU_DEP_1) | instskip(NEXT) | instid1(VALU_DEP_1)
	v_add_f32_e32 v17, v21, v17
	v_add_f32_e32 v19, v20, v17
	s_delay_alu instid0(VALU_DEP_1) | instskip(SKIP_1) | instid1(VALU_DEP_1)
	v_mul_f32_e32 v21, v19, v19
	s_wait_alu 0xfffe
	v_fmaak_f32 v22, s11, v21, 0x3ecc95a3
	v_mul_f32_e32 v23, v19, v21
	v_cmp_neq_f32_e64 s11, 0x7f800000, v18
	s_delay_alu instid0(VALU_DEP_3) | instskip(SKIP_2) | instid1(VALU_DEP_3)
	v_fmaak_f32 v21, v21, v22, 0x3f2aaada
	v_ldexp_f32 v22, v19, 1
	v_sub_f32_e32 v19, v19, v20
	v_mul_f32_e32 v21, v23, v21
	v_mul_f32_e32 v23, 0x3f317218, v16
	s_delay_alu instid0(VALU_DEP_2) | instskip(NEXT) | instid1(VALU_DEP_1)
	v_dual_sub_f32 v17, v17, v19 :: v_dual_add_f32 v20, v22, v21
	v_ldexp_f32 v17, v17, 1
	s_delay_alu instid0(VALU_DEP_2) | instskip(NEXT) | instid1(VALU_DEP_4)
	v_sub_f32_e32 v19, v20, v22
	v_fma_f32 v22, 0x3f317218, v16, -v23
	s_delay_alu instid0(VALU_DEP_1) | instskip(NEXT) | instid1(VALU_DEP_1)
	v_dual_sub_f32 v19, v21, v19 :: v_dual_fmamk_f32 v16, v16, 0xb102e308, v22
	v_add_f32_e32 v17, v17, v19
	s_delay_alu instid0(VALU_DEP_2) | instskip(NEXT) | instid1(VALU_DEP_2)
	v_add_f32_e32 v19, v23, v16
	v_add_f32_e32 v21, v20, v17
	s_delay_alu instid0(VALU_DEP_2) | instskip(NEXT) | instid1(VALU_DEP_2)
	v_sub_f32_e32 v23, v19, v23
	v_add_f32_e32 v22, v19, v21
	v_sub_f32_e32 v20, v21, v20
	s_delay_alu instid0(VALU_DEP_3) | instskip(NEXT) | instid1(VALU_DEP_2)
	v_sub_f32_e32 v16, v16, v23
	v_dual_sub_f32 v24, v22, v19 :: v_dual_sub_f32 v17, v17, v20
	s_delay_alu instid0(VALU_DEP_1) | instskip(NEXT) | instid1(VALU_DEP_2)
	v_sub_f32_e32 v25, v22, v24
	v_dual_sub_f32 v20, v21, v24 :: v_dual_add_f32 v21, v16, v17
	s_delay_alu instid0(VALU_DEP_2) | instskip(NEXT) | instid1(VALU_DEP_1)
	v_sub_f32_e32 v19, v19, v25
	v_dual_add_f32 v19, v20, v19 :: v_dual_sub_f32 v20, v21, v16
	s_delay_alu instid0(VALU_DEP_1) | instskip(NEXT) | instid1(VALU_DEP_2)
	v_add_f32_e32 v19, v21, v19
	v_sub_f32_e32 v21, v21, v20
	v_sub_f32_e32 v17, v17, v20
	s_delay_alu instid0(VALU_DEP_2) | instskip(NEXT) | instid1(VALU_DEP_1)
	v_dual_add_f32 v23, v22, v19 :: v_dual_sub_f32 v16, v16, v21
	v_sub_f32_e32 v20, v23, v22
	s_delay_alu instid0(VALU_DEP_2) | instskip(NEXT) | instid1(VALU_DEP_2)
	v_add_f32_e32 v16, v17, v16
	v_sub_f32_e32 v17, v19, v20
	s_delay_alu instid0(VALU_DEP_1) | instskip(NEXT) | instid1(VALU_DEP_1)
	v_add_f32_e32 v16, v16, v17
	v_add_f32_e32 v16, v23, v16
	s_wait_alu 0xf1ff
	s_delay_alu instid0(VALU_DEP_1) | instskip(SKIP_2) | instid1(VALU_DEP_1)
	v_cndmask_b32_e64 v16, 0x7f800000, v16, s11
	v_cmp_gt_f32_e64 s11, 0x33800000, |v18|
	s_wait_alu 0xf1ff
	v_cndmask_b32_e64 v16, v16, v18, s11
	s_delay_alu instid0(VALU_DEP_1)
	v_add_f32_e32 v18, v11, v16
.LBB110_20:
	s_wait_alu 0xfffe
	s_or_b32 exec_lo, exec_lo, s13
	s_delay_alu instid0(VALU_DEP_1) | instskip(SKIP_2) | instid1(VALU_DEP_2)
	v_max_num_f32_e32 v16, v18, v18
	v_max_num_f32_e32 v11, v6, v6
	v_cmp_u_f32_e64 s11, v18, v18
	v_min_num_f32_e32 v17, v16, v11
	v_max_num_f32_e32 v16, v16, v11
	s_wait_alu 0xf1ff
	s_delay_alu instid0(VALU_DEP_2) | instskip(NEXT) | instid1(VALU_DEP_2)
	v_cndmask_b32_e64 v17, v17, v18, s11
	v_cndmask_b32_e64 v16, v16, v18, s11
	v_cmp_u_f32_e64 s11, v6, v6
	s_wait_alu 0xf1ff
	s_delay_alu instid0(VALU_DEP_1) | instskip(NEXT) | instid1(VALU_DEP_3)
	v_cndmask_b32_e64 v17, v17, v6, s11
	v_cndmask_b32_e64 v16, v16, v6, s11
	s_delay_alu instid0(VALU_DEP_2) | instskip(NEXT) | instid1(VALU_DEP_2)
	v_cmp_class_f32_e64 s14, v17, 0x1f8
	v_cmp_neq_f32_e64 s13, v17, v16
	s_or_b32 s13, s13, s14
	s_wait_alu 0xfffe
	s_and_saveexec_b32 s14, s13
	s_cbranch_execz .LBB110_22
; %bb.21:
	v_sub_f32_e32 v17, v17, v16
	s_delay_alu instid0(VALU_DEP_1) | instskip(NEXT) | instid1(VALU_DEP_1)
	v_mul_f32_e32 v18, 0x3fb8aa3b, v17
	v_fma_f32 v19, 0x3fb8aa3b, v17, -v18
	v_rndne_f32_e32 v20, v18
	s_delay_alu instid0(VALU_DEP_1) | instskip(NEXT) | instid1(VALU_DEP_1)
	v_dual_fmamk_f32 v19, v17, 0x32a5705f, v19 :: v_dual_sub_f32 v18, v18, v20
	v_add_f32_e32 v18, v18, v19
	v_cvt_i32_f32_e32 v19, v20
	v_cmp_ngt_f32_e64 s13, 0xc2ce8ed0, v17
	s_delay_alu instid0(VALU_DEP_3) | instskip(NEXT) | instid1(TRANS32_DEP_1)
	v_exp_f32_e32 v18, v18
	v_ldexp_f32 v18, v18, v19
	s_wait_alu 0xf1ff
	s_delay_alu instid0(VALU_DEP_1) | instskip(SKIP_2) | instid1(VALU_DEP_1)
	v_cndmask_b32_e64 v18, 0, v18, s13
	v_cmp_nlt_f32_e64 s13, 0x42b17218, v17
	s_wait_alu 0xf1ff
	v_cndmask_b32_e64 v19, 0x7f800000, v18, s13
	s_delay_alu instid0(VALU_DEP_1) | instskip(NEXT) | instid1(VALU_DEP_1)
	v_add_f32_e32 v20, 1.0, v19
	v_cvt_f64_f32_e32 v[17:18], v20
	s_delay_alu instid0(VALU_DEP_1) | instskip(SKIP_1) | instid1(VALU_DEP_1)
	v_frexp_exp_i32_f64_e32 v17, v[17:18]
	v_frexp_mant_f32_e32 v18, v20
	v_cmp_gt_f32_e64 s13, 0x3f2aaaab, v18
	v_add_f32_e32 v18, -1.0, v20
	s_delay_alu instid0(VALU_DEP_1) | instskip(SKIP_1) | instid1(VALU_DEP_3)
	v_sub_f32_e32 v22, v18, v20
	s_wait_alu 0xf1ff
	v_subrev_co_ci_u32_e64 v17, null, 0, v17, s13
	s_mov_b32 s13, 0x3e9b6dac
	v_sub_nc_u32_e32 v21, 0, v17
	v_cvt_f32_i32_e32 v17, v17
	s_delay_alu instid0(VALU_DEP_2) | instskip(NEXT) | instid1(VALU_DEP_1)
	v_ldexp_f32 v20, v20, v21
	v_dual_sub_f32 v18, v19, v18 :: v_dual_add_f32 v23, 1.0, v20
	v_add_f32_e32 v22, 1.0, v22
	s_delay_alu instid0(VALU_DEP_1) | instskip(NEXT) | instid1(VALU_DEP_3)
	v_add_f32_e32 v18, v18, v22
	v_add_f32_e32 v22, -1.0, v23
	s_delay_alu instid0(VALU_DEP_2) | instskip(NEXT) | instid1(VALU_DEP_2)
	v_ldexp_f32 v18, v18, v21
	v_dual_add_f32 v21, -1.0, v20 :: v_dual_sub_f32 v22, v20, v22
	s_delay_alu instid0(VALU_DEP_1) | instskip(NEXT) | instid1(VALU_DEP_2)
	v_add_f32_e32 v24, 1.0, v21
	v_add_f32_e32 v22, v18, v22
	s_delay_alu instid0(VALU_DEP_2) | instskip(NEXT) | instid1(VALU_DEP_2)
	v_sub_f32_e32 v20, v20, v24
	v_add_f32_e32 v24, v23, v22
	s_delay_alu instid0(VALU_DEP_2) | instskip(NEXT) | instid1(VALU_DEP_2)
	v_add_f32_e32 v18, v18, v20
	v_rcp_f32_e32 v20, v24
	v_sub_f32_e32 v23, v23, v24
	s_delay_alu instid0(VALU_DEP_1) | instskip(NEXT) | instid1(VALU_DEP_1)
	v_dual_add_f32 v25, v21, v18 :: v_dual_add_f32 v22, v22, v23
	v_sub_f32_e32 v21, v21, v25
	s_delay_alu instid0(TRANS32_DEP_1) | instskip(NEXT) | instid1(VALU_DEP_1)
	v_mul_f32_e32 v26, v25, v20
	v_dual_add_f32 v18, v18, v21 :: v_dual_mul_f32 v27, v24, v26
	s_delay_alu instid0(VALU_DEP_1) | instskip(NEXT) | instid1(VALU_DEP_1)
	v_fma_f32 v23, v26, v24, -v27
	v_fmac_f32_e32 v23, v26, v22
	s_delay_alu instid0(VALU_DEP_1) | instskip(NEXT) | instid1(VALU_DEP_1)
	v_add_f32_e32 v28, v27, v23
	v_sub_f32_e32 v29, v25, v28
	v_sub_f32_e32 v21, v28, v27
	s_delay_alu instid0(VALU_DEP_2) | instskip(NEXT) | instid1(VALU_DEP_2)
	v_sub_f32_e32 v25, v25, v29
	v_sub_f32_e32 v21, v21, v23
	s_delay_alu instid0(VALU_DEP_2) | instskip(NEXT) | instid1(VALU_DEP_1)
	v_sub_f32_e32 v25, v25, v28
	v_add_f32_e32 v18, v18, v25
	s_delay_alu instid0(VALU_DEP_1) | instskip(NEXT) | instid1(VALU_DEP_1)
	v_add_f32_e32 v18, v21, v18
	v_add_f32_e32 v21, v29, v18
	s_delay_alu instid0(VALU_DEP_1) | instskip(NEXT) | instid1(VALU_DEP_1)
	v_mul_f32_e32 v23, v20, v21
	v_dual_sub_f32 v28, v29, v21 :: v_dual_mul_f32 v25, v24, v23
	s_delay_alu instid0(VALU_DEP_1) | instskip(NEXT) | instid1(VALU_DEP_2)
	v_add_f32_e32 v18, v18, v28
	v_fma_f32 v24, v23, v24, -v25
	s_delay_alu instid0(VALU_DEP_1) | instskip(NEXT) | instid1(VALU_DEP_1)
	v_fmac_f32_e32 v24, v23, v22
	v_add_f32_e32 v22, v25, v24
	s_delay_alu instid0(VALU_DEP_1) | instskip(SKIP_1) | instid1(VALU_DEP_2)
	v_sub_f32_e32 v27, v21, v22
	v_sub_f32_e32 v25, v22, v25
	v_sub_f32_e32 v21, v21, v27
	s_delay_alu instid0(VALU_DEP_1) | instskip(NEXT) | instid1(VALU_DEP_3)
	v_sub_f32_e32 v21, v21, v22
	v_sub_f32_e32 v22, v25, v24
	s_delay_alu instid0(VALU_DEP_2) | instskip(SKIP_1) | instid1(VALU_DEP_2)
	v_add_f32_e32 v18, v18, v21
	v_add_f32_e32 v21, v26, v23
	;; [unrolled: 1-line block ×3, first 2 shown]
	s_delay_alu instid0(VALU_DEP_2) | instskip(NEXT) | instid1(VALU_DEP_2)
	v_sub_f32_e32 v22, v21, v26
	v_add_f32_e32 v18, v27, v18
	s_delay_alu instid0(VALU_DEP_2) | instskip(NEXT) | instid1(VALU_DEP_2)
	v_sub_f32_e32 v22, v23, v22
	v_mul_f32_e32 v18, v20, v18
	s_delay_alu instid0(VALU_DEP_1) | instskip(NEXT) | instid1(VALU_DEP_1)
	v_add_f32_e32 v18, v22, v18
	v_add_f32_e32 v20, v21, v18
	s_delay_alu instid0(VALU_DEP_1) | instskip(SKIP_1) | instid1(VALU_DEP_1)
	v_mul_f32_e32 v22, v20, v20
	s_wait_alu 0xfffe
	v_fmaak_f32 v23, s13, v22, 0x3ecc95a3
	v_mul_f32_e32 v24, v20, v22
	v_cmp_neq_f32_e64 s13, 0x7f800000, v19
	s_delay_alu instid0(VALU_DEP_3) | instskip(SKIP_2) | instid1(VALU_DEP_3)
	v_fmaak_f32 v22, v22, v23, 0x3f2aaada
	v_ldexp_f32 v23, v20, 1
	v_sub_f32_e32 v20, v20, v21
	v_mul_f32_e32 v22, v24, v22
	v_mul_f32_e32 v24, 0x3f317218, v17
	s_delay_alu instid0(VALU_DEP_2) | instskip(NEXT) | instid1(VALU_DEP_1)
	v_dual_sub_f32 v18, v18, v20 :: v_dual_add_f32 v21, v23, v22
	v_ldexp_f32 v18, v18, 1
	s_delay_alu instid0(VALU_DEP_2) | instskip(NEXT) | instid1(VALU_DEP_4)
	v_sub_f32_e32 v20, v21, v23
	v_fma_f32 v23, 0x3f317218, v17, -v24
	s_delay_alu instid0(VALU_DEP_1) | instskip(NEXT) | instid1(VALU_DEP_1)
	v_dual_sub_f32 v20, v22, v20 :: v_dual_fmamk_f32 v17, v17, 0xb102e308, v23
	v_add_f32_e32 v18, v18, v20
	s_delay_alu instid0(VALU_DEP_2) | instskip(NEXT) | instid1(VALU_DEP_2)
	v_add_f32_e32 v20, v24, v17
	v_add_f32_e32 v22, v21, v18
	s_delay_alu instid0(VALU_DEP_2) | instskip(NEXT) | instid1(VALU_DEP_2)
	v_sub_f32_e32 v24, v20, v24
	v_add_f32_e32 v23, v20, v22
	v_sub_f32_e32 v21, v22, v21
	s_delay_alu instid0(VALU_DEP_3) | instskip(NEXT) | instid1(VALU_DEP_2)
	v_sub_f32_e32 v17, v17, v24
	v_dual_sub_f32 v25, v23, v20 :: v_dual_sub_f32 v18, v18, v21
	s_delay_alu instid0(VALU_DEP_1) | instskip(NEXT) | instid1(VALU_DEP_2)
	v_sub_f32_e32 v26, v23, v25
	v_dual_sub_f32 v21, v22, v25 :: v_dual_add_f32 v22, v17, v18
	s_delay_alu instid0(VALU_DEP_2) | instskip(NEXT) | instid1(VALU_DEP_1)
	v_sub_f32_e32 v20, v20, v26
	v_dual_add_f32 v20, v21, v20 :: v_dual_sub_f32 v21, v22, v17
	s_delay_alu instid0(VALU_DEP_1) | instskip(NEXT) | instid1(VALU_DEP_2)
	v_add_f32_e32 v20, v22, v20
	v_sub_f32_e32 v22, v22, v21
	v_sub_f32_e32 v18, v18, v21
	s_delay_alu instid0(VALU_DEP_2) | instskip(NEXT) | instid1(VALU_DEP_1)
	v_dual_add_f32 v24, v23, v20 :: v_dual_sub_f32 v17, v17, v22
	v_sub_f32_e32 v21, v24, v23
	s_delay_alu instid0(VALU_DEP_2) | instskip(NEXT) | instid1(VALU_DEP_2)
	v_add_f32_e32 v17, v18, v17
	v_sub_f32_e32 v18, v20, v21
	s_delay_alu instid0(VALU_DEP_1) | instskip(NEXT) | instid1(VALU_DEP_1)
	v_add_f32_e32 v17, v17, v18
	v_add_f32_e32 v17, v24, v17
	s_wait_alu 0xf1ff
	s_delay_alu instid0(VALU_DEP_1) | instskip(SKIP_2) | instid1(VALU_DEP_1)
	v_cndmask_b32_e64 v17, 0x7f800000, v17, s13
	v_cmp_gt_f32_e64 s13, 0x33800000, |v19|
	s_wait_alu 0xf1ff
	v_cndmask_b32_e64 v17, v17, v19, s13
	s_delay_alu instid0(VALU_DEP_1)
	v_add_f32_e32 v18, v16, v17
.LBB110_22:
	s_wait_alu 0xfffe
	s_or_b32 exec_lo, exec_lo, s14
	s_load_b64 s[14:15], s[0:1], 0x18
	v_mbcnt_lo_u32_b32 v17, -1, 0
	v_mov_b32_dpp v20, v18 row_shr:1 row_mask:0xf bank_mask:0xf
	s_mov_b32 s1, exec_lo
	s_delay_alu instid0(VALU_DEP_2) | instskip(NEXT) | instid1(VALU_DEP_1)
	v_and_b32_e32 v19, 15, v17
	v_cmpx_ne_u32_e32 0, v19
	s_cbranch_execz .LBB110_26
; %bb.23:
	v_dual_max_num_f32 v16, v18, v18 :: v_dual_max_num_f32 v21, v20, v20
	v_cmp_u_f32_e64 s0, v20, v20
	s_delay_alu instid0(VALU_DEP_2) | instskip(SKIP_1) | instid1(VALU_DEP_2)
	v_min_num_f32_e32 v22, v21, v16
	v_max_num_f32_e32 v16, v21, v16
	v_cndmask_b32_e64 v21, v22, v20, s0
	s_delay_alu instid0(VALU_DEP_2) | instskip(SKIP_2) | instid1(VALU_DEP_1)
	v_cndmask_b32_e64 v16, v16, v20, s0
	v_cmp_u_f32_e64 s0, v18, v18
	s_wait_alu 0xf1ff
	v_cndmask_b32_e64 v21, v21, v18, s0
	s_delay_alu instid0(VALU_DEP_3) | instskip(NEXT) | instid1(VALU_DEP_2)
	v_cndmask_b32_e64 v16, v16, v18, s0
	v_cmp_class_f32_e64 s13, v21, 0x1f8
	s_delay_alu instid0(VALU_DEP_2)
	v_cmp_neq_f32_e64 s0, v21, v16
	s_or_b32 s0, s0, s13
	s_wait_alu 0xfffe
	s_and_saveexec_b32 s13, s0
	s_cbranch_execz .LBB110_25
; %bb.24:
	v_sub_f32_e32 v18, v21, v16
	s_delay_alu instid0(VALU_DEP_1) | instskip(SKIP_1) | instid1(VALU_DEP_2)
	v_mul_f32_e32 v20, 0x3fb8aa3b, v18
	v_cmp_ngt_f32_e64 s0, 0xc2ce8ed0, v18
	v_fma_f32 v21, 0x3fb8aa3b, v18, -v20
	v_rndne_f32_e32 v22, v20
	s_delay_alu instid0(VALU_DEP_1) | instskip(NEXT) | instid1(VALU_DEP_1)
	v_dual_fmamk_f32 v21, v18, 0x32a5705f, v21 :: v_dual_sub_f32 v20, v20, v22
	v_add_f32_e32 v20, v20, v21
	v_cvt_i32_f32_e32 v21, v22
	s_delay_alu instid0(VALU_DEP_2) | instskip(NEXT) | instid1(TRANS32_DEP_1)
	v_exp_f32_e32 v20, v20
	v_ldexp_f32 v20, v20, v21
	s_wait_alu 0xf1ff
	s_delay_alu instid0(VALU_DEP_1) | instskip(SKIP_2) | instid1(VALU_DEP_1)
	v_cndmask_b32_e64 v20, 0, v20, s0
	v_cmp_nlt_f32_e64 s0, 0x42b17218, v18
	s_wait_alu 0xf1ff
	v_cndmask_b32_e64 v18, 0x7f800000, v20, s0
	s_delay_alu instid0(VALU_DEP_1) | instskip(NEXT) | instid1(VALU_DEP_1)
	v_add_f32_e32 v22, 1.0, v18
	v_cvt_f64_f32_e32 v[20:21], v22
	s_delay_alu instid0(VALU_DEP_1) | instskip(SKIP_1) | instid1(VALU_DEP_1)
	v_frexp_exp_i32_f64_e32 v20, v[20:21]
	v_frexp_mant_f32_e32 v21, v22
	v_cmp_gt_f32_e64 s0, 0x3f2aaaab, v21
	v_add_f32_e32 v21, -1.0, v22
	s_delay_alu instid0(VALU_DEP_1) | instskip(NEXT) | instid1(VALU_DEP_1)
	v_dual_sub_f32 v24, v21, v22 :: v_dual_sub_f32 v21, v18, v21
	v_add_f32_e32 v24, 1.0, v24
	s_delay_alu instid0(VALU_DEP_1)
	v_add_f32_e32 v21, v21, v24
	s_wait_alu 0xf1ff
	v_subrev_co_ci_u32_e64 v20, null, 0, v20, s0
	s_mov_b32 s0, 0x3e9b6dac
	v_sub_nc_u32_e32 v23, 0, v20
	v_cvt_f32_i32_e32 v20, v20
	s_delay_alu instid0(VALU_DEP_2) | instskip(SKIP_1) | instid1(VALU_DEP_2)
	v_ldexp_f32 v22, v22, v23
	v_ldexp_f32 v21, v21, v23
	v_add_f32_e32 v25, 1.0, v22
	s_delay_alu instid0(VALU_DEP_1) | instskip(NEXT) | instid1(VALU_DEP_1)
	v_dual_add_f32 v23, -1.0, v22 :: v_dual_add_f32 v24, -1.0, v25
	v_add_f32_e32 v26, 1.0, v23
	s_delay_alu instid0(VALU_DEP_2) | instskip(NEXT) | instid1(VALU_DEP_2)
	v_sub_f32_e32 v24, v22, v24
	v_sub_f32_e32 v22, v22, v26
	s_delay_alu instid0(VALU_DEP_2) | instskip(NEXT) | instid1(VALU_DEP_2)
	v_add_f32_e32 v24, v21, v24
	v_add_f32_e32 v21, v21, v22
	s_delay_alu instid0(VALU_DEP_1) | instskip(NEXT) | instid1(VALU_DEP_1)
	v_dual_add_f32 v27, v23, v21 :: v_dual_add_f32 v26, v25, v24
	v_sub_f32_e32 v23, v23, v27
	s_delay_alu instid0(VALU_DEP_2) | instskip(SKIP_1) | instid1(VALU_DEP_1)
	v_rcp_f32_e32 v22, v26
	v_sub_f32_e32 v25, v25, v26
	v_dual_add_f32 v21, v21, v23 :: v_dual_add_f32 v24, v24, v25
	s_delay_alu instid0(TRANS32_DEP_1) | instskip(NEXT) | instid1(VALU_DEP_1)
	v_mul_f32_e32 v28, v27, v22
	v_mul_f32_e32 v29, v26, v28
	s_delay_alu instid0(VALU_DEP_1) | instskip(NEXT) | instid1(VALU_DEP_1)
	v_fma_f32 v25, v28, v26, -v29
	v_fmac_f32_e32 v25, v28, v24
	s_delay_alu instid0(VALU_DEP_1) | instskip(NEXT) | instid1(VALU_DEP_1)
	v_add_f32_e32 v30, v29, v25
	v_sub_f32_e32 v31, v27, v30
	v_sub_f32_e32 v23, v30, v29
	s_delay_alu instid0(VALU_DEP_2) | instskip(NEXT) | instid1(VALU_DEP_2)
	v_sub_f32_e32 v27, v27, v31
	v_sub_f32_e32 v23, v23, v25
	s_delay_alu instid0(VALU_DEP_2) | instskip(NEXT) | instid1(VALU_DEP_1)
	v_sub_f32_e32 v27, v27, v30
	v_add_f32_e32 v21, v21, v27
	s_delay_alu instid0(VALU_DEP_1) | instskip(NEXT) | instid1(VALU_DEP_1)
	v_add_f32_e32 v21, v23, v21
	v_add_f32_e32 v23, v31, v21
	s_delay_alu instid0(VALU_DEP_1) | instskip(NEXT) | instid1(VALU_DEP_1)
	v_mul_f32_e32 v25, v22, v23
	v_dual_sub_f32 v30, v31, v23 :: v_dual_mul_f32 v27, v26, v25
	s_delay_alu instid0(VALU_DEP_1) | instskip(NEXT) | instid1(VALU_DEP_2)
	v_add_f32_e32 v21, v21, v30
	v_fma_f32 v26, v25, v26, -v27
	s_delay_alu instid0(VALU_DEP_1) | instskip(NEXT) | instid1(VALU_DEP_1)
	v_fmac_f32_e32 v26, v25, v24
	v_add_f32_e32 v24, v27, v26
	s_delay_alu instid0(VALU_DEP_1) | instskip(NEXT) | instid1(VALU_DEP_1)
	v_sub_f32_e32 v29, v23, v24
	v_sub_f32_e32 v23, v23, v29
	s_delay_alu instid0(VALU_DEP_1) | instskip(NEXT) | instid1(VALU_DEP_1)
	v_sub_f32_e32 v23, v23, v24
	v_add_f32_e32 v21, v21, v23
	v_add_f32_e32 v23, v28, v25
	v_sub_f32_e32 v27, v24, v27
	s_delay_alu instid0(VALU_DEP_1) | instskip(NEXT) | instid1(VALU_DEP_1)
	v_sub_f32_e32 v24, v27, v26
	v_dual_add_f32 v21, v24, v21 :: v_dual_sub_f32 v24, v23, v28
	s_delay_alu instid0(VALU_DEP_1) | instskip(NEXT) | instid1(VALU_DEP_1)
	v_add_f32_e32 v21, v29, v21
	v_dual_sub_f32 v24, v25, v24 :: v_dual_mul_f32 v21, v22, v21
	s_delay_alu instid0(VALU_DEP_1) | instskip(NEXT) | instid1(VALU_DEP_1)
	v_add_f32_e32 v21, v24, v21
	v_add_f32_e32 v22, v23, v21
	s_delay_alu instid0(VALU_DEP_1) | instskip(SKIP_1) | instid1(VALU_DEP_1)
	v_mul_f32_e32 v24, v22, v22
	s_wait_alu 0xfffe
	v_fmaak_f32 v25, s0, v24, 0x3ecc95a3
	v_mul_f32_e32 v26, v22, v24
	v_cmp_neq_f32_e64 s0, 0x7f800000, v18
	s_delay_alu instid0(VALU_DEP_3) | instskip(SKIP_2) | instid1(VALU_DEP_3)
	v_fmaak_f32 v24, v24, v25, 0x3f2aaada
	v_ldexp_f32 v25, v22, 1
	v_sub_f32_e32 v22, v22, v23
	v_mul_f32_e32 v24, v26, v24
	s_delay_alu instid0(VALU_DEP_2) | instskip(NEXT) | instid1(VALU_DEP_2)
	v_dual_mul_f32 v26, 0x3f317218, v20 :: v_dual_sub_f32 v21, v21, v22
	v_add_f32_e32 v23, v25, v24
	s_delay_alu instid0(VALU_DEP_2) | instskip(NEXT) | instid1(VALU_DEP_2)
	v_ldexp_f32 v21, v21, 1
	v_sub_f32_e32 v22, v23, v25
	s_delay_alu instid0(VALU_DEP_4) | instskip(NEXT) | instid1(VALU_DEP_2)
	v_fma_f32 v25, 0x3f317218, v20, -v26
	v_sub_f32_e32 v22, v24, v22
	s_delay_alu instid0(VALU_DEP_1) | instskip(NEXT) | instid1(VALU_DEP_1)
	v_dual_fmamk_f32 v20, v20, 0xb102e308, v25 :: v_dual_add_f32 v21, v21, v22
	v_add_f32_e32 v22, v26, v20
	s_delay_alu instid0(VALU_DEP_1) | instskip(NEXT) | instid1(VALU_DEP_1)
	v_sub_f32_e32 v26, v22, v26
	v_sub_f32_e32 v20, v20, v26
	s_delay_alu instid0(VALU_DEP_4) | instskip(NEXT) | instid1(VALU_DEP_1)
	v_add_f32_e32 v24, v23, v21
	v_sub_f32_e32 v23, v24, v23
	s_delay_alu instid0(VALU_DEP_1) | instskip(SKIP_1) | instid1(VALU_DEP_1)
	v_sub_f32_e32 v21, v21, v23
	v_add_f32_e32 v25, v22, v24
	v_sub_f32_e32 v27, v25, v22
	s_delay_alu instid0(VALU_DEP_1) | instskip(NEXT) | instid1(VALU_DEP_4)
	v_sub_f32_e32 v23, v24, v27
	v_add_f32_e32 v24, v20, v21
	v_sub_f32_e32 v28, v25, v27
	s_delay_alu instid0(VALU_DEP_1) | instskip(NEXT) | instid1(VALU_DEP_1)
	v_sub_f32_e32 v22, v22, v28
	v_dual_add_f32 v22, v23, v22 :: v_dual_sub_f32 v23, v24, v20
	s_delay_alu instid0(VALU_DEP_1) | instskip(SKIP_1) | instid1(VALU_DEP_2)
	v_dual_add_f32 v22, v24, v22 :: v_dual_sub_f32 v21, v21, v23
	v_sub_f32_e32 v24, v24, v23
	v_add_f32_e32 v26, v25, v22
	s_delay_alu instid0(VALU_DEP_1) | instskip(NEXT) | instid1(VALU_DEP_1)
	v_dual_sub_f32 v20, v20, v24 :: v_dual_sub_f32 v23, v26, v25
	v_dual_add_f32 v20, v21, v20 :: v_dual_sub_f32 v21, v22, v23
	s_delay_alu instid0(VALU_DEP_1) | instskip(NEXT) | instid1(VALU_DEP_1)
	v_add_f32_e32 v20, v20, v21
	v_add_f32_e32 v20, v26, v20
	s_wait_alu 0xf1ff
	s_delay_alu instid0(VALU_DEP_1) | instskip(SKIP_2) | instid1(VALU_DEP_1)
	v_cndmask_b32_e64 v20, 0x7f800000, v20, s0
	v_cmp_gt_f32_e64 s0, 0x33800000, |v18|
	s_wait_alu 0xf1ff
	v_cndmask_b32_e64 v18, v20, v18, s0
	s_delay_alu instid0(VALU_DEP_1)
	v_add_f32_e32 v20, v16, v18
.LBB110_25:
	s_wait_alu 0xfffe
	s_or_b32 exec_lo, exec_lo, s13
	s_delay_alu instid0(VALU_DEP_1)
	v_mov_b32_e32 v18, v20
.LBB110_26:
	s_or_b32 exec_lo, exec_lo, s1
	v_mul_u32_u24_e32 v16, 20, v0
	s_delay_alu instid0(VALU_DEP_2)
	v_mov_b32_dpp v20, v18 row_shr:2 row_mask:0xf bank_mask:0xf
	s_mov_b32 s1, exec_lo
	v_cmpx_lt_u32_e32 1, v19
	s_cbranch_execz .LBB110_30
; %bb.27:
	s_delay_alu instid0(VALU_DEP_2) | instskip(SKIP_1) | instid1(VALU_DEP_2)
	v_dual_max_num_f32 v21, v18, v18 :: v_dual_max_num_f32 v22, v20, v20
	v_cmp_u_f32_e64 s0, v20, v20
	v_min_num_f32_e32 v23, v22, v21
	v_max_num_f32_e32 v21, v22, v21
	s_wait_alu 0xf1ff
	s_delay_alu instid0(VALU_DEP_2) | instskip(NEXT) | instid1(VALU_DEP_2)
	v_cndmask_b32_e64 v22, v23, v20, s0
	v_cndmask_b32_e64 v23, v21, v20, s0
	v_cmp_u_f32_e64 s0, v18, v18
	s_wait_alu 0xf1ff
	s_delay_alu instid0(VALU_DEP_1) | instskip(NEXT) | instid1(VALU_DEP_3)
	v_cndmask_b32_e64 v21, v22, v18, s0
	v_cndmask_b32_e64 v18, v23, v18, s0
	s_delay_alu instid0(VALU_DEP_2) | instskip(NEXT) | instid1(VALU_DEP_2)
	v_cmp_class_f32_e64 s13, v21, 0x1f8
	v_cmp_neq_f32_e64 s0, v21, v18
	s_or_b32 s0, s0, s13
	s_wait_alu 0xfffe
	s_and_saveexec_b32 s13, s0
	s_cbranch_execz .LBB110_29
; %bb.28:
	v_sub_f32_e32 v20, v21, v18
	s_delay_alu instid0(VALU_DEP_1) | instskip(SKIP_1) | instid1(VALU_DEP_2)
	v_mul_f32_e32 v21, 0x3fb8aa3b, v20
	v_cmp_ngt_f32_e64 s0, 0xc2ce8ed0, v20
	v_fma_f32 v22, 0x3fb8aa3b, v20, -v21
	v_rndne_f32_e32 v23, v21
	s_delay_alu instid0(VALU_DEP_1) | instskip(NEXT) | instid1(VALU_DEP_1)
	v_dual_fmamk_f32 v22, v20, 0x32a5705f, v22 :: v_dual_sub_f32 v21, v21, v23
	v_add_f32_e32 v21, v21, v22
	v_cvt_i32_f32_e32 v22, v23
	s_delay_alu instid0(VALU_DEP_2) | instskip(NEXT) | instid1(TRANS32_DEP_1)
	v_exp_f32_e32 v21, v21
	v_ldexp_f32 v21, v21, v22
	s_wait_alu 0xf1ff
	s_delay_alu instid0(VALU_DEP_1) | instskip(SKIP_2) | instid1(VALU_DEP_1)
	v_cndmask_b32_e64 v21, 0, v21, s0
	v_cmp_nlt_f32_e64 s0, 0x42b17218, v20
	s_wait_alu 0xf1ff
	v_cndmask_b32_e64 v22, 0x7f800000, v21, s0
	s_delay_alu instid0(VALU_DEP_1) | instskip(NEXT) | instid1(VALU_DEP_1)
	v_add_f32_e32 v23, 1.0, v22
	v_cvt_f64_f32_e32 v[20:21], v23
	s_delay_alu instid0(VALU_DEP_1) | instskip(SKIP_1) | instid1(VALU_DEP_1)
	v_frexp_exp_i32_f64_e32 v20, v[20:21]
	v_frexp_mant_f32_e32 v21, v23
	v_cmp_gt_f32_e64 s0, 0x3f2aaaab, v21
	v_add_f32_e32 v21, -1.0, v23
	s_delay_alu instid0(VALU_DEP_1)
	v_sub_f32_e32 v25, v21, v23
	v_sub_f32_e32 v21, v22, v21
	s_wait_alu 0xf1ff
	v_subrev_co_ci_u32_e64 v20, null, 0, v20, s0
	s_mov_b32 s0, 0x3e9b6dac
	v_sub_nc_u32_e32 v24, 0, v20
	v_cvt_f32_i32_e32 v20, v20
	s_delay_alu instid0(VALU_DEP_2) | instskip(NEXT) | instid1(VALU_DEP_1)
	v_ldexp_f32 v23, v23, v24
	v_dual_add_f32 v26, 1.0, v23 :: v_dual_add_f32 v25, 1.0, v25
	s_delay_alu instid0(VALU_DEP_1) | instskip(NEXT) | instid1(VALU_DEP_2)
	v_add_f32_e32 v21, v21, v25
	v_add_f32_e32 v25, -1.0, v26
	s_delay_alu instid0(VALU_DEP_2) | instskip(NEXT) | instid1(VALU_DEP_2)
	v_ldexp_f32 v21, v21, v24
	v_dual_add_f32 v24, -1.0, v23 :: v_dual_sub_f32 v25, v23, v25
	s_delay_alu instid0(VALU_DEP_1) | instskip(NEXT) | instid1(VALU_DEP_2)
	v_add_f32_e32 v27, 1.0, v24
	v_add_f32_e32 v25, v21, v25
	s_delay_alu instid0(VALU_DEP_2) | instskip(NEXT) | instid1(VALU_DEP_2)
	v_sub_f32_e32 v23, v23, v27
	v_add_f32_e32 v27, v26, v25
	s_delay_alu instid0(VALU_DEP_2) | instskip(NEXT) | instid1(VALU_DEP_2)
	v_add_f32_e32 v21, v21, v23
	v_rcp_f32_e32 v23, v27
	v_sub_f32_e32 v26, v26, v27
	s_delay_alu instid0(VALU_DEP_1) | instskip(NEXT) | instid1(VALU_DEP_1)
	v_dual_add_f32 v28, v24, v21 :: v_dual_add_f32 v25, v25, v26
	v_sub_f32_e32 v24, v24, v28
	s_delay_alu instid0(TRANS32_DEP_1) | instskip(NEXT) | instid1(VALU_DEP_1)
	v_mul_f32_e32 v29, v28, v23
	v_dual_add_f32 v21, v21, v24 :: v_dual_mul_f32 v30, v27, v29
	s_delay_alu instid0(VALU_DEP_1) | instskip(NEXT) | instid1(VALU_DEP_1)
	v_fma_f32 v26, v29, v27, -v30
	v_fmac_f32_e32 v26, v29, v25
	s_delay_alu instid0(VALU_DEP_1) | instskip(NEXT) | instid1(VALU_DEP_1)
	v_add_f32_e32 v31, v30, v26
	v_sub_f32_e32 v32, v28, v31
	v_sub_f32_e32 v24, v31, v30
	s_delay_alu instid0(VALU_DEP_2) | instskip(NEXT) | instid1(VALU_DEP_2)
	v_sub_f32_e32 v28, v28, v32
	v_sub_f32_e32 v24, v24, v26
	s_delay_alu instid0(VALU_DEP_2) | instskip(NEXT) | instid1(VALU_DEP_1)
	v_sub_f32_e32 v28, v28, v31
	v_add_f32_e32 v21, v21, v28
	s_delay_alu instid0(VALU_DEP_1) | instskip(NEXT) | instid1(VALU_DEP_1)
	v_add_f32_e32 v21, v24, v21
	v_add_f32_e32 v24, v32, v21
	s_delay_alu instid0(VALU_DEP_1) | instskip(NEXT) | instid1(VALU_DEP_1)
	v_mul_f32_e32 v26, v23, v24
	v_dual_sub_f32 v31, v32, v24 :: v_dual_mul_f32 v28, v27, v26
	s_delay_alu instid0(VALU_DEP_1) | instskip(NEXT) | instid1(VALU_DEP_2)
	v_add_f32_e32 v21, v21, v31
	v_fma_f32 v27, v26, v27, -v28
	s_delay_alu instid0(VALU_DEP_1) | instskip(NEXT) | instid1(VALU_DEP_1)
	v_fmac_f32_e32 v27, v26, v25
	v_add_f32_e32 v25, v28, v27
	s_delay_alu instid0(VALU_DEP_1) | instskip(SKIP_1) | instid1(VALU_DEP_2)
	v_sub_f32_e32 v30, v24, v25
	v_sub_f32_e32 v28, v25, v28
	;; [unrolled: 1-line block ×3, first 2 shown]
	s_delay_alu instid0(VALU_DEP_1) | instskip(NEXT) | instid1(VALU_DEP_3)
	v_sub_f32_e32 v24, v24, v25
	v_sub_f32_e32 v25, v28, v27
	s_delay_alu instid0(VALU_DEP_2) | instskip(SKIP_1) | instid1(VALU_DEP_2)
	v_add_f32_e32 v21, v21, v24
	v_add_f32_e32 v24, v29, v26
	;; [unrolled: 1-line block ×3, first 2 shown]
	s_delay_alu instid0(VALU_DEP_2) | instskip(NEXT) | instid1(VALU_DEP_2)
	v_sub_f32_e32 v25, v24, v29
	v_add_f32_e32 v21, v30, v21
	s_delay_alu instid0(VALU_DEP_2) | instskip(NEXT) | instid1(VALU_DEP_2)
	v_sub_f32_e32 v25, v26, v25
	v_mul_f32_e32 v21, v23, v21
	s_delay_alu instid0(VALU_DEP_1) | instskip(NEXT) | instid1(VALU_DEP_1)
	v_add_f32_e32 v21, v25, v21
	v_add_f32_e32 v23, v24, v21
	s_delay_alu instid0(VALU_DEP_1) | instskip(SKIP_1) | instid1(VALU_DEP_1)
	v_mul_f32_e32 v25, v23, v23
	s_wait_alu 0xfffe
	v_fmaak_f32 v26, s0, v25, 0x3ecc95a3
	v_mul_f32_e32 v27, v23, v25
	v_cmp_neq_f32_e64 s0, 0x7f800000, v22
	s_delay_alu instid0(VALU_DEP_3) | instskip(SKIP_2) | instid1(VALU_DEP_3)
	v_fmaak_f32 v25, v25, v26, 0x3f2aaada
	v_ldexp_f32 v26, v23, 1
	v_sub_f32_e32 v23, v23, v24
	v_mul_f32_e32 v25, v27, v25
	v_mul_f32_e32 v27, 0x3f317218, v20
	s_delay_alu instid0(VALU_DEP_2) | instskip(NEXT) | instid1(VALU_DEP_1)
	v_dual_sub_f32 v21, v21, v23 :: v_dual_add_f32 v24, v26, v25
	v_ldexp_f32 v21, v21, 1
	s_delay_alu instid0(VALU_DEP_2) | instskip(NEXT) | instid1(VALU_DEP_4)
	v_sub_f32_e32 v23, v24, v26
	v_fma_f32 v26, 0x3f317218, v20, -v27
	s_delay_alu instid0(VALU_DEP_1) | instskip(NEXT) | instid1(VALU_DEP_1)
	v_dual_sub_f32 v23, v25, v23 :: v_dual_fmamk_f32 v20, v20, 0xb102e308, v26
	v_add_f32_e32 v21, v21, v23
	s_delay_alu instid0(VALU_DEP_2) | instskip(NEXT) | instid1(VALU_DEP_2)
	v_add_f32_e32 v23, v27, v20
	v_add_f32_e32 v25, v24, v21
	s_delay_alu instid0(VALU_DEP_2) | instskip(NEXT) | instid1(VALU_DEP_2)
	v_sub_f32_e32 v27, v23, v27
	v_add_f32_e32 v26, v23, v25
	v_sub_f32_e32 v24, v25, v24
	s_delay_alu instid0(VALU_DEP_3) | instskip(NEXT) | instid1(VALU_DEP_2)
	v_sub_f32_e32 v20, v20, v27
	v_dual_sub_f32 v28, v26, v23 :: v_dual_sub_f32 v21, v21, v24
	s_delay_alu instid0(VALU_DEP_1) | instskip(NEXT) | instid1(VALU_DEP_2)
	v_sub_f32_e32 v29, v26, v28
	v_dual_sub_f32 v24, v25, v28 :: v_dual_add_f32 v25, v20, v21
	s_delay_alu instid0(VALU_DEP_2) | instskip(NEXT) | instid1(VALU_DEP_1)
	v_sub_f32_e32 v23, v23, v29
	v_dual_add_f32 v23, v24, v23 :: v_dual_sub_f32 v24, v25, v20
	s_delay_alu instid0(VALU_DEP_1) | instskip(NEXT) | instid1(VALU_DEP_2)
	v_add_f32_e32 v23, v25, v23
	v_sub_f32_e32 v25, v25, v24
	v_sub_f32_e32 v21, v21, v24
	s_delay_alu instid0(VALU_DEP_2) | instskip(NEXT) | instid1(VALU_DEP_1)
	v_dual_add_f32 v27, v26, v23 :: v_dual_sub_f32 v20, v20, v25
	v_sub_f32_e32 v24, v27, v26
	s_delay_alu instid0(VALU_DEP_2) | instskip(NEXT) | instid1(VALU_DEP_2)
	v_add_f32_e32 v20, v21, v20
	v_sub_f32_e32 v21, v23, v24
	s_delay_alu instid0(VALU_DEP_1) | instskip(NEXT) | instid1(VALU_DEP_1)
	v_add_f32_e32 v20, v20, v21
	v_add_f32_e32 v20, v27, v20
	s_wait_alu 0xf1ff
	s_delay_alu instid0(VALU_DEP_1) | instskip(SKIP_2) | instid1(VALU_DEP_1)
	v_cndmask_b32_e64 v20, 0x7f800000, v20, s0
	v_cmp_gt_f32_e64 s0, 0x33800000, |v22|
	s_wait_alu 0xf1ff
	v_cndmask_b32_e64 v20, v20, v22, s0
	s_delay_alu instid0(VALU_DEP_1)
	v_add_f32_e32 v20, v18, v20
.LBB110_29:
	s_wait_alu 0xfffe
	s_or_b32 exec_lo, exec_lo, s13
	s_delay_alu instid0(VALU_DEP_1)
	v_mov_b32_e32 v18, v20
.LBB110_30:
	s_wait_alu 0xfffe
	s_or_b32 exec_lo, exec_lo, s1
	s_delay_alu instid0(VALU_DEP_1)
	v_mov_b32_dpp v20, v18 row_shr:4 row_mask:0xf bank_mask:0xf
	s_mov_b32 s1, exec_lo
	v_cmpx_lt_u32_e32 3, v19
	s_cbranch_execz .LBB110_34
; %bb.31:
	s_delay_alu instid0(VALU_DEP_2) | instskip(SKIP_1) | instid1(VALU_DEP_2)
	v_dual_max_num_f32 v21, v18, v18 :: v_dual_max_num_f32 v22, v20, v20
	v_cmp_u_f32_e64 s0, v20, v20
	v_min_num_f32_e32 v23, v22, v21
	v_max_num_f32_e32 v21, v22, v21
	s_wait_alu 0xf1ff
	s_delay_alu instid0(VALU_DEP_2) | instskip(NEXT) | instid1(VALU_DEP_2)
	v_cndmask_b32_e64 v22, v23, v20, s0
	v_cndmask_b32_e64 v23, v21, v20, s0
	v_cmp_u_f32_e64 s0, v18, v18
	s_wait_alu 0xf1ff
	s_delay_alu instid0(VALU_DEP_1) | instskip(NEXT) | instid1(VALU_DEP_3)
	v_cndmask_b32_e64 v21, v22, v18, s0
	v_cndmask_b32_e64 v18, v23, v18, s0
	s_delay_alu instid0(VALU_DEP_2) | instskip(NEXT) | instid1(VALU_DEP_2)
	v_cmp_class_f32_e64 s13, v21, 0x1f8
	v_cmp_neq_f32_e64 s0, v21, v18
	s_or_b32 s0, s0, s13
	s_wait_alu 0xfffe
	s_and_saveexec_b32 s13, s0
	s_cbranch_execz .LBB110_33
; %bb.32:
	v_sub_f32_e32 v20, v21, v18
	s_delay_alu instid0(VALU_DEP_1) | instskip(SKIP_1) | instid1(VALU_DEP_2)
	v_mul_f32_e32 v21, 0x3fb8aa3b, v20
	v_cmp_ngt_f32_e64 s0, 0xc2ce8ed0, v20
	v_fma_f32 v22, 0x3fb8aa3b, v20, -v21
	v_rndne_f32_e32 v23, v21
	s_delay_alu instid0(VALU_DEP_1) | instskip(NEXT) | instid1(VALU_DEP_1)
	v_dual_fmamk_f32 v22, v20, 0x32a5705f, v22 :: v_dual_sub_f32 v21, v21, v23
	v_add_f32_e32 v21, v21, v22
	v_cvt_i32_f32_e32 v22, v23
	s_delay_alu instid0(VALU_DEP_2) | instskip(NEXT) | instid1(TRANS32_DEP_1)
	v_exp_f32_e32 v21, v21
	v_ldexp_f32 v21, v21, v22
	s_wait_alu 0xf1ff
	s_delay_alu instid0(VALU_DEP_1) | instskip(SKIP_2) | instid1(VALU_DEP_1)
	v_cndmask_b32_e64 v21, 0, v21, s0
	v_cmp_nlt_f32_e64 s0, 0x42b17218, v20
	s_wait_alu 0xf1ff
	v_cndmask_b32_e64 v22, 0x7f800000, v21, s0
	s_delay_alu instid0(VALU_DEP_1) | instskip(NEXT) | instid1(VALU_DEP_1)
	v_add_f32_e32 v23, 1.0, v22
	v_cvt_f64_f32_e32 v[20:21], v23
	s_delay_alu instid0(VALU_DEP_1) | instskip(SKIP_1) | instid1(VALU_DEP_1)
	v_frexp_exp_i32_f64_e32 v20, v[20:21]
	v_frexp_mant_f32_e32 v21, v23
	v_cmp_gt_f32_e64 s0, 0x3f2aaaab, v21
	v_add_f32_e32 v21, -1.0, v23
	s_delay_alu instid0(VALU_DEP_1)
	v_sub_f32_e32 v25, v21, v23
	v_sub_f32_e32 v21, v22, v21
	s_wait_alu 0xf1ff
	v_subrev_co_ci_u32_e64 v20, null, 0, v20, s0
	s_mov_b32 s0, 0x3e9b6dac
	v_sub_nc_u32_e32 v24, 0, v20
	v_cvt_f32_i32_e32 v20, v20
	s_delay_alu instid0(VALU_DEP_2) | instskip(NEXT) | instid1(VALU_DEP_1)
	v_ldexp_f32 v23, v23, v24
	v_dual_add_f32 v26, 1.0, v23 :: v_dual_add_f32 v25, 1.0, v25
	s_delay_alu instid0(VALU_DEP_1) | instskip(NEXT) | instid1(VALU_DEP_2)
	v_add_f32_e32 v21, v21, v25
	v_add_f32_e32 v25, -1.0, v26
	s_delay_alu instid0(VALU_DEP_2) | instskip(NEXT) | instid1(VALU_DEP_2)
	v_ldexp_f32 v21, v21, v24
	v_dual_add_f32 v24, -1.0, v23 :: v_dual_sub_f32 v25, v23, v25
	s_delay_alu instid0(VALU_DEP_1) | instskip(NEXT) | instid1(VALU_DEP_2)
	v_add_f32_e32 v27, 1.0, v24
	v_add_f32_e32 v25, v21, v25
	s_delay_alu instid0(VALU_DEP_2) | instskip(NEXT) | instid1(VALU_DEP_2)
	v_sub_f32_e32 v23, v23, v27
	v_add_f32_e32 v27, v26, v25
	s_delay_alu instid0(VALU_DEP_2) | instskip(NEXT) | instid1(VALU_DEP_2)
	v_add_f32_e32 v21, v21, v23
	v_rcp_f32_e32 v23, v27
	v_sub_f32_e32 v26, v26, v27
	s_delay_alu instid0(VALU_DEP_1) | instskip(NEXT) | instid1(VALU_DEP_1)
	v_dual_add_f32 v28, v24, v21 :: v_dual_add_f32 v25, v25, v26
	v_sub_f32_e32 v24, v24, v28
	s_delay_alu instid0(TRANS32_DEP_1) | instskip(NEXT) | instid1(VALU_DEP_1)
	v_mul_f32_e32 v29, v28, v23
	v_dual_add_f32 v21, v21, v24 :: v_dual_mul_f32 v30, v27, v29
	s_delay_alu instid0(VALU_DEP_1) | instskip(NEXT) | instid1(VALU_DEP_1)
	v_fma_f32 v26, v29, v27, -v30
	v_fmac_f32_e32 v26, v29, v25
	s_delay_alu instid0(VALU_DEP_1) | instskip(NEXT) | instid1(VALU_DEP_1)
	v_add_f32_e32 v31, v30, v26
	v_sub_f32_e32 v32, v28, v31
	v_sub_f32_e32 v24, v31, v30
	s_delay_alu instid0(VALU_DEP_2) | instskip(NEXT) | instid1(VALU_DEP_2)
	v_sub_f32_e32 v28, v28, v32
	v_sub_f32_e32 v24, v24, v26
	s_delay_alu instid0(VALU_DEP_2) | instskip(NEXT) | instid1(VALU_DEP_1)
	v_sub_f32_e32 v28, v28, v31
	v_add_f32_e32 v21, v21, v28
	s_delay_alu instid0(VALU_DEP_1) | instskip(NEXT) | instid1(VALU_DEP_1)
	v_add_f32_e32 v21, v24, v21
	v_add_f32_e32 v24, v32, v21
	s_delay_alu instid0(VALU_DEP_1) | instskip(NEXT) | instid1(VALU_DEP_1)
	v_mul_f32_e32 v26, v23, v24
	v_dual_sub_f32 v31, v32, v24 :: v_dual_mul_f32 v28, v27, v26
	s_delay_alu instid0(VALU_DEP_1) | instskip(NEXT) | instid1(VALU_DEP_2)
	v_add_f32_e32 v21, v21, v31
	v_fma_f32 v27, v26, v27, -v28
	s_delay_alu instid0(VALU_DEP_1) | instskip(NEXT) | instid1(VALU_DEP_1)
	v_fmac_f32_e32 v27, v26, v25
	v_add_f32_e32 v25, v28, v27
	s_delay_alu instid0(VALU_DEP_1) | instskip(SKIP_1) | instid1(VALU_DEP_2)
	v_sub_f32_e32 v30, v24, v25
	v_sub_f32_e32 v28, v25, v28
	;; [unrolled: 1-line block ×3, first 2 shown]
	s_delay_alu instid0(VALU_DEP_1) | instskip(NEXT) | instid1(VALU_DEP_3)
	v_sub_f32_e32 v24, v24, v25
	v_sub_f32_e32 v25, v28, v27
	s_delay_alu instid0(VALU_DEP_2) | instskip(SKIP_1) | instid1(VALU_DEP_2)
	v_add_f32_e32 v21, v21, v24
	v_add_f32_e32 v24, v29, v26
	;; [unrolled: 1-line block ×3, first 2 shown]
	s_delay_alu instid0(VALU_DEP_2) | instskip(NEXT) | instid1(VALU_DEP_2)
	v_sub_f32_e32 v25, v24, v29
	v_add_f32_e32 v21, v30, v21
	s_delay_alu instid0(VALU_DEP_2) | instskip(NEXT) | instid1(VALU_DEP_2)
	v_sub_f32_e32 v25, v26, v25
	v_mul_f32_e32 v21, v23, v21
	s_delay_alu instid0(VALU_DEP_1) | instskip(NEXT) | instid1(VALU_DEP_1)
	v_add_f32_e32 v21, v25, v21
	v_add_f32_e32 v23, v24, v21
	s_delay_alu instid0(VALU_DEP_1) | instskip(SKIP_1) | instid1(VALU_DEP_1)
	v_mul_f32_e32 v25, v23, v23
	s_wait_alu 0xfffe
	v_fmaak_f32 v26, s0, v25, 0x3ecc95a3
	v_mul_f32_e32 v27, v23, v25
	v_cmp_neq_f32_e64 s0, 0x7f800000, v22
	s_delay_alu instid0(VALU_DEP_3) | instskip(SKIP_2) | instid1(VALU_DEP_3)
	v_fmaak_f32 v25, v25, v26, 0x3f2aaada
	v_ldexp_f32 v26, v23, 1
	v_sub_f32_e32 v23, v23, v24
	v_mul_f32_e32 v25, v27, v25
	v_mul_f32_e32 v27, 0x3f317218, v20
	s_delay_alu instid0(VALU_DEP_2) | instskip(NEXT) | instid1(VALU_DEP_1)
	v_dual_sub_f32 v21, v21, v23 :: v_dual_add_f32 v24, v26, v25
	v_ldexp_f32 v21, v21, 1
	s_delay_alu instid0(VALU_DEP_2) | instskip(NEXT) | instid1(VALU_DEP_4)
	v_sub_f32_e32 v23, v24, v26
	v_fma_f32 v26, 0x3f317218, v20, -v27
	s_delay_alu instid0(VALU_DEP_1) | instskip(NEXT) | instid1(VALU_DEP_1)
	v_dual_sub_f32 v23, v25, v23 :: v_dual_fmamk_f32 v20, v20, 0xb102e308, v26
	v_add_f32_e32 v21, v21, v23
	s_delay_alu instid0(VALU_DEP_2) | instskip(NEXT) | instid1(VALU_DEP_2)
	v_add_f32_e32 v23, v27, v20
	v_add_f32_e32 v25, v24, v21
	s_delay_alu instid0(VALU_DEP_2) | instskip(NEXT) | instid1(VALU_DEP_2)
	v_sub_f32_e32 v27, v23, v27
	v_add_f32_e32 v26, v23, v25
	v_sub_f32_e32 v24, v25, v24
	s_delay_alu instid0(VALU_DEP_3) | instskip(NEXT) | instid1(VALU_DEP_2)
	v_sub_f32_e32 v20, v20, v27
	v_dual_sub_f32 v28, v26, v23 :: v_dual_sub_f32 v21, v21, v24
	s_delay_alu instid0(VALU_DEP_1) | instskip(NEXT) | instid1(VALU_DEP_2)
	v_sub_f32_e32 v29, v26, v28
	v_dual_sub_f32 v24, v25, v28 :: v_dual_add_f32 v25, v20, v21
	s_delay_alu instid0(VALU_DEP_2) | instskip(NEXT) | instid1(VALU_DEP_1)
	v_sub_f32_e32 v23, v23, v29
	v_dual_add_f32 v23, v24, v23 :: v_dual_sub_f32 v24, v25, v20
	s_delay_alu instid0(VALU_DEP_1) | instskip(NEXT) | instid1(VALU_DEP_2)
	v_add_f32_e32 v23, v25, v23
	v_sub_f32_e32 v25, v25, v24
	v_sub_f32_e32 v21, v21, v24
	s_delay_alu instid0(VALU_DEP_2) | instskip(NEXT) | instid1(VALU_DEP_1)
	v_dual_add_f32 v27, v26, v23 :: v_dual_sub_f32 v20, v20, v25
	v_sub_f32_e32 v24, v27, v26
	s_delay_alu instid0(VALU_DEP_2) | instskip(NEXT) | instid1(VALU_DEP_2)
	v_add_f32_e32 v20, v21, v20
	v_sub_f32_e32 v21, v23, v24
	s_delay_alu instid0(VALU_DEP_1) | instskip(NEXT) | instid1(VALU_DEP_1)
	v_add_f32_e32 v20, v20, v21
	v_add_f32_e32 v20, v27, v20
	s_wait_alu 0xf1ff
	s_delay_alu instid0(VALU_DEP_1) | instskip(SKIP_2) | instid1(VALU_DEP_1)
	v_cndmask_b32_e64 v20, 0x7f800000, v20, s0
	v_cmp_gt_f32_e64 s0, 0x33800000, |v22|
	s_wait_alu 0xf1ff
	v_cndmask_b32_e64 v20, v20, v22, s0
	s_delay_alu instid0(VALU_DEP_1)
	v_add_f32_e32 v20, v18, v20
.LBB110_33:
	s_wait_alu 0xfffe
	s_or_b32 exec_lo, exec_lo, s13
	s_delay_alu instid0(VALU_DEP_1)
	v_mov_b32_e32 v18, v20
.LBB110_34:
	s_wait_alu 0xfffe
	s_or_b32 exec_lo, exec_lo, s1
	s_delay_alu instid0(VALU_DEP_1)
	v_mov_b32_dpp v20, v18 row_shr:8 row_mask:0xf bank_mask:0xf
	s_mov_b32 s1, exec_lo
	v_cmpx_lt_u32_e32 7, v19
	s_cbranch_execz .LBB110_38
; %bb.35:
	v_max_num_f32_e32 v19, v18, v18
	v_max_num_f32_e32 v21, v20, v20
	v_cmp_u_f32_e64 s0, v20, v20
	s_delay_alu instid0(VALU_DEP_2) | instskip(SKIP_2) | instid1(VALU_DEP_2)
	v_min_num_f32_e32 v22, v21, v19
	v_max_num_f32_e32 v19, v21, v19
	s_wait_alu 0xf1ff
	v_cndmask_b32_e64 v21, v22, v20, s0
	s_delay_alu instid0(VALU_DEP_2) | instskip(SKIP_2) | instid1(VALU_DEP_1)
	v_cndmask_b32_e64 v22, v19, v20, s0
	v_cmp_u_f32_e64 s0, v18, v18
	s_wait_alu 0xf1ff
	v_cndmask_b32_e64 v19, v21, v18, s0
	s_delay_alu instid0(VALU_DEP_3) | instskip(NEXT) | instid1(VALU_DEP_2)
	v_cndmask_b32_e64 v18, v22, v18, s0
	v_cmp_class_f32_e64 s13, v19, 0x1f8
	s_delay_alu instid0(VALU_DEP_2)
	v_cmp_neq_f32_e64 s0, v19, v18
	s_or_b32 s0, s0, s13
	s_wait_alu 0xfffe
	s_and_saveexec_b32 s13, s0
	s_cbranch_execz .LBB110_37
; %bb.36:
	v_sub_f32_e32 v19, v19, v18
	s_delay_alu instid0(VALU_DEP_1) | instskip(NEXT) | instid1(VALU_DEP_1)
	v_mul_f32_e32 v20, 0x3fb8aa3b, v19
	v_fma_f32 v21, 0x3fb8aa3b, v19, -v20
	v_rndne_f32_e32 v22, v20
	s_delay_alu instid0(VALU_DEP_1) | instskip(NEXT) | instid1(VALU_DEP_1)
	v_dual_fmamk_f32 v21, v19, 0x32a5705f, v21 :: v_dual_sub_f32 v20, v20, v22
	v_add_f32_e32 v20, v20, v21
	v_cvt_i32_f32_e32 v21, v22
	v_cmp_ngt_f32_e64 s0, 0xc2ce8ed0, v19
	s_delay_alu instid0(VALU_DEP_3) | instskip(NEXT) | instid1(TRANS32_DEP_1)
	v_exp_f32_e32 v20, v20
	v_ldexp_f32 v20, v20, v21
	s_wait_alu 0xf1ff
	s_delay_alu instid0(VALU_DEP_1) | instskip(SKIP_2) | instid1(VALU_DEP_1)
	v_cndmask_b32_e64 v20, 0, v20, s0
	v_cmp_nlt_f32_e64 s0, 0x42b17218, v19
	s_wait_alu 0xf1ff
	v_cndmask_b32_e64 v21, 0x7f800000, v20, s0
	s_delay_alu instid0(VALU_DEP_1) | instskip(NEXT) | instid1(VALU_DEP_1)
	v_add_f32_e32 v22, 1.0, v21
	v_cvt_f64_f32_e32 v[19:20], v22
	s_delay_alu instid0(VALU_DEP_1) | instskip(SKIP_1) | instid1(VALU_DEP_1)
	v_frexp_exp_i32_f64_e32 v19, v[19:20]
	v_frexp_mant_f32_e32 v20, v22
	v_cmp_gt_f32_e64 s0, 0x3f2aaaab, v20
	v_add_f32_e32 v20, -1.0, v22
	s_delay_alu instid0(VALU_DEP_1) | instskip(SKIP_1) | instid1(VALU_DEP_3)
	v_sub_f32_e32 v24, v20, v22
	s_wait_alu 0xf1ff
	v_subrev_co_ci_u32_e64 v19, null, 0, v19, s0
	s_mov_b32 s0, 0x3e9b6dac
	v_sub_nc_u32_e32 v23, 0, v19
	v_cvt_f32_i32_e32 v19, v19
	s_delay_alu instid0(VALU_DEP_2) | instskip(NEXT) | instid1(VALU_DEP_1)
	v_ldexp_f32 v22, v22, v23
	v_dual_sub_f32 v20, v21, v20 :: v_dual_add_f32 v25, 1.0, v22
	v_add_f32_e32 v24, 1.0, v24
	s_delay_alu instid0(VALU_DEP_1) | instskip(NEXT) | instid1(VALU_DEP_3)
	v_add_f32_e32 v20, v20, v24
	v_add_f32_e32 v24, -1.0, v25
	s_delay_alu instid0(VALU_DEP_2) | instskip(NEXT) | instid1(VALU_DEP_2)
	v_ldexp_f32 v20, v20, v23
	v_dual_add_f32 v23, -1.0, v22 :: v_dual_sub_f32 v24, v22, v24
	s_delay_alu instid0(VALU_DEP_1) | instskip(NEXT) | instid1(VALU_DEP_2)
	v_add_f32_e32 v26, 1.0, v23
	v_add_f32_e32 v24, v20, v24
	s_delay_alu instid0(VALU_DEP_2) | instskip(NEXT) | instid1(VALU_DEP_2)
	v_sub_f32_e32 v22, v22, v26
	v_add_f32_e32 v26, v25, v24
	s_delay_alu instid0(VALU_DEP_2) | instskip(NEXT) | instid1(VALU_DEP_2)
	v_add_f32_e32 v20, v20, v22
	v_rcp_f32_e32 v22, v26
	v_sub_f32_e32 v25, v25, v26
	s_delay_alu instid0(VALU_DEP_1) | instskip(NEXT) | instid1(VALU_DEP_1)
	v_dual_add_f32 v27, v23, v20 :: v_dual_add_f32 v24, v24, v25
	v_sub_f32_e32 v23, v23, v27
	s_delay_alu instid0(TRANS32_DEP_1) | instskip(NEXT) | instid1(VALU_DEP_1)
	v_mul_f32_e32 v28, v27, v22
	v_dual_add_f32 v20, v20, v23 :: v_dual_mul_f32 v29, v26, v28
	s_delay_alu instid0(VALU_DEP_1) | instskip(NEXT) | instid1(VALU_DEP_1)
	v_fma_f32 v25, v28, v26, -v29
	v_fmac_f32_e32 v25, v28, v24
	s_delay_alu instid0(VALU_DEP_1) | instskip(NEXT) | instid1(VALU_DEP_1)
	v_add_f32_e32 v30, v29, v25
	v_sub_f32_e32 v31, v27, v30
	v_sub_f32_e32 v23, v30, v29
	s_delay_alu instid0(VALU_DEP_2) | instskip(NEXT) | instid1(VALU_DEP_2)
	v_sub_f32_e32 v27, v27, v31
	v_sub_f32_e32 v23, v23, v25
	s_delay_alu instid0(VALU_DEP_2) | instskip(NEXT) | instid1(VALU_DEP_1)
	v_sub_f32_e32 v27, v27, v30
	v_add_f32_e32 v20, v20, v27
	s_delay_alu instid0(VALU_DEP_1) | instskip(NEXT) | instid1(VALU_DEP_1)
	v_add_f32_e32 v20, v23, v20
	v_add_f32_e32 v23, v31, v20
	s_delay_alu instid0(VALU_DEP_1) | instskip(NEXT) | instid1(VALU_DEP_1)
	v_mul_f32_e32 v25, v22, v23
	v_dual_sub_f32 v30, v31, v23 :: v_dual_mul_f32 v27, v26, v25
	s_delay_alu instid0(VALU_DEP_1) | instskip(NEXT) | instid1(VALU_DEP_2)
	v_add_f32_e32 v20, v20, v30
	v_fma_f32 v26, v25, v26, -v27
	s_delay_alu instid0(VALU_DEP_1) | instskip(NEXT) | instid1(VALU_DEP_1)
	v_fmac_f32_e32 v26, v25, v24
	v_add_f32_e32 v24, v27, v26
	s_delay_alu instid0(VALU_DEP_1) | instskip(SKIP_1) | instid1(VALU_DEP_2)
	v_sub_f32_e32 v29, v23, v24
	v_sub_f32_e32 v27, v24, v27
	;; [unrolled: 1-line block ×3, first 2 shown]
	s_delay_alu instid0(VALU_DEP_1) | instskip(NEXT) | instid1(VALU_DEP_3)
	v_sub_f32_e32 v23, v23, v24
	v_sub_f32_e32 v24, v27, v26
	s_delay_alu instid0(VALU_DEP_2) | instskip(SKIP_1) | instid1(VALU_DEP_2)
	v_add_f32_e32 v20, v20, v23
	v_add_f32_e32 v23, v28, v25
	;; [unrolled: 1-line block ×3, first 2 shown]
	s_delay_alu instid0(VALU_DEP_2) | instskip(NEXT) | instid1(VALU_DEP_2)
	v_sub_f32_e32 v24, v23, v28
	v_add_f32_e32 v20, v29, v20
	s_delay_alu instid0(VALU_DEP_2) | instskip(NEXT) | instid1(VALU_DEP_2)
	v_sub_f32_e32 v24, v25, v24
	v_mul_f32_e32 v20, v22, v20
	s_delay_alu instid0(VALU_DEP_1) | instskip(NEXT) | instid1(VALU_DEP_1)
	v_add_f32_e32 v20, v24, v20
	v_add_f32_e32 v22, v23, v20
	s_delay_alu instid0(VALU_DEP_1) | instskip(SKIP_1) | instid1(VALU_DEP_1)
	v_mul_f32_e32 v24, v22, v22
	s_wait_alu 0xfffe
	v_fmaak_f32 v25, s0, v24, 0x3ecc95a3
	v_mul_f32_e32 v26, v22, v24
	v_cmp_neq_f32_e64 s0, 0x7f800000, v21
	s_delay_alu instid0(VALU_DEP_3) | instskip(SKIP_2) | instid1(VALU_DEP_3)
	v_fmaak_f32 v24, v24, v25, 0x3f2aaada
	v_ldexp_f32 v25, v22, 1
	v_sub_f32_e32 v22, v22, v23
	v_mul_f32_e32 v24, v26, v24
	v_mul_f32_e32 v26, 0x3f317218, v19
	s_delay_alu instid0(VALU_DEP_2) | instskip(NEXT) | instid1(VALU_DEP_1)
	v_dual_sub_f32 v20, v20, v22 :: v_dual_add_f32 v23, v25, v24
	v_ldexp_f32 v20, v20, 1
	s_delay_alu instid0(VALU_DEP_2) | instskip(NEXT) | instid1(VALU_DEP_4)
	v_sub_f32_e32 v22, v23, v25
	v_fma_f32 v25, 0x3f317218, v19, -v26
	s_delay_alu instid0(VALU_DEP_1) | instskip(NEXT) | instid1(VALU_DEP_1)
	v_dual_sub_f32 v22, v24, v22 :: v_dual_fmamk_f32 v19, v19, 0xb102e308, v25
	v_add_f32_e32 v20, v20, v22
	s_delay_alu instid0(VALU_DEP_2) | instskip(NEXT) | instid1(VALU_DEP_2)
	v_add_f32_e32 v22, v26, v19
	v_add_f32_e32 v24, v23, v20
	s_delay_alu instid0(VALU_DEP_2) | instskip(NEXT) | instid1(VALU_DEP_2)
	v_sub_f32_e32 v26, v22, v26
	v_add_f32_e32 v25, v22, v24
	v_sub_f32_e32 v23, v24, v23
	s_delay_alu instid0(VALU_DEP_3) | instskip(NEXT) | instid1(VALU_DEP_2)
	v_sub_f32_e32 v19, v19, v26
	v_dual_sub_f32 v27, v25, v22 :: v_dual_sub_f32 v20, v20, v23
	s_delay_alu instid0(VALU_DEP_1) | instskip(NEXT) | instid1(VALU_DEP_2)
	v_sub_f32_e32 v28, v25, v27
	v_dual_sub_f32 v23, v24, v27 :: v_dual_add_f32 v24, v19, v20
	s_delay_alu instid0(VALU_DEP_2) | instskip(NEXT) | instid1(VALU_DEP_1)
	v_sub_f32_e32 v22, v22, v28
	v_dual_add_f32 v22, v23, v22 :: v_dual_sub_f32 v23, v24, v19
	s_delay_alu instid0(VALU_DEP_1) | instskip(NEXT) | instid1(VALU_DEP_2)
	v_add_f32_e32 v22, v24, v22
	v_sub_f32_e32 v24, v24, v23
	v_sub_f32_e32 v20, v20, v23
	s_delay_alu instid0(VALU_DEP_2) | instskip(NEXT) | instid1(VALU_DEP_1)
	v_dual_add_f32 v26, v25, v22 :: v_dual_sub_f32 v19, v19, v24
	v_sub_f32_e32 v23, v26, v25
	s_delay_alu instid0(VALU_DEP_2) | instskip(NEXT) | instid1(VALU_DEP_2)
	v_add_f32_e32 v19, v20, v19
	v_sub_f32_e32 v20, v22, v23
	s_delay_alu instid0(VALU_DEP_1) | instskip(NEXT) | instid1(VALU_DEP_1)
	v_add_f32_e32 v19, v19, v20
	v_add_f32_e32 v19, v26, v19
	s_wait_alu 0xf1ff
	s_delay_alu instid0(VALU_DEP_1) | instskip(SKIP_2) | instid1(VALU_DEP_1)
	v_cndmask_b32_e64 v19, 0x7f800000, v19, s0
	v_cmp_gt_f32_e64 s0, 0x33800000, |v21|
	s_wait_alu 0xf1ff
	v_cndmask_b32_e64 v19, v19, v21, s0
	s_delay_alu instid0(VALU_DEP_1)
	v_add_f32_e32 v20, v18, v19
.LBB110_37:
	s_wait_alu 0xfffe
	s_or_b32 exec_lo, exec_lo, s13
	s_delay_alu instid0(VALU_DEP_1)
	v_mov_b32_e32 v18, v20
.LBB110_38:
	s_wait_alu 0xfffe
	s_or_b32 exec_lo, exec_lo, s1
	ds_swizzle_b32 v19, v18 offset:swizzle(BROADCAST,32,15)
	v_and_b32_e32 v20, 16, v17
	s_mov_b32 s1, exec_lo
	s_delay_alu instid0(VALU_DEP_1)
	v_cmpx_ne_u32_e32 0, v20
	s_cbranch_execz .LBB110_42
; %bb.39:
	s_wait_dscnt 0x0
	v_dual_max_num_f32 v20, v18, v18 :: v_dual_max_num_f32 v21, v19, v19
	v_cmp_u_f32_e64 s0, v19, v19
	s_delay_alu instid0(VALU_DEP_2) | instskip(SKIP_2) | instid1(VALU_DEP_2)
	v_min_num_f32_e32 v22, v21, v20
	v_max_num_f32_e32 v20, v21, v20
	s_wait_alu 0xf1ff
	v_cndmask_b32_e64 v21, v22, v19, s0
	s_delay_alu instid0(VALU_DEP_2) | instskip(SKIP_2) | instid1(VALU_DEP_1)
	v_cndmask_b32_e64 v22, v20, v19, s0
	v_cmp_u_f32_e64 s0, v18, v18
	s_wait_alu 0xf1ff
	v_cndmask_b32_e64 v20, v21, v18, s0
	s_delay_alu instid0(VALU_DEP_3) | instskip(NEXT) | instid1(VALU_DEP_2)
	v_cndmask_b32_e64 v18, v22, v18, s0
	v_cmp_class_f32_e64 s13, v20, 0x1f8
	s_delay_alu instid0(VALU_DEP_2)
	v_cmp_neq_f32_e64 s0, v20, v18
	s_or_b32 s0, s0, s13
	s_wait_alu 0xfffe
	s_and_saveexec_b32 s13, s0
	s_cbranch_execz .LBB110_41
; %bb.40:
	v_sub_f32_e32 v19, v20, v18
	s_delay_alu instid0(VALU_DEP_1) | instskip(SKIP_1) | instid1(VALU_DEP_2)
	v_mul_f32_e32 v20, 0x3fb8aa3b, v19
	v_cmp_ngt_f32_e64 s0, 0xc2ce8ed0, v19
	v_fma_f32 v21, 0x3fb8aa3b, v19, -v20
	v_rndne_f32_e32 v22, v20
	s_delay_alu instid0(VALU_DEP_1) | instskip(NEXT) | instid1(VALU_DEP_1)
	v_dual_fmamk_f32 v21, v19, 0x32a5705f, v21 :: v_dual_sub_f32 v20, v20, v22
	v_add_f32_e32 v20, v20, v21
	v_cvt_i32_f32_e32 v21, v22
	s_delay_alu instid0(VALU_DEP_2) | instskip(NEXT) | instid1(TRANS32_DEP_1)
	v_exp_f32_e32 v20, v20
	v_ldexp_f32 v20, v20, v21
	s_wait_alu 0xf1ff
	s_delay_alu instid0(VALU_DEP_1) | instskip(SKIP_2) | instid1(VALU_DEP_1)
	v_cndmask_b32_e64 v20, 0, v20, s0
	v_cmp_nlt_f32_e64 s0, 0x42b17218, v19
	s_wait_alu 0xf1ff
	v_cndmask_b32_e64 v21, 0x7f800000, v20, s0
	s_delay_alu instid0(VALU_DEP_1) | instskip(NEXT) | instid1(VALU_DEP_1)
	v_add_f32_e32 v22, 1.0, v21
	v_cvt_f64_f32_e32 v[19:20], v22
	s_delay_alu instid0(VALU_DEP_1) | instskip(SKIP_1) | instid1(VALU_DEP_1)
	v_frexp_exp_i32_f64_e32 v19, v[19:20]
	v_frexp_mant_f32_e32 v20, v22
	v_cmp_gt_f32_e64 s0, 0x3f2aaaab, v20
	v_add_f32_e32 v20, -1.0, v22
	s_delay_alu instid0(VALU_DEP_1)
	v_sub_f32_e32 v24, v20, v22
	v_sub_f32_e32 v20, v21, v20
	s_wait_alu 0xf1ff
	v_subrev_co_ci_u32_e64 v19, null, 0, v19, s0
	s_mov_b32 s0, 0x3e9b6dac
	v_sub_nc_u32_e32 v23, 0, v19
	v_cvt_f32_i32_e32 v19, v19
	s_delay_alu instid0(VALU_DEP_2) | instskip(NEXT) | instid1(VALU_DEP_1)
	v_ldexp_f32 v22, v22, v23
	v_dual_add_f32 v25, 1.0, v22 :: v_dual_add_f32 v24, 1.0, v24
	s_delay_alu instid0(VALU_DEP_1) | instskip(NEXT) | instid1(VALU_DEP_2)
	v_add_f32_e32 v20, v20, v24
	v_add_f32_e32 v24, -1.0, v25
	s_delay_alu instid0(VALU_DEP_2) | instskip(NEXT) | instid1(VALU_DEP_2)
	v_ldexp_f32 v20, v20, v23
	v_dual_add_f32 v23, -1.0, v22 :: v_dual_sub_f32 v24, v22, v24
	s_delay_alu instid0(VALU_DEP_1) | instskip(NEXT) | instid1(VALU_DEP_2)
	v_add_f32_e32 v26, 1.0, v23
	v_add_f32_e32 v24, v20, v24
	s_delay_alu instid0(VALU_DEP_2) | instskip(NEXT) | instid1(VALU_DEP_2)
	v_sub_f32_e32 v22, v22, v26
	v_add_f32_e32 v26, v25, v24
	s_delay_alu instid0(VALU_DEP_2) | instskip(NEXT) | instid1(VALU_DEP_2)
	v_add_f32_e32 v20, v20, v22
	v_rcp_f32_e32 v22, v26
	v_sub_f32_e32 v25, v25, v26
	s_delay_alu instid0(VALU_DEP_1) | instskip(NEXT) | instid1(VALU_DEP_1)
	v_dual_add_f32 v27, v23, v20 :: v_dual_add_f32 v24, v24, v25
	v_sub_f32_e32 v23, v23, v27
	s_delay_alu instid0(TRANS32_DEP_1) | instskip(NEXT) | instid1(VALU_DEP_1)
	v_mul_f32_e32 v28, v27, v22
	v_dual_add_f32 v20, v20, v23 :: v_dual_mul_f32 v29, v26, v28
	s_delay_alu instid0(VALU_DEP_1) | instskip(NEXT) | instid1(VALU_DEP_1)
	v_fma_f32 v25, v28, v26, -v29
	v_fmac_f32_e32 v25, v28, v24
	s_delay_alu instid0(VALU_DEP_1) | instskip(NEXT) | instid1(VALU_DEP_1)
	v_add_f32_e32 v30, v29, v25
	v_sub_f32_e32 v31, v27, v30
	v_sub_f32_e32 v23, v30, v29
	s_delay_alu instid0(VALU_DEP_2) | instskip(NEXT) | instid1(VALU_DEP_2)
	v_sub_f32_e32 v27, v27, v31
	v_sub_f32_e32 v23, v23, v25
	s_delay_alu instid0(VALU_DEP_2) | instskip(NEXT) | instid1(VALU_DEP_1)
	v_sub_f32_e32 v27, v27, v30
	v_add_f32_e32 v20, v20, v27
	s_delay_alu instid0(VALU_DEP_1) | instskip(NEXT) | instid1(VALU_DEP_1)
	v_add_f32_e32 v20, v23, v20
	v_add_f32_e32 v23, v31, v20
	s_delay_alu instid0(VALU_DEP_1) | instskip(NEXT) | instid1(VALU_DEP_1)
	v_mul_f32_e32 v25, v22, v23
	v_dual_sub_f32 v30, v31, v23 :: v_dual_mul_f32 v27, v26, v25
	s_delay_alu instid0(VALU_DEP_1) | instskip(NEXT) | instid1(VALU_DEP_2)
	v_add_f32_e32 v20, v20, v30
	v_fma_f32 v26, v25, v26, -v27
	s_delay_alu instid0(VALU_DEP_1) | instskip(NEXT) | instid1(VALU_DEP_1)
	v_fmac_f32_e32 v26, v25, v24
	v_add_f32_e32 v24, v27, v26
	s_delay_alu instid0(VALU_DEP_1) | instskip(SKIP_1) | instid1(VALU_DEP_2)
	v_sub_f32_e32 v29, v23, v24
	v_sub_f32_e32 v27, v24, v27
	;; [unrolled: 1-line block ×3, first 2 shown]
	s_delay_alu instid0(VALU_DEP_1) | instskip(NEXT) | instid1(VALU_DEP_3)
	v_sub_f32_e32 v23, v23, v24
	v_sub_f32_e32 v24, v27, v26
	s_delay_alu instid0(VALU_DEP_2) | instskip(SKIP_1) | instid1(VALU_DEP_2)
	v_add_f32_e32 v20, v20, v23
	v_add_f32_e32 v23, v28, v25
	;; [unrolled: 1-line block ×3, first 2 shown]
	s_delay_alu instid0(VALU_DEP_2) | instskip(NEXT) | instid1(VALU_DEP_2)
	v_sub_f32_e32 v24, v23, v28
	v_add_f32_e32 v20, v29, v20
	s_delay_alu instid0(VALU_DEP_2) | instskip(NEXT) | instid1(VALU_DEP_2)
	v_sub_f32_e32 v24, v25, v24
	v_mul_f32_e32 v20, v22, v20
	s_delay_alu instid0(VALU_DEP_1) | instskip(NEXT) | instid1(VALU_DEP_1)
	v_add_f32_e32 v20, v24, v20
	v_add_f32_e32 v22, v23, v20
	s_delay_alu instid0(VALU_DEP_1) | instskip(SKIP_1) | instid1(VALU_DEP_1)
	v_mul_f32_e32 v24, v22, v22
	s_wait_alu 0xfffe
	v_fmaak_f32 v25, s0, v24, 0x3ecc95a3
	v_mul_f32_e32 v26, v22, v24
	v_cmp_neq_f32_e64 s0, 0x7f800000, v21
	s_delay_alu instid0(VALU_DEP_3) | instskip(SKIP_2) | instid1(VALU_DEP_3)
	v_fmaak_f32 v24, v24, v25, 0x3f2aaada
	v_ldexp_f32 v25, v22, 1
	v_sub_f32_e32 v22, v22, v23
	v_mul_f32_e32 v24, v26, v24
	v_mul_f32_e32 v26, 0x3f317218, v19
	s_delay_alu instid0(VALU_DEP_2) | instskip(NEXT) | instid1(VALU_DEP_1)
	v_dual_sub_f32 v20, v20, v22 :: v_dual_add_f32 v23, v25, v24
	v_ldexp_f32 v20, v20, 1
	s_delay_alu instid0(VALU_DEP_2) | instskip(NEXT) | instid1(VALU_DEP_4)
	v_sub_f32_e32 v22, v23, v25
	v_fma_f32 v25, 0x3f317218, v19, -v26
	s_delay_alu instid0(VALU_DEP_1) | instskip(NEXT) | instid1(VALU_DEP_1)
	v_dual_sub_f32 v22, v24, v22 :: v_dual_fmamk_f32 v19, v19, 0xb102e308, v25
	v_add_f32_e32 v20, v20, v22
	s_delay_alu instid0(VALU_DEP_2) | instskip(NEXT) | instid1(VALU_DEP_2)
	v_add_f32_e32 v22, v26, v19
	v_add_f32_e32 v24, v23, v20
	s_delay_alu instid0(VALU_DEP_2) | instskip(NEXT) | instid1(VALU_DEP_2)
	v_sub_f32_e32 v26, v22, v26
	v_add_f32_e32 v25, v22, v24
	v_sub_f32_e32 v23, v24, v23
	s_delay_alu instid0(VALU_DEP_3) | instskip(NEXT) | instid1(VALU_DEP_2)
	v_sub_f32_e32 v19, v19, v26
	v_dual_sub_f32 v27, v25, v22 :: v_dual_sub_f32 v20, v20, v23
	s_delay_alu instid0(VALU_DEP_1) | instskip(NEXT) | instid1(VALU_DEP_2)
	v_sub_f32_e32 v28, v25, v27
	v_dual_sub_f32 v23, v24, v27 :: v_dual_add_f32 v24, v19, v20
	s_delay_alu instid0(VALU_DEP_2) | instskip(NEXT) | instid1(VALU_DEP_1)
	v_sub_f32_e32 v22, v22, v28
	v_dual_add_f32 v22, v23, v22 :: v_dual_sub_f32 v23, v24, v19
	s_delay_alu instid0(VALU_DEP_1) | instskip(NEXT) | instid1(VALU_DEP_2)
	v_add_f32_e32 v22, v24, v22
	v_sub_f32_e32 v24, v24, v23
	v_sub_f32_e32 v20, v20, v23
	s_delay_alu instid0(VALU_DEP_2) | instskip(NEXT) | instid1(VALU_DEP_1)
	v_dual_add_f32 v26, v25, v22 :: v_dual_sub_f32 v19, v19, v24
	v_sub_f32_e32 v23, v26, v25
	s_delay_alu instid0(VALU_DEP_2) | instskip(NEXT) | instid1(VALU_DEP_2)
	v_add_f32_e32 v19, v20, v19
	v_sub_f32_e32 v20, v22, v23
	s_delay_alu instid0(VALU_DEP_1) | instskip(NEXT) | instid1(VALU_DEP_1)
	v_add_f32_e32 v19, v19, v20
	v_add_f32_e32 v19, v26, v19
	s_wait_alu 0xf1ff
	s_delay_alu instid0(VALU_DEP_1) | instskip(SKIP_2) | instid1(VALU_DEP_1)
	v_cndmask_b32_e64 v19, 0x7f800000, v19, s0
	v_cmp_gt_f32_e64 s0, 0x33800000, |v21|
	s_wait_alu 0xf1ff
	v_cndmask_b32_e64 v19, v19, v21, s0
	s_delay_alu instid0(VALU_DEP_1)
	v_add_f32_e32 v19, v18, v19
.LBB110_41:
	s_wait_alu 0xfffe
	s_or_b32 exec_lo, exec_lo, s13
	s_delay_alu instid0(VALU_DEP_1)
	v_mov_b32_e32 v18, v19
.LBB110_42:
	s_wait_alu 0xfffe
	s_or_b32 exec_lo, exec_lo, s1
	v_or_b32_e32 v20, 31, v0
	s_wait_dscnt 0x0
	v_lshrrev_b32_e32 v19, 5, v0
	s_mov_b32 s1, exec_lo
	s_delay_alu instid0(VALU_DEP_2)
	v_cmpx_eq_u32_e64 v0, v20
; %bb.43:
	s_delay_alu instid0(VALU_DEP_2)
	v_lshlrev_b32_e32 v20, 2, v19
	ds_store_b32 v20, v18
; %bb.44:
	s_wait_alu 0xfffe
	s_or_b32 exec_lo, exec_lo, s1
	s_delay_alu instid0(SALU_CYCLE_1)
	s_mov_b32 s1, exec_lo
	s_wait_loadcnt_dscnt 0x0
	s_barrier_signal -1
	s_barrier_wait -1
	global_inv scope:SCOPE_SE
	v_cmpx_gt_u32_e32 8, v0
	s_cbranch_execz .LBB110_58
; %bb.45:
	ds_load_b32 v21, v7
	v_and_b32_e32 v20, 7, v17
	s_mov_b32 s13, exec_lo
	s_wait_dscnt 0x0
	v_mov_b32_dpp v22, v21 row_shr:1 row_mask:0xf bank_mask:0xf
	s_delay_alu instid0(VALU_DEP_2)
	v_cmpx_ne_u32_e32 0, v20
	s_cbranch_execz .LBB110_49
; %bb.46:
	s_delay_alu instid0(VALU_DEP_2) | instskip(SKIP_1) | instid1(VALU_DEP_2)
	v_dual_max_num_f32 v23, v21, v21 :: v_dual_max_num_f32 v24, v22, v22
	v_cmp_u_f32_e64 s0, v22, v22
	v_min_num_f32_e32 v25, v24, v23
	v_max_num_f32_e32 v23, v24, v23
	s_wait_alu 0xf1ff
	s_delay_alu instid0(VALU_DEP_2) | instskip(NEXT) | instid1(VALU_DEP_2)
	v_cndmask_b32_e64 v24, v25, v22, s0
	v_cndmask_b32_e64 v25, v23, v22, s0
	v_cmp_u_f32_e64 s0, v21, v21
	s_wait_alu 0xf1ff
	s_delay_alu instid0(VALU_DEP_1) | instskip(NEXT) | instid1(VALU_DEP_3)
	v_cndmask_b32_e64 v23, v24, v21, s0
	v_cndmask_b32_e64 v21, v25, v21, s0
	s_delay_alu instid0(VALU_DEP_2) | instskip(NEXT) | instid1(VALU_DEP_2)
	v_cmp_class_f32_e64 s16, v23, 0x1f8
	v_cmp_neq_f32_e64 s0, v23, v21
	s_or_b32 s0, s0, s16
	s_wait_alu 0xfffe
	s_and_saveexec_b32 s16, s0
	s_cbranch_execz .LBB110_48
; %bb.47:
	v_sub_f32_e32 v22, v23, v21
	s_delay_alu instid0(VALU_DEP_1) | instskip(SKIP_1) | instid1(VALU_DEP_2)
	v_mul_f32_e32 v23, 0x3fb8aa3b, v22
	v_cmp_ngt_f32_e64 s0, 0xc2ce8ed0, v22
	v_fma_f32 v24, 0x3fb8aa3b, v22, -v23
	v_rndne_f32_e32 v25, v23
	s_delay_alu instid0(VALU_DEP_1) | instskip(NEXT) | instid1(VALU_DEP_1)
	v_dual_fmamk_f32 v24, v22, 0x32a5705f, v24 :: v_dual_sub_f32 v23, v23, v25
	v_add_f32_e32 v23, v23, v24
	v_cvt_i32_f32_e32 v24, v25
	s_delay_alu instid0(VALU_DEP_2) | instskip(NEXT) | instid1(TRANS32_DEP_1)
	v_exp_f32_e32 v23, v23
	v_ldexp_f32 v23, v23, v24
	s_wait_alu 0xf1ff
	s_delay_alu instid0(VALU_DEP_1) | instskip(SKIP_2) | instid1(VALU_DEP_1)
	v_cndmask_b32_e64 v23, 0, v23, s0
	v_cmp_nlt_f32_e64 s0, 0x42b17218, v22
	s_wait_alu 0xf1ff
	v_cndmask_b32_e64 v24, 0x7f800000, v23, s0
	s_delay_alu instid0(VALU_DEP_1) | instskip(NEXT) | instid1(VALU_DEP_1)
	v_add_f32_e32 v25, 1.0, v24
	v_cvt_f64_f32_e32 v[22:23], v25
	s_delay_alu instid0(VALU_DEP_1) | instskip(SKIP_1) | instid1(VALU_DEP_1)
	v_frexp_exp_i32_f64_e32 v22, v[22:23]
	v_frexp_mant_f32_e32 v23, v25
	v_cmp_gt_f32_e64 s0, 0x3f2aaaab, v23
	v_add_f32_e32 v23, -1.0, v25
	s_delay_alu instid0(VALU_DEP_1)
	v_sub_f32_e32 v27, v23, v25
	v_sub_f32_e32 v23, v24, v23
	s_wait_alu 0xf1ff
	v_subrev_co_ci_u32_e64 v22, null, 0, v22, s0
	s_mov_b32 s0, 0x3e9b6dac
	v_sub_nc_u32_e32 v26, 0, v22
	v_cvt_f32_i32_e32 v22, v22
	s_delay_alu instid0(VALU_DEP_2) | instskip(NEXT) | instid1(VALU_DEP_1)
	v_ldexp_f32 v25, v25, v26
	v_dual_add_f32 v28, 1.0, v25 :: v_dual_add_f32 v27, 1.0, v27
	s_delay_alu instid0(VALU_DEP_1) | instskip(NEXT) | instid1(VALU_DEP_2)
	v_add_f32_e32 v23, v23, v27
	v_add_f32_e32 v27, -1.0, v28
	s_delay_alu instid0(VALU_DEP_2) | instskip(NEXT) | instid1(VALU_DEP_2)
	v_ldexp_f32 v23, v23, v26
	v_dual_add_f32 v26, -1.0, v25 :: v_dual_sub_f32 v27, v25, v27
	s_delay_alu instid0(VALU_DEP_1) | instskip(NEXT) | instid1(VALU_DEP_2)
	v_add_f32_e32 v29, 1.0, v26
	v_add_f32_e32 v27, v23, v27
	s_delay_alu instid0(VALU_DEP_2) | instskip(NEXT) | instid1(VALU_DEP_2)
	v_sub_f32_e32 v25, v25, v29
	v_add_f32_e32 v29, v28, v27
	s_delay_alu instid0(VALU_DEP_2) | instskip(NEXT) | instid1(VALU_DEP_2)
	v_add_f32_e32 v23, v23, v25
	v_rcp_f32_e32 v25, v29
	v_sub_f32_e32 v28, v28, v29
	s_delay_alu instid0(VALU_DEP_1) | instskip(NEXT) | instid1(VALU_DEP_1)
	v_dual_add_f32 v30, v26, v23 :: v_dual_add_f32 v27, v27, v28
	v_sub_f32_e32 v26, v26, v30
	s_delay_alu instid0(TRANS32_DEP_1) | instskip(NEXT) | instid1(VALU_DEP_1)
	v_mul_f32_e32 v31, v30, v25
	v_dual_add_f32 v23, v23, v26 :: v_dual_mul_f32 v32, v29, v31
	s_delay_alu instid0(VALU_DEP_1) | instskip(NEXT) | instid1(VALU_DEP_1)
	v_fma_f32 v28, v31, v29, -v32
	v_fmac_f32_e32 v28, v31, v27
	s_delay_alu instid0(VALU_DEP_1) | instskip(NEXT) | instid1(VALU_DEP_1)
	v_add_f32_e32 v33, v32, v28
	v_sub_f32_e32 v34, v30, v33
	v_sub_f32_e32 v26, v33, v32
	s_delay_alu instid0(VALU_DEP_2) | instskip(NEXT) | instid1(VALU_DEP_2)
	v_sub_f32_e32 v30, v30, v34
	v_sub_f32_e32 v26, v26, v28
	s_delay_alu instid0(VALU_DEP_2) | instskip(NEXT) | instid1(VALU_DEP_1)
	v_sub_f32_e32 v30, v30, v33
	v_add_f32_e32 v23, v23, v30
	s_delay_alu instid0(VALU_DEP_1) | instskip(NEXT) | instid1(VALU_DEP_1)
	v_add_f32_e32 v23, v26, v23
	v_add_f32_e32 v26, v34, v23
	s_delay_alu instid0(VALU_DEP_1) | instskip(NEXT) | instid1(VALU_DEP_1)
	v_mul_f32_e32 v28, v25, v26
	v_dual_sub_f32 v33, v34, v26 :: v_dual_mul_f32 v30, v29, v28
	s_delay_alu instid0(VALU_DEP_1) | instskip(NEXT) | instid1(VALU_DEP_2)
	v_add_f32_e32 v23, v23, v33
	v_fma_f32 v29, v28, v29, -v30
	s_delay_alu instid0(VALU_DEP_1) | instskip(NEXT) | instid1(VALU_DEP_1)
	v_fmac_f32_e32 v29, v28, v27
	v_add_f32_e32 v27, v30, v29
	s_delay_alu instid0(VALU_DEP_1) | instskip(SKIP_1) | instid1(VALU_DEP_2)
	v_sub_f32_e32 v32, v26, v27
	v_sub_f32_e32 v30, v27, v30
	;; [unrolled: 1-line block ×3, first 2 shown]
	s_delay_alu instid0(VALU_DEP_1) | instskip(NEXT) | instid1(VALU_DEP_3)
	v_sub_f32_e32 v26, v26, v27
	v_sub_f32_e32 v27, v30, v29
	s_delay_alu instid0(VALU_DEP_2) | instskip(SKIP_1) | instid1(VALU_DEP_2)
	v_add_f32_e32 v23, v23, v26
	v_add_f32_e32 v26, v31, v28
	;; [unrolled: 1-line block ×3, first 2 shown]
	s_delay_alu instid0(VALU_DEP_2) | instskip(NEXT) | instid1(VALU_DEP_2)
	v_sub_f32_e32 v27, v26, v31
	v_add_f32_e32 v23, v32, v23
	s_delay_alu instid0(VALU_DEP_2) | instskip(NEXT) | instid1(VALU_DEP_2)
	v_sub_f32_e32 v27, v28, v27
	v_mul_f32_e32 v23, v25, v23
	s_delay_alu instid0(VALU_DEP_1) | instskip(NEXT) | instid1(VALU_DEP_1)
	v_add_f32_e32 v23, v27, v23
	v_add_f32_e32 v25, v26, v23
	s_delay_alu instid0(VALU_DEP_1) | instskip(SKIP_1) | instid1(VALU_DEP_1)
	v_mul_f32_e32 v27, v25, v25
	s_wait_alu 0xfffe
	v_fmaak_f32 v28, s0, v27, 0x3ecc95a3
	v_mul_f32_e32 v29, v25, v27
	v_cmp_neq_f32_e64 s0, 0x7f800000, v24
	s_delay_alu instid0(VALU_DEP_3) | instskip(SKIP_2) | instid1(VALU_DEP_3)
	v_fmaak_f32 v27, v27, v28, 0x3f2aaada
	v_ldexp_f32 v28, v25, 1
	v_sub_f32_e32 v25, v25, v26
	v_mul_f32_e32 v27, v29, v27
	v_mul_f32_e32 v29, 0x3f317218, v22
	s_delay_alu instid0(VALU_DEP_2) | instskip(NEXT) | instid1(VALU_DEP_1)
	v_dual_sub_f32 v23, v23, v25 :: v_dual_add_f32 v26, v28, v27
	v_ldexp_f32 v23, v23, 1
	s_delay_alu instid0(VALU_DEP_2) | instskip(NEXT) | instid1(VALU_DEP_4)
	v_sub_f32_e32 v25, v26, v28
	v_fma_f32 v28, 0x3f317218, v22, -v29
	s_delay_alu instid0(VALU_DEP_1) | instskip(NEXT) | instid1(VALU_DEP_1)
	v_dual_sub_f32 v25, v27, v25 :: v_dual_fmamk_f32 v22, v22, 0xb102e308, v28
	v_add_f32_e32 v23, v23, v25
	s_delay_alu instid0(VALU_DEP_2) | instskip(NEXT) | instid1(VALU_DEP_2)
	v_add_f32_e32 v25, v29, v22
	v_add_f32_e32 v27, v26, v23
	s_delay_alu instid0(VALU_DEP_2) | instskip(NEXT) | instid1(VALU_DEP_2)
	v_sub_f32_e32 v29, v25, v29
	v_add_f32_e32 v28, v25, v27
	v_sub_f32_e32 v26, v27, v26
	s_delay_alu instid0(VALU_DEP_3) | instskip(NEXT) | instid1(VALU_DEP_2)
	v_sub_f32_e32 v22, v22, v29
	v_dual_sub_f32 v30, v28, v25 :: v_dual_sub_f32 v23, v23, v26
	s_delay_alu instid0(VALU_DEP_1) | instskip(NEXT) | instid1(VALU_DEP_2)
	v_sub_f32_e32 v31, v28, v30
	v_dual_sub_f32 v26, v27, v30 :: v_dual_add_f32 v27, v22, v23
	s_delay_alu instid0(VALU_DEP_2) | instskip(NEXT) | instid1(VALU_DEP_1)
	v_sub_f32_e32 v25, v25, v31
	v_dual_add_f32 v25, v26, v25 :: v_dual_sub_f32 v26, v27, v22
	s_delay_alu instid0(VALU_DEP_1) | instskip(NEXT) | instid1(VALU_DEP_2)
	v_add_f32_e32 v25, v27, v25
	v_sub_f32_e32 v27, v27, v26
	v_sub_f32_e32 v23, v23, v26
	s_delay_alu instid0(VALU_DEP_2) | instskip(NEXT) | instid1(VALU_DEP_1)
	v_dual_add_f32 v29, v28, v25 :: v_dual_sub_f32 v22, v22, v27
	v_sub_f32_e32 v26, v29, v28
	s_delay_alu instid0(VALU_DEP_2) | instskip(NEXT) | instid1(VALU_DEP_2)
	v_add_f32_e32 v22, v23, v22
	v_sub_f32_e32 v23, v25, v26
	s_delay_alu instid0(VALU_DEP_1) | instskip(NEXT) | instid1(VALU_DEP_1)
	v_add_f32_e32 v22, v22, v23
	v_add_f32_e32 v22, v29, v22
	s_wait_alu 0xf1ff
	s_delay_alu instid0(VALU_DEP_1) | instskip(SKIP_2) | instid1(VALU_DEP_1)
	v_cndmask_b32_e64 v22, 0x7f800000, v22, s0
	v_cmp_gt_f32_e64 s0, 0x33800000, |v24|
	s_wait_alu 0xf1ff
	v_cndmask_b32_e64 v22, v22, v24, s0
	s_delay_alu instid0(VALU_DEP_1)
	v_add_f32_e32 v22, v21, v22
.LBB110_48:
	s_or_b32 exec_lo, exec_lo, s16
	s_delay_alu instid0(VALU_DEP_1)
	v_mov_b32_e32 v21, v22
.LBB110_49:
	s_wait_alu 0xfffe
	s_or_b32 exec_lo, exec_lo, s13
	s_delay_alu instid0(VALU_DEP_1)
	v_mov_b32_dpp v22, v21 row_shr:2 row_mask:0xf bank_mask:0xf
	s_mov_b32 s13, exec_lo
	v_cmpx_lt_u32_e32 1, v20
	s_cbranch_execz .LBB110_53
; %bb.50:
	s_delay_alu instid0(VALU_DEP_2) | instskip(SKIP_1) | instid1(VALU_DEP_2)
	v_dual_max_num_f32 v23, v21, v21 :: v_dual_max_num_f32 v24, v22, v22
	v_cmp_u_f32_e64 s0, v22, v22
	v_min_num_f32_e32 v25, v24, v23
	v_max_num_f32_e32 v23, v24, v23
	s_wait_alu 0xf1ff
	s_delay_alu instid0(VALU_DEP_2) | instskip(NEXT) | instid1(VALU_DEP_2)
	v_cndmask_b32_e64 v24, v25, v22, s0
	v_cndmask_b32_e64 v25, v23, v22, s0
	v_cmp_u_f32_e64 s0, v21, v21
	s_wait_alu 0xf1ff
	s_delay_alu instid0(VALU_DEP_1) | instskip(NEXT) | instid1(VALU_DEP_3)
	v_cndmask_b32_e64 v23, v24, v21, s0
	v_cndmask_b32_e64 v21, v25, v21, s0
	s_delay_alu instid0(VALU_DEP_2) | instskip(NEXT) | instid1(VALU_DEP_2)
	v_cmp_class_f32_e64 s16, v23, 0x1f8
	v_cmp_neq_f32_e64 s0, v23, v21
	s_or_b32 s0, s0, s16
	s_wait_alu 0xfffe
	s_and_saveexec_b32 s16, s0
	s_cbranch_execz .LBB110_52
; %bb.51:
	v_sub_f32_e32 v22, v23, v21
	s_delay_alu instid0(VALU_DEP_1) | instskip(SKIP_1) | instid1(VALU_DEP_2)
	v_mul_f32_e32 v23, 0x3fb8aa3b, v22
	v_cmp_ngt_f32_e64 s0, 0xc2ce8ed0, v22
	v_fma_f32 v24, 0x3fb8aa3b, v22, -v23
	v_rndne_f32_e32 v25, v23
	s_delay_alu instid0(VALU_DEP_1) | instskip(NEXT) | instid1(VALU_DEP_1)
	v_dual_fmamk_f32 v24, v22, 0x32a5705f, v24 :: v_dual_sub_f32 v23, v23, v25
	v_add_f32_e32 v23, v23, v24
	v_cvt_i32_f32_e32 v24, v25
	s_delay_alu instid0(VALU_DEP_2) | instskip(NEXT) | instid1(TRANS32_DEP_1)
	v_exp_f32_e32 v23, v23
	v_ldexp_f32 v23, v23, v24
	s_wait_alu 0xf1ff
	s_delay_alu instid0(VALU_DEP_1) | instskip(SKIP_2) | instid1(VALU_DEP_1)
	v_cndmask_b32_e64 v23, 0, v23, s0
	v_cmp_nlt_f32_e64 s0, 0x42b17218, v22
	s_wait_alu 0xf1ff
	v_cndmask_b32_e64 v24, 0x7f800000, v23, s0
	s_delay_alu instid0(VALU_DEP_1) | instskip(NEXT) | instid1(VALU_DEP_1)
	v_add_f32_e32 v25, 1.0, v24
	v_cvt_f64_f32_e32 v[22:23], v25
	s_delay_alu instid0(VALU_DEP_1) | instskip(SKIP_1) | instid1(VALU_DEP_1)
	v_frexp_exp_i32_f64_e32 v22, v[22:23]
	v_frexp_mant_f32_e32 v23, v25
	v_cmp_gt_f32_e64 s0, 0x3f2aaaab, v23
	v_add_f32_e32 v23, -1.0, v25
	s_delay_alu instid0(VALU_DEP_1)
	v_sub_f32_e32 v27, v23, v25
	v_sub_f32_e32 v23, v24, v23
	s_wait_alu 0xf1ff
	v_subrev_co_ci_u32_e64 v22, null, 0, v22, s0
	s_mov_b32 s0, 0x3e9b6dac
	v_sub_nc_u32_e32 v26, 0, v22
	v_cvt_f32_i32_e32 v22, v22
	s_delay_alu instid0(VALU_DEP_2) | instskip(NEXT) | instid1(VALU_DEP_1)
	v_ldexp_f32 v25, v25, v26
	v_dual_add_f32 v28, 1.0, v25 :: v_dual_add_f32 v27, 1.0, v27
	s_delay_alu instid0(VALU_DEP_1) | instskip(NEXT) | instid1(VALU_DEP_2)
	v_add_f32_e32 v23, v23, v27
	v_add_f32_e32 v27, -1.0, v28
	s_delay_alu instid0(VALU_DEP_2) | instskip(NEXT) | instid1(VALU_DEP_2)
	v_ldexp_f32 v23, v23, v26
	v_dual_add_f32 v26, -1.0, v25 :: v_dual_sub_f32 v27, v25, v27
	s_delay_alu instid0(VALU_DEP_1) | instskip(NEXT) | instid1(VALU_DEP_2)
	v_add_f32_e32 v29, 1.0, v26
	v_add_f32_e32 v27, v23, v27
	s_delay_alu instid0(VALU_DEP_2) | instskip(NEXT) | instid1(VALU_DEP_2)
	v_sub_f32_e32 v25, v25, v29
	v_add_f32_e32 v29, v28, v27
	s_delay_alu instid0(VALU_DEP_2) | instskip(NEXT) | instid1(VALU_DEP_2)
	v_add_f32_e32 v23, v23, v25
	v_rcp_f32_e32 v25, v29
	v_sub_f32_e32 v28, v28, v29
	s_delay_alu instid0(VALU_DEP_1) | instskip(NEXT) | instid1(VALU_DEP_1)
	v_dual_add_f32 v30, v26, v23 :: v_dual_add_f32 v27, v27, v28
	v_sub_f32_e32 v26, v26, v30
	s_delay_alu instid0(TRANS32_DEP_1) | instskip(NEXT) | instid1(VALU_DEP_1)
	v_mul_f32_e32 v31, v30, v25
	v_dual_add_f32 v23, v23, v26 :: v_dual_mul_f32 v32, v29, v31
	s_delay_alu instid0(VALU_DEP_1) | instskip(NEXT) | instid1(VALU_DEP_1)
	v_fma_f32 v28, v31, v29, -v32
	v_fmac_f32_e32 v28, v31, v27
	s_delay_alu instid0(VALU_DEP_1) | instskip(NEXT) | instid1(VALU_DEP_1)
	v_add_f32_e32 v33, v32, v28
	v_sub_f32_e32 v34, v30, v33
	v_sub_f32_e32 v26, v33, v32
	s_delay_alu instid0(VALU_DEP_2) | instskip(NEXT) | instid1(VALU_DEP_2)
	v_sub_f32_e32 v30, v30, v34
	v_sub_f32_e32 v26, v26, v28
	s_delay_alu instid0(VALU_DEP_2) | instskip(NEXT) | instid1(VALU_DEP_1)
	v_sub_f32_e32 v30, v30, v33
	v_add_f32_e32 v23, v23, v30
	s_delay_alu instid0(VALU_DEP_1) | instskip(NEXT) | instid1(VALU_DEP_1)
	v_add_f32_e32 v23, v26, v23
	v_add_f32_e32 v26, v34, v23
	s_delay_alu instid0(VALU_DEP_1) | instskip(NEXT) | instid1(VALU_DEP_1)
	v_mul_f32_e32 v28, v25, v26
	v_dual_sub_f32 v33, v34, v26 :: v_dual_mul_f32 v30, v29, v28
	s_delay_alu instid0(VALU_DEP_1) | instskip(NEXT) | instid1(VALU_DEP_2)
	v_add_f32_e32 v23, v23, v33
	v_fma_f32 v29, v28, v29, -v30
	s_delay_alu instid0(VALU_DEP_1) | instskip(NEXT) | instid1(VALU_DEP_1)
	v_fmac_f32_e32 v29, v28, v27
	v_add_f32_e32 v27, v30, v29
	s_delay_alu instid0(VALU_DEP_1) | instskip(SKIP_1) | instid1(VALU_DEP_2)
	v_sub_f32_e32 v32, v26, v27
	v_sub_f32_e32 v30, v27, v30
	;; [unrolled: 1-line block ×3, first 2 shown]
	s_delay_alu instid0(VALU_DEP_1) | instskip(NEXT) | instid1(VALU_DEP_3)
	v_sub_f32_e32 v26, v26, v27
	v_sub_f32_e32 v27, v30, v29
	s_delay_alu instid0(VALU_DEP_2) | instskip(SKIP_1) | instid1(VALU_DEP_2)
	v_add_f32_e32 v23, v23, v26
	v_add_f32_e32 v26, v31, v28
	;; [unrolled: 1-line block ×3, first 2 shown]
	s_delay_alu instid0(VALU_DEP_2) | instskip(NEXT) | instid1(VALU_DEP_2)
	v_sub_f32_e32 v27, v26, v31
	v_add_f32_e32 v23, v32, v23
	s_delay_alu instid0(VALU_DEP_2) | instskip(NEXT) | instid1(VALU_DEP_2)
	v_sub_f32_e32 v27, v28, v27
	v_mul_f32_e32 v23, v25, v23
	s_delay_alu instid0(VALU_DEP_1) | instskip(NEXT) | instid1(VALU_DEP_1)
	v_add_f32_e32 v23, v27, v23
	v_add_f32_e32 v25, v26, v23
	s_delay_alu instid0(VALU_DEP_1) | instskip(SKIP_1) | instid1(VALU_DEP_1)
	v_mul_f32_e32 v27, v25, v25
	s_wait_alu 0xfffe
	v_fmaak_f32 v28, s0, v27, 0x3ecc95a3
	v_mul_f32_e32 v29, v25, v27
	v_cmp_neq_f32_e64 s0, 0x7f800000, v24
	s_delay_alu instid0(VALU_DEP_3) | instskip(SKIP_2) | instid1(VALU_DEP_3)
	v_fmaak_f32 v27, v27, v28, 0x3f2aaada
	v_ldexp_f32 v28, v25, 1
	v_sub_f32_e32 v25, v25, v26
	v_mul_f32_e32 v27, v29, v27
	v_mul_f32_e32 v29, 0x3f317218, v22
	s_delay_alu instid0(VALU_DEP_2) | instskip(NEXT) | instid1(VALU_DEP_1)
	v_dual_sub_f32 v23, v23, v25 :: v_dual_add_f32 v26, v28, v27
	v_ldexp_f32 v23, v23, 1
	s_delay_alu instid0(VALU_DEP_2) | instskip(NEXT) | instid1(VALU_DEP_4)
	v_sub_f32_e32 v25, v26, v28
	v_fma_f32 v28, 0x3f317218, v22, -v29
	s_delay_alu instid0(VALU_DEP_1) | instskip(NEXT) | instid1(VALU_DEP_1)
	v_dual_sub_f32 v25, v27, v25 :: v_dual_fmamk_f32 v22, v22, 0xb102e308, v28
	v_add_f32_e32 v23, v23, v25
	s_delay_alu instid0(VALU_DEP_2) | instskip(NEXT) | instid1(VALU_DEP_2)
	v_add_f32_e32 v25, v29, v22
	v_add_f32_e32 v27, v26, v23
	s_delay_alu instid0(VALU_DEP_2) | instskip(NEXT) | instid1(VALU_DEP_2)
	v_sub_f32_e32 v29, v25, v29
	v_add_f32_e32 v28, v25, v27
	v_sub_f32_e32 v26, v27, v26
	s_delay_alu instid0(VALU_DEP_3) | instskip(NEXT) | instid1(VALU_DEP_2)
	v_sub_f32_e32 v22, v22, v29
	v_dual_sub_f32 v30, v28, v25 :: v_dual_sub_f32 v23, v23, v26
	s_delay_alu instid0(VALU_DEP_1) | instskip(NEXT) | instid1(VALU_DEP_2)
	v_sub_f32_e32 v31, v28, v30
	v_dual_sub_f32 v26, v27, v30 :: v_dual_add_f32 v27, v22, v23
	s_delay_alu instid0(VALU_DEP_2) | instskip(NEXT) | instid1(VALU_DEP_1)
	v_sub_f32_e32 v25, v25, v31
	v_dual_add_f32 v25, v26, v25 :: v_dual_sub_f32 v26, v27, v22
	s_delay_alu instid0(VALU_DEP_1) | instskip(NEXT) | instid1(VALU_DEP_2)
	v_add_f32_e32 v25, v27, v25
	v_sub_f32_e32 v27, v27, v26
	v_sub_f32_e32 v23, v23, v26
	s_delay_alu instid0(VALU_DEP_2) | instskip(NEXT) | instid1(VALU_DEP_1)
	v_dual_add_f32 v29, v28, v25 :: v_dual_sub_f32 v22, v22, v27
	v_sub_f32_e32 v26, v29, v28
	s_delay_alu instid0(VALU_DEP_2) | instskip(NEXT) | instid1(VALU_DEP_2)
	v_add_f32_e32 v22, v23, v22
	v_sub_f32_e32 v23, v25, v26
	s_delay_alu instid0(VALU_DEP_1) | instskip(NEXT) | instid1(VALU_DEP_1)
	v_add_f32_e32 v22, v22, v23
	v_add_f32_e32 v22, v29, v22
	s_wait_alu 0xf1ff
	s_delay_alu instid0(VALU_DEP_1) | instskip(SKIP_2) | instid1(VALU_DEP_1)
	v_cndmask_b32_e64 v22, 0x7f800000, v22, s0
	v_cmp_gt_f32_e64 s0, 0x33800000, |v24|
	s_wait_alu 0xf1ff
	v_cndmask_b32_e64 v22, v22, v24, s0
	s_delay_alu instid0(VALU_DEP_1)
	v_add_f32_e32 v22, v21, v22
.LBB110_52:
	s_or_b32 exec_lo, exec_lo, s16
	s_delay_alu instid0(VALU_DEP_1)
	v_mov_b32_e32 v21, v22
.LBB110_53:
	s_wait_alu 0xfffe
	s_or_b32 exec_lo, exec_lo, s13
	s_delay_alu instid0(VALU_DEP_1)
	v_mov_b32_dpp v22, v21 row_shr:4 row_mask:0xf bank_mask:0xf
	s_mov_b32 s13, exec_lo
	v_cmpx_lt_u32_e32 3, v20
	s_cbranch_execz .LBB110_57
; %bb.54:
	s_delay_alu instid0(VALU_DEP_2) | instskip(SKIP_1) | instid1(VALU_DEP_2)
	v_dual_max_num_f32 v20, v21, v21 :: v_dual_max_num_f32 v23, v22, v22
	v_cmp_u_f32_e64 s0, v22, v22
	v_min_num_f32_e32 v24, v23, v20
	v_max_num_f32_e32 v20, v23, v20
	s_wait_alu 0xf1ff
	s_delay_alu instid0(VALU_DEP_2) | instskip(NEXT) | instid1(VALU_DEP_2)
	v_cndmask_b32_e64 v23, v24, v22, s0
	v_cndmask_b32_e64 v20, v20, v22, s0
	v_cmp_u_f32_e64 s0, v21, v21
	s_wait_alu 0xf1ff
	s_delay_alu instid0(VALU_DEP_1) | instskip(NEXT) | instid1(VALU_DEP_3)
	v_cndmask_b32_e64 v23, v23, v21, s0
	v_cndmask_b32_e64 v20, v20, v21, s0
	s_delay_alu instid0(VALU_DEP_2) | instskip(NEXT) | instid1(VALU_DEP_2)
	v_cmp_class_f32_e64 s16, v23, 0x1f8
	v_cmp_neq_f32_e64 s0, v23, v20
	s_or_b32 s0, s0, s16
	s_wait_alu 0xfffe
	s_and_saveexec_b32 s16, s0
	s_cbranch_execz .LBB110_56
; %bb.55:
	v_sub_f32_e32 v21, v23, v20
	s_delay_alu instid0(VALU_DEP_1) | instskip(NEXT) | instid1(VALU_DEP_1)
	v_mul_f32_e32 v22, 0x3fb8aa3b, v21
	v_fma_f32 v23, 0x3fb8aa3b, v21, -v22
	v_rndne_f32_e32 v24, v22
	s_delay_alu instid0(VALU_DEP_1) | instskip(NEXT) | instid1(VALU_DEP_1)
	v_dual_fmamk_f32 v23, v21, 0x32a5705f, v23 :: v_dual_sub_f32 v22, v22, v24
	v_add_f32_e32 v22, v22, v23
	v_cvt_i32_f32_e32 v23, v24
	v_cmp_ngt_f32_e64 s0, 0xc2ce8ed0, v21
	s_delay_alu instid0(VALU_DEP_3) | instskip(NEXT) | instid1(TRANS32_DEP_1)
	v_exp_f32_e32 v22, v22
	v_ldexp_f32 v22, v22, v23
	s_wait_alu 0xf1ff
	s_delay_alu instid0(VALU_DEP_1) | instskip(SKIP_2) | instid1(VALU_DEP_1)
	v_cndmask_b32_e64 v22, 0, v22, s0
	v_cmp_nlt_f32_e64 s0, 0x42b17218, v21
	s_wait_alu 0xf1ff
	v_cndmask_b32_e64 v23, 0x7f800000, v22, s0
	s_delay_alu instid0(VALU_DEP_1) | instskip(NEXT) | instid1(VALU_DEP_1)
	v_add_f32_e32 v24, 1.0, v23
	v_cvt_f64_f32_e32 v[21:22], v24
	s_delay_alu instid0(VALU_DEP_1) | instskip(SKIP_1) | instid1(VALU_DEP_1)
	v_frexp_exp_i32_f64_e32 v21, v[21:22]
	v_frexp_mant_f32_e32 v22, v24
	v_cmp_gt_f32_e64 s0, 0x3f2aaaab, v22
	v_add_f32_e32 v22, -1.0, v24
	s_delay_alu instid0(VALU_DEP_1) | instskip(SKIP_1) | instid1(VALU_DEP_3)
	v_sub_f32_e32 v26, v22, v24
	s_wait_alu 0xf1ff
	v_subrev_co_ci_u32_e64 v21, null, 0, v21, s0
	s_mov_b32 s0, 0x3e9b6dac
	v_sub_nc_u32_e32 v25, 0, v21
	v_cvt_f32_i32_e32 v21, v21
	s_delay_alu instid0(VALU_DEP_2) | instskip(NEXT) | instid1(VALU_DEP_1)
	v_ldexp_f32 v24, v24, v25
	v_dual_sub_f32 v22, v23, v22 :: v_dual_add_f32 v27, 1.0, v24
	v_add_f32_e32 v26, 1.0, v26
	s_delay_alu instid0(VALU_DEP_1) | instskip(NEXT) | instid1(VALU_DEP_3)
	v_add_f32_e32 v22, v22, v26
	v_add_f32_e32 v26, -1.0, v27
	s_delay_alu instid0(VALU_DEP_2) | instskip(NEXT) | instid1(VALU_DEP_2)
	v_ldexp_f32 v22, v22, v25
	v_dual_add_f32 v25, -1.0, v24 :: v_dual_sub_f32 v26, v24, v26
	s_delay_alu instid0(VALU_DEP_1) | instskip(NEXT) | instid1(VALU_DEP_2)
	v_add_f32_e32 v28, 1.0, v25
	v_add_f32_e32 v26, v22, v26
	s_delay_alu instid0(VALU_DEP_2) | instskip(NEXT) | instid1(VALU_DEP_2)
	v_sub_f32_e32 v24, v24, v28
	v_add_f32_e32 v28, v27, v26
	s_delay_alu instid0(VALU_DEP_2) | instskip(NEXT) | instid1(VALU_DEP_2)
	v_add_f32_e32 v22, v22, v24
	v_rcp_f32_e32 v24, v28
	v_sub_f32_e32 v27, v27, v28
	s_delay_alu instid0(VALU_DEP_1) | instskip(NEXT) | instid1(VALU_DEP_1)
	v_dual_add_f32 v29, v25, v22 :: v_dual_add_f32 v26, v26, v27
	v_sub_f32_e32 v25, v25, v29
	s_delay_alu instid0(TRANS32_DEP_1) | instskip(NEXT) | instid1(VALU_DEP_1)
	v_mul_f32_e32 v30, v29, v24
	v_dual_add_f32 v22, v22, v25 :: v_dual_mul_f32 v31, v28, v30
	s_delay_alu instid0(VALU_DEP_1) | instskip(NEXT) | instid1(VALU_DEP_1)
	v_fma_f32 v27, v30, v28, -v31
	v_fmac_f32_e32 v27, v30, v26
	s_delay_alu instid0(VALU_DEP_1) | instskip(NEXT) | instid1(VALU_DEP_1)
	v_add_f32_e32 v32, v31, v27
	v_sub_f32_e32 v33, v29, v32
	v_sub_f32_e32 v25, v32, v31
	s_delay_alu instid0(VALU_DEP_2) | instskip(NEXT) | instid1(VALU_DEP_2)
	v_sub_f32_e32 v29, v29, v33
	v_sub_f32_e32 v25, v25, v27
	s_delay_alu instid0(VALU_DEP_2) | instskip(NEXT) | instid1(VALU_DEP_1)
	v_sub_f32_e32 v29, v29, v32
	v_add_f32_e32 v22, v22, v29
	s_delay_alu instid0(VALU_DEP_1) | instskip(NEXT) | instid1(VALU_DEP_1)
	v_add_f32_e32 v22, v25, v22
	v_add_f32_e32 v25, v33, v22
	s_delay_alu instid0(VALU_DEP_1) | instskip(NEXT) | instid1(VALU_DEP_1)
	v_mul_f32_e32 v27, v24, v25
	v_dual_sub_f32 v32, v33, v25 :: v_dual_mul_f32 v29, v28, v27
	s_delay_alu instid0(VALU_DEP_1) | instskip(NEXT) | instid1(VALU_DEP_2)
	v_add_f32_e32 v22, v22, v32
	v_fma_f32 v28, v27, v28, -v29
	s_delay_alu instid0(VALU_DEP_1) | instskip(NEXT) | instid1(VALU_DEP_1)
	v_fmac_f32_e32 v28, v27, v26
	v_add_f32_e32 v26, v29, v28
	s_delay_alu instid0(VALU_DEP_1) | instskip(SKIP_1) | instid1(VALU_DEP_2)
	v_sub_f32_e32 v31, v25, v26
	v_sub_f32_e32 v29, v26, v29
	;; [unrolled: 1-line block ×3, first 2 shown]
	s_delay_alu instid0(VALU_DEP_1) | instskip(NEXT) | instid1(VALU_DEP_3)
	v_sub_f32_e32 v25, v25, v26
	v_sub_f32_e32 v26, v29, v28
	s_delay_alu instid0(VALU_DEP_2) | instskip(SKIP_1) | instid1(VALU_DEP_2)
	v_add_f32_e32 v22, v22, v25
	v_add_f32_e32 v25, v30, v27
	;; [unrolled: 1-line block ×3, first 2 shown]
	s_delay_alu instid0(VALU_DEP_2) | instskip(NEXT) | instid1(VALU_DEP_2)
	v_sub_f32_e32 v26, v25, v30
	v_add_f32_e32 v22, v31, v22
	s_delay_alu instid0(VALU_DEP_2) | instskip(NEXT) | instid1(VALU_DEP_2)
	v_sub_f32_e32 v26, v27, v26
	v_mul_f32_e32 v22, v24, v22
	s_delay_alu instid0(VALU_DEP_1) | instskip(NEXT) | instid1(VALU_DEP_1)
	v_add_f32_e32 v22, v26, v22
	v_add_f32_e32 v24, v25, v22
	s_delay_alu instid0(VALU_DEP_1) | instskip(SKIP_1) | instid1(VALU_DEP_1)
	v_mul_f32_e32 v26, v24, v24
	s_wait_alu 0xfffe
	v_fmaak_f32 v27, s0, v26, 0x3ecc95a3
	v_mul_f32_e32 v28, v24, v26
	v_cmp_neq_f32_e64 s0, 0x7f800000, v23
	s_delay_alu instid0(VALU_DEP_3) | instskip(SKIP_2) | instid1(VALU_DEP_3)
	v_fmaak_f32 v26, v26, v27, 0x3f2aaada
	v_ldexp_f32 v27, v24, 1
	v_sub_f32_e32 v24, v24, v25
	v_mul_f32_e32 v26, v28, v26
	v_mul_f32_e32 v28, 0x3f317218, v21
	s_delay_alu instid0(VALU_DEP_2) | instskip(NEXT) | instid1(VALU_DEP_1)
	v_dual_sub_f32 v22, v22, v24 :: v_dual_add_f32 v25, v27, v26
	v_ldexp_f32 v22, v22, 1
	s_delay_alu instid0(VALU_DEP_2) | instskip(NEXT) | instid1(VALU_DEP_4)
	v_sub_f32_e32 v24, v25, v27
	v_fma_f32 v27, 0x3f317218, v21, -v28
	s_delay_alu instid0(VALU_DEP_1) | instskip(NEXT) | instid1(VALU_DEP_1)
	v_dual_sub_f32 v24, v26, v24 :: v_dual_fmamk_f32 v21, v21, 0xb102e308, v27
	v_add_f32_e32 v22, v22, v24
	s_delay_alu instid0(VALU_DEP_2) | instskip(NEXT) | instid1(VALU_DEP_2)
	v_add_f32_e32 v24, v28, v21
	v_add_f32_e32 v26, v25, v22
	s_delay_alu instid0(VALU_DEP_2) | instskip(NEXT) | instid1(VALU_DEP_2)
	v_sub_f32_e32 v28, v24, v28
	v_add_f32_e32 v27, v24, v26
	v_sub_f32_e32 v25, v26, v25
	s_delay_alu instid0(VALU_DEP_3) | instskip(NEXT) | instid1(VALU_DEP_2)
	v_sub_f32_e32 v21, v21, v28
	v_dual_sub_f32 v29, v27, v24 :: v_dual_sub_f32 v22, v22, v25
	s_delay_alu instid0(VALU_DEP_1) | instskip(NEXT) | instid1(VALU_DEP_2)
	v_sub_f32_e32 v30, v27, v29
	v_dual_sub_f32 v25, v26, v29 :: v_dual_add_f32 v26, v21, v22
	s_delay_alu instid0(VALU_DEP_2) | instskip(NEXT) | instid1(VALU_DEP_1)
	v_sub_f32_e32 v24, v24, v30
	v_dual_add_f32 v24, v25, v24 :: v_dual_sub_f32 v25, v26, v21
	s_delay_alu instid0(VALU_DEP_1) | instskip(NEXT) | instid1(VALU_DEP_2)
	v_add_f32_e32 v24, v26, v24
	v_sub_f32_e32 v26, v26, v25
	v_sub_f32_e32 v22, v22, v25
	s_delay_alu instid0(VALU_DEP_2) | instskip(NEXT) | instid1(VALU_DEP_1)
	v_dual_add_f32 v28, v27, v24 :: v_dual_sub_f32 v21, v21, v26
	v_sub_f32_e32 v25, v28, v27
	s_delay_alu instid0(VALU_DEP_2) | instskip(NEXT) | instid1(VALU_DEP_2)
	v_add_f32_e32 v21, v22, v21
	v_sub_f32_e32 v22, v24, v25
	s_delay_alu instid0(VALU_DEP_1) | instskip(NEXT) | instid1(VALU_DEP_1)
	v_add_f32_e32 v21, v21, v22
	v_add_f32_e32 v21, v28, v21
	s_wait_alu 0xf1ff
	s_delay_alu instid0(VALU_DEP_1) | instskip(SKIP_2) | instid1(VALU_DEP_1)
	v_cndmask_b32_e64 v21, 0x7f800000, v21, s0
	v_cmp_gt_f32_e64 s0, 0x33800000, |v23|
	s_wait_alu 0xf1ff
	v_cndmask_b32_e64 v21, v21, v23, s0
	s_delay_alu instid0(VALU_DEP_1)
	v_add_f32_e32 v22, v20, v21
.LBB110_56:
	s_or_b32 exec_lo, exec_lo, s16
	s_delay_alu instid0(VALU_DEP_1)
	v_mov_b32_e32 v21, v22
.LBB110_57:
	s_wait_alu 0xfffe
	s_or_b32 exec_lo, exec_lo, s13
	ds_store_b32 v7, v21
.LBB110_58:
	s_wait_alu 0xfffe
	s_or_b32 exec_lo, exec_lo, s1
	s_delay_alu instid0(SALU_CYCLE_1)
	s_mov_b32 s1, exec_lo
	s_wait_loadcnt_dscnt 0x0
	s_barrier_signal -1
	s_barrier_wait -1
	global_inv scope:SCOPE_SE
                                        ; implicit-def: $vgpr20
	v_cmpx_lt_u32_e32 31, v0
	s_cbranch_execz .LBB110_62
; %bb.59:
	v_lshl_add_u32 v19, v19, 2, -4
	ds_load_b32 v20, v19
	v_max_num_f32_e32 v19, v18, v18
	s_wait_dscnt 0x0
	v_max_num_f32_e32 v21, v20, v20
	v_cmp_u_f32_e64 s0, v20, v20
	s_delay_alu instid0(VALU_DEP_2) | instskip(SKIP_2) | instid1(VALU_DEP_2)
	v_min_num_f32_e32 v22, v21, v19
	v_max_num_f32_e32 v19, v21, v19
	s_wait_alu 0xf1ff
	v_cndmask_b32_e64 v21, v22, v20, s0
	s_delay_alu instid0(VALU_DEP_2) | instskip(SKIP_2) | instid1(VALU_DEP_1)
	v_cndmask_b32_e64 v19, v19, v20, s0
	v_cmp_u_f32_e64 s0, v18, v18
	s_wait_alu 0xf1ff
	v_cndmask_b32_e64 v21, v21, v18, s0
	s_delay_alu instid0(VALU_DEP_3) | instskip(SKIP_1) | instid1(VALU_DEP_3)
	v_cndmask_b32_e64 v19, v19, v18, s0
	v_mov_b32_e32 v18, v20
	v_cmp_class_f32_e64 s13, v21, 0x1f8
	s_delay_alu instid0(VALU_DEP_3)
	v_cmp_neq_f32_e64 s0, v21, v19
	s_or_b32 s0, s0, s13
	s_wait_alu 0xfffe
	s_and_saveexec_b32 s13, s0
	s_cbranch_execz .LBB110_61
; %bb.60:
	v_sub_f32_e32 v18, v21, v19
	s_delay_alu instid0(VALU_DEP_1) | instskip(SKIP_1) | instid1(VALU_DEP_2)
	v_mul_f32_e32 v21, 0x3fb8aa3b, v18
	v_cmp_ngt_f32_e64 s0, 0xc2ce8ed0, v18
	v_fma_f32 v22, 0x3fb8aa3b, v18, -v21
	v_rndne_f32_e32 v23, v21
	s_delay_alu instid0(VALU_DEP_1) | instskip(NEXT) | instid1(VALU_DEP_1)
	v_dual_fmamk_f32 v22, v18, 0x32a5705f, v22 :: v_dual_sub_f32 v21, v21, v23
	v_add_f32_e32 v21, v21, v22
	v_cvt_i32_f32_e32 v22, v23
	s_delay_alu instid0(VALU_DEP_2) | instskip(NEXT) | instid1(TRANS32_DEP_1)
	v_exp_f32_e32 v21, v21
	v_ldexp_f32 v21, v21, v22
	s_wait_alu 0xf1ff
	s_delay_alu instid0(VALU_DEP_1) | instskip(SKIP_2) | instid1(VALU_DEP_1)
	v_cndmask_b32_e64 v21, 0, v21, s0
	v_cmp_nlt_f32_e64 s0, 0x42b17218, v18
	s_wait_alu 0xf1ff
	v_cndmask_b32_e64 v18, 0x7f800000, v21, s0
	s_delay_alu instid0(VALU_DEP_1) | instskip(NEXT) | instid1(VALU_DEP_1)
	v_add_f32_e32 v23, 1.0, v18
	v_cvt_f64_f32_e32 v[21:22], v23
	s_delay_alu instid0(VALU_DEP_1) | instskip(SKIP_1) | instid1(VALU_DEP_1)
	v_frexp_exp_i32_f64_e32 v21, v[21:22]
	v_frexp_mant_f32_e32 v22, v23
	v_cmp_gt_f32_e64 s0, 0x3f2aaaab, v22
	v_add_f32_e32 v22, -1.0, v23
	s_delay_alu instid0(VALU_DEP_1) | instskip(NEXT) | instid1(VALU_DEP_1)
	v_sub_f32_e32 v25, v22, v23
	v_dual_sub_f32 v22, v18, v22 :: v_dual_add_f32 v25, 1.0, v25
	s_delay_alu instid0(VALU_DEP_1)
	v_add_f32_e32 v22, v22, v25
	s_wait_alu 0xf1ff
	v_subrev_co_ci_u32_e64 v21, null, 0, v21, s0
	s_mov_b32 s0, 0x3e9b6dac
	v_sub_nc_u32_e32 v24, 0, v21
	v_cvt_f32_i32_e32 v21, v21
	s_delay_alu instid0(VALU_DEP_2) | instskip(SKIP_1) | instid1(VALU_DEP_2)
	v_ldexp_f32 v23, v23, v24
	v_ldexp_f32 v22, v22, v24
	v_add_f32_e32 v26, 1.0, v23
	s_delay_alu instid0(VALU_DEP_1) | instskip(NEXT) | instid1(VALU_DEP_1)
	v_dual_add_f32 v24, -1.0, v23 :: v_dual_add_f32 v25, -1.0, v26
	v_add_f32_e32 v27, 1.0, v24
	s_delay_alu instid0(VALU_DEP_2) | instskip(NEXT) | instid1(VALU_DEP_2)
	v_sub_f32_e32 v25, v23, v25
	v_sub_f32_e32 v23, v23, v27
	s_delay_alu instid0(VALU_DEP_2) | instskip(NEXT) | instid1(VALU_DEP_2)
	v_add_f32_e32 v25, v22, v25
	v_add_f32_e32 v22, v22, v23
	s_delay_alu instid0(VALU_DEP_1) | instskip(NEXT) | instid1(VALU_DEP_1)
	v_dual_add_f32 v28, v24, v22 :: v_dual_add_f32 v27, v26, v25
	v_sub_f32_e32 v24, v24, v28
	s_delay_alu instid0(VALU_DEP_2) | instskip(SKIP_1) | instid1(VALU_DEP_1)
	v_rcp_f32_e32 v23, v27
	v_sub_f32_e32 v26, v26, v27
	v_dual_add_f32 v22, v22, v24 :: v_dual_add_f32 v25, v25, v26
	s_delay_alu instid0(TRANS32_DEP_1) | instskip(NEXT) | instid1(VALU_DEP_1)
	v_mul_f32_e32 v29, v28, v23
	v_mul_f32_e32 v30, v27, v29
	s_delay_alu instid0(VALU_DEP_1) | instskip(NEXT) | instid1(VALU_DEP_1)
	v_fma_f32 v26, v29, v27, -v30
	v_fmac_f32_e32 v26, v29, v25
	s_delay_alu instid0(VALU_DEP_1) | instskip(NEXT) | instid1(VALU_DEP_1)
	v_add_f32_e32 v31, v30, v26
	v_sub_f32_e32 v32, v28, v31
	s_delay_alu instid0(VALU_DEP_1) | instskip(SKIP_1) | instid1(VALU_DEP_2)
	v_sub_f32_e32 v28, v28, v32
	v_sub_f32_e32 v24, v31, v30
	;; [unrolled: 1-line block ×3, first 2 shown]
	s_delay_alu instid0(VALU_DEP_2) | instskip(NEXT) | instid1(VALU_DEP_2)
	v_sub_f32_e32 v24, v24, v26
	v_add_f32_e32 v22, v22, v28
	s_delay_alu instid0(VALU_DEP_1) | instskip(NEXT) | instid1(VALU_DEP_1)
	v_add_f32_e32 v22, v24, v22
	v_add_f32_e32 v24, v32, v22
	s_delay_alu instid0(VALU_DEP_1) | instskip(NEXT) | instid1(VALU_DEP_1)
	v_mul_f32_e32 v26, v23, v24
	v_dual_sub_f32 v31, v32, v24 :: v_dual_mul_f32 v28, v27, v26
	s_delay_alu instid0(VALU_DEP_1) | instskip(NEXT) | instid1(VALU_DEP_2)
	v_add_f32_e32 v22, v22, v31
	v_fma_f32 v27, v26, v27, -v28
	s_delay_alu instid0(VALU_DEP_1) | instskip(NEXT) | instid1(VALU_DEP_1)
	v_fmac_f32_e32 v27, v26, v25
	v_add_f32_e32 v25, v28, v27
	s_delay_alu instid0(VALU_DEP_1) | instskip(SKIP_1) | instid1(VALU_DEP_2)
	v_sub_f32_e32 v30, v24, v25
	v_sub_f32_e32 v28, v25, v28
	v_sub_f32_e32 v24, v24, v30
	s_delay_alu instid0(VALU_DEP_1) | instskip(NEXT) | instid1(VALU_DEP_1)
	v_sub_f32_e32 v24, v24, v25
	v_dual_sub_f32 v25, v28, v27 :: v_dual_add_f32 v22, v22, v24
	v_add_f32_e32 v24, v29, v26
	s_delay_alu instid0(VALU_DEP_1) | instskip(NEXT) | instid1(VALU_DEP_1)
	v_dual_add_f32 v22, v25, v22 :: v_dual_sub_f32 v25, v24, v29
	v_add_f32_e32 v22, v30, v22
	s_delay_alu instid0(VALU_DEP_1) | instskip(NEXT) | instid1(VALU_DEP_1)
	v_dual_sub_f32 v25, v26, v25 :: v_dual_mul_f32 v22, v23, v22
	v_add_f32_e32 v22, v25, v22
	s_delay_alu instid0(VALU_DEP_1) | instskip(NEXT) | instid1(VALU_DEP_1)
	v_add_f32_e32 v23, v24, v22
	v_mul_f32_e32 v25, v23, v23
	s_wait_alu 0xfffe
	s_delay_alu instid0(VALU_DEP_1) | instskip(SKIP_2) | instid1(VALU_DEP_3)
	v_fmaak_f32 v26, s0, v25, 0x3ecc95a3
	v_mul_f32_e32 v27, v23, v25
	v_cmp_neq_f32_e64 s0, 0x7f800000, v18
	v_fmaak_f32 v25, v25, v26, 0x3f2aaada
	v_ldexp_f32 v26, v23, 1
	v_sub_f32_e32 v23, v23, v24
	s_delay_alu instid0(VALU_DEP_3) | instskip(NEXT) | instid1(VALU_DEP_2)
	v_mul_f32_e32 v25, v27, v25
	v_dual_mul_f32 v27, 0x3f317218, v21 :: v_dual_sub_f32 v22, v22, v23
	s_delay_alu instid0(VALU_DEP_2) | instskip(NEXT) | instid1(VALU_DEP_2)
	v_add_f32_e32 v24, v26, v25
	v_ldexp_f32 v22, v22, 1
	s_delay_alu instid0(VALU_DEP_2) | instskip(NEXT) | instid1(VALU_DEP_4)
	v_sub_f32_e32 v23, v24, v26
	v_fma_f32 v26, 0x3f317218, v21, -v27
	s_delay_alu instid0(VALU_DEP_2) | instskip(NEXT) | instid1(VALU_DEP_1)
	v_sub_f32_e32 v23, v25, v23
	v_dual_fmamk_f32 v21, v21, 0xb102e308, v26 :: v_dual_add_f32 v22, v22, v23
	s_delay_alu instid0(VALU_DEP_1) | instskip(NEXT) | instid1(VALU_DEP_1)
	v_add_f32_e32 v23, v27, v21
	v_sub_f32_e32 v27, v23, v27
	s_delay_alu instid0(VALU_DEP_1) | instskip(NEXT) | instid1(VALU_DEP_4)
	v_sub_f32_e32 v21, v21, v27
	v_add_f32_e32 v25, v24, v22
	s_delay_alu instid0(VALU_DEP_1) | instskip(NEXT) | instid1(VALU_DEP_1)
	v_sub_f32_e32 v24, v25, v24
	v_sub_f32_e32 v22, v22, v24
	v_add_f32_e32 v26, v23, v25
	s_delay_alu instid0(VALU_DEP_1) | instskip(NEXT) | instid1(VALU_DEP_1)
	v_sub_f32_e32 v28, v26, v23
	v_sub_f32_e32 v24, v25, v28
	s_delay_alu instid0(VALU_DEP_4) | instskip(SKIP_1) | instid1(VALU_DEP_1)
	v_add_f32_e32 v25, v21, v22
	v_sub_f32_e32 v29, v26, v28
	v_sub_f32_e32 v23, v23, v29
	s_delay_alu instid0(VALU_DEP_1) | instskip(NEXT) | instid1(VALU_DEP_1)
	v_dual_add_f32 v23, v24, v23 :: v_dual_sub_f32 v24, v25, v21
	v_dual_add_f32 v23, v25, v23 :: v_dual_sub_f32 v22, v22, v24
	v_sub_f32_e32 v25, v25, v24
	s_delay_alu instid0(VALU_DEP_2) | instskip(NEXT) | instid1(VALU_DEP_1)
	v_add_f32_e32 v27, v26, v23
	v_dual_sub_f32 v21, v21, v25 :: v_dual_sub_f32 v24, v27, v26
	s_delay_alu instid0(VALU_DEP_1) | instskip(NEXT) | instid1(VALU_DEP_1)
	v_dual_add_f32 v21, v22, v21 :: v_dual_sub_f32 v22, v23, v24
	v_add_f32_e32 v21, v21, v22
	s_delay_alu instid0(VALU_DEP_1) | instskip(SKIP_1) | instid1(VALU_DEP_1)
	v_add_f32_e32 v21, v27, v21
	s_wait_alu 0xf1ff
	v_cndmask_b32_e64 v21, 0x7f800000, v21, s0
	v_cmp_gt_f32_e64 s0, 0x33800000, |v18|
	s_wait_alu 0xf1ff
	s_delay_alu instid0(VALU_DEP_1) | instskip(NEXT) | instid1(VALU_DEP_1)
	v_cndmask_b32_e64 v18, v21, v18, s0
	v_add_f32_e32 v18, v19, v18
.LBB110_61:
	s_wait_alu 0xfffe
	s_or_b32 exec_lo, exec_lo, s13
.LBB110_62:
	s_wait_alu 0xfffe
	s_or_b32 exec_lo, exec_lo, s1
	v_add_nc_u32_e32 v19, -1, v17
	s_mov_b32 s1, exec_lo
	s_delay_alu instid0(VALU_DEP_1) | instskip(SKIP_1) | instid1(VALU_DEP_1)
	v_cmp_gt_i32_e64 s0, 0, v19
	s_wait_alu 0xf1ff
	v_cndmask_b32_e64 v19, v19, v17, s0
	s_delay_alu instid0(VALU_DEP_1)
	v_lshlrev_b32_e32 v19, 2, v19
	ds_bpermute_b32 v18, v19, v18
	v_cmpx_ne_u32_e32 0, v0
	s_cbranch_execz .LBB110_66
; %bb.63:
	v_cmp_eq_u32_e64 s0, 0, v17
	s_wait_dscnt 0x0
	s_wait_alu 0xf1ff
	s_delay_alu instid0(VALU_DEP_1) | instskip(NEXT) | instid1(VALU_DEP_1)
	v_cndmask_b32_e64 v17, v18, v20, s0
	v_max_num_f32_e32 v13, v17, v17
	v_cmp_u_f32_e64 s0, v17, v17
	s_delay_alu instid0(VALU_DEP_2) | instskip(SKIP_2) | instid1(VALU_DEP_2)
	v_min_num_f32_e32 v14, v13, v15
	v_max_num_f32_e32 v13, v13, v15
	s_wait_alu 0xf1ff
	v_cndmask_b32_e64 v14, v14, v17, s0
	s_delay_alu instid0(VALU_DEP_2) | instskip(NEXT) | instid1(VALU_DEP_2)
	v_cndmask_b32_e64 v15, v13, v17, s0
	v_cndmask_b32_e64 v13, v14, v1, s12
	s_delay_alu instid0(VALU_DEP_2) | instskip(NEXT) | instid1(VALU_DEP_2)
	v_cndmask_b32_e64 v1, v15, v1, s12
	v_cmp_class_f32_e64 s12, v13, 0x1f8
	s_delay_alu instid0(VALU_DEP_2)
	v_cmp_neq_f32_e64 s0, v13, v1
	s_or_b32 s0, s0, s12
	s_wait_alu 0xfffe
	s_and_saveexec_b32 s12, s0
	s_cbranch_execz .LBB110_65
; %bb.64:
	v_sub_f32_e32 v13, v13, v1
	s_delay_alu instid0(VALU_DEP_1) | instskip(NEXT) | instid1(VALU_DEP_1)
	v_mul_f32_e32 v14, 0x3fb8aa3b, v13
	v_fma_f32 v15, 0x3fb8aa3b, v13, -v14
	v_rndne_f32_e32 v17, v14
	s_delay_alu instid0(VALU_DEP_1) | instskip(NEXT) | instid1(VALU_DEP_1)
	v_dual_fmamk_f32 v15, v13, 0x32a5705f, v15 :: v_dual_sub_f32 v14, v14, v17
	v_add_f32_e32 v14, v14, v15
	v_cvt_i32_f32_e32 v15, v17
	v_cmp_ngt_f32_e64 s0, 0xc2ce8ed0, v13
	s_delay_alu instid0(VALU_DEP_3) | instskip(NEXT) | instid1(TRANS32_DEP_1)
	v_exp_f32_e32 v14, v14
	v_ldexp_f32 v14, v14, v15
	s_wait_alu 0xf1ff
	s_delay_alu instid0(VALU_DEP_1) | instskip(SKIP_2) | instid1(VALU_DEP_1)
	v_cndmask_b32_e64 v14, 0, v14, s0
	v_cmp_nlt_f32_e64 s0, 0x42b17218, v13
	s_wait_alu 0xf1ff
	v_cndmask_b32_e64 v15, 0x7f800000, v14, s0
	s_delay_alu instid0(VALU_DEP_1) | instskip(NEXT) | instid1(VALU_DEP_1)
	v_add_f32_e32 v17, 1.0, v15
	v_cvt_f64_f32_e32 v[13:14], v17
	s_delay_alu instid0(VALU_DEP_1) | instskip(SKIP_1) | instid1(VALU_DEP_1)
	v_frexp_exp_i32_f64_e32 v13, v[13:14]
	v_frexp_mant_f32_e32 v14, v17
	v_cmp_gt_f32_e64 s0, 0x3f2aaaab, v14
	v_add_f32_e32 v14, -1.0, v17
	s_delay_alu instid0(VALU_DEP_1) | instskip(NEXT) | instid1(VALU_DEP_1)
	v_sub_f32_e32 v19, v14, v17
	v_dual_add_f32 v19, 1.0, v19 :: v_dual_sub_f32 v14, v15, v14
	s_wait_alu 0xf1ff
	v_subrev_co_ci_u32_e64 v13, null, 0, v13, s0
	s_mov_b32 s0, 0x3e9b6dac
	v_sub_nc_u32_e32 v18, 0, v13
	v_cvt_f32_i32_e32 v13, v13
	s_delay_alu instid0(VALU_DEP_2) | instskip(NEXT) | instid1(VALU_DEP_1)
	v_ldexp_f32 v17, v17, v18
	v_add_f32_e32 v20, 1.0, v17
	s_delay_alu instid0(VALU_DEP_1) | instskip(NEXT) | instid1(VALU_DEP_1)
	v_dual_add_f32 v14, v14, v19 :: v_dual_add_f32 v19, -1.0, v20
	v_ldexp_f32 v14, v14, v18
	s_delay_alu instid0(VALU_DEP_2) | instskip(NEXT) | instid1(VALU_DEP_1)
	v_dual_sub_f32 v19, v17, v19 :: v_dual_add_f32 v18, -1.0, v17
	v_add_f32_e32 v19, v14, v19
	s_delay_alu instid0(VALU_DEP_2) | instskip(NEXT) | instid1(VALU_DEP_1)
	v_add_f32_e32 v21, 1.0, v18
	v_sub_f32_e32 v17, v17, v21
	s_delay_alu instid0(VALU_DEP_1) | instskip(NEXT) | instid1(VALU_DEP_1)
	v_add_f32_e32 v14, v14, v17
	v_dual_add_f32 v22, v18, v14 :: v_dual_add_f32 v21, v20, v19
	s_delay_alu instid0(VALU_DEP_1) | instskip(NEXT) | instid1(VALU_DEP_2)
	v_sub_f32_e32 v18, v18, v22
	v_rcp_f32_e32 v17, v21
	v_sub_f32_e32 v20, v20, v21
	s_delay_alu instid0(VALU_DEP_1) | instskip(NEXT) | instid1(TRANS32_DEP_1)
	v_dual_add_f32 v14, v14, v18 :: v_dual_add_f32 v19, v19, v20
	v_mul_f32_e32 v23, v22, v17
	s_delay_alu instid0(VALU_DEP_1) | instskip(NEXT) | instid1(VALU_DEP_1)
	v_mul_f32_e32 v24, v21, v23
	v_fma_f32 v20, v23, v21, -v24
	s_delay_alu instid0(VALU_DEP_1) | instskip(NEXT) | instid1(VALU_DEP_1)
	v_fmac_f32_e32 v20, v23, v19
	v_add_f32_e32 v25, v24, v20
	s_delay_alu instid0(VALU_DEP_1) | instskip(SKIP_1) | instid1(VALU_DEP_2)
	v_sub_f32_e32 v26, v22, v25
	v_sub_f32_e32 v18, v25, v24
	;; [unrolled: 1-line block ×3, first 2 shown]
	s_delay_alu instid0(VALU_DEP_2) | instskip(NEXT) | instid1(VALU_DEP_2)
	v_sub_f32_e32 v18, v18, v20
	v_sub_f32_e32 v22, v22, v25
	s_delay_alu instid0(VALU_DEP_1) | instskip(NEXT) | instid1(VALU_DEP_1)
	v_add_f32_e32 v14, v14, v22
	v_add_f32_e32 v14, v18, v14
	s_delay_alu instid0(VALU_DEP_1) | instskip(NEXT) | instid1(VALU_DEP_1)
	v_add_f32_e32 v18, v26, v14
	v_mul_f32_e32 v20, v17, v18
	s_delay_alu instid0(VALU_DEP_1) | instskip(NEXT) | instid1(VALU_DEP_1)
	v_dual_sub_f32 v25, v26, v18 :: v_dual_mul_f32 v22, v21, v20
	v_add_f32_e32 v14, v14, v25
	s_delay_alu instid0(VALU_DEP_2) | instskip(NEXT) | instid1(VALU_DEP_1)
	v_fma_f32 v21, v20, v21, -v22
	v_fmac_f32_e32 v21, v20, v19
	s_delay_alu instid0(VALU_DEP_1) | instskip(NEXT) | instid1(VALU_DEP_1)
	v_add_f32_e32 v19, v22, v21
	v_sub_f32_e32 v24, v18, v19
	v_sub_f32_e32 v22, v19, v22
	s_delay_alu instid0(VALU_DEP_2) | instskip(NEXT) | instid1(VALU_DEP_1)
	v_sub_f32_e32 v18, v18, v24
	v_sub_f32_e32 v18, v18, v19
	s_delay_alu instid0(VALU_DEP_3) | instskip(NEXT) | instid1(VALU_DEP_2)
	v_sub_f32_e32 v19, v22, v21
	v_add_f32_e32 v14, v14, v18
	v_add_f32_e32 v18, v23, v20
	s_delay_alu instid0(VALU_DEP_1) | instskip(NEXT) | instid1(VALU_DEP_1)
	v_dual_add_f32 v14, v19, v14 :: v_dual_sub_f32 v19, v18, v23
	v_add_f32_e32 v14, v24, v14
	s_delay_alu instid0(VALU_DEP_1) | instskip(NEXT) | instid1(VALU_DEP_1)
	v_dual_sub_f32 v19, v20, v19 :: v_dual_mul_f32 v14, v17, v14
	v_add_f32_e32 v14, v19, v14
	s_delay_alu instid0(VALU_DEP_1) | instskip(NEXT) | instid1(VALU_DEP_1)
	v_add_f32_e32 v17, v18, v14
	v_mul_f32_e32 v19, v17, v17
	s_wait_alu 0xfffe
	s_delay_alu instid0(VALU_DEP_1) | instskip(SKIP_2) | instid1(VALU_DEP_3)
	v_fmaak_f32 v20, s0, v19, 0x3ecc95a3
	v_mul_f32_e32 v21, v17, v19
	v_cmp_neq_f32_e64 s0, 0x7f800000, v15
	v_fmaak_f32 v19, v19, v20, 0x3f2aaada
	v_ldexp_f32 v20, v17, 1
	v_sub_f32_e32 v17, v17, v18
	s_delay_alu instid0(VALU_DEP_3) | instskip(SKIP_1) | instid1(VALU_DEP_3)
	v_mul_f32_e32 v19, v21, v19
	v_mul_f32_e32 v21, 0x3f317218, v13
	v_sub_f32_e32 v14, v14, v17
	s_delay_alu instid0(VALU_DEP_3) | instskip(NEXT) | instid1(VALU_DEP_2)
	v_add_f32_e32 v18, v20, v19
	v_ldexp_f32 v14, v14, 1
	s_delay_alu instid0(VALU_DEP_2) | instskip(SKIP_1) | instid1(VALU_DEP_2)
	v_sub_f32_e32 v17, v18, v20
	v_fma_f32 v20, 0x3f317218, v13, -v21
	v_sub_f32_e32 v17, v19, v17
	s_delay_alu instid0(VALU_DEP_1) | instskip(NEXT) | instid1(VALU_DEP_1)
	v_dual_fmamk_f32 v13, v13, 0xb102e308, v20 :: v_dual_add_f32 v14, v14, v17
	v_add_f32_e32 v17, v21, v13
	s_delay_alu instid0(VALU_DEP_2) | instskip(NEXT) | instid1(VALU_DEP_2)
	v_add_f32_e32 v19, v18, v14
	v_sub_f32_e32 v21, v17, v21
	s_delay_alu instid0(VALU_DEP_2) | instskip(NEXT) | instid1(VALU_DEP_2)
	v_add_f32_e32 v20, v17, v19
	v_sub_f32_e32 v13, v13, v21
	s_delay_alu instid0(VALU_DEP_2) | instskip(SKIP_1) | instid1(VALU_DEP_2)
	v_sub_f32_e32 v22, v20, v17
	v_sub_f32_e32 v18, v19, v18
	;; [unrolled: 1-line block ×3, first 2 shown]
	s_delay_alu instid0(VALU_DEP_2) | instskip(NEXT) | instid1(VALU_DEP_2)
	v_sub_f32_e32 v14, v14, v18
	v_dual_sub_f32 v18, v19, v22 :: v_dual_sub_f32 v17, v17, v23
	s_delay_alu instid0(VALU_DEP_2) | instskip(NEXT) | instid1(VALU_DEP_2)
	v_add_f32_e32 v19, v13, v14
	v_add_f32_e32 v17, v18, v17
	s_delay_alu instid0(VALU_DEP_2) | instskip(NEXT) | instid1(VALU_DEP_2)
	v_sub_f32_e32 v18, v19, v13
	v_add_f32_e32 v17, v19, v17
	s_delay_alu instid0(VALU_DEP_2) | instskip(NEXT) | instid1(VALU_DEP_2)
	v_sub_f32_e32 v19, v19, v18
	v_dual_sub_f32 v14, v14, v18 :: v_dual_add_f32 v21, v20, v17
	s_delay_alu instid0(VALU_DEP_2) | instskip(NEXT) | instid1(VALU_DEP_1)
	v_sub_f32_e32 v13, v13, v19
	v_dual_sub_f32 v18, v21, v20 :: v_dual_add_f32 v13, v14, v13
	s_delay_alu instid0(VALU_DEP_1) | instskip(NEXT) | instid1(VALU_DEP_1)
	v_sub_f32_e32 v14, v17, v18
	v_add_f32_e32 v13, v13, v14
	s_delay_alu instid0(VALU_DEP_1) | instskip(SKIP_1) | instid1(VALU_DEP_1)
	v_add_f32_e32 v13, v21, v13
	s_wait_alu 0xf1ff
	v_cndmask_b32_e64 v13, 0x7f800000, v13, s0
	v_cmp_gt_f32_e64 s0, 0x33800000, |v15|
	s_wait_alu 0xf1ff
	s_delay_alu instid0(VALU_DEP_1) | instskip(NEXT) | instid1(VALU_DEP_1)
	v_cndmask_b32_e64 v13, v13, v15, s0
	v_add_f32_e32 v17, v1, v13
.LBB110_65:
	s_wait_alu 0xfffe
	s_or_b32 exec_lo, exec_lo, s12
	s_delay_alu instid0(VALU_DEP_1) | instskip(SKIP_1) | instid1(VALU_DEP_1)
	v_max_num_f32_e32 v1, v17, v17
	;;#ASMSTART
	;;#ASMEND
	v_min_num_f32_e32 v13, v1, v12
	v_max_num_f32_e32 v14, v1, v12
	v_mov_b32_e32 v1, v17
.LBB110_66:
	s_wait_alu 0xfffe
	s_or_b32 exec_lo, exec_lo, s1
	s_delay_alu instid0(VALU_DEP_1) | instskip(SKIP_1) | instid1(VALU_DEP_1)
	v_cmp_u_f32_e64 s0, v1, v1
	s_wait_alu 0xf1ff
	v_cndmask_b32_e64 v12, v13, v1, s0
	v_cndmask_b32_e64 v14, v14, v1, s0
	s_delay_alu instid0(VALU_DEP_2) | instskip(NEXT) | instid1(VALU_DEP_2)
	v_cndmask_b32_e64 v13, v12, v2, s7
	v_cndmask_b32_e64 v12, v14, v2, s7
	v_mov_b32_e32 v2, v1
	s_delay_alu instid0(VALU_DEP_3) | instskip(NEXT) | instid1(VALU_DEP_3)
	v_cmp_class_f32_e64 s1, v13, 0x1f8
	v_cmp_neq_f32_e64 s0, v13, v12
	s_or_b32 s0, s0, s1
	s_wait_alu 0xfffe
	s_and_saveexec_b32 s1, s0
	s_cbranch_execz .LBB110_68
; %bb.67:
	v_sub_f32_e32 v2, v13, v12
	s_delay_alu instid0(VALU_DEP_1) | instskip(SKIP_1) | instid1(VALU_DEP_2)
	v_mul_f32_e32 v13, 0x3fb8aa3b, v2
	v_cmp_ngt_f32_e64 s0, 0xc2ce8ed0, v2
	v_fma_f32 v14, 0x3fb8aa3b, v2, -v13
	v_rndne_f32_e32 v15, v13
	s_delay_alu instid0(VALU_DEP_1) | instskip(NEXT) | instid1(VALU_DEP_1)
	v_dual_fmamk_f32 v14, v2, 0x32a5705f, v14 :: v_dual_sub_f32 v13, v13, v15
	v_add_f32_e32 v13, v13, v14
	v_cvt_i32_f32_e32 v14, v15
	s_delay_alu instid0(VALU_DEP_2) | instskip(NEXT) | instid1(TRANS32_DEP_1)
	v_exp_f32_e32 v13, v13
	v_ldexp_f32 v13, v13, v14
	s_wait_alu 0xf1ff
	s_delay_alu instid0(VALU_DEP_1) | instskip(SKIP_2) | instid1(VALU_DEP_1)
	v_cndmask_b32_e64 v13, 0, v13, s0
	v_cmp_nlt_f32_e64 s0, 0x42b17218, v2
	s_wait_alu 0xf1ff
	v_cndmask_b32_e64 v2, 0x7f800000, v13, s0
	s_delay_alu instid0(VALU_DEP_1) | instskip(NEXT) | instid1(VALU_DEP_1)
	v_add_f32_e32 v15, 1.0, v2
	v_cvt_f64_f32_e32 v[13:14], v15
	s_delay_alu instid0(VALU_DEP_1) | instskip(SKIP_1) | instid1(VALU_DEP_1)
	v_frexp_exp_i32_f64_e32 v13, v[13:14]
	v_frexp_mant_f32_e32 v14, v15
	v_cmp_gt_f32_e64 s0, 0x3f2aaaab, v14
	v_add_f32_e32 v14, -1.0, v15
	s_wait_dscnt 0x0
	s_delay_alu instid0(VALU_DEP_1)
	v_sub_f32_e32 v18, v14, v15
	s_wait_alu 0xf1ff
	v_subrev_co_ci_u32_e64 v13, null, 0, v13, s0
	s_mov_b32 s0, 0x3e9b6dac
	v_sub_nc_u32_e32 v17, 0, v13
	v_cvt_f32_i32_e32 v13, v13
	s_delay_alu instid0(VALU_DEP_2) | instskip(SKIP_1) | instid1(VALU_DEP_2)
	v_ldexp_f32 v15, v15, v17
	v_sub_f32_e32 v14, v2, v14
	v_dual_add_f32 v18, 1.0, v18 :: v_dual_add_f32 v19, 1.0, v15
	s_delay_alu instid0(VALU_DEP_1) | instskip(NEXT) | instid1(VALU_DEP_2)
	v_add_f32_e32 v14, v14, v18
	v_add_f32_e32 v18, -1.0, v19
	s_delay_alu instid0(VALU_DEP_2) | instskip(NEXT) | instid1(VALU_DEP_2)
	v_ldexp_f32 v14, v14, v17
	v_dual_add_f32 v17, -1.0, v15 :: v_dual_sub_f32 v18, v15, v18
	s_delay_alu instid0(VALU_DEP_1) | instskip(NEXT) | instid1(VALU_DEP_1)
	v_add_f32_e32 v20, 1.0, v17
	v_dual_add_f32 v18, v14, v18 :: v_dual_sub_f32 v15, v15, v20
	s_delay_alu instid0(VALU_DEP_1) | instskip(NEXT) | instid1(VALU_DEP_1)
	v_add_f32_e32 v14, v14, v15
	v_add_f32_e32 v21, v17, v14
	s_delay_alu instid0(VALU_DEP_1) | instskip(NEXT) | instid1(VALU_DEP_1)
	v_dual_sub_f32 v17, v17, v21 :: v_dual_add_f32 v20, v19, v18
	v_rcp_f32_e32 v15, v20
	v_sub_f32_e32 v19, v19, v20
	s_delay_alu instid0(VALU_DEP_1) | instskip(NEXT) | instid1(TRANS32_DEP_1)
	v_add_f32_e32 v18, v18, v19
	v_mul_f32_e32 v22, v21, v15
	s_delay_alu instid0(VALU_DEP_1) | instskip(NEXT) | instid1(VALU_DEP_1)
	v_mul_f32_e32 v23, v20, v22
	v_fma_f32 v19, v22, v20, -v23
	s_delay_alu instid0(VALU_DEP_1) | instskip(NEXT) | instid1(VALU_DEP_1)
	v_fmac_f32_e32 v19, v22, v18
	v_add_f32_e32 v24, v23, v19
	s_delay_alu instid0(VALU_DEP_1) | instskip(SKIP_1) | instid1(VALU_DEP_1)
	v_dual_add_f32 v14, v14, v17 :: v_dual_sub_f32 v17, v24, v23
	v_sub_f32_e32 v25, v21, v24
	v_sub_f32_e32 v21, v21, v25
	s_delay_alu instid0(VALU_DEP_1) | instskip(NEXT) | instid1(VALU_DEP_1)
	v_sub_f32_e32 v21, v21, v24
	v_dual_sub_f32 v17, v17, v19 :: v_dual_add_f32 v14, v14, v21
	s_delay_alu instid0(VALU_DEP_1) | instskip(NEXT) | instid1(VALU_DEP_1)
	v_add_f32_e32 v14, v17, v14
	v_add_f32_e32 v17, v25, v14
	s_delay_alu instid0(VALU_DEP_1) | instskip(NEXT) | instid1(VALU_DEP_1)
	v_mul_f32_e32 v19, v15, v17
	v_dual_sub_f32 v24, v25, v17 :: v_dual_mul_f32 v21, v20, v19
	s_delay_alu instid0(VALU_DEP_1) | instskip(NEXT) | instid1(VALU_DEP_2)
	v_add_f32_e32 v14, v14, v24
	v_fma_f32 v20, v19, v20, -v21
	s_delay_alu instid0(VALU_DEP_1) | instskip(NEXT) | instid1(VALU_DEP_1)
	v_fmac_f32_e32 v20, v19, v18
	v_add_f32_e32 v18, v21, v20
	s_delay_alu instid0(VALU_DEP_1) | instskip(NEXT) | instid1(VALU_DEP_1)
	v_sub_f32_e32 v23, v17, v18
	v_sub_f32_e32 v17, v17, v23
	s_delay_alu instid0(VALU_DEP_1) | instskip(NEXT) | instid1(VALU_DEP_1)
	v_sub_f32_e32 v17, v17, v18
	v_add_f32_e32 v14, v14, v17
	v_add_f32_e32 v17, v22, v19
	v_sub_f32_e32 v21, v18, v21
	s_delay_alu instid0(VALU_DEP_1) | instskip(NEXT) | instid1(VALU_DEP_1)
	v_sub_f32_e32 v18, v21, v20
	v_add_f32_e32 v14, v18, v14
	s_delay_alu instid0(VALU_DEP_4) | instskip(NEXT) | instid1(VALU_DEP_2)
	v_sub_f32_e32 v18, v17, v22
	v_add_f32_e32 v14, v23, v14
	s_delay_alu instid0(VALU_DEP_2) | instskip(NEXT) | instid1(VALU_DEP_2)
	v_sub_f32_e32 v18, v19, v18
	v_mul_f32_e32 v14, v15, v14
	s_delay_alu instid0(VALU_DEP_1) | instskip(NEXT) | instid1(VALU_DEP_1)
	v_add_f32_e32 v14, v18, v14
	v_add_f32_e32 v15, v17, v14
	s_delay_alu instid0(VALU_DEP_1) | instskip(SKIP_1) | instid1(VALU_DEP_1)
	v_mul_f32_e32 v18, v15, v15
	s_wait_alu 0xfffe
	v_fmaak_f32 v19, s0, v18, 0x3ecc95a3
	v_mul_f32_e32 v20, v15, v18
	v_cmp_neq_f32_e64 s0, 0x7f800000, v2
	s_delay_alu instid0(VALU_DEP_3) | instskip(SKIP_1) | instid1(VALU_DEP_2)
	v_fmaak_f32 v18, v18, v19, 0x3f2aaada
	v_ldexp_f32 v19, v15, 1
	v_dual_sub_f32 v15, v15, v17 :: v_dual_mul_f32 v18, v20, v18
	v_mul_f32_e32 v20, 0x3f317218, v13
	s_delay_alu instid0(VALU_DEP_2) | instskip(NEXT) | instid1(VALU_DEP_1)
	v_dual_sub_f32 v14, v14, v15 :: v_dual_add_f32 v17, v19, v18
	v_ldexp_f32 v14, v14, 1
	s_delay_alu instid0(VALU_DEP_2) | instskip(NEXT) | instid1(VALU_DEP_4)
	v_sub_f32_e32 v15, v17, v19
	v_fma_f32 v19, 0x3f317218, v13, -v20
	s_delay_alu instid0(VALU_DEP_2) | instskip(NEXT) | instid1(VALU_DEP_1)
	v_sub_f32_e32 v15, v18, v15
	v_dual_fmamk_f32 v13, v13, 0xb102e308, v19 :: v_dual_add_f32 v14, v14, v15
	s_delay_alu instid0(VALU_DEP_1) | instskip(NEXT) | instid1(VALU_DEP_1)
	v_dual_add_f32 v15, v20, v13 :: v_dual_add_f32 v18, v17, v14
	v_add_f32_e32 v19, v15, v18
	v_sub_f32_e32 v17, v18, v17
	s_delay_alu instid0(VALU_DEP_2) | instskip(SKIP_1) | instid1(VALU_DEP_2)
	v_sub_f32_e32 v21, v19, v15
	v_sub_f32_e32 v20, v15, v20
	;; [unrolled: 1-line block ×3, first 2 shown]
	s_delay_alu instid0(VALU_DEP_1) | instskip(SKIP_1) | instid1(VALU_DEP_4)
	v_dual_sub_f32 v15, v15, v22 :: v_dual_sub_f32 v14, v14, v17
	v_sub_f32_e32 v17, v18, v21
	v_sub_f32_e32 v13, v13, v20
	s_delay_alu instid0(VALU_DEP_2) | instskip(NEXT) | instid1(VALU_DEP_2)
	v_add_f32_e32 v15, v17, v15
	v_add_f32_e32 v18, v13, v14
	s_delay_alu instid0(VALU_DEP_1) | instskip(NEXT) | instid1(VALU_DEP_1)
	v_add_f32_e32 v15, v18, v15
	v_dual_sub_f32 v17, v18, v13 :: v_dual_add_f32 v20, v19, v15
	s_delay_alu instid0(VALU_DEP_1) | instskip(NEXT) | instid1(VALU_DEP_1)
	v_sub_f32_e32 v18, v18, v17
	v_dual_sub_f32 v13, v13, v18 :: v_dual_sub_f32 v14, v14, v17
	s_delay_alu instid0(VALU_DEP_3) | instskip(NEXT) | instid1(VALU_DEP_2)
	v_sub_f32_e32 v17, v20, v19
	v_add_f32_e32 v13, v14, v13
	s_delay_alu instid0(VALU_DEP_2) | instskip(NEXT) | instid1(VALU_DEP_1)
	v_sub_f32_e32 v14, v15, v17
	v_add_f32_e32 v13, v13, v14
	s_delay_alu instid0(VALU_DEP_1) | instskip(SKIP_1) | instid1(VALU_DEP_1)
	v_add_f32_e32 v13, v20, v13
	s_wait_alu 0xf1ff
	v_cndmask_b32_e64 v13, 0x7f800000, v13, s0
	v_cmp_gt_f32_e64 s0, 0x33800000, |v2|
	s_wait_alu 0xf1ff
	s_delay_alu instid0(VALU_DEP_1) | instskip(NEXT) | instid1(VALU_DEP_1)
	v_cndmask_b32_e64 v2, v13, v2, s0
	v_add_f32_e32 v2, v12, v2
.LBB110_68:
	s_wait_alu 0xfffe
	s_or_b32 exec_lo, exec_lo, s1
	s_delay_alu instid0(VALU_DEP_1) | instskip(SKIP_1) | instid1(VALU_DEP_2)
	v_max_num_f32_e32 v12, v2, v2
	v_cmp_u_f32_e64 s0, v2, v2
	v_min_num_f32_e32 v13, v12, v8
	v_max_num_f32_e32 v8, v12, v8
	s_wait_alu 0xf1ff
	s_delay_alu instid0(VALU_DEP_2) | instskip(NEXT) | instid1(VALU_DEP_2)
	v_cndmask_b32_e64 v12, v13, v2, s0
	v_cndmask_b32_e64 v8, v8, v2, s0
	s_delay_alu instid0(VALU_DEP_2) | instskip(NEXT) | instid1(VALU_DEP_2)
	v_cndmask_b32_e64 v12, v12, v3, s8
	v_cndmask_b32_e64 v8, v8, v3, s8
	v_mov_b32_e32 v3, v2
	s_delay_alu instid0(VALU_DEP_3) | instskip(NEXT) | instid1(VALU_DEP_3)
	v_cmp_class_f32_e64 s1, v12, 0x1f8
	v_cmp_neq_f32_e64 s0, v12, v8
	s_or_b32 s0, s0, s1
	s_wait_alu 0xfffe
	s_and_saveexec_b32 s1, s0
	s_cbranch_execz .LBB110_70
; %bb.69:
	v_sub_f32_e32 v3, v12, v8
	s_delay_alu instid0(VALU_DEP_1) | instskip(SKIP_1) | instid1(VALU_DEP_2)
	v_mul_f32_e32 v12, 0x3fb8aa3b, v3
	v_cmp_ngt_f32_e64 s0, 0xc2ce8ed0, v3
	v_fma_f32 v13, 0x3fb8aa3b, v3, -v12
	v_rndne_f32_e32 v14, v12
	s_delay_alu instid0(VALU_DEP_1) | instskip(NEXT) | instid1(VALU_DEP_1)
	v_dual_fmamk_f32 v13, v3, 0x32a5705f, v13 :: v_dual_sub_f32 v12, v12, v14
	v_add_f32_e32 v12, v12, v13
	v_cvt_i32_f32_e32 v13, v14
	s_delay_alu instid0(VALU_DEP_2) | instskip(NEXT) | instid1(TRANS32_DEP_1)
	v_exp_f32_e32 v12, v12
	v_ldexp_f32 v12, v12, v13
	s_wait_alu 0xf1ff
	s_delay_alu instid0(VALU_DEP_1) | instskip(SKIP_2) | instid1(VALU_DEP_1)
	v_cndmask_b32_e64 v12, 0, v12, s0
	v_cmp_nlt_f32_e64 s0, 0x42b17218, v3
	s_wait_alu 0xf1ff
	v_cndmask_b32_e64 v3, 0x7f800000, v12, s0
	s_delay_alu instid0(VALU_DEP_1) | instskip(NEXT) | instid1(VALU_DEP_1)
	v_add_f32_e32 v14, 1.0, v3
	v_cvt_f64_f32_e32 v[12:13], v14
	s_delay_alu instid0(VALU_DEP_1) | instskip(SKIP_1) | instid1(VALU_DEP_1)
	v_frexp_exp_i32_f64_e32 v12, v[12:13]
	v_frexp_mant_f32_e32 v13, v14
	v_cmp_gt_f32_e64 s0, 0x3f2aaaab, v13
	v_add_f32_e32 v13, -1.0, v14
	s_delay_alu instid0(VALU_DEP_1)
	v_sub_f32_e32 v17, v13, v14
	v_sub_f32_e32 v13, v3, v13
	s_wait_alu 0xf1ff
	v_subrev_co_ci_u32_e64 v12, null, 0, v12, s0
	s_mov_b32 s0, 0x3e9b6dac
	v_sub_nc_u32_e32 v15, 0, v12
	v_cvt_f32_i32_e32 v12, v12
	s_delay_alu instid0(VALU_DEP_2) | instskip(SKIP_1) | instid1(VALU_DEP_1)
	v_ldexp_f32 v14, v14, v15
	s_wait_dscnt 0x0
	v_dual_add_f32 v17, 1.0, v17 :: v_dual_add_f32 v18, 1.0, v14
	s_delay_alu instid0(VALU_DEP_1) | instskip(NEXT) | instid1(VALU_DEP_1)
	v_add_f32_e32 v13, v13, v17
	v_ldexp_f32 v13, v13, v15
	v_add_f32_e32 v15, -1.0, v14
	s_delay_alu instid0(VALU_DEP_4) | instskip(NEXT) | instid1(VALU_DEP_2)
	v_add_f32_e32 v17, -1.0, v18
	v_add_f32_e32 v19, 1.0, v15
	s_delay_alu instid0(VALU_DEP_2) | instskip(NEXT) | instid1(VALU_DEP_1)
	v_sub_f32_e32 v17, v14, v17
	v_dual_sub_f32 v14, v14, v19 :: v_dual_add_f32 v17, v13, v17
	s_delay_alu instid0(VALU_DEP_1) | instskip(NEXT) | instid1(VALU_DEP_2)
	v_add_f32_e32 v13, v13, v14
	v_add_f32_e32 v19, v18, v17
	s_delay_alu instid0(VALU_DEP_2) | instskip(NEXT) | instid1(VALU_DEP_2)
	v_add_f32_e32 v20, v15, v13
	v_rcp_f32_e32 v14, v19
	v_sub_f32_e32 v18, v18, v19
	s_delay_alu instid0(VALU_DEP_1) | instskip(NEXT) | instid1(TRANS32_DEP_1)
	v_add_f32_e32 v17, v17, v18
	v_mul_f32_e32 v21, v20, v14
	s_delay_alu instid0(VALU_DEP_1) | instskip(SKIP_1) | instid1(VALU_DEP_2)
	v_mul_f32_e32 v22, v19, v21
	v_sub_f32_e32 v15, v15, v20
	v_fma_f32 v18, v21, v19, -v22
	s_delay_alu instid0(VALU_DEP_2) | instskip(NEXT) | instid1(VALU_DEP_2)
	v_add_f32_e32 v13, v13, v15
	v_fmac_f32_e32 v18, v21, v17
	s_delay_alu instid0(VALU_DEP_1) | instskip(NEXT) | instid1(VALU_DEP_1)
	v_add_f32_e32 v23, v22, v18
	v_dual_sub_f32 v24, v20, v23 :: v_dual_sub_f32 v15, v23, v22
	s_delay_alu instid0(VALU_DEP_1) | instskip(NEXT) | instid1(VALU_DEP_1)
	v_dual_sub_f32 v20, v20, v24 :: v_dual_sub_f32 v15, v15, v18
	v_sub_f32_e32 v20, v20, v23
	s_delay_alu instid0(VALU_DEP_1) | instskip(NEXT) | instid1(VALU_DEP_1)
	v_add_f32_e32 v13, v13, v20
	v_add_f32_e32 v13, v15, v13
	s_delay_alu instid0(VALU_DEP_1) | instskip(NEXT) | instid1(VALU_DEP_1)
	v_add_f32_e32 v15, v24, v13
	v_mul_f32_e32 v18, v14, v15
	s_delay_alu instid0(VALU_DEP_1) | instskip(NEXT) | instid1(VALU_DEP_1)
	v_dual_sub_f32 v23, v24, v15 :: v_dual_mul_f32 v20, v19, v18
	v_add_f32_e32 v13, v13, v23
	s_delay_alu instid0(VALU_DEP_2) | instskip(NEXT) | instid1(VALU_DEP_1)
	v_fma_f32 v19, v18, v19, -v20
	v_fmac_f32_e32 v19, v18, v17
	s_delay_alu instid0(VALU_DEP_1) | instskip(NEXT) | instid1(VALU_DEP_1)
	v_add_f32_e32 v17, v20, v19
	v_sub_f32_e32 v22, v15, v17
	s_delay_alu instid0(VALU_DEP_1) | instskip(NEXT) | instid1(VALU_DEP_1)
	v_dual_sub_f32 v20, v17, v20 :: v_dual_sub_f32 v15, v15, v22
	v_sub_f32_e32 v15, v15, v17
	s_delay_alu instid0(VALU_DEP_2) | instskip(NEXT) | instid1(VALU_DEP_2)
	v_sub_f32_e32 v17, v20, v19
	v_add_f32_e32 v13, v13, v15
	v_add_f32_e32 v15, v21, v18
	s_delay_alu instid0(VALU_DEP_2) | instskip(NEXT) | instid1(VALU_DEP_2)
	v_add_f32_e32 v13, v17, v13
	v_sub_f32_e32 v17, v15, v21
	s_delay_alu instid0(VALU_DEP_2) | instskip(NEXT) | instid1(VALU_DEP_2)
	v_add_f32_e32 v13, v22, v13
	v_sub_f32_e32 v17, v18, v17
	s_delay_alu instid0(VALU_DEP_2) | instskip(NEXT) | instid1(VALU_DEP_1)
	v_mul_f32_e32 v13, v14, v13
	v_add_f32_e32 v13, v17, v13
	s_delay_alu instid0(VALU_DEP_1) | instskip(NEXT) | instid1(VALU_DEP_1)
	v_add_f32_e32 v14, v15, v13
	v_mul_f32_e32 v17, v14, v14
	s_wait_alu 0xfffe
	s_delay_alu instid0(VALU_DEP_1) | instskip(SKIP_2) | instid1(VALU_DEP_3)
	v_fmaak_f32 v18, s0, v17, 0x3ecc95a3
	v_mul_f32_e32 v19, v14, v17
	v_cmp_neq_f32_e64 s0, 0x7f800000, v3
	v_fmaak_f32 v17, v17, v18, 0x3f2aaada
	v_ldexp_f32 v18, v14, 1
	s_delay_alu instid0(VALU_DEP_2) | instskip(SKIP_1) | instid1(VALU_DEP_2)
	v_dual_sub_f32 v14, v14, v15 :: v_dual_mul_f32 v17, v19, v17
	v_mul_f32_e32 v19, 0x3f317218, v12
	v_sub_f32_e32 v13, v13, v14
	s_delay_alu instid0(VALU_DEP_3) | instskip(NEXT) | instid1(VALU_DEP_2)
	v_add_f32_e32 v15, v18, v17
	v_ldexp_f32 v13, v13, 1
	s_delay_alu instid0(VALU_DEP_2) | instskip(SKIP_1) | instid1(VALU_DEP_2)
	v_sub_f32_e32 v14, v15, v18
	v_fma_f32 v18, 0x3f317218, v12, -v19
	v_sub_f32_e32 v14, v17, v14
	s_delay_alu instid0(VALU_DEP_1) | instskip(NEXT) | instid1(VALU_DEP_1)
	v_dual_fmamk_f32 v12, v12, 0xb102e308, v18 :: v_dual_add_f32 v13, v13, v14
	v_add_f32_e32 v14, v19, v12
	s_delay_alu instid0(VALU_DEP_2) | instskip(NEXT) | instid1(VALU_DEP_2)
	v_add_f32_e32 v17, v15, v13
	v_sub_f32_e32 v19, v14, v19
	s_delay_alu instid0(VALU_DEP_2) | instskip(NEXT) | instid1(VALU_DEP_2)
	v_dual_add_f32 v18, v14, v17 :: v_dual_sub_f32 v15, v17, v15
	v_sub_f32_e32 v12, v12, v19
	s_delay_alu instid0(VALU_DEP_2) | instskip(NEXT) | instid1(VALU_DEP_1)
	v_dual_sub_f32 v20, v18, v14 :: v_dual_sub_f32 v13, v13, v15
	v_sub_f32_e32 v21, v18, v20
	v_sub_f32_e32 v15, v17, v20
	s_delay_alu instid0(VALU_DEP_3) | instskip(NEXT) | instid1(VALU_DEP_3)
	v_add_f32_e32 v17, v12, v13
	v_sub_f32_e32 v14, v14, v21
	s_delay_alu instid0(VALU_DEP_1) | instskip(NEXT) | instid1(VALU_DEP_1)
	v_dual_add_f32 v14, v15, v14 :: v_dual_sub_f32 v15, v17, v12
	v_add_f32_e32 v14, v17, v14
	s_delay_alu instid0(VALU_DEP_2) | instskip(SKIP_1) | instid1(VALU_DEP_2)
	v_sub_f32_e32 v17, v17, v15
	v_sub_f32_e32 v13, v13, v15
	v_dual_add_f32 v19, v18, v14 :: v_dual_sub_f32 v12, v12, v17
	s_delay_alu instid0(VALU_DEP_1) | instskip(NEXT) | instid1(VALU_DEP_1)
	v_dual_sub_f32 v15, v19, v18 :: v_dual_add_f32 v12, v13, v12
	v_sub_f32_e32 v13, v14, v15
	s_delay_alu instid0(VALU_DEP_1) | instskip(NEXT) | instid1(VALU_DEP_1)
	v_add_f32_e32 v12, v12, v13
	v_add_f32_e32 v12, v19, v12
	s_wait_alu 0xf1ff
	s_delay_alu instid0(VALU_DEP_1) | instskip(SKIP_2) | instid1(VALU_DEP_1)
	v_cndmask_b32_e64 v12, 0x7f800000, v12, s0
	v_cmp_gt_f32_e64 s0, 0x33800000, |v3|
	s_wait_alu 0xf1ff
	v_cndmask_b32_e64 v3, v12, v3, s0
	s_delay_alu instid0(VALU_DEP_1)
	v_add_f32_e32 v3, v8, v3
.LBB110_70:
	s_wait_alu 0xfffe
	s_or_b32 exec_lo, exec_lo, s1
	s_delay_alu instid0(VALU_DEP_1) | instskip(SKIP_1) | instid1(VALU_DEP_2)
	v_max_num_f32_e32 v8, v3, v3
	v_cmp_u_f32_e64 s0, v3, v3
	v_min_num_f32_e32 v12, v8, v9
	v_max_num_f32_e32 v8, v8, v9
	s_wait_alu 0xf1ff
	s_delay_alu instid0(VALU_DEP_2) | instskip(NEXT) | instid1(VALU_DEP_2)
	v_cndmask_b32_e64 v9, v12, v3, s0
	v_cndmask_b32_e64 v8, v8, v3, s0
	s_delay_alu instid0(VALU_DEP_2) | instskip(NEXT) | instid1(VALU_DEP_2)
	v_cndmask_b32_e64 v9, v9, v4, s9
	v_cndmask_b32_e64 v8, v8, v4, s9
	v_mov_b32_e32 v4, v3
	s_delay_alu instid0(VALU_DEP_3) | instskip(NEXT) | instid1(VALU_DEP_3)
	v_cmp_class_f32_e64 s1, v9, 0x1f8
	v_cmp_neq_f32_e64 s0, v9, v8
	s_or_b32 s0, s0, s1
	s_wait_alu 0xfffe
	s_and_saveexec_b32 s1, s0
	s_cbranch_execz .LBB110_72
; %bb.71:
	v_sub_f32_e32 v4, v9, v8
	s_delay_alu instid0(VALU_DEP_1) | instskip(SKIP_1) | instid1(VALU_DEP_2)
	v_mul_f32_e32 v9, 0x3fb8aa3b, v4
	v_cmp_ngt_f32_e64 s0, 0xc2ce8ed0, v4
	v_fma_f32 v12, 0x3fb8aa3b, v4, -v9
	v_rndne_f32_e32 v13, v9
	s_delay_alu instid0(VALU_DEP_1) | instskip(NEXT) | instid1(VALU_DEP_1)
	v_dual_fmamk_f32 v12, v4, 0x32a5705f, v12 :: v_dual_sub_f32 v9, v9, v13
	v_add_f32_e32 v9, v9, v12
	v_cvt_i32_f32_e32 v12, v13
	s_delay_alu instid0(VALU_DEP_2) | instskip(NEXT) | instid1(TRANS32_DEP_1)
	v_exp_f32_e32 v9, v9
	v_ldexp_f32 v9, v9, v12
	s_wait_alu 0xf1ff
	s_delay_alu instid0(VALU_DEP_1) | instskip(SKIP_2) | instid1(VALU_DEP_1)
	v_cndmask_b32_e64 v9, 0, v9, s0
	v_cmp_nlt_f32_e64 s0, 0x42b17218, v4
	s_wait_alu 0xf1ff
	v_cndmask_b32_e64 v4, 0x7f800000, v9, s0
	s_delay_alu instid0(VALU_DEP_1) | instskip(NEXT) | instid1(VALU_DEP_1)
	v_add_f32_e32 v9, 1.0, v4
	v_cvt_f64_f32_e32 v[12:13], v9
	s_delay_alu instid0(VALU_DEP_1) | instskip(SKIP_1) | instid1(VALU_DEP_1)
	v_frexp_exp_i32_f64_e32 v12, v[12:13]
	v_frexp_mant_f32_e32 v13, v9
	v_cmp_gt_f32_e64 s0, 0x3f2aaaab, v13
	v_add_f32_e32 v13, -1.0, v9
	s_delay_alu instid0(VALU_DEP_1)
	v_sub_f32_e32 v15, v13, v9
	v_sub_f32_e32 v13, v4, v13
	s_wait_alu 0xf1ff
	v_subrev_co_ci_u32_e64 v12, null, 0, v12, s0
	s_mov_b32 s0, 0x3e9b6dac
	v_sub_nc_u32_e32 v14, 0, v12
	v_cvt_f32_i32_e32 v12, v12
	s_delay_alu instid0(VALU_DEP_2) | instskip(SKIP_1) | instid1(VALU_DEP_2)
	v_ldexp_f32 v9, v9, v14
	v_add_f32_e32 v15, 1.0, v15
	v_add_f32_e32 v17, 1.0, v9
	s_delay_alu instid0(VALU_DEP_2) | instskip(NEXT) | instid1(VALU_DEP_2)
	v_add_f32_e32 v13, v13, v15
	v_add_f32_e32 v15, -1.0, v17
	s_delay_alu instid0(VALU_DEP_2) | instskip(NEXT) | instid1(VALU_DEP_2)
	v_ldexp_f32 v13, v13, v14
	v_dual_add_f32 v14, -1.0, v9 :: v_dual_sub_f32 v15, v9, v15
	s_wait_dscnt 0x0
	s_delay_alu instid0(VALU_DEP_1) | instskip(NEXT) | instid1(VALU_DEP_1)
	v_dual_add_f32 v18, 1.0, v14 :: v_dual_add_f32 v15, v13, v15
	v_sub_f32_e32 v9, v9, v18
	s_delay_alu instid0(VALU_DEP_2) | instskip(NEXT) | instid1(VALU_DEP_2)
	v_add_f32_e32 v18, v17, v15
	v_add_f32_e32 v9, v13, v9
	s_delay_alu instid0(VALU_DEP_2) | instskip(SKIP_1) | instid1(VALU_DEP_2)
	v_rcp_f32_e32 v13, v18
	v_sub_f32_e32 v17, v17, v18
	v_add_f32_e32 v19, v14, v9
	s_delay_alu instid0(VALU_DEP_1)
	v_dual_add_f32 v15, v15, v17 :: v_dual_sub_f32 v14, v14, v19
	s_delay_alu instid0(TRANS32_DEP_1) | instid1(VALU_DEP_1)
	v_dual_mul_f32 v20, v19, v13 :: v_dual_add_f32 v9, v9, v14
	s_delay_alu instid0(VALU_DEP_1) | instskip(NEXT) | instid1(VALU_DEP_1)
	v_mul_f32_e32 v21, v18, v20
	v_fma_f32 v17, v20, v18, -v21
	s_delay_alu instid0(VALU_DEP_1) | instskip(NEXT) | instid1(VALU_DEP_1)
	v_fmac_f32_e32 v17, v20, v15
	v_add_f32_e32 v22, v21, v17
	s_delay_alu instid0(VALU_DEP_1) | instskip(NEXT) | instid1(VALU_DEP_1)
	v_sub_f32_e32 v23, v19, v22
	v_dual_sub_f32 v19, v19, v23 :: v_dual_sub_f32 v14, v22, v21
	s_delay_alu instid0(VALU_DEP_1) | instskip(NEXT) | instid1(VALU_DEP_1)
	v_dual_sub_f32 v19, v19, v22 :: v_dual_sub_f32 v14, v14, v17
	v_add_f32_e32 v9, v9, v19
	s_delay_alu instid0(VALU_DEP_1) | instskip(NEXT) | instid1(VALU_DEP_1)
	v_add_f32_e32 v9, v14, v9
	v_add_f32_e32 v14, v23, v9
	s_delay_alu instid0(VALU_DEP_1) | instskip(NEXT) | instid1(VALU_DEP_1)
	v_mul_f32_e32 v17, v13, v14
	v_dual_sub_f32 v22, v23, v14 :: v_dual_mul_f32 v19, v18, v17
	s_delay_alu instid0(VALU_DEP_1) | instskip(NEXT) | instid1(VALU_DEP_2)
	v_add_f32_e32 v9, v9, v22
	v_fma_f32 v18, v17, v18, -v19
	s_delay_alu instid0(VALU_DEP_1) | instskip(NEXT) | instid1(VALU_DEP_1)
	v_fmac_f32_e32 v18, v17, v15
	v_add_f32_e32 v15, v19, v18
	s_delay_alu instid0(VALU_DEP_1) | instskip(NEXT) | instid1(VALU_DEP_1)
	v_sub_f32_e32 v21, v14, v15
	v_dual_sub_f32 v19, v15, v19 :: v_dual_sub_f32 v14, v14, v21
	s_delay_alu instid0(VALU_DEP_1) | instskip(NEXT) | instid1(VALU_DEP_1)
	v_dual_sub_f32 v14, v14, v15 :: v_dual_sub_f32 v15, v19, v18
	v_dual_add_f32 v9, v9, v14 :: v_dual_add_f32 v14, v20, v17
	s_delay_alu instid0(VALU_DEP_1) | instskip(NEXT) | instid1(VALU_DEP_2)
	v_add_f32_e32 v9, v15, v9
	v_sub_f32_e32 v15, v14, v20
	s_delay_alu instid0(VALU_DEP_2) | instskip(NEXT) | instid1(VALU_DEP_2)
	v_add_f32_e32 v9, v21, v9
	v_sub_f32_e32 v15, v17, v15
	s_delay_alu instid0(VALU_DEP_2) | instskip(NEXT) | instid1(VALU_DEP_1)
	v_mul_f32_e32 v9, v13, v9
	v_add_f32_e32 v9, v15, v9
	s_delay_alu instid0(VALU_DEP_1) | instskip(NEXT) | instid1(VALU_DEP_1)
	v_add_f32_e32 v13, v14, v9
	v_mul_f32_e32 v15, v13, v13
	s_wait_alu 0xfffe
	s_delay_alu instid0(VALU_DEP_1) | instskip(SKIP_2) | instid1(VALU_DEP_3)
	v_fmaak_f32 v17, s0, v15, 0x3ecc95a3
	v_mul_f32_e32 v18, v13, v15
	v_cmp_neq_f32_e64 s0, 0x7f800000, v4
	v_fmaak_f32 v15, v15, v17, 0x3f2aaada
	v_ldexp_f32 v17, v13, 1
	v_sub_f32_e32 v13, v13, v14
	s_delay_alu instid0(VALU_DEP_3) | instskip(NEXT) | instid1(VALU_DEP_2)
	v_dual_mul_f32 v15, v18, v15 :: v_dual_mul_f32 v18, 0x3f317218, v12
	v_sub_f32_e32 v9, v9, v13
	s_delay_alu instid0(VALU_DEP_2) | instskip(NEXT) | instid1(VALU_DEP_2)
	v_add_f32_e32 v14, v17, v15
	v_ldexp_f32 v9, v9, 1
	s_delay_alu instid0(VALU_DEP_2) | instskip(SKIP_1) | instid1(VALU_DEP_1)
	v_sub_f32_e32 v13, v14, v17
	v_fma_f32 v17, 0x3f317218, v12, -v18
	v_dual_sub_f32 v13, v15, v13 :: v_dual_fmamk_f32 v12, v12, 0xb102e308, v17
	s_delay_alu instid0(VALU_DEP_1) | instskip(NEXT) | instid1(VALU_DEP_2)
	v_add_f32_e32 v9, v9, v13
	v_add_f32_e32 v13, v18, v12
	s_delay_alu instid0(VALU_DEP_1) | instskip(NEXT) | instid1(VALU_DEP_1)
	v_dual_add_f32 v15, v14, v9 :: v_dual_sub_f32 v18, v13, v18
	v_dual_add_f32 v17, v13, v15 :: v_dual_sub_f32 v14, v15, v14
	s_delay_alu instid0(VALU_DEP_1) | instskip(NEXT) | instid1(VALU_DEP_2)
	v_dual_sub_f32 v12, v12, v18 :: v_dual_sub_f32 v19, v17, v13
	v_sub_f32_e32 v9, v9, v14
	s_delay_alu instid0(VALU_DEP_2) | instskip(NEXT) | instid1(VALU_DEP_2)
	v_sub_f32_e32 v20, v17, v19
	v_dual_sub_f32 v14, v15, v19 :: v_dual_add_f32 v15, v12, v9
	s_delay_alu instid0(VALU_DEP_2) | instskip(NEXT) | instid1(VALU_DEP_1)
	v_sub_f32_e32 v13, v13, v20
	v_dual_add_f32 v13, v14, v13 :: v_dual_sub_f32 v14, v15, v12
	s_delay_alu instid0(VALU_DEP_1) | instskip(NEXT) | instid1(VALU_DEP_2)
	v_add_f32_e32 v13, v15, v13
	v_sub_f32_e32 v15, v15, v14
	v_sub_f32_e32 v9, v9, v14
	s_delay_alu instid0(VALU_DEP_3) | instskip(NEXT) | instid1(VALU_DEP_3)
	v_add_f32_e32 v18, v17, v13
	v_sub_f32_e32 v12, v12, v15
	s_delay_alu instid0(VALU_DEP_1) | instskip(NEXT) | instid1(VALU_DEP_1)
	v_dual_sub_f32 v14, v18, v17 :: v_dual_add_f32 v9, v9, v12
	v_sub_f32_e32 v12, v13, v14
	s_delay_alu instid0(VALU_DEP_1) | instskip(NEXT) | instid1(VALU_DEP_1)
	v_add_f32_e32 v9, v9, v12
	v_add_f32_e32 v9, v18, v9
	s_wait_alu 0xf1ff
	s_delay_alu instid0(VALU_DEP_1) | instskip(SKIP_2) | instid1(VALU_DEP_1)
	v_cndmask_b32_e64 v9, 0x7f800000, v9, s0
	v_cmp_gt_f32_e64 s0, 0x33800000, |v4|
	s_wait_alu 0xf1ff
	v_cndmask_b32_e64 v4, v9, v4, s0
	s_delay_alu instid0(VALU_DEP_1)
	v_add_f32_e32 v4, v8, v4
.LBB110_72:
	s_wait_alu 0xfffe
	s_or_b32 exec_lo, exec_lo, s1
	s_delay_alu instid0(VALU_DEP_1) | instskip(SKIP_1) | instid1(VALU_DEP_2)
	v_max_num_f32_e32 v8, v4, v4
	v_cmp_u_f32_e64 s0, v4, v4
	v_min_num_f32_e32 v9, v8, v10
	v_max_num_f32_e32 v8, v8, v10
	s_wait_alu 0xf1ff
	s_delay_alu instid0(VALU_DEP_2) | instskip(NEXT) | instid1(VALU_DEP_2)
	v_cndmask_b32_e64 v9, v9, v4, s0
	v_cndmask_b32_e64 v8, v8, v4, s0
	s_delay_alu instid0(VALU_DEP_2) | instskip(NEXT) | instid1(VALU_DEP_2)
	v_cndmask_b32_e64 v9, v9, v5, s10
	v_cndmask_b32_e64 v8, v8, v5, s10
	v_mov_b32_e32 v5, v4
	s_delay_alu instid0(VALU_DEP_3) | instskip(NEXT) | instid1(VALU_DEP_3)
	v_cmp_class_f32_e64 s1, v9, 0x1f8
	v_cmp_neq_f32_e64 s0, v9, v8
	s_or_b32 s0, s0, s1
	s_wait_alu 0xfffe
	s_and_saveexec_b32 s1, s0
	s_cbranch_execz .LBB110_74
; %bb.73:
	v_sub_f32_e32 v5, v9, v8
	s_delay_alu instid0(VALU_DEP_1) | instskip(SKIP_1) | instid1(VALU_DEP_2)
	v_mul_f32_e32 v9, 0x3fb8aa3b, v5
	v_cmp_ngt_f32_e64 s0, 0xc2ce8ed0, v5
	v_fma_f32 v10, 0x3fb8aa3b, v5, -v9
	v_rndne_f32_e32 v12, v9
	s_delay_alu instid0(VALU_DEP_2) | instskip(NEXT) | instid1(VALU_DEP_2)
	v_fmamk_f32 v10, v5, 0x32a5705f, v10
	v_sub_f32_e32 v9, v9, v12
	s_delay_alu instid0(VALU_DEP_1) | instskip(SKIP_1) | instid1(VALU_DEP_2)
	v_add_f32_e32 v9, v9, v10
	v_cvt_i32_f32_e32 v10, v12
	v_exp_f32_e32 v9, v9
	s_delay_alu instid0(TRANS32_DEP_1) | instskip(SKIP_1) | instid1(VALU_DEP_1)
	v_ldexp_f32 v9, v9, v10
	s_wait_alu 0xf1ff
	v_cndmask_b32_e64 v9, 0, v9, s0
	v_cmp_nlt_f32_e64 s0, 0x42b17218, v5
	s_wait_alu 0xf1ff
	s_delay_alu instid0(VALU_DEP_1) | instskip(NEXT) | instid1(VALU_DEP_1)
	v_cndmask_b32_e64 v5, 0x7f800000, v9, s0
	v_add_f32_e32 v12, 1.0, v5
	s_delay_alu instid0(VALU_DEP_1) | instskip(NEXT) | instid1(VALU_DEP_1)
	v_cvt_f64_f32_e32 v[9:10], v12
	v_frexp_exp_i32_f64_e32 v9, v[9:10]
	v_frexp_mant_f32_e32 v10, v12
	s_delay_alu instid0(VALU_DEP_1) | instskip(SKIP_1) | instid1(VALU_DEP_1)
	v_cmp_gt_f32_e64 s0, 0x3f2aaaab, v10
	v_add_f32_e32 v10, -1.0, v12
	v_sub_f32_e32 v14, v10, v12
	s_delay_alu instid0(VALU_DEP_1)
	v_add_f32_e32 v14, 1.0, v14
	s_wait_alu 0xf1ff
	v_subrev_co_ci_u32_e64 v9, null, 0, v9, s0
	s_mov_b32 s0, 0x3e9b6dac
	v_sub_nc_u32_e32 v13, 0, v9
	v_cvt_f32_i32_e32 v9, v9
	s_delay_alu instid0(VALU_DEP_2) | instskip(NEXT) | instid1(VALU_DEP_1)
	v_ldexp_f32 v12, v12, v13
	v_dual_sub_f32 v10, v5, v10 :: v_dual_add_f32 v15, 1.0, v12
	s_delay_alu instid0(VALU_DEP_1) | instskip(NEXT) | instid1(VALU_DEP_2)
	v_add_f32_e32 v10, v10, v14
	v_add_f32_e32 v14, -1.0, v15
	s_delay_alu instid0(VALU_DEP_2) | instskip(NEXT) | instid1(VALU_DEP_2)
	v_ldexp_f32 v10, v10, v13
	v_dual_add_f32 v13, -1.0, v12 :: v_dual_sub_f32 v14, v12, v14
	s_delay_alu instid0(VALU_DEP_1) | instskip(NEXT) | instid1(VALU_DEP_1)
	v_dual_add_f32 v17, 1.0, v13 :: v_dual_add_f32 v14, v10, v14
	v_dual_sub_f32 v12, v12, v17 :: v_dual_add_f32 v17, v15, v14
	s_delay_alu instid0(VALU_DEP_1) | instskip(NEXT) | instid1(VALU_DEP_1)
	v_sub_f32_e32 v15, v15, v17
	v_add_f32_e32 v14, v14, v15
	s_delay_alu instid0(VALU_DEP_3) | instskip(SKIP_2) | instid1(VALU_DEP_1)
	v_add_f32_e32 v10, v10, v12
	v_rcp_f32_e32 v12, v17
	s_wait_dscnt 0x0
	v_add_f32_e32 v18, v13, v10
	s_delay_alu instid0(VALU_DEP_1) | instskip(NEXT) | instid1(TRANS32_DEP_1)
	v_sub_f32_e32 v13, v13, v18
	v_mul_f32_e32 v19, v18, v12
	s_delay_alu instid0(VALU_DEP_1) | instskip(NEXT) | instid1(VALU_DEP_1)
	v_mul_f32_e32 v20, v17, v19
	v_fma_f32 v15, v19, v17, -v20
	s_delay_alu instid0(VALU_DEP_1) | instskip(NEXT) | instid1(VALU_DEP_1)
	v_dual_fmac_f32 v15, v19, v14 :: v_dual_add_f32 v10, v10, v13
	v_add_f32_e32 v21, v20, v15
	s_delay_alu instid0(VALU_DEP_1) | instskip(NEXT) | instid1(VALU_DEP_1)
	v_dual_sub_f32 v22, v18, v21 :: v_dual_sub_f32 v13, v21, v20
	v_dual_sub_f32 v18, v18, v22 :: v_dual_sub_f32 v13, v13, v15
	s_delay_alu instid0(VALU_DEP_1) | instskip(NEXT) | instid1(VALU_DEP_1)
	v_sub_f32_e32 v18, v18, v21
	v_add_f32_e32 v10, v10, v18
	s_delay_alu instid0(VALU_DEP_1) | instskip(NEXT) | instid1(VALU_DEP_1)
	v_add_f32_e32 v10, v13, v10
	v_add_f32_e32 v13, v22, v10
	s_delay_alu instid0(VALU_DEP_1) | instskip(NEXT) | instid1(VALU_DEP_1)
	v_mul_f32_e32 v15, v12, v13
	v_dual_sub_f32 v21, v22, v13 :: v_dual_mul_f32 v18, v17, v15
	s_delay_alu instid0(VALU_DEP_1) | instskip(NEXT) | instid1(VALU_DEP_1)
	v_fma_f32 v17, v15, v17, -v18
	v_fmac_f32_e32 v17, v15, v14
	s_delay_alu instid0(VALU_DEP_1) | instskip(NEXT) | instid1(VALU_DEP_1)
	v_add_f32_e32 v14, v18, v17
	v_sub_f32_e32 v20, v13, v14
	s_delay_alu instid0(VALU_DEP_1) | instskip(NEXT) | instid1(VALU_DEP_1)
	v_dual_sub_f32 v18, v14, v18 :: v_dual_sub_f32 v13, v13, v20
	v_dual_add_f32 v10, v10, v21 :: v_dual_sub_f32 v13, v13, v14
	s_delay_alu instid0(VALU_DEP_2) | instskip(NEXT) | instid1(VALU_DEP_2)
	v_sub_f32_e32 v14, v18, v17
	v_dual_add_f32 v10, v10, v13 :: v_dual_add_f32 v13, v19, v15
	s_delay_alu instid0(VALU_DEP_1) | instskip(NEXT) | instid1(VALU_DEP_2)
	v_add_f32_e32 v10, v14, v10
	v_sub_f32_e32 v14, v13, v19
	s_delay_alu instid0(VALU_DEP_2) | instskip(NEXT) | instid1(VALU_DEP_2)
	v_add_f32_e32 v10, v20, v10
	v_sub_f32_e32 v14, v15, v14
	s_delay_alu instid0(VALU_DEP_2) | instskip(NEXT) | instid1(VALU_DEP_1)
	v_mul_f32_e32 v10, v12, v10
	v_add_f32_e32 v10, v14, v10
	s_delay_alu instid0(VALU_DEP_1) | instskip(NEXT) | instid1(VALU_DEP_1)
	v_add_f32_e32 v12, v13, v10
	v_mul_f32_e32 v14, v12, v12
	s_wait_alu 0xfffe
	s_delay_alu instid0(VALU_DEP_1) | instskip(SKIP_2) | instid1(VALU_DEP_3)
	v_fmaak_f32 v15, s0, v14, 0x3ecc95a3
	v_mul_f32_e32 v17, v12, v14
	v_cmp_neq_f32_e64 s0, 0x7f800000, v5
	v_fmaak_f32 v14, v14, v15, 0x3f2aaada
	v_ldexp_f32 v15, v12, 1
	s_delay_alu instid0(VALU_DEP_2) | instskip(SKIP_2) | instid1(VALU_DEP_2)
	v_mul_f32_e32 v14, v17, v14
	v_sub_f32_e32 v12, v12, v13
	v_mul_f32_e32 v17, 0x3f317218, v9
	v_dual_add_f32 v13, v15, v14 :: v_dual_sub_f32 v10, v10, v12
	s_delay_alu instid0(VALU_DEP_1) | instskip(NEXT) | instid1(VALU_DEP_3)
	v_sub_f32_e32 v12, v13, v15
	v_fma_f32 v15, 0x3f317218, v9, -v17
	s_delay_alu instid0(VALU_DEP_3) | instskip(NEXT) | instid1(VALU_DEP_2)
	v_ldexp_f32 v10, v10, 1
	v_dual_sub_f32 v12, v14, v12 :: v_dual_fmamk_f32 v9, v9, 0xb102e308, v15
	s_delay_alu instid0(VALU_DEP_1) | instskip(NEXT) | instid1(VALU_DEP_2)
	v_add_f32_e32 v10, v10, v12
	v_add_f32_e32 v12, v17, v9
	s_delay_alu instid0(VALU_DEP_1) | instskip(NEXT) | instid1(VALU_DEP_1)
	v_dual_add_f32 v14, v13, v10 :: v_dual_sub_f32 v17, v12, v17
	v_add_f32_e32 v15, v12, v14
	v_sub_f32_e32 v13, v14, v13
	s_delay_alu instid0(VALU_DEP_2) | instskip(NEXT) | instid1(VALU_DEP_1)
	v_dual_sub_f32 v9, v9, v17 :: v_dual_sub_f32 v18, v15, v12
	v_dual_sub_f32 v10, v10, v13 :: v_dual_sub_f32 v19, v15, v18
	v_sub_f32_e32 v13, v14, v18
	s_delay_alu instid0(VALU_DEP_2) | instskip(NEXT) | instid1(VALU_DEP_3)
	v_add_f32_e32 v14, v9, v10
	v_sub_f32_e32 v12, v12, v19
	s_delay_alu instid0(VALU_DEP_1) | instskip(NEXT) | instid1(VALU_DEP_1)
	v_dual_add_f32 v12, v13, v12 :: v_dual_sub_f32 v13, v14, v9
	v_add_f32_e32 v12, v14, v12
	s_delay_alu instid0(VALU_DEP_2) | instskip(NEXT) | instid1(VALU_DEP_2)
	v_sub_f32_e32 v14, v14, v13
	v_dual_sub_f32 v10, v10, v13 :: v_dual_add_f32 v17, v15, v12
	s_delay_alu instid0(VALU_DEP_2) | instskip(NEXT) | instid1(VALU_DEP_2)
	v_sub_f32_e32 v9, v9, v14
	v_sub_f32_e32 v13, v17, v15
	s_delay_alu instid0(VALU_DEP_2) | instskip(NEXT) | instid1(VALU_DEP_2)
	v_add_f32_e32 v9, v10, v9
	v_sub_f32_e32 v10, v12, v13
	s_delay_alu instid0(VALU_DEP_1) | instskip(NEXT) | instid1(VALU_DEP_1)
	v_add_f32_e32 v9, v9, v10
	v_add_f32_e32 v9, v17, v9
	s_wait_alu 0xf1ff
	s_delay_alu instid0(VALU_DEP_1) | instskip(SKIP_2) | instid1(VALU_DEP_1)
	v_cndmask_b32_e64 v9, 0x7f800000, v9, s0
	v_cmp_gt_f32_e64 s0, 0x33800000, |v5|
	s_wait_alu 0xf1ff
	v_cndmask_b32_e64 v5, v9, v5, s0
	s_delay_alu instid0(VALU_DEP_1)
	v_add_f32_e32 v5, v8, v5
.LBB110_74:
	s_wait_alu 0xfffe
	s_or_b32 exec_lo, exec_lo, s1
	s_delay_alu instid0(VALU_DEP_1) | instskip(SKIP_1) | instid1(VALU_DEP_2)
	v_max_num_f32_e32 v8, v5, v5
	v_cmp_u_f32_e64 s0, v5, v5
	v_min_num_f32_e32 v9, v8, v11
	v_max_num_f32_e32 v8, v8, v11
	s_wait_alu 0xf1ff
	s_delay_alu instid0(VALU_DEP_2) | instskip(NEXT) | instid1(VALU_DEP_2)
	v_cndmask_b32_e64 v9, v9, v5, s0
	v_cndmask_b32_e64 v8, v8, v5, s0
	s_delay_alu instid0(VALU_DEP_2) | instskip(NEXT) | instid1(VALU_DEP_2)
	v_cndmask_b32_e64 v9, v9, v6, s11
	v_cndmask_b32_e64 v8, v8, v6, s11
	v_mov_b32_e32 v6, v5
	s_delay_alu instid0(VALU_DEP_3) | instskip(NEXT) | instid1(VALU_DEP_3)
	v_cmp_class_f32_e64 s1, v9, 0x1f8
	v_cmp_neq_f32_e64 s0, v9, v8
	s_or_b32 s0, s0, s1
	s_wait_alu 0xfffe
	s_and_saveexec_b32 s1, s0
	s_cbranch_execz .LBB110_76
; %bb.75:
	v_sub_f32_e32 v6, v9, v8
	s_delay_alu instid0(VALU_DEP_1) | instskip(SKIP_1) | instid1(VALU_DEP_2)
	v_mul_f32_e32 v9, 0x3fb8aa3b, v6
	v_cmp_ngt_f32_e64 s0, 0xc2ce8ed0, v6
	v_fma_f32 v10, 0x3fb8aa3b, v6, -v9
	v_rndne_f32_e32 v11, v9
	s_delay_alu instid0(VALU_DEP_1) | instskip(NEXT) | instid1(VALU_DEP_1)
	v_dual_fmamk_f32 v10, v6, 0x32a5705f, v10 :: v_dual_sub_f32 v9, v9, v11
	v_add_f32_e32 v9, v9, v10
	v_cvt_i32_f32_e32 v10, v11
	s_delay_alu instid0(VALU_DEP_2) | instskip(NEXT) | instid1(TRANS32_DEP_1)
	v_exp_f32_e32 v9, v9
	v_ldexp_f32 v9, v9, v10
	s_wait_alu 0xf1ff
	s_delay_alu instid0(VALU_DEP_1) | instskip(SKIP_2) | instid1(VALU_DEP_1)
	v_cndmask_b32_e64 v9, 0, v9, s0
	v_cmp_nlt_f32_e64 s0, 0x42b17218, v6
	s_wait_alu 0xf1ff
	v_cndmask_b32_e64 v6, 0x7f800000, v9, s0
	s_delay_alu instid0(VALU_DEP_1) | instskip(NEXT) | instid1(VALU_DEP_1)
	v_add_f32_e32 v11, 1.0, v6
	v_cvt_f64_f32_e32 v[9:10], v11
	s_delay_alu instid0(VALU_DEP_1) | instskip(SKIP_1) | instid1(VALU_DEP_1)
	v_frexp_exp_i32_f64_e32 v9, v[9:10]
	v_frexp_mant_f32_e32 v10, v11
	v_cmp_gt_f32_e64 s0, 0x3f2aaaab, v10
	v_add_f32_e32 v10, -1.0, v11
	s_delay_alu instid0(VALU_DEP_1) | instskip(NEXT) | instid1(VALU_DEP_1)
	v_sub_f32_e32 v13, v10, v11
	v_dual_sub_f32 v10, v6, v10 :: v_dual_add_f32 v13, 1.0, v13
	s_delay_alu instid0(VALU_DEP_1)
	v_add_f32_e32 v10, v10, v13
	s_wait_alu 0xf1ff
	v_subrev_co_ci_u32_e64 v9, null, 0, v9, s0
	s_mov_b32 s0, 0x3e9b6dac
	v_sub_nc_u32_e32 v12, 0, v9
	v_cvt_f32_i32_e32 v9, v9
	s_delay_alu instid0(VALU_DEP_2) | instskip(SKIP_1) | instid1(VALU_DEP_2)
	v_ldexp_f32 v11, v11, v12
	v_ldexp_f32 v10, v10, v12
	v_add_f32_e32 v14, 1.0, v11
	s_delay_alu instid0(VALU_DEP_1) | instskip(NEXT) | instid1(VALU_DEP_1)
	v_dual_add_f32 v12, -1.0, v11 :: v_dual_add_f32 v13, -1.0, v14
	v_add_f32_e32 v15, 1.0, v12
	s_delay_alu instid0(VALU_DEP_2) | instskip(NEXT) | instid1(VALU_DEP_2)
	v_sub_f32_e32 v13, v11, v13
	v_sub_f32_e32 v11, v11, v15
	s_delay_alu instid0(VALU_DEP_2) | instskip(NEXT) | instid1(VALU_DEP_2)
	v_add_f32_e32 v13, v10, v13
	v_add_f32_e32 v10, v10, v11
	s_delay_alu instid0(VALU_DEP_2) | instskip(NEXT) | instid1(VALU_DEP_1)
	v_add_f32_e32 v15, v14, v13
	v_dual_add_f32 v17, v12, v10 :: v_dual_sub_f32 v14, v14, v15
	v_rcp_f32_e32 v11, v15
	s_delay_alu instid0(VALU_DEP_1) | instskip(NEXT) | instid1(VALU_DEP_1)
	v_dual_sub_f32 v12, v12, v17 :: v_dual_add_f32 v13, v13, v14
	v_add_f32_e32 v10, v10, v12
	s_wait_dscnt 0x0
	s_delay_alu instid0(TRANS32_DEP_1) | instskip(NEXT) | instid1(VALU_DEP_1)
	v_mul_f32_e32 v18, v17, v11
	v_mul_f32_e32 v19, v15, v18
	s_delay_alu instid0(VALU_DEP_1) | instskip(NEXT) | instid1(VALU_DEP_1)
	v_fma_f32 v14, v18, v15, -v19
	v_fmac_f32_e32 v14, v18, v13
	s_delay_alu instid0(VALU_DEP_1) | instskip(NEXT) | instid1(VALU_DEP_1)
	v_add_f32_e32 v20, v19, v14
	v_dual_sub_f32 v12, v20, v19 :: v_dual_sub_f32 v21, v17, v20
	s_delay_alu instid0(VALU_DEP_1) | instskip(NEXT) | instid1(VALU_DEP_1)
	v_dual_sub_f32 v12, v12, v14 :: v_dual_sub_f32 v17, v17, v21
	v_sub_f32_e32 v17, v17, v20
	s_delay_alu instid0(VALU_DEP_1) | instskip(NEXT) | instid1(VALU_DEP_1)
	v_add_f32_e32 v10, v10, v17
	v_add_f32_e32 v10, v12, v10
	s_delay_alu instid0(VALU_DEP_1) | instskip(NEXT) | instid1(VALU_DEP_1)
	v_add_f32_e32 v12, v21, v10
	v_mul_f32_e32 v14, v11, v12
	s_delay_alu instid0(VALU_DEP_1) | instskip(NEXT) | instid1(VALU_DEP_1)
	v_mul_f32_e32 v17, v15, v14
	v_fma_f32 v15, v14, v15, -v17
	s_delay_alu instid0(VALU_DEP_1) | instskip(NEXT) | instid1(VALU_DEP_1)
	v_dual_fmac_f32 v15, v14, v13 :: v_dual_sub_f32 v20, v21, v12
	v_dual_add_f32 v13, v17, v15 :: v_dual_add_f32 v10, v10, v20
	s_delay_alu instid0(VALU_DEP_1) | instskip(SKIP_1) | instid1(VALU_DEP_1)
	v_sub_f32_e32 v17, v13, v17
	v_sub_f32_e32 v19, v12, v13
	;; [unrolled: 1-line block ×3, first 2 shown]
	s_delay_alu instid0(VALU_DEP_1) | instskip(NEXT) | instid1(VALU_DEP_1)
	v_dual_sub_f32 v12, v12, v13 :: v_dual_sub_f32 v13, v17, v15
	v_add_f32_e32 v10, v10, v12
	v_add_f32_e32 v12, v18, v14
	s_delay_alu instid0(VALU_DEP_2) | instskip(NEXT) | instid1(VALU_DEP_2)
	v_add_f32_e32 v10, v13, v10
	v_sub_f32_e32 v13, v12, v18
	s_delay_alu instid0(VALU_DEP_1) | instskip(NEXT) | instid1(VALU_DEP_1)
	v_dual_sub_f32 v13, v14, v13 :: v_dual_add_f32 v10, v19, v10
	v_mul_f32_e32 v10, v11, v10
	s_delay_alu instid0(VALU_DEP_1) | instskip(NEXT) | instid1(VALU_DEP_1)
	v_add_f32_e32 v10, v13, v10
	v_add_f32_e32 v11, v12, v10
	s_delay_alu instid0(VALU_DEP_1) | instskip(SKIP_1) | instid1(VALU_DEP_1)
	v_mul_f32_e32 v13, v11, v11
	s_wait_alu 0xfffe
	v_fmaak_f32 v14, s0, v13, 0x3ecc95a3
	v_mul_f32_e32 v15, v11, v13
	v_cmp_neq_f32_e64 s0, 0x7f800000, v6
	s_delay_alu instid0(VALU_DEP_3) | instskip(SKIP_2) | instid1(VALU_DEP_1)
	v_fmaak_f32 v13, v13, v14, 0x3f2aaada
	v_ldexp_f32 v14, v11, 1
	v_sub_f32_e32 v11, v11, v12
	v_sub_f32_e32 v10, v10, v11
	s_delay_alu instid0(VALU_DEP_1) | instskip(SKIP_2) | instid1(VALU_DEP_2)
	v_ldexp_f32 v10, v10, 1
	v_mul_f32_e32 v13, v15, v13
	v_mul_f32_e32 v15, 0x3f317218, v9
	v_add_f32_e32 v12, v14, v13
	s_delay_alu instid0(VALU_DEP_1) | instskip(NEXT) | instid1(VALU_DEP_3)
	v_sub_f32_e32 v11, v12, v14
	v_fma_f32 v14, 0x3f317218, v9, -v15
	s_delay_alu instid0(VALU_DEP_2) | instskip(NEXT) | instid1(VALU_DEP_1)
	v_sub_f32_e32 v11, v13, v11
	v_add_f32_e32 v10, v10, v11
	s_delay_alu instid0(VALU_DEP_1) | instskip(NEXT) | instid1(VALU_DEP_4)
	v_add_f32_e32 v13, v12, v10
	v_fmamk_f32 v9, v9, 0xb102e308, v14
	s_delay_alu instid0(VALU_DEP_1) | instskip(NEXT) | instid1(VALU_DEP_1)
	v_dual_sub_f32 v12, v13, v12 :: v_dual_add_f32 v11, v15, v9
	v_sub_f32_e32 v10, v10, v12
	s_delay_alu instid0(VALU_DEP_2) | instskip(SKIP_1) | instid1(VALU_DEP_1)
	v_add_f32_e32 v14, v11, v13
	v_sub_f32_e32 v15, v11, v15
	v_sub_f32_e32 v9, v9, v15
	s_delay_alu instid0(VALU_DEP_3) | instskip(NEXT) | instid1(VALU_DEP_1)
	v_sub_f32_e32 v17, v14, v11
	v_sub_f32_e32 v18, v14, v17
	;; [unrolled: 1-line block ×3, first 2 shown]
	s_delay_alu instid0(VALU_DEP_4) | instskip(NEXT) | instid1(VALU_DEP_3)
	v_add_f32_e32 v13, v9, v10
	v_sub_f32_e32 v11, v11, v18
	s_delay_alu instid0(VALU_DEP_1) | instskip(NEXT) | instid1(VALU_DEP_1)
	v_dual_add_f32 v11, v12, v11 :: v_dual_sub_f32 v12, v13, v9
	v_add_f32_e32 v11, v13, v11
	s_delay_alu instid0(VALU_DEP_2) | instskip(SKIP_1) | instid1(VALU_DEP_3)
	v_sub_f32_e32 v13, v13, v12
	v_sub_f32_e32 v10, v10, v12
	v_add_f32_e32 v15, v14, v11
	s_delay_alu instid0(VALU_DEP_1) | instskip(NEXT) | instid1(VALU_DEP_1)
	v_dual_sub_f32 v9, v9, v13 :: v_dual_sub_f32 v12, v15, v14
	v_dual_add_f32 v9, v10, v9 :: v_dual_sub_f32 v10, v11, v12
	s_delay_alu instid0(VALU_DEP_1) | instskip(NEXT) | instid1(VALU_DEP_1)
	v_add_f32_e32 v9, v9, v10
	v_add_f32_e32 v9, v15, v9
	s_wait_alu 0xf1ff
	s_delay_alu instid0(VALU_DEP_1) | instskip(SKIP_2) | instid1(VALU_DEP_1)
	v_cndmask_b32_e64 v9, 0x7f800000, v9, s0
	v_cmp_gt_f32_e64 s0, 0x33800000, |v6|
	s_wait_alu 0xf1ff
	v_cndmask_b32_e64 v6, v9, v6, s0
	s_delay_alu instid0(VALU_DEP_1)
	v_add_f32_e32 v6, v8, v6
.LBB110_76:
	s_wait_alu 0xfffe
	s_or_b32 exec_lo, exec_lo, s1
	v_add_nc_u32_e32 v8, v7, v16
	s_wait_loadcnt_dscnt 0x0
	s_barrier_signal -1
	s_barrier_wait -1
	global_inv scope:SCOPE_SE
	ds_store_2addr_b64 v8, v[1:2], v[3:4] offset1:1
	ds_store_b64 v8, v[5:6] offset:16
	s_wait_loadcnt_dscnt 0x0
	s_barrier_signal -1
	s_barrier_wait -1
	global_inv scope:SCOPE_SE
	ds_load_2addr_stride64_b32 v[4:5], v7 offset0:4 offset1:8
	ds_load_2addr_stride64_b32 v[2:3], v7 offset0:12 offset1:16
	ds_load_b32 v6, v7 offset:5120
	v_lshlrev_b32_e32 v0, 2, v0
	s_wait_kmcnt 0x0
	s_delay_alu instid0(VALU_DEP_1)
	v_add_co_u32 v0, s0, s14, v0
	s_wait_alu 0xf1ff
	v_add_co_ci_u32_e64 v1, null, s15, 0, s0
	s_and_saveexec_b32 s0, vcc_lo
	s_cbranch_execnz .LBB110_83
; %bb.77:
	s_wait_alu 0xfffe
	s_or_b32 exec_lo, exec_lo, s0
	s_and_saveexec_b32 s0, s2
	s_cbranch_execnz .LBB110_84
.LBB110_78:
	s_wait_alu 0xfffe
	s_or_b32 exec_lo, exec_lo, s0
	s_and_saveexec_b32 s0, s3
	s_cbranch_execnz .LBB110_85
.LBB110_79:
	s_wait_alu 0xfffe
	s_or_b32 exec_lo, exec_lo, s0
	s_and_saveexec_b32 s0, s4
	s_cbranch_execnz .LBB110_86
.LBB110_80:
	s_wait_alu 0xfffe
	s_or_b32 exec_lo, exec_lo, s0
	s_and_saveexec_b32 s0, s5
	s_cbranch_execnz .LBB110_87
.LBB110_81:
	s_wait_alu 0xfffe
	s_or_b32 exec_lo, exec_lo, s0
	s_and_saveexec_b32 s0, s6
	s_cbranch_execnz .LBB110_88
.LBB110_82:
	s_endpgm
.LBB110_83:
	ds_load_b32 v7, v7
	s_wait_dscnt 0x0
	global_store_b32 v[0:1], v7, off
	s_wait_alu 0xfffe
	s_or_b32 exec_lo, exec_lo, s0
	s_and_saveexec_b32 s0, s2
	s_cbranch_execz .LBB110_78
.LBB110_84:
	s_wait_dscnt 0x2
	global_store_b32 v[0:1], v4, off offset:1024
	s_wait_alu 0xfffe
	s_or_b32 exec_lo, exec_lo, s0
	s_and_saveexec_b32 s0, s3
	s_cbranch_execz .LBB110_79
.LBB110_85:
	s_wait_dscnt 0x2
	global_store_b32 v[0:1], v5, off offset:2048
	s_wait_alu 0xfffe
	s_or_b32 exec_lo, exec_lo, s0
	s_and_saveexec_b32 s0, s4
	s_cbranch_execz .LBB110_80
.LBB110_86:
	s_wait_dscnt 0x1
	global_store_b32 v[0:1], v2, off offset:3072
	s_wait_alu 0xfffe
	s_or_b32 exec_lo, exec_lo, s0
	s_and_saveexec_b32 s0, s5
	s_cbranch_execz .LBB110_81
.LBB110_87:
	s_wait_dscnt 0x1
	global_store_b32 v[0:1], v3, off offset:4096
	s_wait_alu 0xfffe
	s_or_b32 exec_lo, exec_lo, s0
	s_and_saveexec_b32 s0, s6
	s_cbranch_execz .LBB110_82
.LBB110_88:
	s_wait_dscnt 0x0
	global_store_b32 v[0:1], v6, off offset:5120
	s_endpgm
	.section	.rodata,"a",@progbits
	.p2align	6, 0x0
	.amdhsa_kernel _ZN7rocprim17ROCPRIM_400000_NS6detail17trampoline_kernelINS0_14default_configENS1_20scan_config_selectorIfEEZZNS1_9scan_implILNS1_25lookback_scan_determinismE0ELb0ELb0ES3_PKfPffZZZN2at6native31launch_logcumsumexp_cuda_kernelERKNSB_10TensorBaseESF_lENKUlvE_clEvENKUlvE0_clEvEUlffE_fEEDaPvRmT3_T4_T5_mT6_P12ihipStream_tbENKUlT_T0_E_clISt17integral_constantIbLb0EESW_EEDaSR_SS_EUlSR_E0_NS1_11comp_targetILNS1_3genE10ELNS1_11target_archE1201ELNS1_3gpuE5ELNS1_3repE0EEENS1_30default_config_static_selectorELNS0_4arch9wavefront6targetE0EEEvT1_
		.amdhsa_group_segment_fixed_size 6144
		.amdhsa_private_segment_fixed_size 0
		.amdhsa_kernarg_size 32
		.amdhsa_user_sgpr_count 2
		.amdhsa_user_sgpr_dispatch_ptr 0
		.amdhsa_user_sgpr_queue_ptr 0
		.amdhsa_user_sgpr_kernarg_segment_ptr 1
		.amdhsa_user_sgpr_dispatch_id 0
		.amdhsa_user_sgpr_private_segment_size 0
		.amdhsa_wavefront_size32 1
		.amdhsa_uses_dynamic_stack 0
		.amdhsa_enable_private_segment 0
		.amdhsa_system_sgpr_workgroup_id_x 1
		.amdhsa_system_sgpr_workgroup_id_y 0
		.amdhsa_system_sgpr_workgroup_id_z 0
		.amdhsa_system_sgpr_workgroup_info 0
		.amdhsa_system_vgpr_workitem_id 0
		.amdhsa_next_free_vgpr 35
		.amdhsa_next_free_sgpr 17
		.amdhsa_reserve_vcc 1
		.amdhsa_float_round_mode_32 0
		.amdhsa_float_round_mode_16_64 0
		.amdhsa_float_denorm_mode_32 3
		.amdhsa_float_denorm_mode_16_64 3
		.amdhsa_fp16_overflow 0
		.amdhsa_workgroup_processor_mode 1
		.amdhsa_memory_ordered 1
		.amdhsa_forward_progress 1
		.amdhsa_inst_pref_size 163
		.amdhsa_round_robin_scheduling 0
		.amdhsa_exception_fp_ieee_invalid_op 0
		.amdhsa_exception_fp_denorm_src 0
		.amdhsa_exception_fp_ieee_div_zero 0
		.amdhsa_exception_fp_ieee_overflow 0
		.amdhsa_exception_fp_ieee_underflow 0
		.amdhsa_exception_fp_ieee_inexact 0
		.amdhsa_exception_int_div_zero 0
	.end_amdhsa_kernel
	.section	.text._ZN7rocprim17ROCPRIM_400000_NS6detail17trampoline_kernelINS0_14default_configENS1_20scan_config_selectorIfEEZZNS1_9scan_implILNS1_25lookback_scan_determinismE0ELb0ELb0ES3_PKfPffZZZN2at6native31launch_logcumsumexp_cuda_kernelERKNSB_10TensorBaseESF_lENKUlvE_clEvENKUlvE0_clEvEUlffE_fEEDaPvRmT3_T4_T5_mT6_P12ihipStream_tbENKUlT_T0_E_clISt17integral_constantIbLb0EESW_EEDaSR_SS_EUlSR_E0_NS1_11comp_targetILNS1_3genE10ELNS1_11target_archE1201ELNS1_3gpuE5ELNS1_3repE0EEENS1_30default_config_static_selectorELNS0_4arch9wavefront6targetE0EEEvT1_,"axG",@progbits,_ZN7rocprim17ROCPRIM_400000_NS6detail17trampoline_kernelINS0_14default_configENS1_20scan_config_selectorIfEEZZNS1_9scan_implILNS1_25lookback_scan_determinismE0ELb0ELb0ES3_PKfPffZZZN2at6native31launch_logcumsumexp_cuda_kernelERKNSB_10TensorBaseESF_lENKUlvE_clEvENKUlvE0_clEvEUlffE_fEEDaPvRmT3_T4_T5_mT6_P12ihipStream_tbENKUlT_T0_E_clISt17integral_constantIbLb0EESW_EEDaSR_SS_EUlSR_E0_NS1_11comp_targetILNS1_3genE10ELNS1_11target_archE1201ELNS1_3gpuE5ELNS1_3repE0EEENS1_30default_config_static_selectorELNS0_4arch9wavefront6targetE0EEEvT1_,comdat
.Lfunc_end110:
	.size	_ZN7rocprim17ROCPRIM_400000_NS6detail17trampoline_kernelINS0_14default_configENS1_20scan_config_selectorIfEEZZNS1_9scan_implILNS1_25lookback_scan_determinismE0ELb0ELb0ES3_PKfPffZZZN2at6native31launch_logcumsumexp_cuda_kernelERKNSB_10TensorBaseESF_lENKUlvE_clEvENKUlvE0_clEvEUlffE_fEEDaPvRmT3_T4_T5_mT6_P12ihipStream_tbENKUlT_T0_E_clISt17integral_constantIbLb0EESW_EEDaSR_SS_EUlSR_E0_NS1_11comp_targetILNS1_3genE10ELNS1_11target_archE1201ELNS1_3gpuE5ELNS1_3repE0EEENS1_30default_config_static_selectorELNS0_4arch9wavefront6targetE0EEEvT1_, .Lfunc_end110-_ZN7rocprim17ROCPRIM_400000_NS6detail17trampoline_kernelINS0_14default_configENS1_20scan_config_selectorIfEEZZNS1_9scan_implILNS1_25lookback_scan_determinismE0ELb0ELb0ES3_PKfPffZZZN2at6native31launch_logcumsumexp_cuda_kernelERKNSB_10TensorBaseESF_lENKUlvE_clEvENKUlvE0_clEvEUlffE_fEEDaPvRmT3_T4_T5_mT6_P12ihipStream_tbENKUlT_T0_E_clISt17integral_constantIbLb0EESW_EEDaSR_SS_EUlSR_E0_NS1_11comp_targetILNS1_3genE10ELNS1_11target_archE1201ELNS1_3gpuE5ELNS1_3repE0EEENS1_30default_config_static_selectorELNS0_4arch9wavefront6targetE0EEEvT1_
                                        ; -- End function
	.set _ZN7rocprim17ROCPRIM_400000_NS6detail17trampoline_kernelINS0_14default_configENS1_20scan_config_selectorIfEEZZNS1_9scan_implILNS1_25lookback_scan_determinismE0ELb0ELb0ES3_PKfPffZZZN2at6native31launch_logcumsumexp_cuda_kernelERKNSB_10TensorBaseESF_lENKUlvE_clEvENKUlvE0_clEvEUlffE_fEEDaPvRmT3_T4_T5_mT6_P12ihipStream_tbENKUlT_T0_E_clISt17integral_constantIbLb0EESW_EEDaSR_SS_EUlSR_E0_NS1_11comp_targetILNS1_3genE10ELNS1_11target_archE1201ELNS1_3gpuE5ELNS1_3repE0EEENS1_30default_config_static_selectorELNS0_4arch9wavefront6targetE0EEEvT1_.num_vgpr, 35
	.set _ZN7rocprim17ROCPRIM_400000_NS6detail17trampoline_kernelINS0_14default_configENS1_20scan_config_selectorIfEEZZNS1_9scan_implILNS1_25lookback_scan_determinismE0ELb0ELb0ES3_PKfPffZZZN2at6native31launch_logcumsumexp_cuda_kernelERKNSB_10TensorBaseESF_lENKUlvE_clEvENKUlvE0_clEvEUlffE_fEEDaPvRmT3_T4_T5_mT6_P12ihipStream_tbENKUlT_T0_E_clISt17integral_constantIbLb0EESW_EEDaSR_SS_EUlSR_E0_NS1_11comp_targetILNS1_3genE10ELNS1_11target_archE1201ELNS1_3gpuE5ELNS1_3repE0EEENS1_30default_config_static_selectorELNS0_4arch9wavefront6targetE0EEEvT1_.num_agpr, 0
	.set _ZN7rocprim17ROCPRIM_400000_NS6detail17trampoline_kernelINS0_14default_configENS1_20scan_config_selectorIfEEZZNS1_9scan_implILNS1_25lookback_scan_determinismE0ELb0ELb0ES3_PKfPffZZZN2at6native31launch_logcumsumexp_cuda_kernelERKNSB_10TensorBaseESF_lENKUlvE_clEvENKUlvE0_clEvEUlffE_fEEDaPvRmT3_T4_T5_mT6_P12ihipStream_tbENKUlT_T0_E_clISt17integral_constantIbLb0EESW_EEDaSR_SS_EUlSR_E0_NS1_11comp_targetILNS1_3genE10ELNS1_11target_archE1201ELNS1_3gpuE5ELNS1_3repE0EEENS1_30default_config_static_selectorELNS0_4arch9wavefront6targetE0EEEvT1_.numbered_sgpr, 17
	.set _ZN7rocprim17ROCPRIM_400000_NS6detail17trampoline_kernelINS0_14default_configENS1_20scan_config_selectorIfEEZZNS1_9scan_implILNS1_25lookback_scan_determinismE0ELb0ELb0ES3_PKfPffZZZN2at6native31launch_logcumsumexp_cuda_kernelERKNSB_10TensorBaseESF_lENKUlvE_clEvENKUlvE0_clEvEUlffE_fEEDaPvRmT3_T4_T5_mT6_P12ihipStream_tbENKUlT_T0_E_clISt17integral_constantIbLb0EESW_EEDaSR_SS_EUlSR_E0_NS1_11comp_targetILNS1_3genE10ELNS1_11target_archE1201ELNS1_3gpuE5ELNS1_3repE0EEENS1_30default_config_static_selectorELNS0_4arch9wavefront6targetE0EEEvT1_.num_named_barrier, 0
	.set _ZN7rocprim17ROCPRIM_400000_NS6detail17trampoline_kernelINS0_14default_configENS1_20scan_config_selectorIfEEZZNS1_9scan_implILNS1_25lookback_scan_determinismE0ELb0ELb0ES3_PKfPffZZZN2at6native31launch_logcumsumexp_cuda_kernelERKNSB_10TensorBaseESF_lENKUlvE_clEvENKUlvE0_clEvEUlffE_fEEDaPvRmT3_T4_T5_mT6_P12ihipStream_tbENKUlT_T0_E_clISt17integral_constantIbLb0EESW_EEDaSR_SS_EUlSR_E0_NS1_11comp_targetILNS1_3genE10ELNS1_11target_archE1201ELNS1_3gpuE5ELNS1_3repE0EEENS1_30default_config_static_selectorELNS0_4arch9wavefront6targetE0EEEvT1_.private_seg_size, 0
	.set _ZN7rocprim17ROCPRIM_400000_NS6detail17trampoline_kernelINS0_14default_configENS1_20scan_config_selectorIfEEZZNS1_9scan_implILNS1_25lookback_scan_determinismE0ELb0ELb0ES3_PKfPffZZZN2at6native31launch_logcumsumexp_cuda_kernelERKNSB_10TensorBaseESF_lENKUlvE_clEvENKUlvE0_clEvEUlffE_fEEDaPvRmT3_T4_T5_mT6_P12ihipStream_tbENKUlT_T0_E_clISt17integral_constantIbLb0EESW_EEDaSR_SS_EUlSR_E0_NS1_11comp_targetILNS1_3genE10ELNS1_11target_archE1201ELNS1_3gpuE5ELNS1_3repE0EEENS1_30default_config_static_selectorELNS0_4arch9wavefront6targetE0EEEvT1_.uses_vcc, 1
	.set _ZN7rocprim17ROCPRIM_400000_NS6detail17trampoline_kernelINS0_14default_configENS1_20scan_config_selectorIfEEZZNS1_9scan_implILNS1_25lookback_scan_determinismE0ELb0ELb0ES3_PKfPffZZZN2at6native31launch_logcumsumexp_cuda_kernelERKNSB_10TensorBaseESF_lENKUlvE_clEvENKUlvE0_clEvEUlffE_fEEDaPvRmT3_T4_T5_mT6_P12ihipStream_tbENKUlT_T0_E_clISt17integral_constantIbLb0EESW_EEDaSR_SS_EUlSR_E0_NS1_11comp_targetILNS1_3genE10ELNS1_11target_archE1201ELNS1_3gpuE5ELNS1_3repE0EEENS1_30default_config_static_selectorELNS0_4arch9wavefront6targetE0EEEvT1_.uses_flat_scratch, 0
	.set _ZN7rocprim17ROCPRIM_400000_NS6detail17trampoline_kernelINS0_14default_configENS1_20scan_config_selectorIfEEZZNS1_9scan_implILNS1_25lookback_scan_determinismE0ELb0ELb0ES3_PKfPffZZZN2at6native31launch_logcumsumexp_cuda_kernelERKNSB_10TensorBaseESF_lENKUlvE_clEvENKUlvE0_clEvEUlffE_fEEDaPvRmT3_T4_T5_mT6_P12ihipStream_tbENKUlT_T0_E_clISt17integral_constantIbLb0EESW_EEDaSR_SS_EUlSR_E0_NS1_11comp_targetILNS1_3genE10ELNS1_11target_archE1201ELNS1_3gpuE5ELNS1_3repE0EEENS1_30default_config_static_selectorELNS0_4arch9wavefront6targetE0EEEvT1_.has_dyn_sized_stack, 0
	.set _ZN7rocprim17ROCPRIM_400000_NS6detail17trampoline_kernelINS0_14default_configENS1_20scan_config_selectorIfEEZZNS1_9scan_implILNS1_25lookback_scan_determinismE0ELb0ELb0ES3_PKfPffZZZN2at6native31launch_logcumsumexp_cuda_kernelERKNSB_10TensorBaseESF_lENKUlvE_clEvENKUlvE0_clEvEUlffE_fEEDaPvRmT3_T4_T5_mT6_P12ihipStream_tbENKUlT_T0_E_clISt17integral_constantIbLb0EESW_EEDaSR_SS_EUlSR_E0_NS1_11comp_targetILNS1_3genE10ELNS1_11target_archE1201ELNS1_3gpuE5ELNS1_3repE0EEENS1_30default_config_static_selectorELNS0_4arch9wavefront6targetE0EEEvT1_.has_recursion, 0
	.set _ZN7rocprim17ROCPRIM_400000_NS6detail17trampoline_kernelINS0_14default_configENS1_20scan_config_selectorIfEEZZNS1_9scan_implILNS1_25lookback_scan_determinismE0ELb0ELb0ES3_PKfPffZZZN2at6native31launch_logcumsumexp_cuda_kernelERKNSB_10TensorBaseESF_lENKUlvE_clEvENKUlvE0_clEvEUlffE_fEEDaPvRmT3_T4_T5_mT6_P12ihipStream_tbENKUlT_T0_E_clISt17integral_constantIbLb0EESW_EEDaSR_SS_EUlSR_E0_NS1_11comp_targetILNS1_3genE10ELNS1_11target_archE1201ELNS1_3gpuE5ELNS1_3repE0EEENS1_30default_config_static_selectorELNS0_4arch9wavefront6targetE0EEEvT1_.has_indirect_call, 0
	.section	.AMDGPU.csdata,"",@progbits
; Kernel info:
; codeLenInByte = 20840
; TotalNumSgprs: 19
; NumVgprs: 35
; ScratchSize: 0
; MemoryBound: 0
; FloatMode: 240
; IeeeMode: 1
; LDSByteSize: 6144 bytes/workgroup (compile time only)
; SGPRBlocks: 0
; VGPRBlocks: 4
; NumSGPRsForWavesPerEU: 19
; NumVGPRsForWavesPerEU: 35
; Occupancy: 16
; WaveLimiterHint : 0
; COMPUTE_PGM_RSRC2:SCRATCH_EN: 0
; COMPUTE_PGM_RSRC2:USER_SGPR: 2
; COMPUTE_PGM_RSRC2:TRAP_HANDLER: 0
; COMPUTE_PGM_RSRC2:TGID_X_EN: 1
; COMPUTE_PGM_RSRC2:TGID_Y_EN: 0
; COMPUTE_PGM_RSRC2:TGID_Z_EN: 0
; COMPUTE_PGM_RSRC2:TIDIG_COMP_CNT: 0
	.section	.text._ZN7rocprim17ROCPRIM_400000_NS6detail17trampoline_kernelINS0_14default_configENS1_20scan_config_selectorIfEEZZNS1_9scan_implILNS1_25lookback_scan_determinismE0ELb0ELb0ES3_PKfPffZZZN2at6native31launch_logcumsumexp_cuda_kernelERKNSB_10TensorBaseESF_lENKUlvE_clEvENKUlvE0_clEvEUlffE_fEEDaPvRmT3_T4_T5_mT6_P12ihipStream_tbENKUlT_T0_E_clISt17integral_constantIbLb0EESW_EEDaSR_SS_EUlSR_E0_NS1_11comp_targetILNS1_3genE10ELNS1_11target_archE1200ELNS1_3gpuE4ELNS1_3repE0EEENS1_30default_config_static_selectorELNS0_4arch9wavefront6targetE0EEEvT1_,"axG",@progbits,_ZN7rocprim17ROCPRIM_400000_NS6detail17trampoline_kernelINS0_14default_configENS1_20scan_config_selectorIfEEZZNS1_9scan_implILNS1_25lookback_scan_determinismE0ELb0ELb0ES3_PKfPffZZZN2at6native31launch_logcumsumexp_cuda_kernelERKNSB_10TensorBaseESF_lENKUlvE_clEvENKUlvE0_clEvEUlffE_fEEDaPvRmT3_T4_T5_mT6_P12ihipStream_tbENKUlT_T0_E_clISt17integral_constantIbLb0EESW_EEDaSR_SS_EUlSR_E0_NS1_11comp_targetILNS1_3genE10ELNS1_11target_archE1200ELNS1_3gpuE4ELNS1_3repE0EEENS1_30default_config_static_selectorELNS0_4arch9wavefront6targetE0EEEvT1_,comdat
	.globl	_ZN7rocprim17ROCPRIM_400000_NS6detail17trampoline_kernelINS0_14default_configENS1_20scan_config_selectorIfEEZZNS1_9scan_implILNS1_25lookback_scan_determinismE0ELb0ELb0ES3_PKfPffZZZN2at6native31launch_logcumsumexp_cuda_kernelERKNSB_10TensorBaseESF_lENKUlvE_clEvENKUlvE0_clEvEUlffE_fEEDaPvRmT3_T4_T5_mT6_P12ihipStream_tbENKUlT_T0_E_clISt17integral_constantIbLb0EESW_EEDaSR_SS_EUlSR_E0_NS1_11comp_targetILNS1_3genE10ELNS1_11target_archE1200ELNS1_3gpuE4ELNS1_3repE0EEENS1_30default_config_static_selectorELNS0_4arch9wavefront6targetE0EEEvT1_ ; -- Begin function _ZN7rocprim17ROCPRIM_400000_NS6detail17trampoline_kernelINS0_14default_configENS1_20scan_config_selectorIfEEZZNS1_9scan_implILNS1_25lookback_scan_determinismE0ELb0ELb0ES3_PKfPffZZZN2at6native31launch_logcumsumexp_cuda_kernelERKNSB_10TensorBaseESF_lENKUlvE_clEvENKUlvE0_clEvEUlffE_fEEDaPvRmT3_T4_T5_mT6_P12ihipStream_tbENKUlT_T0_E_clISt17integral_constantIbLb0EESW_EEDaSR_SS_EUlSR_E0_NS1_11comp_targetILNS1_3genE10ELNS1_11target_archE1200ELNS1_3gpuE4ELNS1_3repE0EEENS1_30default_config_static_selectorELNS0_4arch9wavefront6targetE0EEEvT1_
	.p2align	8
	.type	_ZN7rocprim17ROCPRIM_400000_NS6detail17trampoline_kernelINS0_14default_configENS1_20scan_config_selectorIfEEZZNS1_9scan_implILNS1_25lookback_scan_determinismE0ELb0ELb0ES3_PKfPffZZZN2at6native31launch_logcumsumexp_cuda_kernelERKNSB_10TensorBaseESF_lENKUlvE_clEvENKUlvE0_clEvEUlffE_fEEDaPvRmT3_T4_T5_mT6_P12ihipStream_tbENKUlT_T0_E_clISt17integral_constantIbLb0EESW_EEDaSR_SS_EUlSR_E0_NS1_11comp_targetILNS1_3genE10ELNS1_11target_archE1200ELNS1_3gpuE4ELNS1_3repE0EEENS1_30default_config_static_selectorELNS0_4arch9wavefront6targetE0EEEvT1_,@function
_ZN7rocprim17ROCPRIM_400000_NS6detail17trampoline_kernelINS0_14default_configENS1_20scan_config_selectorIfEEZZNS1_9scan_implILNS1_25lookback_scan_determinismE0ELb0ELb0ES3_PKfPffZZZN2at6native31launch_logcumsumexp_cuda_kernelERKNSB_10TensorBaseESF_lENKUlvE_clEvENKUlvE0_clEvEUlffE_fEEDaPvRmT3_T4_T5_mT6_P12ihipStream_tbENKUlT_T0_E_clISt17integral_constantIbLb0EESW_EEDaSR_SS_EUlSR_E0_NS1_11comp_targetILNS1_3genE10ELNS1_11target_archE1200ELNS1_3gpuE4ELNS1_3repE0EEENS1_30default_config_static_selectorELNS0_4arch9wavefront6targetE0EEEvT1_: ; @_ZN7rocprim17ROCPRIM_400000_NS6detail17trampoline_kernelINS0_14default_configENS1_20scan_config_selectorIfEEZZNS1_9scan_implILNS1_25lookback_scan_determinismE0ELb0ELb0ES3_PKfPffZZZN2at6native31launch_logcumsumexp_cuda_kernelERKNSB_10TensorBaseESF_lENKUlvE_clEvENKUlvE0_clEvEUlffE_fEEDaPvRmT3_T4_T5_mT6_P12ihipStream_tbENKUlT_T0_E_clISt17integral_constantIbLb0EESW_EEDaSR_SS_EUlSR_E0_NS1_11comp_targetILNS1_3genE10ELNS1_11target_archE1200ELNS1_3gpuE4ELNS1_3repE0EEENS1_30default_config_static_selectorELNS0_4arch9wavefront6targetE0EEEvT1_
; %bb.0:
	.section	.rodata,"a",@progbits
	.p2align	6, 0x0
	.amdhsa_kernel _ZN7rocprim17ROCPRIM_400000_NS6detail17trampoline_kernelINS0_14default_configENS1_20scan_config_selectorIfEEZZNS1_9scan_implILNS1_25lookback_scan_determinismE0ELb0ELb0ES3_PKfPffZZZN2at6native31launch_logcumsumexp_cuda_kernelERKNSB_10TensorBaseESF_lENKUlvE_clEvENKUlvE0_clEvEUlffE_fEEDaPvRmT3_T4_T5_mT6_P12ihipStream_tbENKUlT_T0_E_clISt17integral_constantIbLb0EESW_EEDaSR_SS_EUlSR_E0_NS1_11comp_targetILNS1_3genE10ELNS1_11target_archE1200ELNS1_3gpuE4ELNS1_3repE0EEENS1_30default_config_static_selectorELNS0_4arch9wavefront6targetE0EEEvT1_
		.amdhsa_group_segment_fixed_size 0
		.amdhsa_private_segment_fixed_size 0
		.amdhsa_kernarg_size 32
		.amdhsa_user_sgpr_count 2
		.amdhsa_user_sgpr_dispatch_ptr 0
		.amdhsa_user_sgpr_queue_ptr 0
		.amdhsa_user_sgpr_kernarg_segment_ptr 1
		.amdhsa_user_sgpr_dispatch_id 0
		.amdhsa_user_sgpr_private_segment_size 0
		.amdhsa_wavefront_size32 1
		.amdhsa_uses_dynamic_stack 0
		.amdhsa_enable_private_segment 0
		.amdhsa_system_sgpr_workgroup_id_x 1
		.amdhsa_system_sgpr_workgroup_id_y 0
		.amdhsa_system_sgpr_workgroup_id_z 0
		.amdhsa_system_sgpr_workgroup_info 0
		.amdhsa_system_vgpr_workitem_id 0
		.amdhsa_next_free_vgpr 1
		.amdhsa_next_free_sgpr 1
		.amdhsa_reserve_vcc 0
		.amdhsa_float_round_mode_32 0
		.amdhsa_float_round_mode_16_64 0
		.amdhsa_float_denorm_mode_32 3
		.amdhsa_float_denorm_mode_16_64 3
		.amdhsa_fp16_overflow 0
		.amdhsa_workgroup_processor_mode 1
		.amdhsa_memory_ordered 1
		.amdhsa_forward_progress 1
		.amdhsa_inst_pref_size 0
		.amdhsa_round_robin_scheduling 0
		.amdhsa_exception_fp_ieee_invalid_op 0
		.amdhsa_exception_fp_denorm_src 0
		.amdhsa_exception_fp_ieee_div_zero 0
		.amdhsa_exception_fp_ieee_overflow 0
		.amdhsa_exception_fp_ieee_underflow 0
		.amdhsa_exception_fp_ieee_inexact 0
		.amdhsa_exception_int_div_zero 0
	.end_amdhsa_kernel
	.section	.text._ZN7rocprim17ROCPRIM_400000_NS6detail17trampoline_kernelINS0_14default_configENS1_20scan_config_selectorIfEEZZNS1_9scan_implILNS1_25lookback_scan_determinismE0ELb0ELb0ES3_PKfPffZZZN2at6native31launch_logcumsumexp_cuda_kernelERKNSB_10TensorBaseESF_lENKUlvE_clEvENKUlvE0_clEvEUlffE_fEEDaPvRmT3_T4_T5_mT6_P12ihipStream_tbENKUlT_T0_E_clISt17integral_constantIbLb0EESW_EEDaSR_SS_EUlSR_E0_NS1_11comp_targetILNS1_3genE10ELNS1_11target_archE1200ELNS1_3gpuE4ELNS1_3repE0EEENS1_30default_config_static_selectorELNS0_4arch9wavefront6targetE0EEEvT1_,"axG",@progbits,_ZN7rocprim17ROCPRIM_400000_NS6detail17trampoline_kernelINS0_14default_configENS1_20scan_config_selectorIfEEZZNS1_9scan_implILNS1_25lookback_scan_determinismE0ELb0ELb0ES3_PKfPffZZZN2at6native31launch_logcumsumexp_cuda_kernelERKNSB_10TensorBaseESF_lENKUlvE_clEvENKUlvE0_clEvEUlffE_fEEDaPvRmT3_T4_T5_mT6_P12ihipStream_tbENKUlT_T0_E_clISt17integral_constantIbLb0EESW_EEDaSR_SS_EUlSR_E0_NS1_11comp_targetILNS1_3genE10ELNS1_11target_archE1200ELNS1_3gpuE4ELNS1_3repE0EEENS1_30default_config_static_selectorELNS0_4arch9wavefront6targetE0EEEvT1_,comdat
.Lfunc_end111:
	.size	_ZN7rocprim17ROCPRIM_400000_NS6detail17trampoline_kernelINS0_14default_configENS1_20scan_config_selectorIfEEZZNS1_9scan_implILNS1_25lookback_scan_determinismE0ELb0ELb0ES3_PKfPffZZZN2at6native31launch_logcumsumexp_cuda_kernelERKNSB_10TensorBaseESF_lENKUlvE_clEvENKUlvE0_clEvEUlffE_fEEDaPvRmT3_T4_T5_mT6_P12ihipStream_tbENKUlT_T0_E_clISt17integral_constantIbLb0EESW_EEDaSR_SS_EUlSR_E0_NS1_11comp_targetILNS1_3genE10ELNS1_11target_archE1200ELNS1_3gpuE4ELNS1_3repE0EEENS1_30default_config_static_selectorELNS0_4arch9wavefront6targetE0EEEvT1_, .Lfunc_end111-_ZN7rocprim17ROCPRIM_400000_NS6detail17trampoline_kernelINS0_14default_configENS1_20scan_config_selectorIfEEZZNS1_9scan_implILNS1_25lookback_scan_determinismE0ELb0ELb0ES3_PKfPffZZZN2at6native31launch_logcumsumexp_cuda_kernelERKNSB_10TensorBaseESF_lENKUlvE_clEvENKUlvE0_clEvEUlffE_fEEDaPvRmT3_T4_T5_mT6_P12ihipStream_tbENKUlT_T0_E_clISt17integral_constantIbLb0EESW_EEDaSR_SS_EUlSR_E0_NS1_11comp_targetILNS1_3genE10ELNS1_11target_archE1200ELNS1_3gpuE4ELNS1_3repE0EEENS1_30default_config_static_selectorELNS0_4arch9wavefront6targetE0EEEvT1_
                                        ; -- End function
	.set _ZN7rocprim17ROCPRIM_400000_NS6detail17trampoline_kernelINS0_14default_configENS1_20scan_config_selectorIfEEZZNS1_9scan_implILNS1_25lookback_scan_determinismE0ELb0ELb0ES3_PKfPffZZZN2at6native31launch_logcumsumexp_cuda_kernelERKNSB_10TensorBaseESF_lENKUlvE_clEvENKUlvE0_clEvEUlffE_fEEDaPvRmT3_T4_T5_mT6_P12ihipStream_tbENKUlT_T0_E_clISt17integral_constantIbLb0EESW_EEDaSR_SS_EUlSR_E0_NS1_11comp_targetILNS1_3genE10ELNS1_11target_archE1200ELNS1_3gpuE4ELNS1_3repE0EEENS1_30default_config_static_selectorELNS0_4arch9wavefront6targetE0EEEvT1_.num_vgpr, 0
	.set _ZN7rocprim17ROCPRIM_400000_NS6detail17trampoline_kernelINS0_14default_configENS1_20scan_config_selectorIfEEZZNS1_9scan_implILNS1_25lookback_scan_determinismE0ELb0ELb0ES3_PKfPffZZZN2at6native31launch_logcumsumexp_cuda_kernelERKNSB_10TensorBaseESF_lENKUlvE_clEvENKUlvE0_clEvEUlffE_fEEDaPvRmT3_T4_T5_mT6_P12ihipStream_tbENKUlT_T0_E_clISt17integral_constantIbLb0EESW_EEDaSR_SS_EUlSR_E0_NS1_11comp_targetILNS1_3genE10ELNS1_11target_archE1200ELNS1_3gpuE4ELNS1_3repE0EEENS1_30default_config_static_selectorELNS0_4arch9wavefront6targetE0EEEvT1_.num_agpr, 0
	.set _ZN7rocprim17ROCPRIM_400000_NS6detail17trampoline_kernelINS0_14default_configENS1_20scan_config_selectorIfEEZZNS1_9scan_implILNS1_25lookback_scan_determinismE0ELb0ELb0ES3_PKfPffZZZN2at6native31launch_logcumsumexp_cuda_kernelERKNSB_10TensorBaseESF_lENKUlvE_clEvENKUlvE0_clEvEUlffE_fEEDaPvRmT3_T4_T5_mT6_P12ihipStream_tbENKUlT_T0_E_clISt17integral_constantIbLb0EESW_EEDaSR_SS_EUlSR_E0_NS1_11comp_targetILNS1_3genE10ELNS1_11target_archE1200ELNS1_3gpuE4ELNS1_3repE0EEENS1_30default_config_static_selectorELNS0_4arch9wavefront6targetE0EEEvT1_.numbered_sgpr, 0
	.set _ZN7rocprim17ROCPRIM_400000_NS6detail17trampoline_kernelINS0_14default_configENS1_20scan_config_selectorIfEEZZNS1_9scan_implILNS1_25lookback_scan_determinismE0ELb0ELb0ES3_PKfPffZZZN2at6native31launch_logcumsumexp_cuda_kernelERKNSB_10TensorBaseESF_lENKUlvE_clEvENKUlvE0_clEvEUlffE_fEEDaPvRmT3_T4_T5_mT6_P12ihipStream_tbENKUlT_T0_E_clISt17integral_constantIbLb0EESW_EEDaSR_SS_EUlSR_E0_NS1_11comp_targetILNS1_3genE10ELNS1_11target_archE1200ELNS1_3gpuE4ELNS1_3repE0EEENS1_30default_config_static_selectorELNS0_4arch9wavefront6targetE0EEEvT1_.num_named_barrier, 0
	.set _ZN7rocprim17ROCPRIM_400000_NS6detail17trampoline_kernelINS0_14default_configENS1_20scan_config_selectorIfEEZZNS1_9scan_implILNS1_25lookback_scan_determinismE0ELb0ELb0ES3_PKfPffZZZN2at6native31launch_logcumsumexp_cuda_kernelERKNSB_10TensorBaseESF_lENKUlvE_clEvENKUlvE0_clEvEUlffE_fEEDaPvRmT3_T4_T5_mT6_P12ihipStream_tbENKUlT_T0_E_clISt17integral_constantIbLb0EESW_EEDaSR_SS_EUlSR_E0_NS1_11comp_targetILNS1_3genE10ELNS1_11target_archE1200ELNS1_3gpuE4ELNS1_3repE0EEENS1_30default_config_static_selectorELNS0_4arch9wavefront6targetE0EEEvT1_.private_seg_size, 0
	.set _ZN7rocprim17ROCPRIM_400000_NS6detail17trampoline_kernelINS0_14default_configENS1_20scan_config_selectorIfEEZZNS1_9scan_implILNS1_25lookback_scan_determinismE0ELb0ELb0ES3_PKfPffZZZN2at6native31launch_logcumsumexp_cuda_kernelERKNSB_10TensorBaseESF_lENKUlvE_clEvENKUlvE0_clEvEUlffE_fEEDaPvRmT3_T4_T5_mT6_P12ihipStream_tbENKUlT_T0_E_clISt17integral_constantIbLb0EESW_EEDaSR_SS_EUlSR_E0_NS1_11comp_targetILNS1_3genE10ELNS1_11target_archE1200ELNS1_3gpuE4ELNS1_3repE0EEENS1_30default_config_static_selectorELNS0_4arch9wavefront6targetE0EEEvT1_.uses_vcc, 0
	.set _ZN7rocprim17ROCPRIM_400000_NS6detail17trampoline_kernelINS0_14default_configENS1_20scan_config_selectorIfEEZZNS1_9scan_implILNS1_25lookback_scan_determinismE0ELb0ELb0ES3_PKfPffZZZN2at6native31launch_logcumsumexp_cuda_kernelERKNSB_10TensorBaseESF_lENKUlvE_clEvENKUlvE0_clEvEUlffE_fEEDaPvRmT3_T4_T5_mT6_P12ihipStream_tbENKUlT_T0_E_clISt17integral_constantIbLb0EESW_EEDaSR_SS_EUlSR_E0_NS1_11comp_targetILNS1_3genE10ELNS1_11target_archE1200ELNS1_3gpuE4ELNS1_3repE0EEENS1_30default_config_static_selectorELNS0_4arch9wavefront6targetE0EEEvT1_.uses_flat_scratch, 0
	.set _ZN7rocprim17ROCPRIM_400000_NS6detail17trampoline_kernelINS0_14default_configENS1_20scan_config_selectorIfEEZZNS1_9scan_implILNS1_25lookback_scan_determinismE0ELb0ELb0ES3_PKfPffZZZN2at6native31launch_logcumsumexp_cuda_kernelERKNSB_10TensorBaseESF_lENKUlvE_clEvENKUlvE0_clEvEUlffE_fEEDaPvRmT3_T4_T5_mT6_P12ihipStream_tbENKUlT_T0_E_clISt17integral_constantIbLb0EESW_EEDaSR_SS_EUlSR_E0_NS1_11comp_targetILNS1_3genE10ELNS1_11target_archE1200ELNS1_3gpuE4ELNS1_3repE0EEENS1_30default_config_static_selectorELNS0_4arch9wavefront6targetE0EEEvT1_.has_dyn_sized_stack, 0
	.set _ZN7rocprim17ROCPRIM_400000_NS6detail17trampoline_kernelINS0_14default_configENS1_20scan_config_selectorIfEEZZNS1_9scan_implILNS1_25lookback_scan_determinismE0ELb0ELb0ES3_PKfPffZZZN2at6native31launch_logcumsumexp_cuda_kernelERKNSB_10TensorBaseESF_lENKUlvE_clEvENKUlvE0_clEvEUlffE_fEEDaPvRmT3_T4_T5_mT6_P12ihipStream_tbENKUlT_T0_E_clISt17integral_constantIbLb0EESW_EEDaSR_SS_EUlSR_E0_NS1_11comp_targetILNS1_3genE10ELNS1_11target_archE1200ELNS1_3gpuE4ELNS1_3repE0EEENS1_30default_config_static_selectorELNS0_4arch9wavefront6targetE0EEEvT1_.has_recursion, 0
	.set _ZN7rocprim17ROCPRIM_400000_NS6detail17trampoline_kernelINS0_14default_configENS1_20scan_config_selectorIfEEZZNS1_9scan_implILNS1_25lookback_scan_determinismE0ELb0ELb0ES3_PKfPffZZZN2at6native31launch_logcumsumexp_cuda_kernelERKNSB_10TensorBaseESF_lENKUlvE_clEvENKUlvE0_clEvEUlffE_fEEDaPvRmT3_T4_T5_mT6_P12ihipStream_tbENKUlT_T0_E_clISt17integral_constantIbLb0EESW_EEDaSR_SS_EUlSR_E0_NS1_11comp_targetILNS1_3genE10ELNS1_11target_archE1200ELNS1_3gpuE4ELNS1_3repE0EEENS1_30default_config_static_selectorELNS0_4arch9wavefront6targetE0EEEvT1_.has_indirect_call, 0
	.section	.AMDGPU.csdata,"",@progbits
; Kernel info:
; codeLenInByte = 0
; TotalNumSgprs: 0
; NumVgprs: 0
; ScratchSize: 0
; MemoryBound: 0
; FloatMode: 240
; IeeeMode: 1
; LDSByteSize: 0 bytes/workgroup (compile time only)
; SGPRBlocks: 0
; VGPRBlocks: 0
; NumSGPRsForWavesPerEU: 1
; NumVGPRsForWavesPerEU: 1
; Occupancy: 16
; WaveLimiterHint : 0
; COMPUTE_PGM_RSRC2:SCRATCH_EN: 0
; COMPUTE_PGM_RSRC2:USER_SGPR: 2
; COMPUTE_PGM_RSRC2:TRAP_HANDLER: 0
; COMPUTE_PGM_RSRC2:TGID_X_EN: 1
; COMPUTE_PGM_RSRC2:TGID_Y_EN: 0
; COMPUTE_PGM_RSRC2:TGID_Z_EN: 0
; COMPUTE_PGM_RSRC2:TIDIG_COMP_CNT: 0
	.section	.text._ZN7rocprim17ROCPRIM_400000_NS6detail17trampoline_kernelINS0_14default_configENS1_20scan_config_selectorIfEEZZNS1_9scan_implILNS1_25lookback_scan_determinismE0ELb0ELb0ES3_PKfPffZZZN2at6native31launch_logcumsumexp_cuda_kernelERKNSB_10TensorBaseESF_lENKUlvE_clEvENKUlvE0_clEvEUlffE_fEEDaPvRmT3_T4_T5_mT6_P12ihipStream_tbENKUlT_T0_E_clISt17integral_constantIbLb0EESW_EEDaSR_SS_EUlSR_E0_NS1_11comp_targetILNS1_3genE9ELNS1_11target_archE1100ELNS1_3gpuE3ELNS1_3repE0EEENS1_30default_config_static_selectorELNS0_4arch9wavefront6targetE0EEEvT1_,"axG",@progbits,_ZN7rocprim17ROCPRIM_400000_NS6detail17trampoline_kernelINS0_14default_configENS1_20scan_config_selectorIfEEZZNS1_9scan_implILNS1_25lookback_scan_determinismE0ELb0ELb0ES3_PKfPffZZZN2at6native31launch_logcumsumexp_cuda_kernelERKNSB_10TensorBaseESF_lENKUlvE_clEvENKUlvE0_clEvEUlffE_fEEDaPvRmT3_T4_T5_mT6_P12ihipStream_tbENKUlT_T0_E_clISt17integral_constantIbLb0EESW_EEDaSR_SS_EUlSR_E0_NS1_11comp_targetILNS1_3genE9ELNS1_11target_archE1100ELNS1_3gpuE3ELNS1_3repE0EEENS1_30default_config_static_selectorELNS0_4arch9wavefront6targetE0EEEvT1_,comdat
	.globl	_ZN7rocprim17ROCPRIM_400000_NS6detail17trampoline_kernelINS0_14default_configENS1_20scan_config_selectorIfEEZZNS1_9scan_implILNS1_25lookback_scan_determinismE0ELb0ELb0ES3_PKfPffZZZN2at6native31launch_logcumsumexp_cuda_kernelERKNSB_10TensorBaseESF_lENKUlvE_clEvENKUlvE0_clEvEUlffE_fEEDaPvRmT3_T4_T5_mT6_P12ihipStream_tbENKUlT_T0_E_clISt17integral_constantIbLb0EESW_EEDaSR_SS_EUlSR_E0_NS1_11comp_targetILNS1_3genE9ELNS1_11target_archE1100ELNS1_3gpuE3ELNS1_3repE0EEENS1_30default_config_static_selectorELNS0_4arch9wavefront6targetE0EEEvT1_ ; -- Begin function _ZN7rocprim17ROCPRIM_400000_NS6detail17trampoline_kernelINS0_14default_configENS1_20scan_config_selectorIfEEZZNS1_9scan_implILNS1_25lookback_scan_determinismE0ELb0ELb0ES3_PKfPffZZZN2at6native31launch_logcumsumexp_cuda_kernelERKNSB_10TensorBaseESF_lENKUlvE_clEvENKUlvE0_clEvEUlffE_fEEDaPvRmT3_T4_T5_mT6_P12ihipStream_tbENKUlT_T0_E_clISt17integral_constantIbLb0EESW_EEDaSR_SS_EUlSR_E0_NS1_11comp_targetILNS1_3genE9ELNS1_11target_archE1100ELNS1_3gpuE3ELNS1_3repE0EEENS1_30default_config_static_selectorELNS0_4arch9wavefront6targetE0EEEvT1_
	.p2align	8
	.type	_ZN7rocprim17ROCPRIM_400000_NS6detail17trampoline_kernelINS0_14default_configENS1_20scan_config_selectorIfEEZZNS1_9scan_implILNS1_25lookback_scan_determinismE0ELb0ELb0ES3_PKfPffZZZN2at6native31launch_logcumsumexp_cuda_kernelERKNSB_10TensorBaseESF_lENKUlvE_clEvENKUlvE0_clEvEUlffE_fEEDaPvRmT3_T4_T5_mT6_P12ihipStream_tbENKUlT_T0_E_clISt17integral_constantIbLb0EESW_EEDaSR_SS_EUlSR_E0_NS1_11comp_targetILNS1_3genE9ELNS1_11target_archE1100ELNS1_3gpuE3ELNS1_3repE0EEENS1_30default_config_static_selectorELNS0_4arch9wavefront6targetE0EEEvT1_,@function
_ZN7rocprim17ROCPRIM_400000_NS6detail17trampoline_kernelINS0_14default_configENS1_20scan_config_selectorIfEEZZNS1_9scan_implILNS1_25lookback_scan_determinismE0ELb0ELb0ES3_PKfPffZZZN2at6native31launch_logcumsumexp_cuda_kernelERKNSB_10TensorBaseESF_lENKUlvE_clEvENKUlvE0_clEvEUlffE_fEEDaPvRmT3_T4_T5_mT6_P12ihipStream_tbENKUlT_T0_E_clISt17integral_constantIbLb0EESW_EEDaSR_SS_EUlSR_E0_NS1_11comp_targetILNS1_3genE9ELNS1_11target_archE1100ELNS1_3gpuE3ELNS1_3repE0EEENS1_30default_config_static_selectorELNS0_4arch9wavefront6targetE0EEEvT1_: ; @_ZN7rocprim17ROCPRIM_400000_NS6detail17trampoline_kernelINS0_14default_configENS1_20scan_config_selectorIfEEZZNS1_9scan_implILNS1_25lookback_scan_determinismE0ELb0ELb0ES3_PKfPffZZZN2at6native31launch_logcumsumexp_cuda_kernelERKNSB_10TensorBaseESF_lENKUlvE_clEvENKUlvE0_clEvEUlffE_fEEDaPvRmT3_T4_T5_mT6_P12ihipStream_tbENKUlT_T0_E_clISt17integral_constantIbLb0EESW_EEDaSR_SS_EUlSR_E0_NS1_11comp_targetILNS1_3genE9ELNS1_11target_archE1100ELNS1_3gpuE3ELNS1_3repE0EEENS1_30default_config_static_selectorELNS0_4arch9wavefront6targetE0EEEvT1_
; %bb.0:
	.section	.rodata,"a",@progbits
	.p2align	6, 0x0
	.amdhsa_kernel _ZN7rocprim17ROCPRIM_400000_NS6detail17trampoline_kernelINS0_14default_configENS1_20scan_config_selectorIfEEZZNS1_9scan_implILNS1_25lookback_scan_determinismE0ELb0ELb0ES3_PKfPffZZZN2at6native31launch_logcumsumexp_cuda_kernelERKNSB_10TensorBaseESF_lENKUlvE_clEvENKUlvE0_clEvEUlffE_fEEDaPvRmT3_T4_T5_mT6_P12ihipStream_tbENKUlT_T0_E_clISt17integral_constantIbLb0EESW_EEDaSR_SS_EUlSR_E0_NS1_11comp_targetILNS1_3genE9ELNS1_11target_archE1100ELNS1_3gpuE3ELNS1_3repE0EEENS1_30default_config_static_selectorELNS0_4arch9wavefront6targetE0EEEvT1_
		.amdhsa_group_segment_fixed_size 0
		.amdhsa_private_segment_fixed_size 0
		.amdhsa_kernarg_size 32
		.amdhsa_user_sgpr_count 2
		.amdhsa_user_sgpr_dispatch_ptr 0
		.amdhsa_user_sgpr_queue_ptr 0
		.amdhsa_user_sgpr_kernarg_segment_ptr 1
		.amdhsa_user_sgpr_dispatch_id 0
		.amdhsa_user_sgpr_private_segment_size 0
		.amdhsa_wavefront_size32 1
		.amdhsa_uses_dynamic_stack 0
		.amdhsa_enable_private_segment 0
		.amdhsa_system_sgpr_workgroup_id_x 1
		.amdhsa_system_sgpr_workgroup_id_y 0
		.amdhsa_system_sgpr_workgroup_id_z 0
		.amdhsa_system_sgpr_workgroup_info 0
		.amdhsa_system_vgpr_workitem_id 0
		.amdhsa_next_free_vgpr 1
		.amdhsa_next_free_sgpr 1
		.amdhsa_reserve_vcc 0
		.amdhsa_float_round_mode_32 0
		.amdhsa_float_round_mode_16_64 0
		.amdhsa_float_denorm_mode_32 3
		.amdhsa_float_denorm_mode_16_64 3
		.amdhsa_fp16_overflow 0
		.amdhsa_workgroup_processor_mode 1
		.amdhsa_memory_ordered 1
		.amdhsa_forward_progress 1
		.amdhsa_inst_pref_size 0
		.amdhsa_round_robin_scheduling 0
		.amdhsa_exception_fp_ieee_invalid_op 0
		.amdhsa_exception_fp_denorm_src 0
		.amdhsa_exception_fp_ieee_div_zero 0
		.amdhsa_exception_fp_ieee_overflow 0
		.amdhsa_exception_fp_ieee_underflow 0
		.amdhsa_exception_fp_ieee_inexact 0
		.amdhsa_exception_int_div_zero 0
	.end_amdhsa_kernel
	.section	.text._ZN7rocprim17ROCPRIM_400000_NS6detail17trampoline_kernelINS0_14default_configENS1_20scan_config_selectorIfEEZZNS1_9scan_implILNS1_25lookback_scan_determinismE0ELb0ELb0ES3_PKfPffZZZN2at6native31launch_logcumsumexp_cuda_kernelERKNSB_10TensorBaseESF_lENKUlvE_clEvENKUlvE0_clEvEUlffE_fEEDaPvRmT3_T4_T5_mT6_P12ihipStream_tbENKUlT_T0_E_clISt17integral_constantIbLb0EESW_EEDaSR_SS_EUlSR_E0_NS1_11comp_targetILNS1_3genE9ELNS1_11target_archE1100ELNS1_3gpuE3ELNS1_3repE0EEENS1_30default_config_static_selectorELNS0_4arch9wavefront6targetE0EEEvT1_,"axG",@progbits,_ZN7rocprim17ROCPRIM_400000_NS6detail17trampoline_kernelINS0_14default_configENS1_20scan_config_selectorIfEEZZNS1_9scan_implILNS1_25lookback_scan_determinismE0ELb0ELb0ES3_PKfPffZZZN2at6native31launch_logcumsumexp_cuda_kernelERKNSB_10TensorBaseESF_lENKUlvE_clEvENKUlvE0_clEvEUlffE_fEEDaPvRmT3_T4_T5_mT6_P12ihipStream_tbENKUlT_T0_E_clISt17integral_constantIbLb0EESW_EEDaSR_SS_EUlSR_E0_NS1_11comp_targetILNS1_3genE9ELNS1_11target_archE1100ELNS1_3gpuE3ELNS1_3repE0EEENS1_30default_config_static_selectorELNS0_4arch9wavefront6targetE0EEEvT1_,comdat
.Lfunc_end112:
	.size	_ZN7rocprim17ROCPRIM_400000_NS6detail17trampoline_kernelINS0_14default_configENS1_20scan_config_selectorIfEEZZNS1_9scan_implILNS1_25lookback_scan_determinismE0ELb0ELb0ES3_PKfPffZZZN2at6native31launch_logcumsumexp_cuda_kernelERKNSB_10TensorBaseESF_lENKUlvE_clEvENKUlvE0_clEvEUlffE_fEEDaPvRmT3_T4_T5_mT6_P12ihipStream_tbENKUlT_T0_E_clISt17integral_constantIbLb0EESW_EEDaSR_SS_EUlSR_E0_NS1_11comp_targetILNS1_3genE9ELNS1_11target_archE1100ELNS1_3gpuE3ELNS1_3repE0EEENS1_30default_config_static_selectorELNS0_4arch9wavefront6targetE0EEEvT1_, .Lfunc_end112-_ZN7rocprim17ROCPRIM_400000_NS6detail17trampoline_kernelINS0_14default_configENS1_20scan_config_selectorIfEEZZNS1_9scan_implILNS1_25lookback_scan_determinismE0ELb0ELb0ES3_PKfPffZZZN2at6native31launch_logcumsumexp_cuda_kernelERKNSB_10TensorBaseESF_lENKUlvE_clEvENKUlvE0_clEvEUlffE_fEEDaPvRmT3_T4_T5_mT6_P12ihipStream_tbENKUlT_T0_E_clISt17integral_constantIbLb0EESW_EEDaSR_SS_EUlSR_E0_NS1_11comp_targetILNS1_3genE9ELNS1_11target_archE1100ELNS1_3gpuE3ELNS1_3repE0EEENS1_30default_config_static_selectorELNS0_4arch9wavefront6targetE0EEEvT1_
                                        ; -- End function
	.set _ZN7rocprim17ROCPRIM_400000_NS6detail17trampoline_kernelINS0_14default_configENS1_20scan_config_selectorIfEEZZNS1_9scan_implILNS1_25lookback_scan_determinismE0ELb0ELb0ES3_PKfPffZZZN2at6native31launch_logcumsumexp_cuda_kernelERKNSB_10TensorBaseESF_lENKUlvE_clEvENKUlvE0_clEvEUlffE_fEEDaPvRmT3_T4_T5_mT6_P12ihipStream_tbENKUlT_T0_E_clISt17integral_constantIbLb0EESW_EEDaSR_SS_EUlSR_E0_NS1_11comp_targetILNS1_3genE9ELNS1_11target_archE1100ELNS1_3gpuE3ELNS1_3repE0EEENS1_30default_config_static_selectorELNS0_4arch9wavefront6targetE0EEEvT1_.num_vgpr, 0
	.set _ZN7rocprim17ROCPRIM_400000_NS6detail17trampoline_kernelINS0_14default_configENS1_20scan_config_selectorIfEEZZNS1_9scan_implILNS1_25lookback_scan_determinismE0ELb0ELb0ES3_PKfPffZZZN2at6native31launch_logcumsumexp_cuda_kernelERKNSB_10TensorBaseESF_lENKUlvE_clEvENKUlvE0_clEvEUlffE_fEEDaPvRmT3_T4_T5_mT6_P12ihipStream_tbENKUlT_T0_E_clISt17integral_constantIbLb0EESW_EEDaSR_SS_EUlSR_E0_NS1_11comp_targetILNS1_3genE9ELNS1_11target_archE1100ELNS1_3gpuE3ELNS1_3repE0EEENS1_30default_config_static_selectorELNS0_4arch9wavefront6targetE0EEEvT1_.num_agpr, 0
	.set _ZN7rocprim17ROCPRIM_400000_NS6detail17trampoline_kernelINS0_14default_configENS1_20scan_config_selectorIfEEZZNS1_9scan_implILNS1_25lookback_scan_determinismE0ELb0ELb0ES3_PKfPffZZZN2at6native31launch_logcumsumexp_cuda_kernelERKNSB_10TensorBaseESF_lENKUlvE_clEvENKUlvE0_clEvEUlffE_fEEDaPvRmT3_T4_T5_mT6_P12ihipStream_tbENKUlT_T0_E_clISt17integral_constantIbLb0EESW_EEDaSR_SS_EUlSR_E0_NS1_11comp_targetILNS1_3genE9ELNS1_11target_archE1100ELNS1_3gpuE3ELNS1_3repE0EEENS1_30default_config_static_selectorELNS0_4arch9wavefront6targetE0EEEvT1_.numbered_sgpr, 0
	.set _ZN7rocprim17ROCPRIM_400000_NS6detail17trampoline_kernelINS0_14default_configENS1_20scan_config_selectorIfEEZZNS1_9scan_implILNS1_25lookback_scan_determinismE0ELb0ELb0ES3_PKfPffZZZN2at6native31launch_logcumsumexp_cuda_kernelERKNSB_10TensorBaseESF_lENKUlvE_clEvENKUlvE0_clEvEUlffE_fEEDaPvRmT3_T4_T5_mT6_P12ihipStream_tbENKUlT_T0_E_clISt17integral_constantIbLb0EESW_EEDaSR_SS_EUlSR_E0_NS1_11comp_targetILNS1_3genE9ELNS1_11target_archE1100ELNS1_3gpuE3ELNS1_3repE0EEENS1_30default_config_static_selectorELNS0_4arch9wavefront6targetE0EEEvT1_.num_named_barrier, 0
	.set _ZN7rocprim17ROCPRIM_400000_NS6detail17trampoline_kernelINS0_14default_configENS1_20scan_config_selectorIfEEZZNS1_9scan_implILNS1_25lookback_scan_determinismE0ELb0ELb0ES3_PKfPffZZZN2at6native31launch_logcumsumexp_cuda_kernelERKNSB_10TensorBaseESF_lENKUlvE_clEvENKUlvE0_clEvEUlffE_fEEDaPvRmT3_T4_T5_mT6_P12ihipStream_tbENKUlT_T0_E_clISt17integral_constantIbLb0EESW_EEDaSR_SS_EUlSR_E0_NS1_11comp_targetILNS1_3genE9ELNS1_11target_archE1100ELNS1_3gpuE3ELNS1_3repE0EEENS1_30default_config_static_selectorELNS0_4arch9wavefront6targetE0EEEvT1_.private_seg_size, 0
	.set _ZN7rocprim17ROCPRIM_400000_NS6detail17trampoline_kernelINS0_14default_configENS1_20scan_config_selectorIfEEZZNS1_9scan_implILNS1_25lookback_scan_determinismE0ELb0ELb0ES3_PKfPffZZZN2at6native31launch_logcumsumexp_cuda_kernelERKNSB_10TensorBaseESF_lENKUlvE_clEvENKUlvE0_clEvEUlffE_fEEDaPvRmT3_T4_T5_mT6_P12ihipStream_tbENKUlT_T0_E_clISt17integral_constantIbLb0EESW_EEDaSR_SS_EUlSR_E0_NS1_11comp_targetILNS1_3genE9ELNS1_11target_archE1100ELNS1_3gpuE3ELNS1_3repE0EEENS1_30default_config_static_selectorELNS0_4arch9wavefront6targetE0EEEvT1_.uses_vcc, 0
	.set _ZN7rocprim17ROCPRIM_400000_NS6detail17trampoline_kernelINS0_14default_configENS1_20scan_config_selectorIfEEZZNS1_9scan_implILNS1_25lookback_scan_determinismE0ELb0ELb0ES3_PKfPffZZZN2at6native31launch_logcumsumexp_cuda_kernelERKNSB_10TensorBaseESF_lENKUlvE_clEvENKUlvE0_clEvEUlffE_fEEDaPvRmT3_T4_T5_mT6_P12ihipStream_tbENKUlT_T0_E_clISt17integral_constantIbLb0EESW_EEDaSR_SS_EUlSR_E0_NS1_11comp_targetILNS1_3genE9ELNS1_11target_archE1100ELNS1_3gpuE3ELNS1_3repE0EEENS1_30default_config_static_selectorELNS0_4arch9wavefront6targetE0EEEvT1_.uses_flat_scratch, 0
	.set _ZN7rocprim17ROCPRIM_400000_NS6detail17trampoline_kernelINS0_14default_configENS1_20scan_config_selectorIfEEZZNS1_9scan_implILNS1_25lookback_scan_determinismE0ELb0ELb0ES3_PKfPffZZZN2at6native31launch_logcumsumexp_cuda_kernelERKNSB_10TensorBaseESF_lENKUlvE_clEvENKUlvE0_clEvEUlffE_fEEDaPvRmT3_T4_T5_mT6_P12ihipStream_tbENKUlT_T0_E_clISt17integral_constantIbLb0EESW_EEDaSR_SS_EUlSR_E0_NS1_11comp_targetILNS1_3genE9ELNS1_11target_archE1100ELNS1_3gpuE3ELNS1_3repE0EEENS1_30default_config_static_selectorELNS0_4arch9wavefront6targetE0EEEvT1_.has_dyn_sized_stack, 0
	.set _ZN7rocprim17ROCPRIM_400000_NS6detail17trampoline_kernelINS0_14default_configENS1_20scan_config_selectorIfEEZZNS1_9scan_implILNS1_25lookback_scan_determinismE0ELb0ELb0ES3_PKfPffZZZN2at6native31launch_logcumsumexp_cuda_kernelERKNSB_10TensorBaseESF_lENKUlvE_clEvENKUlvE0_clEvEUlffE_fEEDaPvRmT3_T4_T5_mT6_P12ihipStream_tbENKUlT_T0_E_clISt17integral_constantIbLb0EESW_EEDaSR_SS_EUlSR_E0_NS1_11comp_targetILNS1_3genE9ELNS1_11target_archE1100ELNS1_3gpuE3ELNS1_3repE0EEENS1_30default_config_static_selectorELNS0_4arch9wavefront6targetE0EEEvT1_.has_recursion, 0
	.set _ZN7rocprim17ROCPRIM_400000_NS6detail17trampoline_kernelINS0_14default_configENS1_20scan_config_selectorIfEEZZNS1_9scan_implILNS1_25lookback_scan_determinismE0ELb0ELb0ES3_PKfPffZZZN2at6native31launch_logcumsumexp_cuda_kernelERKNSB_10TensorBaseESF_lENKUlvE_clEvENKUlvE0_clEvEUlffE_fEEDaPvRmT3_T4_T5_mT6_P12ihipStream_tbENKUlT_T0_E_clISt17integral_constantIbLb0EESW_EEDaSR_SS_EUlSR_E0_NS1_11comp_targetILNS1_3genE9ELNS1_11target_archE1100ELNS1_3gpuE3ELNS1_3repE0EEENS1_30default_config_static_selectorELNS0_4arch9wavefront6targetE0EEEvT1_.has_indirect_call, 0
	.section	.AMDGPU.csdata,"",@progbits
; Kernel info:
; codeLenInByte = 0
; TotalNumSgprs: 0
; NumVgprs: 0
; ScratchSize: 0
; MemoryBound: 0
; FloatMode: 240
; IeeeMode: 1
; LDSByteSize: 0 bytes/workgroup (compile time only)
; SGPRBlocks: 0
; VGPRBlocks: 0
; NumSGPRsForWavesPerEU: 1
; NumVGPRsForWavesPerEU: 1
; Occupancy: 16
; WaveLimiterHint : 0
; COMPUTE_PGM_RSRC2:SCRATCH_EN: 0
; COMPUTE_PGM_RSRC2:USER_SGPR: 2
; COMPUTE_PGM_RSRC2:TRAP_HANDLER: 0
; COMPUTE_PGM_RSRC2:TGID_X_EN: 1
; COMPUTE_PGM_RSRC2:TGID_Y_EN: 0
; COMPUTE_PGM_RSRC2:TGID_Z_EN: 0
; COMPUTE_PGM_RSRC2:TIDIG_COMP_CNT: 0
	.section	.text._ZN7rocprim17ROCPRIM_400000_NS6detail17trampoline_kernelINS0_14default_configENS1_20scan_config_selectorIfEEZZNS1_9scan_implILNS1_25lookback_scan_determinismE0ELb0ELb0ES3_PKfPffZZZN2at6native31launch_logcumsumexp_cuda_kernelERKNSB_10TensorBaseESF_lENKUlvE_clEvENKUlvE0_clEvEUlffE_fEEDaPvRmT3_T4_T5_mT6_P12ihipStream_tbENKUlT_T0_E_clISt17integral_constantIbLb0EESW_EEDaSR_SS_EUlSR_E0_NS1_11comp_targetILNS1_3genE8ELNS1_11target_archE1030ELNS1_3gpuE2ELNS1_3repE0EEENS1_30default_config_static_selectorELNS0_4arch9wavefront6targetE0EEEvT1_,"axG",@progbits,_ZN7rocprim17ROCPRIM_400000_NS6detail17trampoline_kernelINS0_14default_configENS1_20scan_config_selectorIfEEZZNS1_9scan_implILNS1_25lookback_scan_determinismE0ELb0ELb0ES3_PKfPffZZZN2at6native31launch_logcumsumexp_cuda_kernelERKNSB_10TensorBaseESF_lENKUlvE_clEvENKUlvE0_clEvEUlffE_fEEDaPvRmT3_T4_T5_mT6_P12ihipStream_tbENKUlT_T0_E_clISt17integral_constantIbLb0EESW_EEDaSR_SS_EUlSR_E0_NS1_11comp_targetILNS1_3genE8ELNS1_11target_archE1030ELNS1_3gpuE2ELNS1_3repE0EEENS1_30default_config_static_selectorELNS0_4arch9wavefront6targetE0EEEvT1_,comdat
	.globl	_ZN7rocprim17ROCPRIM_400000_NS6detail17trampoline_kernelINS0_14default_configENS1_20scan_config_selectorIfEEZZNS1_9scan_implILNS1_25lookback_scan_determinismE0ELb0ELb0ES3_PKfPffZZZN2at6native31launch_logcumsumexp_cuda_kernelERKNSB_10TensorBaseESF_lENKUlvE_clEvENKUlvE0_clEvEUlffE_fEEDaPvRmT3_T4_T5_mT6_P12ihipStream_tbENKUlT_T0_E_clISt17integral_constantIbLb0EESW_EEDaSR_SS_EUlSR_E0_NS1_11comp_targetILNS1_3genE8ELNS1_11target_archE1030ELNS1_3gpuE2ELNS1_3repE0EEENS1_30default_config_static_selectorELNS0_4arch9wavefront6targetE0EEEvT1_ ; -- Begin function _ZN7rocprim17ROCPRIM_400000_NS6detail17trampoline_kernelINS0_14default_configENS1_20scan_config_selectorIfEEZZNS1_9scan_implILNS1_25lookback_scan_determinismE0ELb0ELb0ES3_PKfPffZZZN2at6native31launch_logcumsumexp_cuda_kernelERKNSB_10TensorBaseESF_lENKUlvE_clEvENKUlvE0_clEvEUlffE_fEEDaPvRmT3_T4_T5_mT6_P12ihipStream_tbENKUlT_T0_E_clISt17integral_constantIbLb0EESW_EEDaSR_SS_EUlSR_E0_NS1_11comp_targetILNS1_3genE8ELNS1_11target_archE1030ELNS1_3gpuE2ELNS1_3repE0EEENS1_30default_config_static_selectorELNS0_4arch9wavefront6targetE0EEEvT1_
	.p2align	8
	.type	_ZN7rocprim17ROCPRIM_400000_NS6detail17trampoline_kernelINS0_14default_configENS1_20scan_config_selectorIfEEZZNS1_9scan_implILNS1_25lookback_scan_determinismE0ELb0ELb0ES3_PKfPffZZZN2at6native31launch_logcumsumexp_cuda_kernelERKNSB_10TensorBaseESF_lENKUlvE_clEvENKUlvE0_clEvEUlffE_fEEDaPvRmT3_T4_T5_mT6_P12ihipStream_tbENKUlT_T0_E_clISt17integral_constantIbLb0EESW_EEDaSR_SS_EUlSR_E0_NS1_11comp_targetILNS1_3genE8ELNS1_11target_archE1030ELNS1_3gpuE2ELNS1_3repE0EEENS1_30default_config_static_selectorELNS0_4arch9wavefront6targetE0EEEvT1_,@function
_ZN7rocprim17ROCPRIM_400000_NS6detail17trampoline_kernelINS0_14default_configENS1_20scan_config_selectorIfEEZZNS1_9scan_implILNS1_25lookback_scan_determinismE0ELb0ELb0ES3_PKfPffZZZN2at6native31launch_logcumsumexp_cuda_kernelERKNSB_10TensorBaseESF_lENKUlvE_clEvENKUlvE0_clEvEUlffE_fEEDaPvRmT3_T4_T5_mT6_P12ihipStream_tbENKUlT_T0_E_clISt17integral_constantIbLb0EESW_EEDaSR_SS_EUlSR_E0_NS1_11comp_targetILNS1_3genE8ELNS1_11target_archE1030ELNS1_3gpuE2ELNS1_3repE0EEENS1_30default_config_static_selectorELNS0_4arch9wavefront6targetE0EEEvT1_: ; @_ZN7rocprim17ROCPRIM_400000_NS6detail17trampoline_kernelINS0_14default_configENS1_20scan_config_selectorIfEEZZNS1_9scan_implILNS1_25lookback_scan_determinismE0ELb0ELb0ES3_PKfPffZZZN2at6native31launch_logcumsumexp_cuda_kernelERKNSB_10TensorBaseESF_lENKUlvE_clEvENKUlvE0_clEvEUlffE_fEEDaPvRmT3_T4_T5_mT6_P12ihipStream_tbENKUlT_T0_E_clISt17integral_constantIbLb0EESW_EEDaSR_SS_EUlSR_E0_NS1_11comp_targetILNS1_3genE8ELNS1_11target_archE1030ELNS1_3gpuE2ELNS1_3repE0EEENS1_30default_config_static_selectorELNS0_4arch9wavefront6targetE0EEEvT1_
; %bb.0:
	.section	.rodata,"a",@progbits
	.p2align	6, 0x0
	.amdhsa_kernel _ZN7rocprim17ROCPRIM_400000_NS6detail17trampoline_kernelINS0_14default_configENS1_20scan_config_selectorIfEEZZNS1_9scan_implILNS1_25lookback_scan_determinismE0ELb0ELb0ES3_PKfPffZZZN2at6native31launch_logcumsumexp_cuda_kernelERKNSB_10TensorBaseESF_lENKUlvE_clEvENKUlvE0_clEvEUlffE_fEEDaPvRmT3_T4_T5_mT6_P12ihipStream_tbENKUlT_T0_E_clISt17integral_constantIbLb0EESW_EEDaSR_SS_EUlSR_E0_NS1_11comp_targetILNS1_3genE8ELNS1_11target_archE1030ELNS1_3gpuE2ELNS1_3repE0EEENS1_30default_config_static_selectorELNS0_4arch9wavefront6targetE0EEEvT1_
		.amdhsa_group_segment_fixed_size 0
		.amdhsa_private_segment_fixed_size 0
		.amdhsa_kernarg_size 32
		.amdhsa_user_sgpr_count 2
		.amdhsa_user_sgpr_dispatch_ptr 0
		.amdhsa_user_sgpr_queue_ptr 0
		.amdhsa_user_sgpr_kernarg_segment_ptr 1
		.amdhsa_user_sgpr_dispatch_id 0
		.amdhsa_user_sgpr_private_segment_size 0
		.amdhsa_wavefront_size32 1
		.amdhsa_uses_dynamic_stack 0
		.amdhsa_enable_private_segment 0
		.amdhsa_system_sgpr_workgroup_id_x 1
		.amdhsa_system_sgpr_workgroup_id_y 0
		.amdhsa_system_sgpr_workgroup_id_z 0
		.amdhsa_system_sgpr_workgroup_info 0
		.amdhsa_system_vgpr_workitem_id 0
		.amdhsa_next_free_vgpr 1
		.amdhsa_next_free_sgpr 1
		.amdhsa_reserve_vcc 0
		.amdhsa_float_round_mode_32 0
		.amdhsa_float_round_mode_16_64 0
		.amdhsa_float_denorm_mode_32 3
		.amdhsa_float_denorm_mode_16_64 3
		.amdhsa_fp16_overflow 0
		.amdhsa_workgroup_processor_mode 1
		.amdhsa_memory_ordered 1
		.amdhsa_forward_progress 1
		.amdhsa_inst_pref_size 0
		.amdhsa_round_robin_scheduling 0
		.amdhsa_exception_fp_ieee_invalid_op 0
		.amdhsa_exception_fp_denorm_src 0
		.amdhsa_exception_fp_ieee_div_zero 0
		.amdhsa_exception_fp_ieee_overflow 0
		.amdhsa_exception_fp_ieee_underflow 0
		.amdhsa_exception_fp_ieee_inexact 0
		.amdhsa_exception_int_div_zero 0
	.end_amdhsa_kernel
	.section	.text._ZN7rocprim17ROCPRIM_400000_NS6detail17trampoline_kernelINS0_14default_configENS1_20scan_config_selectorIfEEZZNS1_9scan_implILNS1_25lookback_scan_determinismE0ELb0ELb0ES3_PKfPffZZZN2at6native31launch_logcumsumexp_cuda_kernelERKNSB_10TensorBaseESF_lENKUlvE_clEvENKUlvE0_clEvEUlffE_fEEDaPvRmT3_T4_T5_mT6_P12ihipStream_tbENKUlT_T0_E_clISt17integral_constantIbLb0EESW_EEDaSR_SS_EUlSR_E0_NS1_11comp_targetILNS1_3genE8ELNS1_11target_archE1030ELNS1_3gpuE2ELNS1_3repE0EEENS1_30default_config_static_selectorELNS0_4arch9wavefront6targetE0EEEvT1_,"axG",@progbits,_ZN7rocprim17ROCPRIM_400000_NS6detail17trampoline_kernelINS0_14default_configENS1_20scan_config_selectorIfEEZZNS1_9scan_implILNS1_25lookback_scan_determinismE0ELb0ELb0ES3_PKfPffZZZN2at6native31launch_logcumsumexp_cuda_kernelERKNSB_10TensorBaseESF_lENKUlvE_clEvENKUlvE0_clEvEUlffE_fEEDaPvRmT3_T4_T5_mT6_P12ihipStream_tbENKUlT_T0_E_clISt17integral_constantIbLb0EESW_EEDaSR_SS_EUlSR_E0_NS1_11comp_targetILNS1_3genE8ELNS1_11target_archE1030ELNS1_3gpuE2ELNS1_3repE0EEENS1_30default_config_static_selectorELNS0_4arch9wavefront6targetE0EEEvT1_,comdat
.Lfunc_end113:
	.size	_ZN7rocprim17ROCPRIM_400000_NS6detail17trampoline_kernelINS0_14default_configENS1_20scan_config_selectorIfEEZZNS1_9scan_implILNS1_25lookback_scan_determinismE0ELb0ELb0ES3_PKfPffZZZN2at6native31launch_logcumsumexp_cuda_kernelERKNSB_10TensorBaseESF_lENKUlvE_clEvENKUlvE0_clEvEUlffE_fEEDaPvRmT3_T4_T5_mT6_P12ihipStream_tbENKUlT_T0_E_clISt17integral_constantIbLb0EESW_EEDaSR_SS_EUlSR_E0_NS1_11comp_targetILNS1_3genE8ELNS1_11target_archE1030ELNS1_3gpuE2ELNS1_3repE0EEENS1_30default_config_static_selectorELNS0_4arch9wavefront6targetE0EEEvT1_, .Lfunc_end113-_ZN7rocprim17ROCPRIM_400000_NS6detail17trampoline_kernelINS0_14default_configENS1_20scan_config_selectorIfEEZZNS1_9scan_implILNS1_25lookback_scan_determinismE0ELb0ELb0ES3_PKfPffZZZN2at6native31launch_logcumsumexp_cuda_kernelERKNSB_10TensorBaseESF_lENKUlvE_clEvENKUlvE0_clEvEUlffE_fEEDaPvRmT3_T4_T5_mT6_P12ihipStream_tbENKUlT_T0_E_clISt17integral_constantIbLb0EESW_EEDaSR_SS_EUlSR_E0_NS1_11comp_targetILNS1_3genE8ELNS1_11target_archE1030ELNS1_3gpuE2ELNS1_3repE0EEENS1_30default_config_static_selectorELNS0_4arch9wavefront6targetE0EEEvT1_
                                        ; -- End function
	.set _ZN7rocprim17ROCPRIM_400000_NS6detail17trampoline_kernelINS0_14default_configENS1_20scan_config_selectorIfEEZZNS1_9scan_implILNS1_25lookback_scan_determinismE0ELb0ELb0ES3_PKfPffZZZN2at6native31launch_logcumsumexp_cuda_kernelERKNSB_10TensorBaseESF_lENKUlvE_clEvENKUlvE0_clEvEUlffE_fEEDaPvRmT3_T4_T5_mT6_P12ihipStream_tbENKUlT_T0_E_clISt17integral_constantIbLb0EESW_EEDaSR_SS_EUlSR_E0_NS1_11comp_targetILNS1_3genE8ELNS1_11target_archE1030ELNS1_3gpuE2ELNS1_3repE0EEENS1_30default_config_static_selectorELNS0_4arch9wavefront6targetE0EEEvT1_.num_vgpr, 0
	.set _ZN7rocprim17ROCPRIM_400000_NS6detail17trampoline_kernelINS0_14default_configENS1_20scan_config_selectorIfEEZZNS1_9scan_implILNS1_25lookback_scan_determinismE0ELb0ELb0ES3_PKfPffZZZN2at6native31launch_logcumsumexp_cuda_kernelERKNSB_10TensorBaseESF_lENKUlvE_clEvENKUlvE0_clEvEUlffE_fEEDaPvRmT3_T4_T5_mT6_P12ihipStream_tbENKUlT_T0_E_clISt17integral_constantIbLb0EESW_EEDaSR_SS_EUlSR_E0_NS1_11comp_targetILNS1_3genE8ELNS1_11target_archE1030ELNS1_3gpuE2ELNS1_3repE0EEENS1_30default_config_static_selectorELNS0_4arch9wavefront6targetE0EEEvT1_.num_agpr, 0
	.set _ZN7rocprim17ROCPRIM_400000_NS6detail17trampoline_kernelINS0_14default_configENS1_20scan_config_selectorIfEEZZNS1_9scan_implILNS1_25lookback_scan_determinismE0ELb0ELb0ES3_PKfPffZZZN2at6native31launch_logcumsumexp_cuda_kernelERKNSB_10TensorBaseESF_lENKUlvE_clEvENKUlvE0_clEvEUlffE_fEEDaPvRmT3_T4_T5_mT6_P12ihipStream_tbENKUlT_T0_E_clISt17integral_constantIbLb0EESW_EEDaSR_SS_EUlSR_E0_NS1_11comp_targetILNS1_3genE8ELNS1_11target_archE1030ELNS1_3gpuE2ELNS1_3repE0EEENS1_30default_config_static_selectorELNS0_4arch9wavefront6targetE0EEEvT1_.numbered_sgpr, 0
	.set _ZN7rocprim17ROCPRIM_400000_NS6detail17trampoline_kernelINS0_14default_configENS1_20scan_config_selectorIfEEZZNS1_9scan_implILNS1_25lookback_scan_determinismE0ELb0ELb0ES3_PKfPffZZZN2at6native31launch_logcumsumexp_cuda_kernelERKNSB_10TensorBaseESF_lENKUlvE_clEvENKUlvE0_clEvEUlffE_fEEDaPvRmT3_T4_T5_mT6_P12ihipStream_tbENKUlT_T0_E_clISt17integral_constantIbLb0EESW_EEDaSR_SS_EUlSR_E0_NS1_11comp_targetILNS1_3genE8ELNS1_11target_archE1030ELNS1_3gpuE2ELNS1_3repE0EEENS1_30default_config_static_selectorELNS0_4arch9wavefront6targetE0EEEvT1_.num_named_barrier, 0
	.set _ZN7rocprim17ROCPRIM_400000_NS6detail17trampoline_kernelINS0_14default_configENS1_20scan_config_selectorIfEEZZNS1_9scan_implILNS1_25lookback_scan_determinismE0ELb0ELb0ES3_PKfPffZZZN2at6native31launch_logcumsumexp_cuda_kernelERKNSB_10TensorBaseESF_lENKUlvE_clEvENKUlvE0_clEvEUlffE_fEEDaPvRmT3_T4_T5_mT6_P12ihipStream_tbENKUlT_T0_E_clISt17integral_constantIbLb0EESW_EEDaSR_SS_EUlSR_E0_NS1_11comp_targetILNS1_3genE8ELNS1_11target_archE1030ELNS1_3gpuE2ELNS1_3repE0EEENS1_30default_config_static_selectorELNS0_4arch9wavefront6targetE0EEEvT1_.private_seg_size, 0
	.set _ZN7rocprim17ROCPRIM_400000_NS6detail17trampoline_kernelINS0_14default_configENS1_20scan_config_selectorIfEEZZNS1_9scan_implILNS1_25lookback_scan_determinismE0ELb0ELb0ES3_PKfPffZZZN2at6native31launch_logcumsumexp_cuda_kernelERKNSB_10TensorBaseESF_lENKUlvE_clEvENKUlvE0_clEvEUlffE_fEEDaPvRmT3_T4_T5_mT6_P12ihipStream_tbENKUlT_T0_E_clISt17integral_constantIbLb0EESW_EEDaSR_SS_EUlSR_E0_NS1_11comp_targetILNS1_3genE8ELNS1_11target_archE1030ELNS1_3gpuE2ELNS1_3repE0EEENS1_30default_config_static_selectorELNS0_4arch9wavefront6targetE0EEEvT1_.uses_vcc, 0
	.set _ZN7rocprim17ROCPRIM_400000_NS6detail17trampoline_kernelINS0_14default_configENS1_20scan_config_selectorIfEEZZNS1_9scan_implILNS1_25lookback_scan_determinismE0ELb0ELb0ES3_PKfPffZZZN2at6native31launch_logcumsumexp_cuda_kernelERKNSB_10TensorBaseESF_lENKUlvE_clEvENKUlvE0_clEvEUlffE_fEEDaPvRmT3_T4_T5_mT6_P12ihipStream_tbENKUlT_T0_E_clISt17integral_constantIbLb0EESW_EEDaSR_SS_EUlSR_E0_NS1_11comp_targetILNS1_3genE8ELNS1_11target_archE1030ELNS1_3gpuE2ELNS1_3repE0EEENS1_30default_config_static_selectorELNS0_4arch9wavefront6targetE0EEEvT1_.uses_flat_scratch, 0
	.set _ZN7rocprim17ROCPRIM_400000_NS6detail17trampoline_kernelINS0_14default_configENS1_20scan_config_selectorIfEEZZNS1_9scan_implILNS1_25lookback_scan_determinismE0ELb0ELb0ES3_PKfPffZZZN2at6native31launch_logcumsumexp_cuda_kernelERKNSB_10TensorBaseESF_lENKUlvE_clEvENKUlvE0_clEvEUlffE_fEEDaPvRmT3_T4_T5_mT6_P12ihipStream_tbENKUlT_T0_E_clISt17integral_constantIbLb0EESW_EEDaSR_SS_EUlSR_E0_NS1_11comp_targetILNS1_3genE8ELNS1_11target_archE1030ELNS1_3gpuE2ELNS1_3repE0EEENS1_30default_config_static_selectorELNS0_4arch9wavefront6targetE0EEEvT1_.has_dyn_sized_stack, 0
	.set _ZN7rocprim17ROCPRIM_400000_NS6detail17trampoline_kernelINS0_14default_configENS1_20scan_config_selectorIfEEZZNS1_9scan_implILNS1_25lookback_scan_determinismE0ELb0ELb0ES3_PKfPffZZZN2at6native31launch_logcumsumexp_cuda_kernelERKNSB_10TensorBaseESF_lENKUlvE_clEvENKUlvE0_clEvEUlffE_fEEDaPvRmT3_T4_T5_mT6_P12ihipStream_tbENKUlT_T0_E_clISt17integral_constantIbLb0EESW_EEDaSR_SS_EUlSR_E0_NS1_11comp_targetILNS1_3genE8ELNS1_11target_archE1030ELNS1_3gpuE2ELNS1_3repE0EEENS1_30default_config_static_selectorELNS0_4arch9wavefront6targetE0EEEvT1_.has_recursion, 0
	.set _ZN7rocprim17ROCPRIM_400000_NS6detail17trampoline_kernelINS0_14default_configENS1_20scan_config_selectorIfEEZZNS1_9scan_implILNS1_25lookback_scan_determinismE0ELb0ELb0ES3_PKfPffZZZN2at6native31launch_logcumsumexp_cuda_kernelERKNSB_10TensorBaseESF_lENKUlvE_clEvENKUlvE0_clEvEUlffE_fEEDaPvRmT3_T4_T5_mT6_P12ihipStream_tbENKUlT_T0_E_clISt17integral_constantIbLb0EESW_EEDaSR_SS_EUlSR_E0_NS1_11comp_targetILNS1_3genE8ELNS1_11target_archE1030ELNS1_3gpuE2ELNS1_3repE0EEENS1_30default_config_static_selectorELNS0_4arch9wavefront6targetE0EEEvT1_.has_indirect_call, 0
	.section	.AMDGPU.csdata,"",@progbits
; Kernel info:
; codeLenInByte = 0
; TotalNumSgprs: 0
; NumVgprs: 0
; ScratchSize: 0
; MemoryBound: 0
; FloatMode: 240
; IeeeMode: 1
; LDSByteSize: 0 bytes/workgroup (compile time only)
; SGPRBlocks: 0
; VGPRBlocks: 0
; NumSGPRsForWavesPerEU: 1
; NumVGPRsForWavesPerEU: 1
; Occupancy: 16
; WaveLimiterHint : 0
; COMPUTE_PGM_RSRC2:SCRATCH_EN: 0
; COMPUTE_PGM_RSRC2:USER_SGPR: 2
; COMPUTE_PGM_RSRC2:TRAP_HANDLER: 0
; COMPUTE_PGM_RSRC2:TGID_X_EN: 1
; COMPUTE_PGM_RSRC2:TGID_Y_EN: 0
; COMPUTE_PGM_RSRC2:TGID_Z_EN: 0
; COMPUTE_PGM_RSRC2:TIDIG_COMP_CNT: 0
	.section	.text._ZN7rocprim17ROCPRIM_400000_NS6detail31init_lookback_scan_state_kernelINS1_19lookback_scan_stateIfLb1ELb1EEENS1_16block_id_wrapperIjLb1EEEEEvT_jT0_jPNS7_10value_typeE,"axG",@progbits,_ZN7rocprim17ROCPRIM_400000_NS6detail31init_lookback_scan_state_kernelINS1_19lookback_scan_stateIfLb1ELb1EEENS1_16block_id_wrapperIjLb1EEEEEvT_jT0_jPNS7_10value_typeE,comdat
	.protected	_ZN7rocprim17ROCPRIM_400000_NS6detail31init_lookback_scan_state_kernelINS1_19lookback_scan_stateIfLb1ELb1EEENS1_16block_id_wrapperIjLb1EEEEEvT_jT0_jPNS7_10value_typeE ; -- Begin function _ZN7rocprim17ROCPRIM_400000_NS6detail31init_lookback_scan_state_kernelINS1_19lookback_scan_stateIfLb1ELb1EEENS1_16block_id_wrapperIjLb1EEEEEvT_jT0_jPNS7_10value_typeE
	.globl	_ZN7rocprim17ROCPRIM_400000_NS6detail31init_lookback_scan_state_kernelINS1_19lookback_scan_stateIfLb1ELb1EEENS1_16block_id_wrapperIjLb1EEEEEvT_jT0_jPNS7_10value_typeE
	.p2align	8
	.type	_ZN7rocprim17ROCPRIM_400000_NS6detail31init_lookback_scan_state_kernelINS1_19lookback_scan_stateIfLb1ELb1EEENS1_16block_id_wrapperIjLb1EEEEEvT_jT0_jPNS7_10value_typeE,@function
_ZN7rocprim17ROCPRIM_400000_NS6detail31init_lookback_scan_state_kernelINS1_19lookback_scan_stateIfLb1ELb1EEENS1_16block_id_wrapperIjLb1EEEEEvT_jT0_jPNS7_10value_typeE: ; @_ZN7rocprim17ROCPRIM_400000_NS6detail31init_lookback_scan_state_kernelINS1_19lookback_scan_stateIfLb1ELb1EEENS1_16block_id_wrapperIjLb1EEEEEvT_jT0_jPNS7_10value_typeE
; %bb.0:
	s_clause 0x2
	s_load_b32 s7, s[0:1], 0x34
	s_load_b64 s[2:3], s[0:1], 0x20
	s_load_b96 s[4:6], s[0:1], 0x0
	s_wait_kmcnt 0x0
	s_and_b32 s7, s7, 0xffff
	s_cmp_eq_u64 s[2:3], 0
	v_mad_co_u64_u32 v[0:1], null, ttmp9, s7, v[0:1]
	s_cbranch_scc1 .LBB114_9
; %bb.1:
	s_load_b32 s8, s[0:1], 0x18
	s_mov_b32 s9, 0
	s_wait_kmcnt 0x0
	s_cmp_lt_u32 s8, s6
	s_cselect_b32 s7, s8, 0
	s_wait_alu 0xfffe
	v_cmp_eq_u32_e32 vcc_lo, s7, v0
	s_and_saveexec_b32 s7, vcc_lo
	s_cbranch_execz .LBB114_8
; %bb.2:
	s_add_co_i32 s8, s8, 32
	v_mov_b32_e32 v1, 0
	s_lshl_b64 s[8:9], s[8:9], 3
	s_delay_alu instid0(SALU_CYCLE_1) | instskip(SKIP_3) | instid1(VALU_DEP_1)
	s_add_nc_u64 s[8:9], s[4:5], s[8:9]
	global_load_b64 v[3:4], v1, s[8:9] scope:SCOPE_DEV
	s_wait_loadcnt 0x0
	v_and_b32_e32 v2, 0xff, v4
	v_cmp_ne_u64_e32 vcc_lo, 0, v[1:2]
	s_cbranch_vccnz .LBB114_7
; %bb.3:
	s_mov_b32 s10, 1
.LBB114_4:                              ; =>This Loop Header: Depth=1
                                        ;     Child Loop BB114_5 Depth 2
	s_delay_alu instid0(SALU_CYCLE_1)
	s_mov_b32 s11, s10
.LBB114_5:                              ;   Parent Loop BB114_4 Depth=1
                                        ; =>  This Inner Loop Header: Depth=2
	s_delay_alu instid0(SALU_CYCLE_1)
	s_add_co_i32 s11, s11, -1
	s_sleep 1
	s_cmp_eq_u32 s11, 0
	s_cbranch_scc0 .LBB114_5
; %bb.6:                                ;   in Loop: Header=BB114_4 Depth=1
	global_load_b64 v[3:4], v1, s[8:9] scope:SCOPE_DEV
	s_cmp_lt_u32 s10, 32
	s_cselect_b32 s11, -1, 0
	s_delay_alu instid0(SALU_CYCLE_1) | instskip(SKIP_3) | instid1(VALU_DEP_1)
	s_cmp_lg_u32 s11, 0
	s_add_co_ci_u32 s10, s10, 0
	s_wait_loadcnt 0x0
	v_and_b32_e32 v2, 0xff, v4
	v_cmp_ne_u64_e32 vcc_lo, 0, v[1:2]
	s_cbranch_vccz .LBB114_4
.LBB114_7:
	v_mov_b32_e32 v1, 0
	global_store_b32 v1, v3, s[2:3]
.LBB114_8:
	s_wait_alu 0xfffe
	s_or_b32 exec_lo, exec_lo, s7
.LBB114_9:
	s_delay_alu instid0(SALU_CYCLE_1)
	s_mov_b32 s2, exec_lo
	v_cmpx_eq_u32_e32 0, v0
	s_cbranch_execz .LBB114_11
; %bb.10:
	s_load_b64 s[0:1], s[0:1], 0x10
	v_mov_b32_e32 v1, 0
	s_wait_kmcnt 0x0
	global_store_b32 v1, v1, s[0:1]
.LBB114_11:
	s_or_b32 exec_lo, exec_lo, s2
	s_delay_alu instid0(SALU_CYCLE_1)
	s_mov_b32 s0, exec_lo
	v_cmpx_gt_u32_e64 s6, v0
	s_cbranch_execz .LBB114_13
; %bb.12:
	v_dual_mov_b32 v2, 0 :: v_dual_add_nc_u32 v1, 32, v0
	s_delay_alu instid0(VALU_DEP_1) | instskip(SKIP_1) | instid1(VALU_DEP_2)
	v_lshlrev_b64_e32 v[3:4], 3, v[1:2]
	v_mov_b32_e32 v1, v2
	v_add_co_u32 v3, vcc_lo, s4, v3
	s_delay_alu instid0(VALU_DEP_1)
	v_add_co_ci_u32_e64 v4, null, s5, v4, vcc_lo
	global_store_b64 v[3:4], v[1:2], off
.LBB114_13:
	s_wait_alu 0xfffe
	s_or_b32 exec_lo, exec_lo, s0
	s_delay_alu instid0(SALU_CYCLE_1)
	s_mov_b32 s0, exec_lo
	v_cmpx_gt_u32_e32 32, v0
	s_cbranch_execz .LBB114_15
; %bb.14:
	v_dual_mov_b32 v1, 0 :: v_dual_mov_b32 v4, 0xff
	s_delay_alu instid0(VALU_DEP_1) | instskip(NEXT) | instid1(VALU_DEP_1)
	v_lshlrev_b64_e32 v[2:3], 3, v[0:1]
	v_add_co_u32 v5, vcc_lo, s4, v2
	s_wait_alu 0xfffd
	s_delay_alu instid0(VALU_DEP_2)
	v_add_co_ci_u32_e64 v6, null, s5, v3, vcc_lo
	v_mov_b32_e32 v3, v1
	global_store_b64 v[5:6], v[3:4], off
.LBB114_15:
	s_endpgm
	.section	.rodata,"a",@progbits
	.p2align	6, 0x0
	.amdhsa_kernel _ZN7rocprim17ROCPRIM_400000_NS6detail31init_lookback_scan_state_kernelINS1_19lookback_scan_stateIfLb1ELb1EEENS1_16block_id_wrapperIjLb1EEEEEvT_jT0_jPNS7_10value_typeE
		.amdhsa_group_segment_fixed_size 0
		.amdhsa_private_segment_fixed_size 0
		.amdhsa_kernarg_size 296
		.amdhsa_user_sgpr_count 2
		.amdhsa_user_sgpr_dispatch_ptr 0
		.amdhsa_user_sgpr_queue_ptr 0
		.amdhsa_user_sgpr_kernarg_segment_ptr 1
		.amdhsa_user_sgpr_dispatch_id 0
		.amdhsa_user_sgpr_private_segment_size 0
		.amdhsa_wavefront_size32 1
		.amdhsa_uses_dynamic_stack 0
		.amdhsa_enable_private_segment 0
		.amdhsa_system_sgpr_workgroup_id_x 1
		.amdhsa_system_sgpr_workgroup_id_y 0
		.amdhsa_system_sgpr_workgroup_id_z 0
		.amdhsa_system_sgpr_workgroup_info 0
		.amdhsa_system_vgpr_workitem_id 0
		.amdhsa_next_free_vgpr 7
		.amdhsa_next_free_sgpr 12
		.amdhsa_reserve_vcc 1
		.amdhsa_float_round_mode_32 0
		.amdhsa_float_round_mode_16_64 0
		.amdhsa_float_denorm_mode_32 3
		.amdhsa_float_denorm_mode_16_64 3
		.amdhsa_fp16_overflow 0
		.amdhsa_workgroup_processor_mode 1
		.amdhsa_memory_ordered 1
		.amdhsa_forward_progress 1
		.amdhsa_inst_pref_size 4
		.amdhsa_round_robin_scheduling 0
		.amdhsa_exception_fp_ieee_invalid_op 0
		.amdhsa_exception_fp_denorm_src 0
		.amdhsa_exception_fp_ieee_div_zero 0
		.amdhsa_exception_fp_ieee_overflow 0
		.amdhsa_exception_fp_ieee_underflow 0
		.amdhsa_exception_fp_ieee_inexact 0
		.amdhsa_exception_int_div_zero 0
	.end_amdhsa_kernel
	.section	.text._ZN7rocprim17ROCPRIM_400000_NS6detail31init_lookback_scan_state_kernelINS1_19lookback_scan_stateIfLb1ELb1EEENS1_16block_id_wrapperIjLb1EEEEEvT_jT0_jPNS7_10value_typeE,"axG",@progbits,_ZN7rocprim17ROCPRIM_400000_NS6detail31init_lookback_scan_state_kernelINS1_19lookback_scan_stateIfLb1ELb1EEENS1_16block_id_wrapperIjLb1EEEEEvT_jT0_jPNS7_10value_typeE,comdat
.Lfunc_end114:
	.size	_ZN7rocprim17ROCPRIM_400000_NS6detail31init_lookback_scan_state_kernelINS1_19lookback_scan_stateIfLb1ELb1EEENS1_16block_id_wrapperIjLb1EEEEEvT_jT0_jPNS7_10value_typeE, .Lfunc_end114-_ZN7rocprim17ROCPRIM_400000_NS6detail31init_lookback_scan_state_kernelINS1_19lookback_scan_stateIfLb1ELb1EEENS1_16block_id_wrapperIjLb1EEEEEvT_jT0_jPNS7_10value_typeE
                                        ; -- End function
	.set _ZN7rocprim17ROCPRIM_400000_NS6detail31init_lookback_scan_state_kernelINS1_19lookback_scan_stateIfLb1ELb1EEENS1_16block_id_wrapperIjLb1EEEEEvT_jT0_jPNS7_10value_typeE.num_vgpr, 7
	.set _ZN7rocprim17ROCPRIM_400000_NS6detail31init_lookback_scan_state_kernelINS1_19lookback_scan_stateIfLb1ELb1EEENS1_16block_id_wrapperIjLb1EEEEEvT_jT0_jPNS7_10value_typeE.num_agpr, 0
	.set _ZN7rocprim17ROCPRIM_400000_NS6detail31init_lookback_scan_state_kernelINS1_19lookback_scan_stateIfLb1ELb1EEENS1_16block_id_wrapperIjLb1EEEEEvT_jT0_jPNS7_10value_typeE.numbered_sgpr, 12
	.set _ZN7rocprim17ROCPRIM_400000_NS6detail31init_lookback_scan_state_kernelINS1_19lookback_scan_stateIfLb1ELb1EEENS1_16block_id_wrapperIjLb1EEEEEvT_jT0_jPNS7_10value_typeE.num_named_barrier, 0
	.set _ZN7rocprim17ROCPRIM_400000_NS6detail31init_lookback_scan_state_kernelINS1_19lookback_scan_stateIfLb1ELb1EEENS1_16block_id_wrapperIjLb1EEEEEvT_jT0_jPNS7_10value_typeE.private_seg_size, 0
	.set _ZN7rocprim17ROCPRIM_400000_NS6detail31init_lookback_scan_state_kernelINS1_19lookback_scan_stateIfLb1ELb1EEENS1_16block_id_wrapperIjLb1EEEEEvT_jT0_jPNS7_10value_typeE.uses_vcc, 1
	.set _ZN7rocprim17ROCPRIM_400000_NS6detail31init_lookback_scan_state_kernelINS1_19lookback_scan_stateIfLb1ELb1EEENS1_16block_id_wrapperIjLb1EEEEEvT_jT0_jPNS7_10value_typeE.uses_flat_scratch, 0
	.set _ZN7rocprim17ROCPRIM_400000_NS6detail31init_lookback_scan_state_kernelINS1_19lookback_scan_stateIfLb1ELb1EEENS1_16block_id_wrapperIjLb1EEEEEvT_jT0_jPNS7_10value_typeE.has_dyn_sized_stack, 0
	.set _ZN7rocprim17ROCPRIM_400000_NS6detail31init_lookback_scan_state_kernelINS1_19lookback_scan_stateIfLb1ELb1EEENS1_16block_id_wrapperIjLb1EEEEEvT_jT0_jPNS7_10value_typeE.has_recursion, 0
	.set _ZN7rocprim17ROCPRIM_400000_NS6detail31init_lookback_scan_state_kernelINS1_19lookback_scan_stateIfLb1ELb1EEENS1_16block_id_wrapperIjLb1EEEEEvT_jT0_jPNS7_10value_typeE.has_indirect_call, 0
	.section	.AMDGPU.csdata,"",@progbits
; Kernel info:
; codeLenInByte = 464
; TotalNumSgprs: 14
; NumVgprs: 7
; ScratchSize: 0
; MemoryBound: 0
; FloatMode: 240
; IeeeMode: 1
; LDSByteSize: 0 bytes/workgroup (compile time only)
; SGPRBlocks: 0
; VGPRBlocks: 0
; NumSGPRsForWavesPerEU: 14
; NumVGPRsForWavesPerEU: 7
; Occupancy: 16
; WaveLimiterHint : 0
; COMPUTE_PGM_RSRC2:SCRATCH_EN: 0
; COMPUTE_PGM_RSRC2:USER_SGPR: 2
; COMPUTE_PGM_RSRC2:TRAP_HANDLER: 0
; COMPUTE_PGM_RSRC2:TGID_X_EN: 1
; COMPUTE_PGM_RSRC2:TGID_Y_EN: 0
; COMPUTE_PGM_RSRC2:TGID_Z_EN: 0
; COMPUTE_PGM_RSRC2:TIDIG_COMP_CNT: 0
	.section	.text._ZN7rocprim17ROCPRIM_400000_NS6detail17trampoline_kernelINS0_14default_configENS1_20scan_config_selectorIfEEZZNS1_9scan_implILNS1_25lookback_scan_determinismE0ELb0ELb0ES3_PKfPffZZZN2at6native31launch_logcumsumexp_cuda_kernelERKNSB_10TensorBaseESF_lENKUlvE_clEvENKUlvE0_clEvEUlffE_fEEDaPvRmT3_T4_T5_mT6_P12ihipStream_tbENKUlT_T0_E_clISt17integral_constantIbLb1EESW_EEDaSR_SS_EUlSR_E_NS1_11comp_targetILNS1_3genE0ELNS1_11target_archE4294967295ELNS1_3gpuE0ELNS1_3repE0EEENS1_30default_config_static_selectorELNS0_4arch9wavefront6targetE0EEEvT1_,"axG",@progbits,_ZN7rocprim17ROCPRIM_400000_NS6detail17trampoline_kernelINS0_14default_configENS1_20scan_config_selectorIfEEZZNS1_9scan_implILNS1_25lookback_scan_determinismE0ELb0ELb0ES3_PKfPffZZZN2at6native31launch_logcumsumexp_cuda_kernelERKNSB_10TensorBaseESF_lENKUlvE_clEvENKUlvE0_clEvEUlffE_fEEDaPvRmT3_T4_T5_mT6_P12ihipStream_tbENKUlT_T0_E_clISt17integral_constantIbLb1EESW_EEDaSR_SS_EUlSR_E_NS1_11comp_targetILNS1_3genE0ELNS1_11target_archE4294967295ELNS1_3gpuE0ELNS1_3repE0EEENS1_30default_config_static_selectorELNS0_4arch9wavefront6targetE0EEEvT1_,comdat
	.globl	_ZN7rocprim17ROCPRIM_400000_NS6detail17trampoline_kernelINS0_14default_configENS1_20scan_config_selectorIfEEZZNS1_9scan_implILNS1_25lookback_scan_determinismE0ELb0ELb0ES3_PKfPffZZZN2at6native31launch_logcumsumexp_cuda_kernelERKNSB_10TensorBaseESF_lENKUlvE_clEvENKUlvE0_clEvEUlffE_fEEDaPvRmT3_T4_T5_mT6_P12ihipStream_tbENKUlT_T0_E_clISt17integral_constantIbLb1EESW_EEDaSR_SS_EUlSR_E_NS1_11comp_targetILNS1_3genE0ELNS1_11target_archE4294967295ELNS1_3gpuE0ELNS1_3repE0EEENS1_30default_config_static_selectorELNS0_4arch9wavefront6targetE0EEEvT1_ ; -- Begin function _ZN7rocprim17ROCPRIM_400000_NS6detail17trampoline_kernelINS0_14default_configENS1_20scan_config_selectorIfEEZZNS1_9scan_implILNS1_25lookback_scan_determinismE0ELb0ELb0ES3_PKfPffZZZN2at6native31launch_logcumsumexp_cuda_kernelERKNSB_10TensorBaseESF_lENKUlvE_clEvENKUlvE0_clEvEUlffE_fEEDaPvRmT3_T4_T5_mT6_P12ihipStream_tbENKUlT_T0_E_clISt17integral_constantIbLb1EESW_EEDaSR_SS_EUlSR_E_NS1_11comp_targetILNS1_3genE0ELNS1_11target_archE4294967295ELNS1_3gpuE0ELNS1_3repE0EEENS1_30default_config_static_selectorELNS0_4arch9wavefront6targetE0EEEvT1_
	.p2align	8
	.type	_ZN7rocprim17ROCPRIM_400000_NS6detail17trampoline_kernelINS0_14default_configENS1_20scan_config_selectorIfEEZZNS1_9scan_implILNS1_25lookback_scan_determinismE0ELb0ELb0ES3_PKfPffZZZN2at6native31launch_logcumsumexp_cuda_kernelERKNSB_10TensorBaseESF_lENKUlvE_clEvENKUlvE0_clEvEUlffE_fEEDaPvRmT3_T4_T5_mT6_P12ihipStream_tbENKUlT_T0_E_clISt17integral_constantIbLb1EESW_EEDaSR_SS_EUlSR_E_NS1_11comp_targetILNS1_3genE0ELNS1_11target_archE4294967295ELNS1_3gpuE0ELNS1_3repE0EEENS1_30default_config_static_selectorELNS0_4arch9wavefront6targetE0EEEvT1_,@function
_ZN7rocprim17ROCPRIM_400000_NS6detail17trampoline_kernelINS0_14default_configENS1_20scan_config_selectorIfEEZZNS1_9scan_implILNS1_25lookback_scan_determinismE0ELb0ELb0ES3_PKfPffZZZN2at6native31launch_logcumsumexp_cuda_kernelERKNSB_10TensorBaseESF_lENKUlvE_clEvENKUlvE0_clEvEUlffE_fEEDaPvRmT3_T4_T5_mT6_P12ihipStream_tbENKUlT_T0_E_clISt17integral_constantIbLb1EESW_EEDaSR_SS_EUlSR_E_NS1_11comp_targetILNS1_3genE0ELNS1_11target_archE4294967295ELNS1_3gpuE0ELNS1_3repE0EEENS1_30default_config_static_selectorELNS0_4arch9wavefront6targetE0EEEvT1_: ; @_ZN7rocprim17ROCPRIM_400000_NS6detail17trampoline_kernelINS0_14default_configENS1_20scan_config_selectorIfEEZZNS1_9scan_implILNS1_25lookback_scan_determinismE0ELb0ELb0ES3_PKfPffZZZN2at6native31launch_logcumsumexp_cuda_kernelERKNSB_10TensorBaseESF_lENKUlvE_clEvENKUlvE0_clEvEUlffE_fEEDaPvRmT3_T4_T5_mT6_P12ihipStream_tbENKUlT_T0_E_clISt17integral_constantIbLb1EESW_EEDaSR_SS_EUlSR_E_NS1_11comp_targetILNS1_3genE0ELNS1_11target_archE4294967295ELNS1_3gpuE0ELNS1_3repE0EEENS1_30default_config_static_selectorELNS0_4arch9wavefront6targetE0EEEvT1_
; %bb.0:
	.section	.rodata,"a",@progbits
	.p2align	6, 0x0
	.amdhsa_kernel _ZN7rocprim17ROCPRIM_400000_NS6detail17trampoline_kernelINS0_14default_configENS1_20scan_config_selectorIfEEZZNS1_9scan_implILNS1_25lookback_scan_determinismE0ELb0ELb0ES3_PKfPffZZZN2at6native31launch_logcumsumexp_cuda_kernelERKNSB_10TensorBaseESF_lENKUlvE_clEvENKUlvE0_clEvEUlffE_fEEDaPvRmT3_T4_T5_mT6_P12ihipStream_tbENKUlT_T0_E_clISt17integral_constantIbLb1EESW_EEDaSR_SS_EUlSR_E_NS1_11comp_targetILNS1_3genE0ELNS1_11target_archE4294967295ELNS1_3gpuE0ELNS1_3repE0EEENS1_30default_config_static_selectorELNS0_4arch9wavefront6targetE0EEEvT1_
		.amdhsa_group_segment_fixed_size 0
		.amdhsa_private_segment_fixed_size 0
		.amdhsa_kernarg_size 96
		.amdhsa_user_sgpr_count 2
		.amdhsa_user_sgpr_dispatch_ptr 0
		.amdhsa_user_sgpr_queue_ptr 0
		.amdhsa_user_sgpr_kernarg_segment_ptr 1
		.amdhsa_user_sgpr_dispatch_id 0
		.amdhsa_user_sgpr_private_segment_size 0
		.amdhsa_wavefront_size32 1
		.amdhsa_uses_dynamic_stack 0
		.amdhsa_enable_private_segment 0
		.amdhsa_system_sgpr_workgroup_id_x 1
		.amdhsa_system_sgpr_workgroup_id_y 0
		.amdhsa_system_sgpr_workgroup_id_z 0
		.amdhsa_system_sgpr_workgroup_info 0
		.amdhsa_system_vgpr_workitem_id 0
		.amdhsa_next_free_vgpr 1
		.amdhsa_next_free_sgpr 1
		.amdhsa_reserve_vcc 0
		.amdhsa_float_round_mode_32 0
		.amdhsa_float_round_mode_16_64 0
		.amdhsa_float_denorm_mode_32 3
		.amdhsa_float_denorm_mode_16_64 3
		.amdhsa_fp16_overflow 0
		.amdhsa_workgroup_processor_mode 1
		.amdhsa_memory_ordered 1
		.amdhsa_forward_progress 1
		.amdhsa_inst_pref_size 0
		.amdhsa_round_robin_scheduling 0
		.amdhsa_exception_fp_ieee_invalid_op 0
		.amdhsa_exception_fp_denorm_src 0
		.amdhsa_exception_fp_ieee_div_zero 0
		.amdhsa_exception_fp_ieee_overflow 0
		.amdhsa_exception_fp_ieee_underflow 0
		.amdhsa_exception_fp_ieee_inexact 0
		.amdhsa_exception_int_div_zero 0
	.end_amdhsa_kernel
	.section	.text._ZN7rocprim17ROCPRIM_400000_NS6detail17trampoline_kernelINS0_14default_configENS1_20scan_config_selectorIfEEZZNS1_9scan_implILNS1_25lookback_scan_determinismE0ELb0ELb0ES3_PKfPffZZZN2at6native31launch_logcumsumexp_cuda_kernelERKNSB_10TensorBaseESF_lENKUlvE_clEvENKUlvE0_clEvEUlffE_fEEDaPvRmT3_T4_T5_mT6_P12ihipStream_tbENKUlT_T0_E_clISt17integral_constantIbLb1EESW_EEDaSR_SS_EUlSR_E_NS1_11comp_targetILNS1_3genE0ELNS1_11target_archE4294967295ELNS1_3gpuE0ELNS1_3repE0EEENS1_30default_config_static_selectorELNS0_4arch9wavefront6targetE0EEEvT1_,"axG",@progbits,_ZN7rocprim17ROCPRIM_400000_NS6detail17trampoline_kernelINS0_14default_configENS1_20scan_config_selectorIfEEZZNS1_9scan_implILNS1_25lookback_scan_determinismE0ELb0ELb0ES3_PKfPffZZZN2at6native31launch_logcumsumexp_cuda_kernelERKNSB_10TensorBaseESF_lENKUlvE_clEvENKUlvE0_clEvEUlffE_fEEDaPvRmT3_T4_T5_mT6_P12ihipStream_tbENKUlT_T0_E_clISt17integral_constantIbLb1EESW_EEDaSR_SS_EUlSR_E_NS1_11comp_targetILNS1_3genE0ELNS1_11target_archE4294967295ELNS1_3gpuE0ELNS1_3repE0EEENS1_30default_config_static_selectorELNS0_4arch9wavefront6targetE0EEEvT1_,comdat
.Lfunc_end115:
	.size	_ZN7rocprim17ROCPRIM_400000_NS6detail17trampoline_kernelINS0_14default_configENS1_20scan_config_selectorIfEEZZNS1_9scan_implILNS1_25lookback_scan_determinismE0ELb0ELb0ES3_PKfPffZZZN2at6native31launch_logcumsumexp_cuda_kernelERKNSB_10TensorBaseESF_lENKUlvE_clEvENKUlvE0_clEvEUlffE_fEEDaPvRmT3_T4_T5_mT6_P12ihipStream_tbENKUlT_T0_E_clISt17integral_constantIbLb1EESW_EEDaSR_SS_EUlSR_E_NS1_11comp_targetILNS1_3genE0ELNS1_11target_archE4294967295ELNS1_3gpuE0ELNS1_3repE0EEENS1_30default_config_static_selectorELNS0_4arch9wavefront6targetE0EEEvT1_, .Lfunc_end115-_ZN7rocprim17ROCPRIM_400000_NS6detail17trampoline_kernelINS0_14default_configENS1_20scan_config_selectorIfEEZZNS1_9scan_implILNS1_25lookback_scan_determinismE0ELb0ELb0ES3_PKfPffZZZN2at6native31launch_logcumsumexp_cuda_kernelERKNSB_10TensorBaseESF_lENKUlvE_clEvENKUlvE0_clEvEUlffE_fEEDaPvRmT3_T4_T5_mT6_P12ihipStream_tbENKUlT_T0_E_clISt17integral_constantIbLb1EESW_EEDaSR_SS_EUlSR_E_NS1_11comp_targetILNS1_3genE0ELNS1_11target_archE4294967295ELNS1_3gpuE0ELNS1_3repE0EEENS1_30default_config_static_selectorELNS0_4arch9wavefront6targetE0EEEvT1_
                                        ; -- End function
	.set _ZN7rocprim17ROCPRIM_400000_NS6detail17trampoline_kernelINS0_14default_configENS1_20scan_config_selectorIfEEZZNS1_9scan_implILNS1_25lookback_scan_determinismE0ELb0ELb0ES3_PKfPffZZZN2at6native31launch_logcumsumexp_cuda_kernelERKNSB_10TensorBaseESF_lENKUlvE_clEvENKUlvE0_clEvEUlffE_fEEDaPvRmT3_T4_T5_mT6_P12ihipStream_tbENKUlT_T0_E_clISt17integral_constantIbLb1EESW_EEDaSR_SS_EUlSR_E_NS1_11comp_targetILNS1_3genE0ELNS1_11target_archE4294967295ELNS1_3gpuE0ELNS1_3repE0EEENS1_30default_config_static_selectorELNS0_4arch9wavefront6targetE0EEEvT1_.num_vgpr, 0
	.set _ZN7rocprim17ROCPRIM_400000_NS6detail17trampoline_kernelINS0_14default_configENS1_20scan_config_selectorIfEEZZNS1_9scan_implILNS1_25lookback_scan_determinismE0ELb0ELb0ES3_PKfPffZZZN2at6native31launch_logcumsumexp_cuda_kernelERKNSB_10TensorBaseESF_lENKUlvE_clEvENKUlvE0_clEvEUlffE_fEEDaPvRmT3_T4_T5_mT6_P12ihipStream_tbENKUlT_T0_E_clISt17integral_constantIbLb1EESW_EEDaSR_SS_EUlSR_E_NS1_11comp_targetILNS1_3genE0ELNS1_11target_archE4294967295ELNS1_3gpuE0ELNS1_3repE0EEENS1_30default_config_static_selectorELNS0_4arch9wavefront6targetE0EEEvT1_.num_agpr, 0
	.set _ZN7rocprim17ROCPRIM_400000_NS6detail17trampoline_kernelINS0_14default_configENS1_20scan_config_selectorIfEEZZNS1_9scan_implILNS1_25lookback_scan_determinismE0ELb0ELb0ES3_PKfPffZZZN2at6native31launch_logcumsumexp_cuda_kernelERKNSB_10TensorBaseESF_lENKUlvE_clEvENKUlvE0_clEvEUlffE_fEEDaPvRmT3_T4_T5_mT6_P12ihipStream_tbENKUlT_T0_E_clISt17integral_constantIbLb1EESW_EEDaSR_SS_EUlSR_E_NS1_11comp_targetILNS1_3genE0ELNS1_11target_archE4294967295ELNS1_3gpuE0ELNS1_3repE0EEENS1_30default_config_static_selectorELNS0_4arch9wavefront6targetE0EEEvT1_.numbered_sgpr, 0
	.set _ZN7rocprim17ROCPRIM_400000_NS6detail17trampoline_kernelINS0_14default_configENS1_20scan_config_selectorIfEEZZNS1_9scan_implILNS1_25lookback_scan_determinismE0ELb0ELb0ES3_PKfPffZZZN2at6native31launch_logcumsumexp_cuda_kernelERKNSB_10TensorBaseESF_lENKUlvE_clEvENKUlvE0_clEvEUlffE_fEEDaPvRmT3_T4_T5_mT6_P12ihipStream_tbENKUlT_T0_E_clISt17integral_constantIbLb1EESW_EEDaSR_SS_EUlSR_E_NS1_11comp_targetILNS1_3genE0ELNS1_11target_archE4294967295ELNS1_3gpuE0ELNS1_3repE0EEENS1_30default_config_static_selectorELNS0_4arch9wavefront6targetE0EEEvT1_.num_named_barrier, 0
	.set _ZN7rocprim17ROCPRIM_400000_NS6detail17trampoline_kernelINS0_14default_configENS1_20scan_config_selectorIfEEZZNS1_9scan_implILNS1_25lookback_scan_determinismE0ELb0ELb0ES3_PKfPffZZZN2at6native31launch_logcumsumexp_cuda_kernelERKNSB_10TensorBaseESF_lENKUlvE_clEvENKUlvE0_clEvEUlffE_fEEDaPvRmT3_T4_T5_mT6_P12ihipStream_tbENKUlT_T0_E_clISt17integral_constantIbLb1EESW_EEDaSR_SS_EUlSR_E_NS1_11comp_targetILNS1_3genE0ELNS1_11target_archE4294967295ELNS1_3gpuE0ELNS1_3repE0EEENS1_30default_config_static_selectorELNS0_4arch9wavefront6targetE0EEEvT1_.private_seg_size, 0
	.set _ZN7rocprim17ROCPRIM_400000_NS6detail17trampoline_kernelINS0_14default_configENS1_20scan_config_selectorIfEEZZNS1_9scan_implILNS1_25lookback_scan_determinismE0ELb0ELb0ES3_PKfPffZZZN2at6native31launch_logcumsumexp_cuda_kernelERKNSB_10TensorBaseESF_lENKUlvE_clEvENKUlvE0_clEvEUlffE_fEEDaPvRmT3_T4_T5_mT6_P12ihipStream_tbENKUlT_T0_E_clISt17integral_constantIbLb1EESW_EEDaSR_SS_EUlSR_E_NS1_11comp_targetILNS1_3genE0ELNS1_11target_archE4294967295ELNS1_3gpuE0ELNS1_3repE0EEENS1_30default_config_static_selectorELNS0_4arch9wavefront6targetE0EEEvT1_.uses_vcc, 0
	.set _ZN7rocprim17ROCPRIM_400000_NS6detail17trampoline_kernelINS0_14default_configENS1_20scan_config_selectorIfEEZZNS1_9scan_implILNS1_25lookback_scan_determinismE0ELb0ELb0ES3_PKfPffZZZN2at6native31launch_logcumsumexp_cuda_kernelERKNSB_10TensorBaseESF_lENKUlvE_clEvENKUlvE0_clEvEUlffE_fEEDaPvRmT3_T4_T5_mT6_P12ihipStream_tbENKUlT_T0_E_clISt17integral_constantIbLb1EESW_EEDaSR_SS_EUlSR_E_NS1_11comp_targetILNS1_3genE0ELNS1_11target_archE4294967295ELNS1_3gpuE0ELNS1_3repE0EEENS1_30default_config_static_selectorELNS0_4arch9wavefront6targetE0EEEvT1_.uses_flat_scratch, 0
	.set _ZN7rocprim17ROCPRIM_400000_NS6detail17trampoline_kernelINS0_14default_configENS1_20scan_config_selectorIfEEZZNS1_9scan_implILNS1_25lookback_scan_determinismE0ELb0ELb0ES3_PKfPffZZZN2at6native31launch_logcumsumexp_cuda_kernelERKNSB_10TensorBaseESF_lENKUlvE_clEvENKUlvE0_clEvEUlffE_fEEDaPvRmT3_T4_T5_mT6_P12ihipStream_tbENKUlT_T0_E_clISt17integral_constantIbLb1EESW_EEDaSR_SS_EUlSR_E_NS1_11comp_targetILNS1_3genE0ELNS1_11target_archE4294967295ELNS1_3gpuE0ELNS1_3repE0EEENS1_30default_config_static_selectorELNS0_4arch9wavefront6targetE0EEEvT1_.has_dyn_sized_stack, 0
	.set _ZN7rocprim17ROCPRIM_400000_NS6detail17trampoline_kernelINS0_14default_configENS1_20scan_config_selectorIfEEZZNS1_9scan_implILNS1_25lookback_scan_determinismE0ELb0ELb0ES3_PKfPffZZZN2at6native31launch_logcumsumexp_cuda_kernelERKNSB_10TensorBaseESF_lENKUlvE_clEvENKUlvE0_clEvEUlffE_fEEDaPvRmT3_T4_T5_mT6_P12ihipStream_tbENKUlT_T0_E_clISt17integral_constantIbLb1EESW_EEDaSR_SS_EUlSR_E_NS1_11comp_targetILNS1_3genE0ELNS1_11target_archE4294967295ELNS1_3gpuE0ELNS1_3repE0EEENS1_30default_config_static_selectorELNS0_4arch9wavefront6targetE0EEEvT1_.has_recursion, 0
	.set _ZN7rocprim17ROCPRIM_400000_NS6detail17trampoline_kernelINS0_14default_configENS1_20scan_config_selectorIfEEZZNS1_9scan_implILNS1_25lookback_scan_determinismE0ELb0ELb0ES3_PKfPffZZZN2at6native31launch_logcumsumexp_cuda_kernelERKNSB_10TensorBaseESF_lENKUlvE_clEvENKUlvE0_clEvEUlffE_fEEDaPvRmT3_T4_T5_mT6_P12ihipStream_tbENKUlT_T0_E_clISt17integral_constantIbLb1EESW_EEDaSR_SS_EUlSR_E_NS1_11comp_targetILNS1_3genE0ELNS1_11target_archE4294967295ELNS1_3gpuE0ELNS1_3repE0EEENS1_30default_config_static_selectorELNS0_4arch9wavefront6targetE0EEEvT1_.has_indirect_call, 0
	.section	.AMDGPU.csdata,"",@progbits
; Kernel info:
; codeLenInByte = 0
; TotalNumSgprs: 0
; NumVgprs: 0
; ScratchSize: 0
; MemoryBound: 0
; FloatMode: 240
; IeeeMode: 1
; LDSByteSize: 0 bytes/workgroup (compile time only)
; SGPRBlocks: 0
; VGPRBlocks: 0
; NumSGPRsForWavesPerEU: 1
; NumVGPRsForWavesPerEU: 1
; Occupancy: 16
; WaveLimiterHint : 0
; COMPUTE_PGM_RSRC2:SCRATCH_EN: 0
; COMPUTE_PGM_RSRC2:USER_SGPR: 2
; COMPUTE_PGM_RSRC2:TRAP_HANDLER: 0
; COMPUTE_PGM_RSRC2:TGID_X_EN: 1
; COMPUTE_PGM_RSRC2:TGID_Y_EN: 0
; COMPUTE_PGM_RSRC2:TGID_Z_EN: 0
; COMPUTE_PGM_RSRC2:TIDIG_COMP_CNT: 0
	.section	.text._ZN7rocprim17ROCPRIM_400000_NS6detail17trampoline_kernelINS0_14default_configENS1_20scan_config_selectorIfEEZZNS1_9scan_implILNS1_25lookback_scan_determinismE0ELb0ELb0ES3_PKfPffZZZN2at6native31launch_logcumsumexp_cuda_kernelERKNSB_10TensorBaseESF_lENKUlvE_clEvENKUlvE0_clEvEUlffE_fEEDaPvRmT3_T4_T5_mT6_P12ihipStream_tbENKUlT_T0_E_clISt17integral_constantIbLb1EESW_EEDaSR_SS_EUlSR_E_NS1_11comp_targetILNS1_3genE5ELNS1_11target_archE942ELNS1_3gpuE9ELNS1_3repE0EEENS1_30default_config_static_selectorELNS0_4arch9wavefront6targetE0EEEvT1_,"axG",@progbits,_ZN7rocprim17ROCPRIM_400000_NS6detail17trampoline_kernelINS0_14default_configENS1_20scan_config_selectorIfEEZZNS1_9scan_implILNS1_25lookback_scan_determinismE0ELb0ELb0ES3_PKfPffZZZN2at6native31launch_logcumsumexp_cuda_kernelERKNSB_10TensorBaseESF_lENKUlvE_clEvENKUlvE0_clEvEUlffE_fEEDaPvRmT3_T4_T5_mT6_P12ihipStream_tbENKUlT_T0_E_clISt17integral_constantIbLb1EESW_EEDaSR_SS_EUlSR_E_NS1_11comp_targetILNS1_3genE5ELNS1_11target_archE942ELNS1_3gpuE9ELNS1_3repE0EEENS1_30default_config_static_selectorELNS0_4arch9wavefront6targetE0EEEvT1_,comdat
	.globl	_ZN7rocprim17ROCPRIM_400000_NS6detail17trampoline_kernelINS0_14default_configENS1_20scan_config_selectorIfEEZZNS1_9scan_implILNS1_25lookback_scan_determinismE0ELb0ELb0ES3_PKfPffZZZN2at6native31launch_logcumsumexp_cuda_kernelERKNSB_10TensorBaseESF_lENKUlvE_clEvENKUlvE0_clEvEUlffE_fEEDaPvRmT3_T4_T5_mT6_P12ihipStream_tbENKUlT_T0_E_clISt17integral_constantIbLb1EESW_EEDaSR_SS_EUlSR_E_NS1_11comp_targetILNS1_3genE5ELNS1_11target_archE942ELNS1_3gpuE9ELNS1_3repE0EEENS1_30default_config_static_selectorELNS0_4arch9wavefront6targetE0EEEvT1_ ; -- Begin function _ZN7rocprim17ROCPRIM_400000_NS6detail17trampoline_kernelINS0_14default_configENS1_20scan_config_selectorIfEEZZNS1_9scan_implILNS1_25lookback_scan_determinismE0ELb0ELb0ES3_PKfPffZZZN2at6native31launch_logcumsumexp_cuda_kernelERKNSB_10TensorBaseESF_lENKUlvE_clEvENKUlvE0_clEvEUlffE_fEEDaPvRmT3_T4_T5_mT6_P12ihipStream_tbENKUlT_T0_E_clISt17integral_constantIbLb1EESW_EEDaSR_SS_EUlSR_E_NS1_11comp_targetILNS1_3genE5ELNS1_11target_archE942ELNS1_3gpuE9ELNS1_3repE0EEENS1_30default_config_static_selectorELNS0_4arch9wavefront6targetE0EEEvT1_
	.p2align	8
	.type	_ZN7rocprim17ROCPRIM_400000_NS6detail17trampoline_kernelINS0_14default_configENS1_20scan_config_selectorIfEEZZNS1_9scan_implILNS1_25lookback_scan_determinismE0ELb0ELb0ES3_PKfPffZZZN2at6native31launch_logcumsumexp_cuda_kernelERKNSB_10TensorBaseESF_lENKUlvE_clEvENKUlvE0_clEvEUlffE_fEEDaPvRmT3_T4_T5_mT6_P12ihipStream_tbENKUlT_T0_E_clISt17integral_constantIbLb1EESW_EEDaSR_SS_EUlSR_E_NS1_11comp_targetILNS1_3genE5ELNS1_11target_archE942ELNS1_3gpuE9ELNS1_3repE0EEENS1_30default_config_static_selectorELNS0_4arch9wavefront6targetE0EEEvT1_,@function
_ZN7rocprim17ROCPRIM_400000_NS6detail17trampoline_kernelINS0_14default_configENS1_20scan_config_selectorIfEEZZNS1_9scan_implILNS1_25lookback_scan_determinismE0ELb0ELb0ES3_PKfPffZZZN2at6native31launch_logcumsumexp_cuda_kernelERKNSB_10TensorBaseESF_lENKUlvE_clEvENKUlvE0_clEvEUlffE_fEEDaPvRmT3_T4_T5_mT6_P12ihipStream_tbENKUlT_T0_E_clISt17integral_constantIbLb1EESW_EEDaSR_SS_EUlSR_E_NS1_11comp_targetILNS1_3genE5ELNS1_11target_archE942ELNS1_3gpuE9ELNS1_3repE0EEENS1_30default_config_static_selectorELNS0_4arch9wavefront6targetE0EEEvT1_: ; @_ZN7rocprim17ROCPRIM_400000_NS6detail17trampoline_kernelINS0_14default_configENS1_20scan_config_selectorIfEEZZNS1_9scan_implILNS1_25lookback_scan_determinismE0ELb0ELb0ES3_PKfPffZZZN2at6native31launch_logcumsumexp_cuda_kernelERKNSB_10TensorBaseESF_lENKUlvE_clEvENKUlvE0_clEvEUlffE_fEEDaPvRmT3_T4_T5_mT6_P12ihipStream_tbENKUlT_T0_E_clISt17integral_constantIbLb1EESW_EEDaSR_SS_EUlSR_E_NS1_11comp_targetILNS1_3genE5ELNS1_11target_archE942ELNS1_3gpuE9ELNS1_3repE0EEENS1_30default_config_static_selectorELNS0_4arch9wavefront6targetE0EEEvT1_
; %bb.0:
	.section	.rodata,"a",@progbits
	.p2align	6, 0x0
	.amdhsa_kernel _ZN7rocprim17ROCPRIM_400000_NS6detail17trampoline_kernelINS0_14default_configENS1_20scan_config_selectorIfEEZZNS1_9scan_implILNS1_25lookback_scan_determinismE0ELb0ELb0ES3_PKfPffZZZN2at6native31launch_logcumsumexp_cuda_kernelERKNSB_10TensorBaseESF_lENKUlvE_clEvENKUlvE0_clEvEUlffE_fEEDaPvRmT3_T4_T5_mT6_P12ihipStream_tbENKUlT_T0_E_clISt17integral_constantIbLb1EESW_EEDaSR_SS_EUlSR_E_NS1_11comp_targetILNS1_3genE5ELNS1_11target_archE942ELNS1_3gpuE9ELNS1_3repE0EEENS1_30default_config_static_selectorELNS0_4arch9wavefront6targetE0EEEvT1_
		.amdhsa_group_segment_fixed_size 0
		.amdhsa_private_segment_fixed_size 0
		.amdhsa_kernarg_size 96
		.amdhsa_user_sgpr_count 2
		.amdhsa_user_sgpr_dispatch_ptr 0
		.amdhsa_user_sgpr_queue_ptr 0
		.amdhsa_user_sgpr_kernarg_segment_ptr 1
		.amdhsa_user_sgpr_dispatch_id 0
		.amdhsa_user_sgpr_private_segment_size 0
		.amdhsa_wavefront_size32 1
		.amdhsa_uses_dynamic_stack 0
		.amdhsa_enable_private_segment 0
		.amdhsa_system_sgpr_workgroup_id_x 1
		.amdhsa_system_sgpr_workgroup_id_y 0
		.amdhsa_system_sgpr_workgroup_id_z 0
		.amdhsa_system_sgpr_workgroup_info 0
		.amdhsa_system_vgpr_workitem_id 0
		.amdhsa_next_free_vgpr 1
		.amdhsa_next_free_sgpr 1
		.amdhsa_reserve_vcc 0
		.amdhsa_float_round_mode_32 0
		.amdhsa_float_round_mode_16_64 0
		.amdhsa_float_denorm_mode_32 3
		.amdhsa_float_denorm_mode_16_64 3
		.amdhsa_fp16_overflow 0
		.amdhsa_workgroup_processor_mode 1
		.amdhsa_memory_ordered 1
		.amdhsa_forward_progress 1
		.amdhsa_inst_pref_size 0
		.amdhsa_round_robin_scheduling 0
		.amdhsa_exception_fp_ieee_invalid_op 0
		.amdhsa_exception_fp_denorm_src 0
		.amdhsa_exception_fp_ieee_div_zero 0
		.amdhsa_exception_fp_ieee_overflow 0
		.amdhsa_exception_fp_ieee_underflow 0
		.amdhsa_exception_fp_ieee_inexact 0
		.amdhsa_exception_int_div_zero 0
	.end_amdhsa_kernel
	.section	.text._ZN7rocprim17ROCPRIM_400000_NS6detail17trampoline_kernelINS0_14default_configENS1_20scan_config_selectorIfEEZZNS1_9scan_implILNS1_25lookback_scan_determinismE0ELb0ELb0ES3_PKfPffZZZN2at6native31launch_logcumsumexp_cuda_kernelERKNSB_10TensorBaseESF_lENKUlvE_clEvENKUlvE0_clEvEUlffE_fEEDaPvRmT3_T4_T5_mT6_P12ihipStream_tbENKUlT_T0_E_clISt17integral_constantIbLb1EESW_EEDaSR_SS_EUlSR_E_NS1_11comp_targetILNS1_3genE5ELNS1_11target_archE942ELNS1_3gpuE9ELNS1_3repE0EEENS1_30default_config_static_selectorELNS0_4arch9wavefront6targetE0EEEvT1_,"axG",@progbits,_ZN7rocprim17ROCPRIM_400000_NS6detail17trampoline_kernelINS0_14default_configENS1_20scan_config_selectorIfEEZZNS1_9scan_implILNS1_25lookback_scan_determinismE0ELb0ELb0ES3_PKfPffZZZN2at6native31launch_logcumsumexp_cuda_kernelERKNSB_10TensorBaseESF_lENKUlvE_clEvENKUlvE0_clEvEUlffE_fEEDaPvRmT3_T4_T5_mT6_P12ihipStream_tbENKUlT_T0_E_clISt17integral_constantIbLb1EESW_EEDaSR_SS_EUlSR_E_NS1_11comp_targetILNS1_3genE5ELNS1_11target_archE942ELNS1_3gpuE9ELNS1_3repE0EEENS1_30default_config_static_selectorELNS0_4arch9wavefront6targetE0EEEvT1_,comdat
.Lfunc_end116:
	.size	_ZN7rocprim17ROCPRIM_400000_NS6detail17trampoline_kernelINS0_14default_configENS1_20scan_config_selectorIfEEZZNS1_9scan_implILNS1_25lookback_scan_determinismE0ELb0ELb0ES3_PKfPffZZZN2at6native31launch_logcumsumexp_cuda_kernelERKNSB_10TensorBaseESF_lENKUlvE_clEvENKUlvE0_clEvEUlffE_fEEDaPvRmT3_T4_T5_mT6_P12ihipStream_tbENKUlT_T0_E_clISt17integral_constantIbLb1EESW_EEDaSR_SS_EUlSR_E_NS1_11comp_targetILNS1_3genE5ELNS1_11target_archE942ELNS1_3gpuE9ELNS1_3repE0EEENS1_30default_config_static_selectorELNS0_4arch9wavefront6targetE0EEEvT1_, .Lfunc_end116-_ZN7rocprim17ROCPRIM_400000_NS6detail17trampoline_kernelINS0_14default_configENS1_20scan_config_selectorIfEEZZNS1_9scan_implILNS1_25lookback_scan_determinismE0ELb0ELb0ES3_PKfPffZZZN2at6native31launch_logcumsumexp_cuda_kernelERKNSB_10TensorBaseESF_lENKUlvE_clEvENKUlvE0_clEvEUlffE_fEEDaPvRmT3_T4_T5_mT6_P12ihipStream_tbENKUlT_T0_E_clISt17integral_constantIbLb1EESW_EEDaSR_SS_EUlSR_E_NS1_11comp_targetILNS1_3genE5ELNS1_11target_archE942ELNS1_3gpuE9ELNS1_3repE0EEENS1_30default_config_static_selectorELNS0_4arch9wavefront6targetE0EEEvT1_
                                        ; -- End function
	.set _ZN7rocprim17ROCPRIM_400000_NS6detail17trampoline_kernelINS0_14default_configENS1_20scan_config_selectorIfEEZZNS1_9scan_implILNS1_25lookback_scan_determinismE0ELb0ELb0ES3_PKfPffZZZN2at6native31launch_logcumsumexp_cuda_kernelERKNSB_10TensorBaseESF_lENKUlvE_clEvENKUlvE0_clEvEUlffE_fEEDaPvRmT3_T4_T5_mT6_P12ihipStream_tbENKUlT_T0_E_clISt17integral_constantIbLb1EESW_EEDaSR_SS_EUlSR_E_NS1_11comp_targetILNS1_3genE5ELNS1_11target_archE942ELNS1_3gpuE9ELNS1_3repE0EEENS1_30default_config_static_selectorELNS0_4arch9wavefront6targetE0EEEvT1_.num_vgpr, 0
	.set _ZN7rocprim17ROCPRIM_400000_NS6detail17trampoline_kernelINS0_14default_configENS1_20scan_config_selectorIfEEZZNS1_9scan_implILNS1_25lookback_scan_determinismE0ELb0ELb0ES3_PKfPffZZZN2at6native31launch_logcumsumexp_cuda_kernelERKNSB_10TensorBaseESF_lENKUlvE_clEvENKUlvE0_clEvEUlffE_fEEDaPvRmT3_T4_T5_mT6_P12ihipStream_tbENKUlT_T0_E_clISt17integral_constantIbLb1EESW_EEDaSR_SS_EUlSR_E_NS1_11comp_targetILNS1_3genE5ELNS1_11target_archE942ELNS1_3gpuE9ELNS1_3repE0EEENS1_30default_config_static_selectorELNS0_4arch9wavefront6targetE0EEEvT1_.num_agpr, 0
	.set _ZN7rocprim17ROCPRIM_400000_NS6detail17trampoline_kernelINS0_14default_configENS1_20scan_config_selectorIfEEZZNS1_9scan_implILNS1_25lookback_scan_determinismE0ELb0ELb0ES3_PKfPffZZZN2at6native31launch_logcumsumexp_cuda_kernelERKNSB_10TensorBaseESF_lENKUlvE_clEvENKUlvE0_clEvEUlffE_fEEDaPvRmT3_T4_T5_mT6_P12ihipStream_tbENKUlT_T0_E_clISt17integral_constantIbLb1EESW_EEDaSR_SS_EUlSR_E_NS1_11comp_targetILNS1_3genE5ELNS1_11target_archE942ELNS1_3gpuE9ELNS1_3repE0EEENS1_30default_config_static_selectorELNS0_4arch9wavefront6targetE0EEEvT1_.numbered_sgpr, 0
	.set _ZN7rocprim17ROCPRIM_400000_NS6detail17trampoline_kernelINS0_14default_configENS1_20scan_config_selectorIfEEZZNS1_9scan_implILNS1_25lookback_scan_determinismE0ELb0ELb0ES3_PKfPffZZZN2at6native31launch_logcumsumexp_cuda_kernelERKNSB_10TensorBaseESF_lENKUlvE_clEvENKUlvE0_clEvEUlffE_fEEDaPvRmT3_T4_T5_mT6_P12ihipStream_tbENKUlT_T0_E_clISt17integral_constantIbLb1EESW_EEDaSR_SS_EUlSR_E_NS1_11comp_targetILNS1_3genE5ELNS1_11target_archE942ELNS1_3gpuE9ELNS1_3repE0EEENS1_30default_config_static_selectorELNS0_4arch9wavefront6targetE0EEEvT1_.num_named_barrier, 0
	.set _ZN7rocprim17ROCPRIM_400000_NS6detail17trampoline_kernelINS0_14default_configENS1_20scan_config_selectorIfEEZZNS1_9scan_implILNS1_25lookback_scan_determinismE0ELb0ELb0ES3_PKfPffZZZN2at6native31launch_logcumsumexp_cuda_kernelERKNSB_10TensorBaseESF_lENKUlvE_clEvENKUlvE0_clEvEUlffE_fEEDaPvRmT3_T4_T5_mT6_P12ihipStream_tbENKUlT_T0_E_clISt17integral_constantIbLb1EESW_EEDaSR_SS_EUlSR_E_NS1_11comp_targetILNS1_3genE5ELNS1_11target_archE942ELNS1_3gpuE9ELNS1_3repE0EEENS1_30default_config_static_selectorELNS0_4arch9wavefront6targetE0EEEvT1_.private_seg_size, 0
	.set _ZN7rocprim17ROCPRIM_400000_NS6detail17trampoline_kernelINS0_14default_configENS1_20scan_config_selectorIfEEZZNS1_9scan_implILNS1_25lookback_scan_determinismE0ELb0ELb0ES3_PKfPffZZZN2at6native31launch_logcumsumexp_cuda_kernelERKNSB_10TensorBaseESF_lENKUlvE_clEvENKUlvE0_clEvEUlffE_fEEDaPvRmT3_T4_T5_mT6_P12ihipStream_tbENKUlT_T0_E_clISt17integral_constantIbLb1EESW_EEDaSR_SS_EUlSR_E_NS1_11comp_targetILNS1_3genE5ELNS1_11target_archE942ELNS1_3gpuE9ELNS1_3repE0EEENS1_30default_config_static_selectorELNS0_4arch9wavefront6targetE0EEEvT1_.uses_vcc, 0
	.set _ZN7rocprim17ROCPRIM_400000_NS6detail17trampoline_kernelINS0_14default_configENS1_20scan_config_selectorIfEEZZNS1_9scan_implILNS1_25lookback_scan_determinismE0ELb0ELb0ES3_PKfPffZZZN2at6native31launch_logcumsumexp_cuda_kernelERKNSB_10TensorBaseESF_lENKUlvE_clEvENKUlvE0_clEvEUlffE_fEEDaPvRmT3_T4_T5_mT6_P12ihipStream_tbENKUlT_T0_E_clISt17integral_constantIbLb1EESW_EEDaSR_SS_EUlSR_E_NS1_11comp_targetILNS1_3genE5ELNS1_11target_archE942ELNS1_3gpuE9ELNS1_3repE0EEENS1_30default_config_static_selectorELNS0_4arch9wavefront6targetE0EEEvT1_.uses_flat_scratch, 0
	.set _ZN7rocprim17ROCPRIM_400000_NS6detail17trampoline_kernelINS0_14default_configENS1_20scan_config_selectorIfEEZZNS1_9scan_implILNS1_25lookback_scan_determinismE0ELb0ELb0ES3_PKfPffZZZN2at6native31launch_logcumsumexp_cuda_kernelERKNSB_10TensorBaseESF_lENKUlvE_clEvENKUlvE0_clEvEUlffE_fEEDaPvRmT3_T4_T5_mT6_P12ihipStream_tbENKUlT_T0_E_clISt17integral_constantIbLb1EESW_EEDaSR_SS_EUlSR_E_NS1_11comp_targetILNS1_3genE5ELNS1_11target_archE942ELNS1_3gpuE9ELNS1_3repE0EEENS1_30default_config_static_selectorELNS0_4arch9wavefront6targetE0EEEvT1_.has_dyn_sized_stack, 0
	.set _ZN7rocprim17ROCPRIM_400000_NS6detail17trampoline_kernelINS0_14default_configENS1_20scan_config_selectorIfEEZZNS1_9scan_implILNS1_25lookback_scan_determinismE0ELb0ELb0ES3_PKfPffZZZN2at6native31launch_logcumsumexp_cuda_kernelERKNSB_10TensorBaseESF_lENKUlvE_clEvENKUlvE0_clEvEUlffE_fEEDaPvRmT3_T4_T5_mT6_P12ihipStream_tbENKUlT_T0_E_clISt17integral_constantIbLb1EESW_EEDaSR_SS_EUlSR_E_NS1_11comp_targetILNS1_3genE5ELNS1_11target_archE942ELNS1_3gpuE9ELNS1_3repE0EEENS1_30default_config_static_selectorELNS0_4arch9wavefront6targetE0EEEvT1_.has_recursion, 0
	.set _ZN7rocprim17ROCPRIM_400000_NS6detail17trampoline_kernelINS0_14default_configENS1_20scan_config_selectorIfEEZZNS1_9scan_implILNS1_25lookback_scan_determinismE0ELb0ELb0ES3_PKfPffZZZN2at6native31launch_logcumsumexp_cuda_kernelERKNSB_10TensorBaseESF_lENKUlvE_clEvENKUlvE0_clEvEUlffE_fEEDaPvRmT3_T4_T5_mT6_P12ihipStream_tbENKUlT_T0_E_clISt17integral_constantIbLb1EESW_EEDaSR_SS_EUlSR_E_NS1_11comp_targetILNS1_3genE5ELNS1_11target_archE942ELNS1_3gpuE9ELNS1_3repE0EEENS1_30default_config_static_selectorELNS0_4arch9wavefront6targetE0EEEvT1_.has_indirect_call, 0
	.section	.AMDGPU.csdata,"",@progbits
; Kernel info:
; codeLenInByte = 0
; TotalNumSgprs: 0
; NumVgprs: 0
; ScratchSize: 0
; MemoryBound: 0
; FloatMode: 240
; IeeeMode: 1
; LDSByteSize: 0 bytes/workgroup (compile time only)
; SGPRBlocks: 0
; VGPRBlocks: 0
; NumSGPRsForWavesPerEU: 1
; NumVGPRsForWavesPerEU: 1
; Occupancy: 16
; WaveLimiterHint : 0
; COMPUTE_PGM_RSRC2:SCRATCH_EN: 0
; COMPUTE_PGM_RSRC2:USER_SGPR: 2
; COMPUTE_PGM_RSRC2:TRAP_HANDLER: 0
; COMPUTE_PGM_RSRC2:TGID_X_EN: 1
; COMPUTE_PGM_RSRC2:TGID_Y_EN: 0
; COMPUTE_PGM_RSRC2:TGID_Z_EN: 0
; COMPUTE_PGM_RSRC2:TIDIG_COMP_CNT: 0
	.section	.text._ZN7rocprim17ROCPRIM_400000_NS6detail17trampoline_kernelINS0_14default_configENS1_20scan_config_selectorIfEEZZNS1_9scan_implILNS1_25lookback_scan_determinismE0ELb0ELb0ES3_PKfPffZZZN2at6native31launch_logcumsumexp_cuda_kernelERKNSB_10TensorBaseESF_lENKUlvE_clEvENKUlvE0_clEvEUlffE_fEEDaPvRmT3_T4_T5_mT6_P12ihipStream_tbENKUlT_T0_E_clISt17integral_constantIbLb1EESW_EEDaSR_SS_EUlSR_E_NS1_11comp_targetILNS1_3genE4ELNS1_11target_archE910ELNS1_3gpuE8ELNS1_3repE0EEENS1_30default_config_static_selectorELNS0_4arch9wavefront6targetE0EEEvT1_,"axG",@progbits,_ZN7rocprim17ROCPRIM_400000_NS6detail17trampoline_kernelINS0_14default_configENS1_20scan_config_selectorIfEEZZNS1_9scan_implILNS1_25lookback_scan_determinismE0ELb0ELb0ES3_PKfPffZZZN2at6native31launch_logcumsumexp_cuda_kernelERKNSB_10TensorBaseESF_lENKUlvE_clEvENKUlvE0_clEvEUlffE_fEEDaPvRmT3_T4_T5_mT6_P12ihipStream_tbENKUlT_T0_E_clISt17integral_constantIbLb1EESW_EEDaSR_SS_EUlSR_E_NS1_11comp_targetILNS1_3genE4ELNS1_11target_archE910ELNS1_3gpuE8ELNS1_3repE0EEENS1_30default_config_static_selectorELNS0_4arch9wavefront6targetE0EEEvT1_,comdat
	.globl	_ZN7rocprim17ROCPRIM_400000_NS6detail17trampoline_kernelINS0_14default_configENS1_20scan_config_selectorIfEEZZNS1_9scan_implILNS1_25lookback_scan_determinismE0ELb0ELb0ES3_PKfPffZZZN2at6native31launch_logcumsumexp_cuda_kernelERKNSB_10TensorBaseESF_lENKUlvE_clEvENKUlvE0_clEvEUlffE_fEEDaPvRmT3_T4_T5_mT6_P12ihipStream_tbENKUlT_T0_E_clISt17integral_constantIbLb1EESW_EEDaSR_SS_EUlSR_E_NS1_11comp_targetILNS1_3genE4ELNS1_11target_archE910ELNS1_3gpuE8ELNS1_3repE0EEENS1_30default_config_static_selectorELNS0_4arch9wavefront6targetE0EEEvT1_ ; -- Begin function _ZN7rocprim17ROCPRIM_400000_NS6detail17trampoline_kernelINS0_14default_configENS1_20scan_config_selectorIfEEZZNS1_9scan_implILNS1_25lookback_scan_determinismE0ELb0ELb0ES3_PKfPffZZZN2at6native31launch_logcumsumexp_cuda_kernelERKNSB_10TensorBaseESF_lENKUlvE_clEvENKUlvE0_clEvEUlffE_fEEDaPvRmT3_T4_T5_mT6_P12ihipStream_tbENKUlT_T0_E_clISt17integral_constantIbLb1EESW_EEDaSR_SS_EUlSR_E_NS1_11comp_targetILNS1_3genE4ELNS1_11target_archE910ELNS1_3gpuE8ELNS1_3repE0EEENS1_30default_config_static_selectorELNS0_4arch9wavefront6targetE0EEEvT1_
	.p2align	8
	.type	_ZN7rocprim17ROCPRIM_400000_NS6detail17trampoline_kernelINS0_14default_configENS1_20scan_config_selectorIfEEZZNS1_9scan_implILNS1_25lookback_scan_determinismE0ELb0ELb0ES3_PKfPffZZZN2at6native31launch_logcumsumexp_cuda_kernelERKNSB_10TensorBaseESF_lENKUlvE_clEvENKUlvE0_clEvEUlffE_fEEDaPvRmT3_T4_T5_mT6_P12ihipStream_tbENKUlT_T0_E_clISt17integral_constantIbLb1EESW_EEDaSR_SS_EUlSR_E_NS1_11comp_targetILNS1_3genE4ELNS1_11target_archE910ELNS1_3gpuE8ELNS1_3repE0EEENS1_30default_config_static_selectorELNS0_4arch9wavefront6targetE0EEEvT1_,@function
_ZN7rocprim17ROCPRIM_400000_NS6detail17trampoline_kernelINS0_14default_configENS1_20scan_config_selectorIfEEZZNS1_9scan_implILNS1_25lookback_scan_determinismE0ELb0ELb0ES3_PKfPffZZZN2at6native31launch_logcumsumexp_cuda_kernelERKNSB_10TensorBaseESF_lENKUlvE_clEvENKUlvE0_clEvEUlffE_fEEDaPvRmT3_T4_T5_mT6_P12ihipStream_tbENKUlT_T0_E_clISt17integral_constantIbLb1EESW_EEDaSR_SS_EUlSR_E_NS1_11comp_targetILNS1_3genE4ELNS1_11target_archE910ELNS1_3gpuE8ELNS1_3repE0EEENS1_30default_config_static_selectorELNS0_4arch9wavefront6targetE0EEEvT1_: ; @_ZN7rocprim17ROCPRIM_400000_NS6detail17trampoline_kernelINS0_14default_configENS1_20scan_config_selectorIfEEZZNS1_9scan_implILNS1_25lookback_scan_determinismE0ELb0ELb0ES3_PKfPffZZZN2at6native31launch_logcumsumexp_cuda_kernelERKNSB_10TensorBaseESF_lENKUlvE_clEvENKUlvE0_clEvEUlffE_fEEDaPvRmT3_T4_T5_mT6_P12ihipStream_tbENKUlT_T0_E_clISt17integral_constantIbLb1EESW_EEDaSR_SS_EUlSR_E_NS1_11comp_targetILNS1_3genE4ELNS1_11target_archE910ELNS1_3gpuE8ELNS1_3repE0EEENS1_30default_config_static_selectorELNS0_4arch9wavefront6targetE0EEEvT1_
; %bb.0:
	.section	.rodata,"a",@progbits
	.p2align	6, 0x0
	.amdhsa_kernel _ZN7rocprim17ROCPRIM_400000_NS6detail17trampoline_kernelINS0_14default_configENS1_20scan_config_selectorIfEEZZNS1_9scan_implILNS1_25lookback_scan_determinismE0ELb0ELb0ES3_PKfPffZZZN2at6native31launch_logcumsumexp_cuda_kernelERKNSB_10TensorBaseESF_lENKUlvE_clEvENKUlvE0_clEvEUlffE_fEEDaPvRmT3_T4_T5_mT6_P12ihipStream_tbENKUlT_T0_E_clISt17integral_constantIbLb1EESW_EEDaSR_SS_EUlSR_E_NS1_11comp_targetILNS1_3genE4ELNS1_11target_archE910ELNS1_3gpuE8ELNS1_3repE0EEENS1_30default_config_static_selectorELNS0_4arch9wavefront6targetE0EEEvT1_
		.amdhsa_group_segment_fixed_size 0
		.amdhsa_private_segment_fixed_size 0
		.amdhsa_kernarg_size 96
		.amdhsa_user_sgpr_count 2
		.amdhsa_user_sgpr_dispatch_ptr 0
		.amdhsa_user_sgpr_queue_ptr 0
		.amdhsa_user_sgpr_kernarg_segment_ptr 1
		.amdhsa_user_sgpr_dispatch_id 0
		.amdhsa_user_sgpr_private_segment_size 0
		.amdhsa_wavefront_size32 1
		.amdhsa_uses_dynamic_stack 0
		.amdhsa_enable_private_segment 0
		.amdhsa_system_sgpr_workgroup_id_x 1
		.amdhsa_system_sgpr_workgroup_id_y 0
		.amdhsa_system_sgpr_workgroup_id_z 0
		.amdhsa_system_sgpr_workgroup_info 0
		.amdhsa_system_vgpr_workitem_id 0
		.amdhsa_next_free_vgpr 1
		.amdhsa_next_free_sgpr 1
		.amdhsa_reserve_vcc 0
		.amdhsa_float_round_mode_32 0
		.amdhsa_float_round_mode_16_64 0
		.amdhsa_float_denorm_mode_32 3
		.amdhsa_float_denorm_mode_16_64 3
		.amdhsa_fp16_overflow 0
		.amdhsa_workgroup_processor_mode 1
		.amdhsa_memory_ordered 1
		.amdhsa_forward_progress 1
		.amdhsa_inst_pref_size 0
		.amdhsa_round_robin_scheduling 0
		.amdhsa_exception_fp_ieee_invalid_op 0
		.amdhsa_exception_fp_denorm_src 0
		.amdhsa_exception_fp_ieee_div_zero 0
		.amdhsa_exception_fp_ieee_overflow 0
		.amdhsa_exception_fp_ieee_underflow 0
		.amdhsa_exception_fp_ieee_inexact 0
		.amdhsa_exception_int_div_zero 0
	.end_amdhsa_kernel
	.section	.text._ZN7rocprim17ROCPRIM_400000_NS6detail17trampoline_kernelINS0_14default_configENS1_20scan_config_selectorIfEEZZNS1_9scan_implILNS1_25lookback_scan_determinismE0ELb0ELb0ES3_PKfPffZZZN2at6native31launch_logcumsumexp_cuda_kernelERKNSB_10TensorBaseESF_lENKUlvE_clEvENKUlvE0_clEvEUlffE_fEEDaPvRmT3_T4_T5_mT6_P12ihipStream_tbENKUlT_T0_E_clISt17integral_constantIbLb1EESW_EEDaSR_SS_EUlSR_E_NS1_11comp_targetILNS1_3genE4ELNS1_11target_archE910ELNS1_3gpuE8ELNS1_3repE0EEENS1_30default_config_static_selectorELNS0_4arch9wavefront6targetE0EEEvT1_,"axG",@progbits,_ZN7rocprim17ROCPRIM_400000_NS6detail17trampoline_kernelINS0_14default_configENS1_20scan_config_selectorIfEEZZNS1_9scan_implILNS1_25lookback_scan_determinismE0ELb0ELb0ES3_PKfPffZZZN2at6native31launch_logcumsumexp_cuda_kernelERKNSB_10TensorBaseESF_lENKUlvE_clEvENKUlvE0_clEvEUlffE_fEEDaPvRmT3_T4_T5_mT6_P12ihipStream_tbENKUlT_T0_E_clISt17integral_constantIbLb1EESW_EEDaSR_SS_EUlSR_E_NS1_11comp_targetILNS1_3genE4ELNS1_11target_archE910ELNS1_3gpuE8ELNS1_3repE0EEENS1_30default_config_static_selectorELNS0_4arch9wavefront6targetE0EEEvT1_,comdat
.Lfunc_end117:
	.size	_ZN7rocprim17ROCPRIM_400000_NS6detail17trampoline_kernelINS0_14default_configENS1_20scan_config_selectorIfEEZZNS1_9scan_implILNS1_25lookback_scan_determinismE0ELb0ELb0ES3_PKfPffZZZN2at6native31launch_logcumsumexp_cuda_kernelERKNSB_10TensorBaseESF_lENKUlvE_clEvENKUlvE0_clEvEUlffE_fEEDaPvRmT3_T4_T5_mT6_P12ihipStream_tbENKUlT_T0_E_clISt17integral_constantIbLb1EESW_EEDaSR_SS_EUlSR_E_NS1_11comp_targetILNS1_3genE4ELNS1_11target_archE910ELNS1_3gpuE8ELNS1_3repE0EEENS1_30default_config_static_selectorELNS0_4arch9wavefront6targetE0EEEvT1_, .Lfunc_end117-_ZN7rocprim17ROCPRIM_400000_NS6detail17trampoline_kernelINS0_14default_configENS1_20scan_config_selectorIfEEZZNS1_9scan_implILNS1_25lookback_scan_determinismE0ELb0ELb0ES3_PKfPffZZZN2at6native31launch_logcumsumexp_cuda_kernelERKNSB_10TensorBaseESF_lENKUlvE_clEvENKUlvE0_clEvEUlffE_fEEDaPvRmT3_T4_T5_mT6_P12ihipStream_tbENKUlT_T0_E_clISt17integral_constantIbLb1EESW_EEDaSR_SS_EUlSR_E_NS1_11comp_targetILNS1_3genE4ELNS1_11target_archE910ELNS1_3gpuE8ELNS1_3repE0EEENS1_30default_config_static_selectorELNS0_4arch9wavefront6targetE0EEEvT1_
                                        ; -- End function
	.set _ZN7rocprim17ROCPRIM_400000_NS6detail17trampoline_kernelINS0_14default_configENS1_20scan_config_selectorIfEEZZNS1_9scan_implILNS1_25lookback_scan_determinismE0ELb0ELb0ES3_PKfPffZZZN2at6native31launch_logcumsumexp_cuda_kernelERKNSB_10TensorBaseESF_lENKUlvE_clEvENKUlvE0_clEvEUlffE_fEEDaPvRmT3_T4_T5_mT6_P12ihipStream_tbENKUlT_T0_E_clISt17integral_constantIbLb1EESW_EEDaSR_SS_EUlSR_E_NS1_11comp_targetILNS1_3genE4ELNS1_11target_archE910ELNS1_3gpuE8ELNS1_3repE0EEENS1_30default_config_static_selectorELNS0_4arch9wavefront6targetE0EEEvT1_.num_vgpr, 0
	.set _ZN7rocprim17ROCPRIM_400000_NS6detail17trampoline_kernelINS0_14default_configENS1_20scan_config_selectorIfEEZZNS1_9scan_implILNS1_25lookback_scan_determinismE0ELb0ELb0ES3_PKfPffZZZN2at6native31launch_logcumsumexp_cuda_kernelERKNSB_10TensorBaseESF_lENKUlvE_clEvENKUlvE0_clEvEUlffE_fEEDaPvRmT3_T4_T5_mT6_P12ihipStream_tbENKUlT_T0_E_clISt17integral_constantIbLb1EESW_EEDaSR_SS_EUlSR_E_NS1_11comp_targetILNS1_3genE4ELNS1_11target_archE910ELNS1_3gpuE8ELNS1_3repE0EEENS1_30default_config_static_selectorELNS0_4arch9wavefront6targetE0EEEvT1_.num_agpr, 0
	.set _ZN7rocprim17ROCPRIM_400000_NS6detail17trampoline_kernelINS0_14default_configENS1_20scan_config_selectorIfEEZZNS1_9scan_implILNS1_25lookback_scan_determinismE0ELb0ELb0ES3_PKfPffZZZN2at6native31launch_logcumsumexp_cuda_kernelERKNSB_10TensorBaseESF_lENKUlvE_clEvENKUlvE0_clEvEUlffE_fEEDaPvRmT3_T4_T5_mT6_P12ihipStream_tbENKUlT_T0_E_clISt17integral_constantIbLb1EESW_EEDaSR_SS_EUlSR_E_NS1_11comp_targetILNS1_3genE4ELNS1_11target_archE910ELNS1_3gpuE8ELNS1_3repE0EEENS1_30default_config_static_selectorELNS0_4arch9wavefront6targetE0EEEvT1_.numbered_sgpr, 0
	.set _ZN7rocprim17ROCPRIM_400000_NS6detail17trampoline_kernelINS0_14default_configENS1_20scan_config_selectorIfEEZZNS1_9scan_implILNS1_25lookback_scan_determinismE0ELb0ELb0ES3_PKfPffZZZN2at6native31launch_logcumsumexp_cuda_kernelERKNSB_10TensorBaseESF_lENKUlvE_clEvENKUlvE0_clEvEUlffE_fEEDaPvRmT3_T4_T5_mT6_P12ihipStream_tbENKUlT_T0_E_clISt17integral_constantIbLb1EESW_EEDaSR_SS_EUlSR_E_NS1_11comp_targetILNS1_3genE4ELNS1_11target_archE910ELNS1_3gpuE8ELNS1_3repE0EEENS1_30default_config_static_selectorELNS0_4arch9wavefront6targetE0EEEvT1_.num_named_barrier, 0
	.set _ZN7rocprim17ROCPRIM_400000_NS6detail17trampoline_kernelINS0_14default_configENS1_20scan_config_selectorIfEEZZNS1_9scan_implILNS1_25lookback_scan_determinismE0ELb0ELb0ES3_PKfPffZZZN2at6native31launch_logcumsumexp_cuda_kernelERKNSB_10TensorBaseESF_lENKUlvE_clEvENKUlvE0_clEvEUlffE_fEEDaPvRmT3_T4_T5_mT6_P12ihipStream_tbENKUlT_T0_E_clISt17integral_constantIbLb1EESW_EEDaSR_SS_EUlSR_E_NS1_11comp_targetILNS1_3genE4ELNS1_11target_archE910ELNS1_3gpuE8ELNS1_3repE0EEENS1_30default_config_static_selectorELNS0_4arch9wavefront6targetE0EEEvT1_.private_seg_size, 0
	.set _ZN7rocprim17ROCPRIM_400000_NS6detail17trampoline_kernelINS0_14default_configENS1_20scan_config_selectorIfEEZZNS1_9scan_implILNS1_25lookback_scan_determinismE0ELb0ELb0ES3_PKfPffZZZN2at6native31launch_logcumsumexp_cuda_kernelERKNSB_10TensorBaseESF_lENKUlvE_clEvENKUlvE0_clEvEUlffE_fEEDaPvRmT3_T4_T5_mT6_P12ihipStream_tbENKUlT_T0_E_clISt17integral_constantIbLb1EESW_EEDaSR_SS_EUlSR_E_NS1_11comp_targetILNS1_3genE4ELNS1_11target_archE910ELNS1_3gpuE8ELNS1_3repE0EEENS1_30default_config_static_selectorELNS0_4arch9wavefront6targetE0EEEvT1_.uses_vcc, 0
	.set _ZN7rocprim17ROCPRIM_400000_NS6detail17trampoline_kernelINS0_14default_configENS1_20scan_config_selectorIfEEZZNS1_9scan_implILNS1_25lookback_scan_determinismE0ELb0ELb0ES3_PKfPffZZZN2at6native31launch_logcumsumexp_cuda_kernelERKNSB_10TensorBaseESF_lENKUlvE_clEvENKUlvE0_clEvEUlffE_fEEDaPvRmT3_T4_T5_mT6_P12ihipStream_tbENKUlT_T0_E_clISt17integral_constantIbLb1EESW_EEDaSR_SS_EUlSR_E_NS1_11comp_targetILNS1_3genE4ELNS1_11target_archE910ELNS1_3gpuE8ELNS1_3repE0EEENS1_30default_config_static_selectorELNS0_4arch9wavefront6targetE0EEEvT1_.uses_flat_scratch, 0
	.set _ZN7rocprim17ROCPRIM_400000_NS6detail17trampoline_kernelINS0_14default_configENS1_20scan_config_selectorIfEEZZNS1_9scan_implILNS1_25lookback_scan_determinismE0ELb0ELb0ES3_PKfPffZZZN2at6native31launch_logcumsumexp_cuda_kernelERKNSB_10TensorBaseESF_lENKUlvE_clEvENKUlvE0_clEvEUlffE_fEEDaPvRmT3_T4_T5_mT6_P12ihipStream_tbENKUlT_T0_E_clISt17integral_constantIbLb1EESW_EEDaSR_SS_EUlSR_E_NS1_11comp_targetILNS1_3genE4ELNS1_11target_archE910ELNS1_3gpuE8ELNS1_3repE0EEENS1_30default_config_static_selectorELNS0_4arch9wavefront6targetE0EEEvT1_.has_dyn_sized_stack, 0
	.set _ZN7rocprim17ROCPRIM_400000_NS6detail17trampoline_kernelINS0_14default_configENS1_20scan_config_selectorIfEEZZNS1_9scan_implILNS1_25lookback_scan_determinismE0ELb0ELb0ES3_PKfPffZZZN2at6native31launch_logcumsumexp_cuda_kernelERKNSB_10TensorBaseESF_lENKUlvE_clEvENKUlvE0_clEvEUlffE_fEEDaPvRmT3_T4_T5_mT6_P12ihipStream_tbENKUlT_T0_E_clISt17integral_constantIbLb1EESW_EEDaSR_SS_EUlSR_E_NS1_11comp_targetILNS1_3genE4ELNS1_11target_archE910ELNS1_3gpuE8ELNS1_3repE0EEENS1_30default_config_static_selectorELNS0_4arch9wavefront6targetE0EEEvT1_.has_recursion, 0
	.set _ZN7rocprim17ROCPRIM_400000_NS6detail17trampoline_kernelINS0_14default_configENS1_20scan_config_selectorIfEEZZNS1_9scan_implILNS1_25lookback_scan_determinismE0ELb0ELb0ES3_PKfPffZZZN2at6native31launch_logcumsumexp_cuda_kernelERKNSB_10TensorBaseESF_lENKUlvE_clEvENKUlvE0_clEvEUlffE_fEEDaPvRmT3_T4_T5_mT6_P12ihipStream_tbENKUlT_T0_E_clISt17integral_constantIbLb1EESW_EEDaSR_SS_EUlSR_E_NS1_11comp_targetILNS1_3genE4ELNS1_11target_archE910ELNS1_3gpuE8ELNS1_3repE0EEENS1_30default_config_static_selectorELNS0_4arch9wavefront6targetE0EEEvT1_.has_indirect_call, 0
	.section	.AMDGPU.csdata,"",@progbits
; Kernel info:
; codeLenInByte = 0
; TotalNumSgprs: 0
; NumVgprs: 0
; ScratchSize: 0
; MemoryBound: 0
; FloatMode: 240
; IeeeMode: 1
; LDSByteSize: 0 bytes/workgroup (compile time only)
; SGPRBlocks: 0
; VGPRBlocks: 0
; NumSGPRsForWavesPerEU: 1
; NumVGPRsForWavesPerEU: 1
; Occupancy: 16
; WaveLimiterHint : 0
; COMPUTE_PGM_RSRC2:SCRATCH_EN: 0
; COMPUTE_PGM_RSRC2:USER_SGPR: 2
; COMPUTE_PGM_RSRC2:TRAP_HANDLER: 0
; COMPUTE_PGM_RSRC2:TGID_X_EN: 1
; COMPUTE_PGM_RSRC2:TGID_Y_EN: 0
; COMPUTE_PGM_RSRC2:TGID_Z_EN: 0
; COMPUTE_PGM_RSRC2:TIDIG_COMP_CNT: 0
	.section	.text._ZN7rocprim17ROCPRIM_400000_NS6detail17trampoline_kernelINS0_14default_configENS1_20scan_config_selectorIfEEZZNS1_9scan_implILNS1_25lookback_scan_determinismE0ELb0ELb0ES3_PKfPffZZZN2at6native31launch_logcumsumexp_cuda_kernelERKNSB_10TensorBaseESF_lENKUlvE_clEvENKUlvE0_clEvEUlffE_fEEDaPvRmT3_T4_T5_mT6_P12ihipStream_tbENKUlT_T0_E_clISt17integral_constantIbLb1EESW_EEDaSR_SS_EUlSR_E_NS1_11comp_targetILNS1_3genE3ELNS1_11target_archE908ELNS1_3gpuE7ELNS1_3repE0EEENS1_30default_config_static_selectorELNS0_4arch9wavefront6targetE0EEEvT1_,"axG",@progbits,_ZN7rocprim17ROCPRIM_400000_NS6detail17trampoline_kernelINS0_14default_configENS1_20scan_config_selectorIfEEZZNS1_9scan_implILNS1_25lookback_scan_determinismE0ELb0ELb0ES3_PKfPffZZZN2at6native31launch_logcumsumexp_cuda_kernelERKNSB_10TensorBaseESF_lENKUlvE_clEvENKUlvE0_clEvEUlffE_fEEDaPvRmT3_T4_T5_mT6_P12ihipStream_tbENKUlT_T0_E_clISt17integral_constantIbLb1EESW_EEDaSR_SS_EUlSR_E_NS1_11comp_targetILNS1_3genE3ELNS1_11target_archE908ELNS1_3gpuE7ELNS1_3repE0EEENS1_30default_config_static_selectorELNS0_4arch9wavefront6targetE0EEEvT1_,comdat
	.globl	_ZN7rocprim17ROCPRIM_400000_NS6detail17trampoline_kernelINS0_14default_configENS1_20scan_config_selectorIfEEZZNS1_9scan_implILNS1_25lookback_scan_determinismE0ELb0ELb0ES3_PKfPffZZZN2at6native31launch_logcumsumexp_cuda_kernelERKNSB_10TensorBaseESF_lENKUlvE_clEvENKUlvE0_clEvEUlffE_fEEDaPvRmT3_T4_T5_mT6_P12ihipStream_tbENKUlT_T0_E_clISt17integral_constantIbLb1EESW_EEDaSR_SS_EUlSR_E_NS1_11comp_targetILNS1_3genE3ELNS1_11target_archE908ELNS1_3gpuE7ELNS1_3repE0EEENS1_30default_config_static_selectorELNS0_4arch9wavefront6targetE0EEEvT1_ ; -- Begin function _ZN7rocprim17ROCPRIM_400000_NS6detail17trampoline_kernelINS0_14default_configENS1_20scan_config_selectorIfEEZZNS1_9scan_implILNS1_25lookback_scan_determinismE0ELb0ELb0ES3_PKfPffZZZN2at6native31launch_logcumsumexp_cuda_kernelERKNSB_10TensorBaseESF_lENKUlvE_clEvENKUlvE0_clEvEUlffE_fEEDaPvRmT3_T4_T5_mT6_P12ihipStream_tbENKUlT_T0_E_clISt17integral_constantIbLb1EESW_EEDaSR_SS_EUlSR_E_NS1_11comp_targetILNS1_3genE3ELNS1_11target_archE908ELNS1_3gpuE7ELNS1_3repE0EEENS1_30default_config_static_selectorELNS0_4arch9wavefront6targetE0EEEvT1_
	.p2align	8
	.type	_ZN7rocprim17ROCPRIM_400000_NS6detail17trampoline_kernelINS0_14default_configENS1_20scan_config_selectorIfEEZZNS1_9scan_implILNS1_25lookback_scan_determinismE0ELb0ELb0ES3_PKfPffZZZN2at6native31launch_logcumsumexp_cuda_kernelERKNSB_10TensorBaseESF_lENKUlvE_clEvENKUlvE0_clEvEUlffE_fEEDaPvRmT3_T4_T5_mT6_P12ihipStream_tbENKUlT_T0_E_clISt17integral_constantIbLb1EESW_EEDaSR_SS_EUlSR_E_NS1_11comp_targetILNS1_3genE3ELNS1_11target_archE908ELNS1_3gpuE7ELNS1_3repE0EEENS1_30default_config_static_selectorELNS0_4arch9wavefront6targetE0EEEvT1_,@function
_ZN7rocprim17ROCPRIM_400000_NS6detail17trampoline_kernelINS0_14default_configENS1_20scan_config_selectorIfEEZZNS1_9scan_implILNS1_25lookback_scan_determinismE0ELb0ELb0ES3_PKfPffZZZN2at6native31launch_logcumsumexp_cuda_kernelERKNSB_10TensorBaseESF_lENKUlvE_clEvENKUlvE0_clEvEUlffE_fEEDaPvRmT3_T4_T5_mT6_P12ihipStream_tbENKUlT_T0_E_clISt17integral_constantIbLb1EESW_EEDaSR_SS_EUlSR_E_NS1_11comp_targetILNS1_3genE3ELNS1_11target_archE908ELNS1_3gpuE7ELNS1_3repE0EEENS1_30default_config_static_selectorELNS0_4arch9wavefront6targetE0EEEvT1_: ; @_ZN7rocprim17ROCPRIM_400000_NS6detail17trampoline_kernelINS0_14default_configENS1_20scan_config_selectorIfEEZZNS1_9scan_implILNS1_25lookback_scan_determinismE0ELb0ELb0ES3_PKfPffZZZN2at6native31launch_logcumsumexp_cuda_kernelERKNSB_10TensorBaseESF_lENKUlvE_clEvENKUlvE0_clEvEUlffE_fEEDaPvRmT3_T4_T5_mT6_P12ihipStream_tbENKUlT_T0_E_clISt17integral_constantIbLb1EESW_EEDaSR_SS_EUlSR_E_NS1_11comp_targetILNS1_3genE3ELNS1_11target_archE908ELNS1_3gpuE7ELNS1_3repE0EEENS1_30default_config_static_selectorELNS0_4arch9wavefront6targetE0EEEvT1_
; %bb.0:
	.section	.rodata,"a",@progbits
	.p2align	6, 0x0
	.amdhsa_kernel _ZN7rocprim17ROCPRIM_400000_NS6detail17trampoline_kernelINS0_14default_configENS1_20scan_config_selectorIfEEZZNS1_9scan_implILNS1_25lookback_scan_determinismE0ELb0ELb0ES3_PKfPffZZZN2at6native31launch_logcumsumexp_cuda_kernelERKNSB_10TensorBaseESF_lENKUlvE_clEvENKUlvE0_clEvEUlffE_fEEDaPvRmT3_T4_T5_mT6_P12ihipStream_tbENKUlT_T0_E_clISt17integral_constantIbLb1EESW_EEDaSR_SS_EUlSR_E_NS1_11comp_targetILNS1_3genE3ELNS1_11target_archE908ELNS1_3gpuE7ELNS1_3repE0EEENS1_30default_config_static_selectorELNS0_4arch9wavefront6targetE0EEEvT1_
		.amdhsa_group_segment_fixed_size 0
		.amdhsa_private_segment_fixed_size 0
		.amdhsa_kernarg_size 96
		.amdhsa_user_sgpr_count 2
		.amdhsa_user_sgpr_dispatch_ptr 0
		.amdhsa_user_sgpr_queue_ptr 0
		.amdhsa_user_sgpr_kernarg_segment_ptr 1
		.amdhsa_user_sgpr_dispatch_id 0
		.amdhsa_user_sgpr_private_segment_size 0
		.amdhsa_wavefront_size32 1
		.amdhsa_uses_dynamic_stack 0
		.amdhsa_enable_private_segment 0
		.amdhsa_system_sgpr_workgroup_id_x 1
		.amdhsa_system_sgpr_workgroup_id_y 0
		.amdhsa_system_sgpr_workgroup_id_z 0
		.amdhsa_system_sgpr_workgroup_info 0
		.amdhsa_system_vgpr_workitem_id 0
		.amdhsa_next_free_vgpr 1
		.amdhsa_next_free_sgpr 1
		.amdhsa_reserve_vcc 0
		.amdhsa_float_round_mode_32 0
		.amdhsa_float_round_mode_16_64 0
		.amdhsa_float_denorm_mode_32 3
		.amdhsa_float_denorm_mode_16_64 3
		.amdhsa_fp16_overflow 0
		.amdhsa_workgroup_processor_mode 1
		.amdhsa_memory_ordered 1
		.amdhsa_forward_progress 1
		.amdhsa_inst_pref_size 0
		.amdhsa_round_robin_scheduling 0
		.amdhsa_exception_fp_ieee_invalid_op 0
		.amdhsa_exception_fp_denorm_src 0
		.amdhsa_exception_fp_ieee_div_zero 0
		.amdhsa_exception_fp_ieee_overflow 0
		.amdhsa_exception_fp_ieee_underflow 0
		.amdhsa_exception_fp_ieee_inexact 0
		.amdhsa_exception_int_div_zero 0
	.end_amdhsa_kernel
	.section	.text._ZN7rocprim17ROCPRIM_400000_NS6detail17trampoline_kernelINS0_14default_configENS1_20scan_config_selectorIfEEZZNS1_9scan_implILNS1_25lookback_scan_determinismE0ELb0ELb0ES3_PKfPffZZZN2at6native31launch_logcumsumexp_cuda_kernelERKNSB_10TensorBaseESF_lENKUlvE_clEvENKUlvE0_clEvEUlffE_fEEDaPvRmT3_T4_T5_mT6_P12ihipStream_tbENKUlT_T0_E_clISt17integral_constantIbLb1EESW_EEDaSR_SS_EUlSR_E_NS1_11comp_targetILNS1_3genE3ELNS1_11target_archE908ELNS1_3gpuE7ELNS1_3repE0EEENS1_30default_config_static_selectorELNS0_4arch9wavefront6targetE0EEEvT1_,"axG",@progbits,_ZN7rocprim17ROCPRIM_400000_NS6detail17trampoline_kernelINS0_14default_configENS1_20scan_config_selectorIfEEZZNS1_9scan_implILNS1_25lookback_scan_determinismE0ELb0ELb0ES3_PKfPffZZZN2at6native31launch_logcumsumexp_cuda_kernelERKNSB_10TensorBaseESF_lENKUlvE_clEvENKUlvE0_clEvEUlffE_fEEDaPvRmT3_T4_T5_mT6_P12ihipStream_tbENKUlT_T0_E_clISt17integral_constantIbLb1EESW_EEDaSR_SS_EUlSR_E_NS1_11comp_targetILNS1_3genE3ELNS1_11target_archE908ELNS1_3gpuE7ELNS1_3repE0EEENS1_30default_config_static_selectorELNS0_4arch9wavefront6targetE0EEEvT1_,comdat
.Lfunc_end118:
	.size	_ZN7rocprim17ROCPRIM_400000_NS6detail17trampoline_kernelINS0_14default_configENS1_20scan_config_selectorIfEEZZNS1_9scan_implILNS1_25lookback_scan_determinismE0ELb0ELb0ES3_PKfPffZZZN2at6native31launch_logcumsumexp_cuda_kernelERKNSB_10TensorBaseESF_lENKUlvE_clEvENKUlvE0_clEvEUlffE_fEEDaPvRmT3_T4_T5_mT6_P12ihipStream_tbENKUlT_T0_E_clISt17integral_constantIbLb1EESW_EEDaSR_SS_EUlSR_E_NS1_11comp_targetILNS1_3genE3ELNS1_11target_archE908ELNS1_3gpuE7ELNS1_3repE0EEENS1_30default_config_static_selectorELNS0_4arch9wavefront6targetE0EEEvT1_, .Lfunc_end118-_ZN7rocprim17ROCPRIM_400000_NS6detail17trampoline_kernelINS0_14default_configENS1_20scan_config_selectorIfEEZZNS1_9scan_implILNS1_25lookback_scan_determinismE0ELb0ELb0ES3_PKfPffZZZN2at6native31launch_logcumsumexp_cuda_kernelERKNSB_10TensorBaseESF_lENKUlvE_clEvENKUlvE0_clEvEUlffE_fEEDaPvRmT3_T4_T5_mT6_P12ihipStream_tbENKUlT_T0_E_clISt17integral_constantIbLb1EESW_EEDaSR_SS_EUlSR_E_NS1_11comp_targetILNS1_3genE3ELNS1_11target_archE908ELNS1_3gpuE7ELNS1_3repE0EEENS1_30default_config_static_selectorELNS0_4arch9wavefront6targetE0EEEvT1_
                                        ; -- End function
	.set _ZN7rocprim17ROCPRIM_400000_NS6detail17trampoline_kernelINS0_14default_configENS1_20scan_config_selectorIfEEZZNS1_9scan_implILNS1_25lookback_scan_determinismE0ELb0ELb0ES3_PKfPffZZZN2at6native31launch_logcumsumexp_cuda_kernelERKNSB_10TensorBaseESF_lENKUlvE_clEvENKUlvE0_clEvEUlffE_fEEDaPvRmT3_T4_T5_mT6_P12ihipStream_tbENKUlT_T0_E_clISt17integral_constantIbLb1EESW_EEDaSR_SS_EUlSR_E_NS1_11comp_targetILNS1_3genE3ELNS1_11target_archE908ELNS1_3gpuE7ELNS1_3repE0EEENS1_30default_config_static_selectorELNS0_4arch9wavefront6targetE0EEEvT1_.num_vgpr, 0
	.set _ZN7rocprim17ROCPRIM_400000_NS6detail17trampoline_kernelINS0_14default_configENS1_20scan_config_selectorIfEEZZNS1_9scan_implILNS1_25lookback_scan_determinismE0ELb0ELb0ES3_PKfPffZZZN2at6native31launch_logcumsumexp_cuda_kernelERKNSB_10TensorBaseESF_lENKUlvE_clEvENKUlvE0_clEvEUlffE_fEEDaPvRmT3_T4_T5_mT6_P12ihipStream_tbENKUlT_T0_E_clISt17integral_constantIbLb1EESW_EEDaSR_SS_EUlSR_E_NS1_11comp_targetILNS1_3genE3ELNS1_11target_archE908ELNS1_3gpuE7ELNS1_3repE0EEENS1_30default_config_static_selectorELNS0_4arch9wavefront6targetE0EEEvT1_.num_agpr, 0
	.set _ZN7rocprim17ROCPRIM_400000_NS6detail17trampoline_kernelINS0_14default_configENS1_20scan_config_selectorIfEEZZNS1_9scan_implILNS1_25lookback_scan_determinismE0ELb0ELb0ES3_PKfPffZZZN2at6native31launch_logcumsumexp_cuda_kernelERKNSB_10TensorBaseESF_lENKUlvE_clEvENKUlvE0_clEvEUlffE_fEEDaPvRmT3_T4_T5_mT6_P12ihipStream_tbENKUlT_T0_E_clISt17integral_constantIbLb1EESW_EEDaSR_SS_EUlSR_E_NS1_11comp_targetILNS1_3genE3ELNS1_11target_archE908ELNS1_3gpuE7ELNS1_3repE0EEENS1_30default_config_static_selectorELNS0_4arch9wavefront6targetE0EEEvT1_.numbered_sgpr, 0
	.set _ZN7rocprim17ROCPRIM_400000_NS6detail17trampoline_kernelINS0_14default_configENS1_20scan_config_selectorIfEEZZNS1_9scan_implILNS1_25lookback_scan_determinismE0ELb0ELb0ES3_PKfPffZZZN2at6native31launch_logcumsumexp_cuda_kernelERKNSB_10TensorBaseESF_lENKUlvE_clEvENKUlvE0_clEvEUlffE_fEEDaPvRmT3_T4_T5_mT6_P12ihipStream_tbENKUlT_T0_E_clISt17integral_constantIbLb1EESW_EEDaSR_SS_EUlSR_E_NS1_11comp_targetILNS1_3genE3ELNS1_11target_archE908ELNS1_3gpuE7ELNS1_3repE0EEENS1_30default_config_static_selectorELNS0_4arch9wavefront6targetE0EEEvT1_.num_named_barrier, 0
	.set _ZN7rocprim17ROCPRIM_400000_NS6detail17trampoline_kernelINS0_14default_configENS1_20scan_config_selectorIfEEZZNS1_9scan_implILNS1_25lookback_scan_determinismE0ELb0ELb0ES3_PKfPffZZZN2at6native31launch_logcumsumexp_cuda_kernelERKNSB_10TensorBaseESF_lENKUlvE_clEvENKUlvE0_clEvEUlffE_fEEDaPvRmT3_T4_T5_mT6_P12ihipStream_tbENKUlT_T0_E_clISt17integral_constantIbLb1EESW_EEDaSR_SS_EUlSR_E_NS1_11comp_targetILNS1_3genE3ELNS1_11target_archE908ELNS1_3gpuE7ELNS1_3repE0EEENS1_30default_config_static_selectorELNS0_4arch9wavefront6targetE0EEEvT1_.private_seg_size, 0
	.set _ZN7rocprim17ROCPRIM_400000_NS6detail17trampoline_kernelINS0_14default_configENS1_20scan_config_selectorIfEEZZNS1_9scan_implILNS1_25lookback_scan_determinismE0ELb0ELb0ES3_PKfPffZZZN2at6native31launch_logcumsumexp_cuda_kernelERKNSB_10TensorBaseESF_lENKUlvE_clEvENKUlvE0_clEvEUlffE_fEEDaPvRmT3_T4_T5_mT6_P12ihipStream_tbENKUlT_T0_E_clISt17integral_constantIbLb1EESW_EEDaSR_SS_EUlSR_E_NS1_11comp_targetILNS1_3genE3ELNS1_11target_archE908ELNS1_3gpuE7ELNS1_3repE0EEENS1_30default_config_static_selectorELNS0_4arch9wavefront6targetE0EEEvT1_.uses_vcc, 0
	.set _ZN7rocprim17ROCPRIM_400000_NS6detail17trampoline_kernelINS0_14default_configENS1_20scan_config_selectorIfEEZZNS1_9scan_implILNS1_25lookback_scan_determinismE0ELb0ELb0ES3_PKfPffZZZN2at6native31launch_logcumsumexp_cuda_kernelERKNSB_10TensorBaseESF_lENKUlvE_clEvENKUlvE0_clEvEUlffE_fEEDaPvRmT3_T4_T5_mT6_P12ihipStream_tbENKUlT_T0_E_clISt17integral_constantIbLb1EESW_EEDaSR_SS_EUlSR_E_NS1_11comp_targetILNS1_3genE3ELNS1_11target_archE908ELNS1_3gpuE7ELNS1_3repE0EEENS1_30default_config_static_selectorELNS0_4arch9wavefront6targetE0EEEvT1_.uses_flat_scratch, 0
	.set _ZN7rocprim17ROCPRIM_400000_NS6detail17trampoline_kernelINS0_14default_configENS1_20scan_config_selectorIfEEZZNS1_9scan_implILNS1_25lookback_scan_determinismE0ELb0ELb0ES3_PKfPffZZZN2at6native31launch_logcumsumexp_cuda_kernelERKNSB_10TensorBaseESF_lENKUlvE_clEvENKUlvE0_clEvEUlffE_fEEDaPvRmT3_T4_T5_mT6_P12ihipStream_tbENKUlT_T0_E_clISt17integral_constantIbLb1EESW_EEDaSR_SS_EUlSR_E_NS1_11comp_targetILNS1_3genE3ELNS1_11target_archE908ELNS1_3gpuE7ELNS1_3repE0EEENS1_30default_config_static_selectorELNS0_4arch9wavefront6targetE0EEEvT1_.has_dyn_sized_stack, 0
	.set _ZN7rocprim17ROCPRIM_400000_NS6detail17trampoline_kernelINS0_14default_configENS1_20scan_config_selectorIfEEZZNS1_9scan_implILNS1_25lookback_scan_determinismE0ELb0ELb0ES3_PKfPffZZZN2at6native31launch_logcumsumexp_cuda_kernelERKNSB_10TensorBaseESF_lENKUlvE_clEvENKUlvE0_clEvEUlffE_fEEDaPvRmT3_T4_T5_mT6_P12ihipStream_tbENKUlT_T0_E_clISt17integral_constantIbLb1EESW_EEDaSR_SS_EUlSR_E_NS1_11comp_targetILNS1_3genE3ELNS1_11target_archE908ELNS1_3gpuE7ELNS1_3repE0EEENS1_30default_config_static_selectorELNS0_4arch9wavefront6targetE0EEEvT1_.has_recursion, 0
	.set _ZN7rocprim17ROCPRIM_400000_NS6detail17trampoline_kernelINS0_14default_configENS1_20scan_config_selectorIfEEZZNS1_9scan_implILNS1_25lookback_scan_determinismE0ELb0ELb0ES3_PKfPffZZZN2at6native31launch_logcumsumexp_cuda_kernelERKNSB_10TensorBaseESF_lENKUlvE_clEvENKUlvE0_clEvEUlffE_fEEDaPvRmT3_T4_T5_mT6_P12ihipStream_tbENKUlT_T0_E_clISt17integral_constantIbLb1EESW_EEDaSR_SS_EUlSR_E_NS1_11comp_targetILNS1_3genE3ELNS1_11target_archE908ELNS1_3gpuE7ELNS1_3repE0EEENS1_30default_config_static_selectorELNS0_4arch9wavefront6targetE0EEEvT1_.has_indirect_call, 0
	.section	.AMDGPU.csdata,"",@progbits
; Kernel info:
; codeLenInByte = 0
; TotalNumSgprs: 0
; NumVgprs: 0
; ScratchSize: 0
; MemoryBound: 0
; FloatMode: 240
; IeeeMode: 1
; LDSByteSize: 0 bytes/workgroup (compile time only)
; SGPRBlocks: 0
; VGPRBlocks: 0
; NumSGPRsForWavesPerEU: 1
; NumVGPRsForWavesPerEU: 1
; Occupancy: 16
; WaveLimiterHint : 0
; COMPUTE_PGM_RSRC2:SCRATCH_EN: 0
; COMPUTE_PGM_RSRC2:USER_SGPR: 2
; COMPUTE_PGM_RSRC2:TRAP_HANDLER: 0
; COMPUTE_PGM_RSRC2:TGID_X_EN: 1
; COMPUTE_PGM_RSRC2:TGID_Y_EN: 0
; COMPUTE_PGM_RSRC2:TGID_Z_EN: 0
; COMPUTE_PGM_RSRC2:TIDIG_COMP_CNT: 0
	.section	.text._ZN7rocprim17ROCPRIM_400000_NS6detail17trampoline_kernelINS0_14default_configENS1_20scan_config_selectorIfEEZZNS1_9scan_implILNS1_25lookback_scan_determinismE0ELb0ELb0ES3_PKfPffZZZN2at6native31launch_logcumsumexp_cuda_kernelERKNSB_10TensorBaseESF_lENKUlvE_clEvENKUlvE0_clEvEUlffE_fEEDaPvRmT3_T4_T5_mT6_P12ihipStream_tbENKUlT_T0_E_clISt17integral_constantIbLb1EESW_EEDaSR_SS_EUlSR_E_NS1_11comp_targetILNS1_3genE2ELNS1_11target_archE906ELNS1_3gpuE6ELNS1_3repE0EEENS1_30default_config_static_selectorELNS0_4arch9wavefront6targetE0EEEvT1_,"axG",@progbits,_ZN7rocprim17ROCPRIM_400000_NS6detail17trampoline_kernelINS0_14default_configENS1_20scan_config_selectorIfEEZZNS1_9scan_implILNS1_25lookback_scan_determinismE0ELb0ELb0ES3_PKfPffZZZN2at6native31launch_logcumsumexp_cuda_kernelERKNSB_10TensorBaseESF_lENKUlvE_clEvENKUlvE0_clEvEUlffE_fEEDaPvRmT3_T4_T5_mT6_P12ihipStream_tbENKUlT_T0_E_clISt17integral_constantIbLb1EESW_EEDaSR_SS_EUlSR_E_NS1_11comp_targetILNS1_3genE2ELNS1_11target_archE906ELNS1_3gpuE6ELNS1_3repE0EEENS1_30default_config_static_selectorELNS0_4arch9wavefront6targetE0EEEvT1_,comdat
	.globl	_ZN7rocprim17ROCPRIM_400000_NS6detail17trampoline_kernelINS0_14default_configENS1_20scan_config_selectorIfEEZZNS1_9scan_implILNS1_25lookback_scan_determinismE0ELb0ELb0ES3_PKfPffZZZN2at6native31launch_logcumsumexp_cuda_kernelERKNSB_10TensorBaseESF_lENKUlvE_clEvENKUlvE0_clEvEUlffE_fEEDaPvRmT3_T4_T5_mT6_P12ihipStream_tbENKUlT_T0_E_clISt17integral_constantIbLb1EESW_EEDaSR_SS_EUlSR_E_NS1_11comp_targetILNS1_3genE2ELNS1_11target_archE906ELNS1_3gpuE6ELNS1_3repE0EEENS1_30default_config_static_selectorELNS0_4arch9wavefront6targetE0EEEvT1_ ; -- Begin function _ZN7rocprim17ROCPRIM_400000_NS6detail17trampoline_kernelINS0_14default_configENS1_20scan_config_selectorIfEEZZNS1_9scan_implILNS1_25lookback_scan_determinismE0ELb0ELb0ES3_PKfPffZZZN2at6native31launch_logcumsumexp_cuda_kernelERKNSB_10TensorBaseESF_lENKUlvE_clEvENKUlvE0_clEvEUlffE_fEEDaPvRmT3_T4_T5_mT6_P12ihipStream_tbENKUlT_T0_E_clISt17integral_constantIbLb1EESW_EEDaSR_SS_EUlSR_E_NS1_11comp_targetILNS1_3genE2ELNS1_11target_archE906ELNS1_3gpuE6ELNS1_3repE0EEENS1_30default_config_static_selectorELNS0_4arch9wavefront6targetE0EEEvT1_
	.p2align	8
	.type	_ZN7rocprim17ROCPRIM_400000_NS6detail17trampoline_kernelINS0_14default_configENS1_20scan_config_selectorIfEEZZNS1_9scan_implILNS1_25lookback_scan_determinismE0ELb0ELb0ES3_PKfPffZZZN2at6native31launch_logcumsumexp_cuda_kernelERKNSB_10TensorBaseESF_lENKUlvE_clEvENKUlvE0_clEvEUlffE_fEEDaPvRmT3_T4_T5_mT6_P12ihipStream_tbENKUlT_T0_E_clISt17integral_constantIbLb1EESW_EEDaSR_SS_EUlSR_E_NS1_11comp_targetILNS1_3genE2ELNS1_11target_archE906ELNS1_3gpuE6ELNS1_3repE0EEENS1_30default_config_static_selectorELNS0_4arch9wavefront6targetE0EEEvT1_,@function
_ZN7rocprim17ROCPRIM_400000_NS6detail17trampoline_kernelINS0_14default_configENS1_20scan_config_selectorIfEEZZNS1_9scan_implILNS1_25lookback_scan_determinismE0ELb0ELb0ES3_PKfPffZZZN2at6native31launch_logcumsumexp_cuda_kernelERKNSB_10TensorBaseESF_lENKUlvE_clEvENKUlvE0_clEvEUlffE_fEEDaPvRmT3_T4_T5_mT6_P12ihipStream_tbENKUlT_T0_E_clISt17integral_constantIbLb1EESW_EEDaSR_SS_EUlSR_E_NS1_11comp_targetILNS1_3genE2ELNS1_11target_archE906ELNS1_3gpuE6ELNS1_3repE0EEENS1_30default_config_static_selectorELNS0_4arch9wavefront6targetE0EEEvT1_: ; @_ZN7rocprim17ROCPRIM_400000_NS6detail17trampoline_kernelINS0_14default_configENS1_20scan_config_selectorIfEEZZNS1_9scan_implILNS1_25lookback_scan_determinismE0ELb0ELb0ES3_PKfPffZZZN2at6native31launch_logcumsumexp_cuda_kernelERKNSB_10TensorBaseESF_lENKUlvE_clEvENKUlvE0_clEvEUlffE_fEEDaPvRmT3_T4_T5_mT6_P12ihipStream_tbENKUlT_T0_E_clISt17integral_constantIbLb1EESW_EEDaSR_SS_EUlSR_E_NS1_11comp_targetILNS1_3genE2ELNS1_11target_archE906ELNS1_3gpuE6ELNS1_3repE0EEENS1_30default_config_static_selectorELNS0_4arch9wavefront6targetE0EEEvT1_
; %bb.0:
	.section	.rodata,"a",@progbits
	.p2align	6, 0x0
	.amdhsa_kernel _ZN7rocprim17ROCPRIM_400000_NS6detail17trampoline_kernelINS0_14default_configENS1_20scan_config_selectorIfEEZZNS1_9scan_implILNS1_25lookback_scan_determinismE0ELb0ELb0ES3_PKfPffZZZN2at6native31launch_logcumsumexp_cuda_kernelERKNSB_10TensorBaseESF_lENKUlvE_clEvENKUlvE0_clEvEUlffE_fEEDaPvRmT3_T4_T5_mT6_P12ihipStream_tbENKUlT_T0_E_clISt17integral_constantIbLb1EESW_EEDaSR_SS_EUlSR_E_NS1_11comp_targetILNS1_3genE2ELNS1_11target_archE906ELNS1_3gpuE6ELNS1_3repE0EEENS1_30default_config_static_selectorELNS0_4arch9wavefront6targetE0EEEvT1_
		.amdhsa_group_segment_fixed_size 0
		.amdhsa_private_segment_fixed_size 0
		.amdhsa_kernarg_size 96
		.amdhsa_user_sgpr_count 2
		.amdhsa_user_sgpr_dispatch_ptr 0
		.amdhsa_user_sgpr_queue_ptr 0
		.amdhsa_user_sgpr_kernarg_segment_ptr 1
		.amdhsa_user_sgpr_dispatch_id 0
		.amdhsa_user_sgpr_private_segment_size 0
		.amdhsa_wavefront_size32 1
		.amdhsa_uses_dynamic_stack 0
		.amdhsa_enable_private_segment 0
		.amdhsa_system_sgpr_workgroup_id_x 1
		.amdhsa_system_sgpr_workgroup_id_y 0
		.amdhsa_system_sgpr_workgroup_id_z 0
		.amdhsa_system_sgpr_workgroup_info 0
		.amdhsa_system_vgpr_workitem_id 0
		.amdhsa_next_free_vgpr 1
		.amdhsa_next_free_sgpr 1
		.amdhsa_reserve_vcc 0
		.amdhsa_float_round_mode_32 0
		.amdhsa_float_round_mode_16_64 0
		.amdhsa_float_denorm_mode_32 3
		.amdhsa_float_denorm_mode_16_64 3
		.amdhsa_fp16_overflow 0
		.amdhsa_workgroup_processor_mode 1
		.amdhsa_memory_ordered 1
		.amdhsa_forward_progress 1
		.amdhsa_inst_pref_size 0
		.amdhsa_round_robin_scheduling 0
		.amdhsa_exception_fp_ieee_invalid_op 0
		.amdhsa_exception_fp_denorm_src 0
		.amdhsa_exception_fp_ieee_div_zero 0
		.amdhsa_exception_fp_ieee_overflow 0
		.amdhsa_exception_fp_ieee_underflow 0
		.amdhsa_exception_fp_ieee_inexact 0
		.amdhsa_exception_int_div_zero 0
	.end_amdhsa_kernel
	.section	.text._ZN7rocprim17ROCPRIM_400000_NS6detail17trampoline_kernelINS0_14default_configENS1_20scan_config_selectorIfEEZZNS1_9scan_implILNS1_25lookback_scan_determinismE0ELb0ELb0ES3_PKfPffZZZN2at6native31launch_logcumsumexp_cuda_kernelERKNSB_10TensorBaseESF_lENKUlvE_clEvENKUlvE0_clEvEUlffE_fEEDaPvRmT3_T4_T5_mT6_P12ihipStream_tbENKUlT_T0_E_clISt17integral_constantIbLb1EESW_EEDaSR_SS_EUlSR_E_NS1_11comp_targetILNS1_3genE2ELNS1_11target_archE906ELNS1_3gpuE6ELNS1_3repE0EEENS1_30default_config_static_selectorELNS0_4arch9wavefront6targetE0EEEvT1_,"axG",@progbits,_ZN7rocprim17ROCPRIM_400000_NS6detail17trampoline_kernelINS0_14default_configENS1_20scan_config_selectorIfEEZZNS1_9scan_implILNS1_25lookback_scan_determinismE0ELb0ELb0ES3_PKfPffZZZN2at6native31launch_logcumsumexp_cuda_kernelERKNSB_10TensorBaseESF_lENKUlvE_clEvENKUlvE0_clEvEUlffE_fEEDaPvRmT3_T4_T5_mT6_P12ihipStream_tbENKUlT_T0_E_clISt17integral_constantIbLb1EESW_EEDaSR_SS_EUlSR_E_NS1_11comp_targetILNS1_3genE2ELNS1_11target_archE906ELNS1_3gpuE6ELNS1_3repE0EEENS1_30default_config_static_selectorELNS0_4arch9wavefront6targetE0EEEvT1_,comdat
.Lfunc_end119:
	.size	_ZN7rocprim17ROCPRIM_400000_NS6detail17trampoline_kernelINS0_14default_configENS1_20scan_config_selectorIfEEZZNS1_9scan_implILNS1_25lookback_scan_determinismE0ELb0ELb0ES3_PKfPffZZZN2at6native31launch_logcumsumexp_cuda_kernelERKNSB_10TensorBaseESF_lENKUlvE_clEvENKUlvE0_clEvEUlffE_fEEDaPvRmT3_T4_T5_mT6_P12ihipStream_tbENKUlT_T0_E_clISt17integral_constantIbLb1EESW_EEDaSR_SS_EUlSR_E_NS1_11comp_targetILNS1_3genE2ELNS1_11target_archE906ELNS1_3gpuE6ELNS1_3repE0EEENS1_30default_config_static_selectorELNS0_4arch9wavefront6targetE0EEEvT1_, .Lfunc_end119-_ZN7rocprim17ROCPRIM_400000_NS6detail17trampoline_kernelINS0_14default_configENS1_20scan_config_selectorIfEEZZNS1_9scan_implILNS1_25lookback_scan_determinismE0ELb0ELb0ES3_PKfPffZZZN2at6native31launch_logcumsumexp_cuda_kernelERKNSB_10TensorBaseESF_lENKUlvE_clEvENKUlvE0_clEvEUlffE_fEEDaPvRmT3_T4_T5_mT6_P12ihipStream_tbENKUlT_T0_E_clISt17integral_constantIbLb1EESW_EEDaSR_SS_EUlSR_E_NS1_11comp_targetILNS1_3genE2ELNS1_11target_archE906ELNS1_3gpuE6ELNS1_3repE0EEENS1_30default_config_static_selectorELNS0_4arch9wavefront6targetE0EEEvT1_
                                        ; -- End function
	.set _ZN7rocprim17ROCPRIM_400000_NS6detail17trampoline_kernelINS0_14default_configENS1_20scan_config_selectorIfEEZZNS1_9scan_implILNS1_25lookback_scan_determinismE0ELb0ELb0ES3_PKfPffZZZN2at6native31launch_logcumsumexp_cuda_kernelERKNSB_10TensorBaseESF_lENKUlvE_clEvENKUlvE0_clEvEUlffE_fEEDaPvRmT3_T4_T5_mT6_P12ihipStream_tbENKUlT_T0_E_clISt17integral_constantIbLb1EESW_EEDaSR_SS_EUlSR_E_NS1_11comp_targetILNS1_3genE2ELNS1_11target_archE906ELNS1_3gpuE6ELNS1_3repE0EEENS1_30default_config_static_selectorELNS0_4arch9wavefront6targetE0EEEvT1_.num_vgpr, 0
	.set _ZN7rocprim17ROCPRIM_400000_NS6detail17trampoline_kernelINS0_14default_configENS1_20scan_config_selectorIfEEZZNS1_9scan_implILNS1_25lookback_scan_determinismE0ELb0ELb0ES3_PKfPffZZZN2at6native31launch_logcumsumexp_cuda_kernelERKNSB_10TensorBaseESF_lENKUlvE_clEvENKUlvE0_clEvEUlffE_fEEDaPvRmT3_T4_T5_mT6_P12ihipStream_tbENKUlT_T0_E_clISt17integral_constantIbLb1EESW_EEDaSR_SS_EUlSR_E_NS1_11comp_targetILNS1_3genE2ELNS1_11target_archE906ELNS1_3gpuE6ELNS1_3repE0EEENS1_30default_config_static_selectorELNS0_4arch9wavefront6targetE0EEEvT1_.num_agpr, 0
	.set _ZN7rocprim17ROCPRIM_400000_NS6detail17trampoline_kernelINS0_14default_configENS1_20scan_config_selectorIfEEZZNS1_9scan_implILNS1_25lookback_scan_determinismE0ELb0ELb0ES3_PKfPffZZZN2at6native31launch_logcumsumexp_cuda_kernelERKNSB_10TensorBaseESF_lENKUlvE_clEvENKUlvE0_clEvEUlffE_fEEDaPvRmT3_T4_T5_mT6_P12ihipStream_tbENKUlT_T0_E_clISt17integral_constantIbLb1EESW_EEDaSR_SS_EUlSR_E_NS1_11comp_targetILNS1_3genE2ELNS1_11target_archE906ELNS1_3gpuE6ELNS1_3repE0EEENS1_30default_config_static_selectorELNS0_4arch9wavefront6targetE0EEEvT1_.numbered_sgpr, 0
	.set _ZN7rocprim17ROCPRIM_400000_NS6detail17trampoline_kernelINS0_14default_configENS1_20scan_config_selectorIfEEZZNS1_9scan_implILNS1_25lookback_scan_determinismE0ELb0ELb0ES3_PKfPffZZZN2at6native31launch_logcumsumexp_cuda_kernelERKNSB_10TensorBaseESF_lENKUlvE_clEvENKUlvE0_clEvEUlffE_fEEDaPvRmT3_T4_T5_mT6_P12ihipStream_tbENKUlT_T0_E_clISt17integral_constantIbLb1EESW_EEDaSR_SS_EUlSR_E_NS1_11comp_targetILNS1_3genE2ELNS1_11target_archE906ELNS1_3gpuE6ELNS1_3repE0EEENS1_30default_config_static_selectorELNS0_4arch9wavefront6targetE0EEEvT1_.num_named_barrier, 0
	.set _ZN7rocprim17ROCPRIM_400000_NS6detail17trampoline_kernelINS0_14default_configENS1_20scan_config_selectorIfEEZZNS1_9scan_implILNS1_25lookback_scan_determinismE0ELb0ELb0ES3_PKfPffZZZN2at6native31launch_logcumsumexp_cuda_kernelERKNSB_10TensorBaseESF_lENKUlvE_clEvENKUlvE0_clEvEUlffE_fEEDaPvRmT3_T4_T5_mT6_P12ihipStream_tbENKUlT_T0_E_clISt17integral_constantIbLb1EESW_EEDaSR_SS_EUlSR_E_NS1_11comp_targetILNS1_3genE2ELNS1_11target_archE906ELNS1_3gpuE6ELNS1_3repE0EEENS1_30default_config_static_selectorELNS0_4arch9wavefront6targetE0EEEvT1_.private_seg_size, 0
	.set _ZN7rocprim17ROCPRIM_400000_NS6detail17trampoline_kernelINS0_14default_configENS1_20scan_config_selectorIfEEZZNS1_9scan_implILNS1_25lookback_scan_determinismE0ELb0ELb0ES3_PKfPffZZZN2at6native31launch_logcumsumexp_cuda_kernelERKNSB_10TensorBaseESF_lENKUlvE_clEvENKUlvE0_clEvEUlffE_fEEDaPvRmT3_T4_T5_mT6_P12ihipStream_tbENKUlT_T0_E_clISt17integral_constantIbLb1EESW_EEDaSR_SS_EUlSR_E_NS1_11comp_targetILNS1_3genE2ELNS1_11target_archE906ELNS1_3gpuE6ELNS1_3repE0EEENS1_30default_config_static_selectorELNS0_4arch9wavefront6targetE0EEEvT1_.uses_vcc, 0
	.set _ZN7rocprim17ROCPRIM_400000_NS6detail17trampoline_kernelINS0_14default_configENS1_20scan_config_selectorIfEEZZNS1_9scan_implILNS1_25lookback_scan_determinismE0ELb0ELb0ES3_PKfPffZZZN2at6native31launch_logcumsumexp_cuda_kernelERKNSB_10TensorBaseESF_lENKUlvE_clEvENKUlvE0_clEvEUlffE_fEEDaPvRmT3_T4_T5_mT6_P12ihipStream_tbENKUlT_T0_E_clISt17integral_constantIbLb1EESW_EEDaSR_SS_EUlSR_E_NS1_11comp_targetILNS1_3genE2ELNS1_11target_archE906ELNS1_3gpuE6ELNS1_3repE0EEENS1_30default_config_static_selectorELNS0_4arch9wavefront6targetE0EEEvT1_.uses_flat_scratch, 0
	.set _ZN7rocprim17ROCPRIM_400000_NS6detail17trampoline_kernelINS0_14default_configENS1_20scan_config_selectorIfEEZZNS1_9scan_implILNS1_25lookback_scan_determinismE0ELb0ELb0ES3_PKfPffZZZN2at6native31launch_logcumsumexp_cuda_kernelERKNSB_10TensorBaseESF_lENKUlvE_clEvENKUlvE0_clEvEUlffE_fEEDaPvRmT3_T4_T5_mT6_P12ihipStream_tbENKUlT_T0_E_clISt17integral_constantIbLb1EESW_EEDaSR_SS_EUlSR_E_NS1_11comp_targetILNS1_3genE2ELNS1_11target_archE906ELNS1_3gpuE6ELNS1_3repE0EEENS1_30default_config_static_selectorELNS0_4arch9wavefront6targetE0EEEvT1_.has_dyn_sized_stack, 0
	.set _ZN7rocprim17ROCPRIM_400000_NS6detail17trampoline_kernelINS0_14default_configENS1_20scan_config_selectorIfEEZZNS1_9scan_implILNS1_25lookback_scan_determinismE0ELb0ELb0ES3_PKfPffZZZN2at6native31launch_logcumsumexp_cuda_kernelERKNSB_10TensorBaseESF_lENKUlvE_clEvENKUlvE0_clEvEUlffE_fEEDaPvRmT3_T4_T5_mT6_P12ihipStream_tbENKUlT_T0_E_clISt17integral_constantIbLb1EESW_EEDaSR_SS_EUlSR_E_NS1_11comp_targetILNS1_3genE2ELNS1_11target_archE906ELNS1_3gpuE6ELNS1_3repE0EEENS1_30default_config_static_selectorELNS0_4arch9wavefront6targetE0EEEvT1_.has_recursion, 0
	.set _ZN7rocprim17ROCPRIM_400000_NS6detail17trampoline_kernelINS0_14default_configENS1_20scan_config_selectorIfEEZZNS1_9scan_implILNS1_25lookback_scan_determinismE0ELb0ELb0ES3_PKfPffZZZN2at6native31launch_logcumsumexp_cuda_kernelERKNSB_10TensorBaseESF_lENKUlvE_clEvENKUlvE0_clEvEUlffE_fEEDaPvRmT3_T4_T5_mT6_P12ihipStream_tbENKUlT_T0_E_clISt17integral_constantIbLb1EESW_EEDaSR_SS_EUlSR_E_NS1_11comp_targetILNS1_3genE2ELNS1_11target_archE906ELNS1_3gpuE6ELNS1_3repE0EEENS1_30default_config_static_selectorELNS0_4arch9wavefront6targetE0EEEvT1_.has_indirect_call, 0
	.section	.AMDGPU.csdata,"",@progbits
; Kernel info:
; codeLenInByte = 0
; TotalNumSgprs: 0
; NumVgprs: 0
; ScratchSize: 0
; MemoryBound: 0
; FloatMode: 240
; IeeeMode: 1
; LDSByteSize: 0 bytes/workgroup (compile time only)
; SGPRBlocks: 0
; VGPRBlocks: 0
; NumSGPRsForWavesPerEU: 1
; NumVGPRsForWavesPerEU: 1
; Occupancy: 16
; WaveLimiterHint : 0
; COMPUTE_PGM_RSRC2:SCRATCH_EN: 0
; COMPUTE_PGM_RSRC2:USER_SGPR: 2
; COMPUTE_PGM_RSRC2:TRAP_HANDLER: 0
; COMPUTE_PGM_RSRC2:TGID_X_EN: 1
; COMPUTE_PGM_RSRC2:TGID_Y_EN: 0
; COMPUTE_PGM_RSRC2:TGID_Z_EN: 0
; COMPUTE_PGM_RSRC2:TIDIG_COMP_CNT: 0
	.section	.text._ZN7rocprim17ROCPRIM_400000_NS6detail17trampoline_kernelINS0_14default_configENS1_20scan_config_selectorIfEEZZNS1_9scan_implILNS1_25lookback_scan_determinismE0ELb0ELb0ES3_PKfPffZZZN2at6native31launch_logcumsumexp_cuda_kernelERKNSB_10TensorBaseESF_lENKUlvE_clEvENKUlvE0_clEvEUlffE_fEEDaPvRmT3_T4_T5_mT6_P12ihipStream_tbENKUlT_T0_E_clISt17integral_constantIbLb1EESW_EEDaSR_SS_EUlSR_E_NS1_11comp_targetILNS1_3genE10ELNS1_11target_archE1201ELNS1_3gpuE5ELNS1_3repE0EEENS1_30default_config_static_selectorELNS0_4arch9wavefront6targetE0EEEvT1_,"axG",@progbits,_ZN7rocprim17ROCPRIM_400000_NS6detail17trampoline_kernelINS0_14default_configENS1_20scan_config_selectorIfEEZZNS1_9scan_implILNS1_25lookback_scan_determinismE0ELb0ELb0ES3_PKfPffZZZN2at6native31launch_logcumsumexp_cuda_kernelERKNSB_10TensorBaseESF_lENKUlvE_clEvENKUlvE0_clEvEUlffE_fEEDaPvRmT3_T4_T5_mT6_P12ihipStream_tbENKUlT_T0_E_clISt17integral_constantIbLb1EESW_EEDaSR_SS_EUlSR_E_NS1_11comp_targetILNS1_3genE10ELNS1_11target_archE1201ELNS1_3gpuE5ELNS1_3repE0EEENS1_30default_config_static_selectorELNS0_4arch9wavefront6targetE0EEEvT1_,comdat
	.globl	_ZN7rocprim17ROCPRIM_400000_NS6detail17trampoline_kernelINS0_14default_configENS1_20scan_config_selectorIfEEZZNS1_9scan_implILNS1_25lookback_scan_determinismE0ELb0ELb0ES3_PKfPffZZZN2at6native31launch_logcumsumexp_cuda_kernelERKNSB_10TensorBaseESF_lENKUlvE_clEvENKUlvE0_clEvEUlffE_fEEDaPvRmT3_T4_T5_mT6_P12ihipStream_tbENKUlT_T0_E_clISt17integral_constantIbLb1EESW_EEDaSR_SS_EUlSR_E_NS1_11comp_targetILNS1_3genE10ELNS1_11target_archE1201ELNS1_3gpuE5ELNS1_3repE0EEENS1_30default_config_static_selectorELNS0_4arch9wavefront6targetE0EEEvT1_ ; -- Begin function _ZN7rocprim17ROCPRIM_400000_NS6detail17trampoline_kernelINS0_14default_configENS1_20scan_config_selectorIfEEZZNS1_9scan_implILNS1_25lookback_scan_determinismE0ELb0ELb0ES3_PKfPffZZZN2at6native31launch_logcumsumexp_cuda_kernelERKNSB_10TensorBaseESF_lENKUlvE_clEvENKUlvE0_clEvEUlffE_fEEDaPvRmT3_T4_T5_mT6_P12ihipStream_tbENKUlT_T0_E_clISt17integral_constantIbLb1EESW_EEDaSR_SS_EUlSR_E_NS1_11comp_targetILNS1_3genE10ELNS1_11target_archE1201ELNS1_3gpuE5ELNS1_3repE0EEENS1_30default_config_static_selectorELNS0_4arch9wavefront6targetE0EEEvT1_
	.p2align	8
	.type	_ZN7rocprim17ROCPRIM_400000_NS6detail17trampoline_kernelINS0_14default_configENS1_20scan_config_selectorIfEEZZNS1_9scan_implILNS1_25lookback_scan_determinismE0ELb0ELb0ES3_PKfPffZZZN2at6native31launch_logcumsumexp_cuda_kernelERKNSB_10TensorBaseESF_lENKUlvE_clEvENKUlvE0_clEvEUlffE_fEEDaPvRmT3_T4_T5_mT6_P12ihipStream_tbENKUlT_T0_E_clISt17integral_constantIbLb1EESW_EEDaSR_SS_EUlSR_E_NS1_11comp_targetILNS1_3genE10ELNS1_11target_archE1201ELNS1_3gpuE5ELNS1_3repE0EEENS1_30default_config_static_selectorELNS0_4arch9wavefront6targetE0EEEvT1_,@function
_ZN7rocprim17ROCPRIM_400000_NS6detail17trampoline_kernelINS0_14default_configENS1_20scan_config_selectorIfEEZZNS1_9scan_implILNS1_25lookback_scan_determinismE0ELb0ELb0ES3_PKfPffZZZN2at6native31launch_logcumsumexp_cuda_kernelERKNSB_10TensorBaseESF_lENKUlvE_clEvENKUlvE0_clEvEUlffE_fEEDaPvRmT3_T4_T5_mT6_P12ihipStream_tbENKUlT_T0_E_clISt17integral_constantIbLb1EESW_EEDaSR_SS_EUlSR_E_NS1_11comp_targetILNS1_3genE10ELNS1_11target_archE1201ELNS1_3gpuE5ELNS1_3repE0EEENS1_30default_config_static_selectorELNS0_4arch9wavefront6targetE0EEEvT1_: ; @_ZN7rocprim17ROCPRIM_400000_NS6detail17trampoline_kernelINS0_14default_configENS1_20scan_config_selectorIfEEZZNS1_9scan_implILNS1_25lookback_scan_determinismE0ELb0ELb0ES3_PKfPffZZZN2at6native31launch_logcumsumexp_cuda_kernelERKNSB_10TensorBaseESF_lENKUlvE_clEvENKUlvE0_clEvEUlffE_fEEDaPvRmT3_T4_T5_mT6_P12ihipStream_tbENKUlT_T0_E_clISt17integral_constantIbLb1EESW_EEDaSR_SS_EUlSR_E_NS1_11comp_targetILNS1_3genE10ELNS1_11target_archE1201ELNS1_3gpuE5ELNS1_3repE0EEENS1_30default_config_static_selectorELNS0_4arch9wavefront6targetE0EEEvT1_
; %bb.0:
	s_endpgm
	.section	.rodata,"a",@progbits
	.p2align	6, 0x0
	.amdhsa_kernel _ZN7rocprim17ROCPRIM_400000_NS6detail17trampoline_kernelINS0_14default_configENS1_20scan_config_selectorIfEEZZNS1_9scan_implILNS1_25lookback_scan_determinismE0ELb0ELb0ES3_PKfPffZZZN2at6native31launch_logcumsumexp_cuda_kernelERKNSB_10TensorBaseESF_lENKUlvE_clEvENKUlvE0_clEvEUlffE_fEEDaPvRmT3_T4_T5_mT6_P12ihipStream_tbENKUlT_T0_E_clISt17integral_constantIbLb1EESW_EEDaSR_SS_EUlSR_E_NS1_11comp_targetILNS1_3genE10ELNS1_11target_archE1201ELNS1_3gpuE5ELNS1_3repE0EEENS1_30default_config_static_selectorELNS0_4arch9wavefront6targetE0EEEvT1_
		.amdhsa_group_segment_fixed_size 0
		.amdhsa_private_segment_fixed_size 0
		.amdhsa_kernarg_size 96
		.amdhsa_user_sgpr_count 2
		.amdhsa_user_sgpr_dispatch_ptr 0
		.amdhsa_user_sgpr_queue_ptr 0
		.amdhsa_user_sgpr_kernarg_segment_ptr 1
		.amdhsa_user_sgpr_dispatch_id 0
		.amdhsa_user_sgpr_private_segment_size 0
		.amdhsa_wavefront_size32 1
		.amdhsa_uses_dynamic_stack 0
		.amdhsa_enable_private_segment 0
		.amdhsa_system_sgpr_workgroup_id_x 1
		.amdhsa_system_sgpr_workgroup_id_y 0
		.amdhsa_system_sgpr_workgroup_id_z 0
		.amdhsa_system_sgpr_workgroup_info 0
		.amdhsa_system_vgpr_workitem_id 0
		.amdhsa_next_free_vgpr 1
		.amdhsa_next_free_sgpr 1
		.amdhsa_reserve_vcc 0
		.amdhsa_float_round_mode_32 0
		.amdhsa_float_round_mode_16_64 0
		.amdhsa_float_denorm_mode_32 3
		.amdhsa_float_denorm_mode_16_64 3
		.amdhsa_fp16_overflow 0
		.amdhsa_workgroup_processor_mode 1
		.amdhsa_memory_ordered 1
		.amdhsa_forward_progress 1
		.amdhsa_inst_pref_size 1
		.amdhsa_round_robin_scheduling 0
		.amdhsa_exception_fp_ieee_invalid_op 0
		.amdhsa_exception_fp_denorm_src 0
		.amdhsa_exception_fp_ieee_div_zero 0
		.amdhsa_exception_fp_ieee_overflow 0
		.amdhsa_exception_fp_ieee_underflow 0
		.amdhsa_exception_fp_ieee_inexact 0
		.amdhsa_exception_int_div_zero 0
	.end_amdhsa_kernel
	.section	.text._ZN7rocprim17ROCPRIM_400000_NS6detail17trampoline_kernelINS0_14default_configENS1_20scan_config_selectorIfEEZZNS1_9scan_implILNS1_25lookback_scan_determinismE0ELb0ELb0ES3_PKfPffZZZN2at6native31launch_logcumsumexp_cuda_kernelERKNSB_10TensorBaseESF_lENKUlvE_clEvENKUlvE0_clEvEUlffE_fEEDaPvRmT3_T4_T5_mT6_P12ihipStream_tbENKUlT_T0_E_clISt17integral_constantIbLb1EESW_EEDaSR_SS_EUlSR_E_NS1_11comp_targetILNS1_3genE10ELNS1_11target_archE1201ELNS1_3gpuE5ELNS1_3repE0EEENS1_30default_config_static_selectorELNS0_4arch9wavefront6targetE0EEEvT1_,"axG",@progbits,_ZN7rocprim17ROCPRIM_400000_NS6detail17trampoline_kernelINS0_14default_configENS1_20scan_config_selectorIfEEZZNS1_9scan_implILNS1_25lookback_scan_determinismE0ELb0ELb0ES3_PKfPffZZZN2at6native31launch_logcumsumexp_cuda_kernelERKNSB_10TensorBaseESF_lENKUlvE_clEvENKUlvE0_clEvEUlffE_fEEDaPvRmT3_T4_T5_mT6_P12ihipStream_tbENKUlT_T0_E_clISt17integral_constantIbLb1EESW_EEDaSR_SS_EUlSR_E_NS1_11comp_targetILNS1_3genE10ELNS1_11target_archE1201ELNS1_3gpuE5ELNS1_3repE0EEENS1_30default_config_static_selectorELNS0_4arch9wavefront6targetE0EEEvT1_,comdat
.Lfunc_end120:
	.size	_ZN7rocprim17ROCPRIM_400000_NS6detail17trampoline_kernelINS0_14default_configENS1_20scan_config_selectorIfEEZZNS1_9scan_implILNS1_25lookback_scan_determinismE0ELb0ELb0ES3_PKfPffZZZN2at6native31launch_logcumsumexp_cuda_kernelERKNSB_10TensorBaseESF_lENKUlvE_clEvENKUlvE0_clEvEUlffE_fEEDaPvRmT3_T4_T5_mT6_P12ihipStream_tbENKUlT_T0_E_clISt17integral_constantIbLb1EESW_EEDaSR_SS_EUlSR_E_NS1_11comp_targetILNS1_3genE10ELNS1_11target_archE1201ELNS1_3gpuE5ELNS1_3repE0EEENS1_30default_config_static_selectorELNS0_4arch9wavefront6targetE0EEEvT1_, .Lfunc_end120-_ZN7rocprim17ROCPRIM_400000_NS6detail17trampoline_kernelINS0_14default_configENS1_20scan_config_selectorIfEEZZNS1_9scan_implILNS1_25lookback_scan_determinismE0ELb0ELb0ES3_PKfPffZZZN2at6native31launch_logcumsumexp_cuda_kernelERKNSB_10TensorBaseESF_lENKUlvE_clEvENKUlvE0_clEvEUlffE_fEEDaPvRmT3_T4_T5_mT6_P12ihipStream_tbENKUlT_T0_E_clISt17integral_constantIbLb1EESW_EEDaSR_SS_EUlSR_E_NS1_11comp_targetILNS1_3genE10ELNS1_11target_archE1201ELNS1_3gpuE5ELNS1_3repE0EEENS1_30default_config_static_selectorELNS0_4arch9wavefront6targetE0EEEvT1_
                                        ; -- End function
	.set _ZN7rocprim17ROCPRIM_400000_NS6detail17trampoline_kernelINS0_14default_configENS1_20scan_config_selectorIfEEZZNS1_9scan_implILNS1_25lookback_scan_determinismE0ELb0ELb0ES3_PKfPffZZZN2at6native31launch_logcumsumexp_cuda_kernelERKNSB_10TensorBaseESF_lENKUlvE_clEvENKUlvE0_clEvEUlffE_fEEDaPvRmT3_T4_T5_mT6_P12ihipStream_tbENKUlT_T0_E_clISt17integral_constantIbLb1EESW_EEDaSR_SS_EUlSR_E_NS1_11comp_targetILNS1_3genE10ELNS1_11target_archE1201ELNS1_3gpuE5ELNS1_3repE0EEENS1_30default_config_static_selectorELNS0_4arch9wavefront6targetE0EEEvT1_.num_vgpr, 0
	.set _ZN7rocprim17ROCPRIM_400000_NS6detail17trampoline_kernelINS0_14default_configENS1_20scan_config_selectorIfEEZZNS1_9scan_implILNS1_25lookback_scan_determinismE0ELb0ELb0ES3_PKfPffZZZN2at6native31launch_logcumsumexp_cuda_kernelERKNSB_10TensorBaseESF_lENKUlvE_clEvENKUlvE0_clEvEUlffE_fEEDaPvRmT3_T4_T5_mT6_P12ihipStream_tbENKUlT_T0_E_clISt17integral_constantIbLb1EESW_EEDaSR_SS_EUlSR_E_NS1_11comp_targetILNS1_3genE10ELNS1_11target_archE1201ELNS1_3gpuE5ELNS1_3repE0EEENS1_30default_config_static_selectorELNS0_4arch9wavefront6targetE0EEEvT1_.num_agpr, 0
	.set _ZN7rocprim17ROCPRIM_400000_NS6detail17trampoline_kernelINS0_14default_configENS1_20scan_config_selectorIfEEZZNS1_9scan_implILNS1_25lookback_scan_determinismE0ELb0ELb0ES3_PKfPffZZZN2at6native31launch_logcumsumexp_cuda_kernelERKNSB_10TensorBaseESF_lENKUlvE_clEvENKUlvE0_clEvEUlffE_fEEDaPvRmT3_T4_T5_mT6_P12ihipStream_tbENKUlT_T0_E_clISt17integral_constantIbLb1EESW_EEDaSR_SS_EUlSR_E_NS1_11comp_targetILNS1_3genE10ELNS1_11target_archE1201ELNS1_3gpuE5ELNS1_3repE0EEENS1_30default_config_static_selectorELNS0_4arch9wavefront6targetE0EEEvT1_.numbered_sgpr, 0
	.set _ZN7rocprim17ROCPRIM_400000_NS6detail17trampoline_kernelINS0_14default_configENS1_20scan_config_selectorIfEEZZNS1_9scan_implILNS1_25lookback_scan_determinismE0ELb0ELb0ES3_PKfPffZZZN2at6native31launch_logcumsumexp_cuda_kernelERKNSB_10TensorBaseESF_lENKUlvE_clEvENKUlvE0_clEvEUlffE_fEEDaPvRmT3_T4_T5_mT6_P12ihipStream_tbENKUlT_T0_E_clISt17integral_constantIbLb1EESW_EEDaSR_SS_EUlSR_E_NS1_11comp_targetILNS1_3genE10ELNS1_11target_archE1201ELNS1_3gpuE5ELNS1_3repE0EEENS1_30default_config_static_selectorELNS0_4arch9wavefront6targetE0EEEvT1_.num_named_barrier, 0
	.set _ZN7rocprim17ROCPRIM_400000_NS6detail17trampoline_kernelINS0_14default_configENS1_20scan_config_selectorIfEEZZNS1_9scan_implILNS1_25lookback_scan_determinismE0ELb0ELb0ES3_PKfPffZZZN2at6native31launch_logcumsumexp_cuda_kernelERKNSB_10TensorBaseESF_lENKUlvE_clEvENKUlvE0_clEvEUlffE_fEEDaPvRmT3_T4_T5_mT6_P12ihipStream_tbENKUlT_T0_E_clISt17integral_constantIbLb1EESW_EEDaSR_SS_EUlSR_E_NS1_11comp_targetILNS1_3genE10ELNS1_11target_archE1201ELNS1_3gpuE5ELNS1_3repE0EEENS1_30default_config_static_selectorELNS0_4arch9wavefront6targetE0EEEvT1_.private_seg_size, 0
	.set _ZN7rocprim17ROCPRIM_400000_NS6detail17trampoline_kernelINS0_14default_configENS1_20scan_config_selectorIfEEZZNS1_9scan_implILNS1_25lookback_scan_determinismE0ELb0ELb0ES3_PKfPffZZZN2at6native31launch_logcumsumexp_cuda_kernelERKNSB_10TensorBaseESF_lENKUlvE_clEvENKUlvE0_clEvEUlffE_fEEDaPvRmT3_T4_T5_mT6_P12ihipStream_tbENKUlT_T0_E_clISt17integral_constantIbLb1EESW_EEDaSR_SS_EUlSR_E_NS1_11comp_targetILNS1_3genE10ELNS1_11target_archE1201ELNS1_3gpuE5ELNS1_3repE0EEENS1_30default_config_static_selectorELNS0_4arch9wavefront6targetE0EEEvT1_.uses_vcc, 0
	.set _ZN7rocprim17ROCPRIM_400000_NS6detail17trampoline_kernelINS0_14default_configENS1_20scan_config_selectorIfEEZZNS1_9scan_implILNS1_25lookback_scan_determinismE0ELb0ELb0ES3_PKfPffZZZN2at6native31launch_logcumsumexp_cuda_kernelERKNSB_10TensorBaseESF_lENKUlvE_clEvENKUlvE0_clEvEUlffE_fEEDaPvRmT3_T4_T5_mT6_P12ihipStream_tbENKUlT_T0_E_clISt17integral_constantIbLb1EESW_EEDaSR_SS_EUlSR_E_NS1_11comp_targetILNS1_3genE10ELNS1_11target_archE1201ELNS1_3gpuE5ELNS1_3repE0EEENS1_30default_config_static_selectorELNS0_4arch9wavefront6targetE0EEEvT1_.uses_flat_scratch, 0
	.set _ZN7rocprim17ROCPRIM_400000_NS6detail17trampoline_kernelINS0_14default_configENS1_20scan_config_selectorIfEEZZNS1_9scan_implILNS1_25lookback_scan_determinismE0ELb0ELb0ES3_PKfPffZZZN2at6native31launch_logcumsumexp_cuda_kernelERKNSB_10TensorBaseESF_lENKUlvE_clEvENKUlvE0_clEvEUlffE_fEEDaPvRmT3_T4_T5_mT6_P12ihipStream_tbENKUlT_T0_E_clISt17integral_constantIbLb1EESW_EEDaSR_SS_EUlSR_E_NS1_11comp_targetILNS1_3genE10ELNS1_11target_archE1201ELNS1_3gpuE5ELNS1_3repE0EEENS1_30default_config_static_selectorELNS0_4arch9wavefront6targetE0EEEvT1_.has_dyn_sized_stack, 0
	.set _ZN7rocprim17ROCPRIM_400000_NS6detail17trampoline_kernelINS0_14default_configENS1_20scan_config_selectorIfEEZZNS1_9scan_implILNS1_25lookback_scan_determinismE0ELb0ELb0ES3_PKfPffZZZN2at6native31launch_logcumsumexp_cuda_kernelERKNSB_10TensorBaseESF_lENKUlvE_clEvENKUlvE0_clEvEUlffE_fEEDaPvRmT3_T4_T5_mT6_P12ihipStream_tbENKUlT_T0_E_clISt17integral_constantIbLb1EESW_EEDaSR_SS_EUlSR_E_NS1_11comp_targetILNS1_3genE10ELNS1_11target_archE1201ELNS1_3gpuE5ELNS1_3repE0EEENS1_30default_config_static_selectorELNS0_4arch9wavefront6targetE0EEEvT1_.has_recursion, 0
	.set _ZN7rocprim17ROCPRIM_400000_NS6detail17trampoline_kernelINS0_14default_configENS1_20scan_config_selectorIfEEZZNS1_9scan_implILNS1_25lookback_scan_determinismE0ELb0ELb0ES3_PKfPffZZZN2at6native31launch_logcumsumexp_cuda_kernelERKNSB_10TensorBaseESF_lENKUlvE_clEvENKUlvE0_clEvEUlffE_fEEDaPvRmT3_T4_T5_mT6_P12ihipStream_tbENKUlT_T0_E_clISt17integral_constantIbLb1EESW_EEDaSR_SS_EUlSR_E_NS1_11comp_targetILNS1_3genE10ELNS1_11target_archE1201ELNS1_3gpuE5ELNS1_3repE0EEENS1_30default_config_static_selectorELNS0_4arch9wavefront6targetE0EEEvT1_.has_indirect_call, 0
	.section	.AMDGPU.csdata,"",@progbits
; Kernel info:
; codeLenInByte = 4
; TotalNumSgprs: 0
; NumVgprs: 0
; ScratchSize: 0
; MemoryBound: 0
; FloatMode: 240
; IeeeMode: 1
; LDSByteSize: 0 bytes/workgroup (compile time only)
; SGPRBlocks: 0
; VGPRBlocks: 0
; NumSGPRsForWavesPerEU: 1
; NumVGPRsForWavesPerEU: 1
; Occupancy: 16
; WaveLimiterHint : 0
; COMPUTE_PGM_RSRC2:SCRATCH_EN: 0
; COMPUTE_PGM_RSRC2:USER_SGPR: 2
; COMPUTE_PGM_RSRC2:TRAP_HANDLER: 0
; COMPUTE_PGM_RSRC2:TGID_X_EN: 1
; COMPUTE_PGM_RSRC2:TGID_Y_EN: 0
; COMPUTE_PGM_RSRC2:TGID_Z_EN: 0
; COMPUTE_PGM_RSRC2:TIDIG_COMP_CNT: 0
	.section	.text._ZN7rocprim17ROCPRIM_400000_NS6detail17trampoline_kernelINS0_14default_configENS1_20scan_config_selectorIfEEZZNS1_9scan_implILNS1_25lookback_scan_determinismE0ELb0ELb0ES3_PKfPffZZZN2at6native31launch_logcumsumexp_cuda_kernelERKNSB_10TensorBaseESF_lENKUlvE_clEvENKUlvE0_clEvEUlffE_fEEDaPvRmT3_T4_T5_mT6_P12ihipStream_tbENKUlT_T0_E_clISt17integral_constantIbLb1EESW_EEDaSR_SS_EUlSR_E_NS1_11comp_targetILNS1_3genE10ELNS1_11target_archE1200ELNS1_3gpuE4ELNS1_3repE0EEENS1_30default_config_static_selectorELNS0_4arch9wavefront6targetE0EEEvT1_,"axG",@progbits,_ZN7rocprim17ROCPRIM_400000_NS6detail17trampoline_kernelINS0_14default_configENS1_20scan_config_selectorIfEEZZNS1_9scan_implILNS1_25lookback_scan_determinismE0ELb0ELb0ES3_PKfPffZZZN2at6native31launch_logcumsumexp_cuda_kernelERKNSB_10TensorBaseESF_lENKUlvE_clEvENKUlvE0_clEvEUlffE_fEEDaPvRmT3_T4_T5_mT6_P12ihipStream_tbENKUlT_T0_E_clISt17integral_constantIbLb1EESW_EEDaSR_SS_EUlSR_E_NS1_11comp_targetILNS1_3genE10ELNS1_11target_archE1200ELNS1_3gpuE4ELNS1_3repE0EEENS1_30default_config_static_selectorELNS0_4arch9wavefront6targetE0EEEvT1_,comdat
	.globl	_ZN7rocprim17ROCPRIM_400000_NS6detail17trampoline_kernelINS0_14default_configENS1_20scan_config_selectorIfEEZZNS1_9scan_implILNS1_25lookback_scan_determinismE0ELb0ELb0ES3_PKfPffZZZN2at6native31launch_logcumsumexp_cuda_kernelERKNSB_10TensorBaseESF_lENKUlvE_clEvENKUlvE0_clEvEUlffE_fEEDaPvRmT3_T4_T5_mT6_P12ihipStream_tbENKUlT_T0_E_clISt17integral_constantIbLb1EESW_EEDaSR_SS_EUlSR_E_NS1_11comp_targetILNS1_3genE10ELNS1_11target_archE1200ELNS1_3gpuE4ELNS1_3repE0EEENS1_30default_config_static_selectorELNS0_4arch9wavefront6targetE0EEEvT1_ ; -- Begin function _ZN7rocprim17ROCPRIM_400000_NS6detail17trampoline_kernelINS0_14default_configENS1_20scan_config_selectorIfEEZZNS1_9scan_implILNS1_25lookback_scan_determinismE0ELb0ELb0ES3_PKfPffZZZN2at6native31launch_logcumsumexp_cuda_kernelERKNSB_10TensorBaseESF_lENKUlvE_clEvENKUlvE0_clEvEUlffE_fEEDaPvRmT3_T4_T5_mT6_P12ihipStream_tbENKUlT_T0_E_clISt17integral_constantIbLb1EESW_EEDaSR_SS_EUlSR_E_NS1_11comp_targetILNS1_3genE10ELNS1_11target_archE1200ELNS1_3gpuE4ELNS1_3repE0EEENS1_30default_config_static_selectorELNS0_4arch9wavefront6targetE0EEEvT1_
	.p2align	8
	.type	_ZN7rocprim17ROCPRIM_400000_NS6detail17trampoline_kernelINS0_14default_configENS1_20scan_config_selectorIfEEZZNS1_9scan_implILNS1_25lookback_scan_determinismE0ELb0ELb0ES3_PKfPffZZZN2at6native31launch_logcumsumexp_cuda_kernelERKNSB_10TensorBaseESF_lENKUlvE_clEvENKUlvE0_clEvEUlffE_fEEDaPvRmT3_T4_T5_mT6_P12ihipStream_tbENKUlT_T0_E_clISt17integral_constantIbLb1EESW_EEDaSR_SS_EUlSR_E_NS1_11comp_targetILNS1_3genE10ELNS1_11target_archE1200ELNS1_3gpuE4ELNS1_3repE0EEENS1_30default_config_static_selectorELNS0_4arch9wavefront6targetE0EEEvT1_,@function
_ZN7rocprim17ROCPRIM_400000_NS6detail17trampoline_kernelINS0_14default_configENS1_20scan_config_selectorIfEEZZNS1_9scan_implILNS1_25lookback_scan_determinismE0ELb0ELb0ES3_PKfPffZZZN2at6native31launch_logcumsumexp_cuda_kernelERKNSB_10TensorBaseESF_lENKUlvE_clEvENKUlvE0_clEvEUlffE_fEEDaPvRmT3_T4_T5_mT6_P12ihipStream_tbENKUlT_T0_E_clISt17integral_constantIbLb1EESW_EEDaSR_SS_EUlSR_E_NS1_11comp_targetILNS1_3genE10ELNS1_11target_archE1200ELNS1_3gpuE4ELNS1_3repE0EEENS1_30default_config_static_selectorELNS0_4arch9wavefront6targetE0EEEvT1_: ; @_ZN7rocprim17ROCPRIM_400000_NS6detail17trampoline_kernelINS0_14default_configENS1_20scan_config_selectorIfEEZZNS1_9scan_implILNS1_25lookback_scan_determinismE0ELb0ELb0ES3_PKfPffZZZN2at6native31launch_logcumsumexp_cuda_kernelERKNSB_10TensorBaseESF_lENKUlvE_clEvENKUlvE0_clEvEUlffE_fEEDaPvRmT3_T4_T5_mT6_P12ihipStream_tbENKUlT_T0_E_clISt17integral_constantIbLb1EESW_EEDaSR_SS_EUlSR_E_NS1_11comp_targetILNS1_3genE10ELNS1_11target_archE1200ELNS1_3gpuE4ELNS1_3repE0EEENS1_30default_config_static_selectorELNS0_4arch9wavefront6targetE0EEEvT1_
; %bb.0:
	.section	.rodata,"a",@progbits
	.p2align	6, 0x0
	.amdhsa_kernel _ZN7rocprim17ROCPRIM_400000_NS6detail17trampoline_kernelINS0_14default_configENS1_20scan_config_selectorIfEEZZNS1_9scan_implILNS1_25lookback_scan_determinismE0ELb0ELb0ES3_PKfPffZZZN2at6native31launch_logcumsumexp_cuda_kernelERKNSB_10TensorBaseESF_lENKUlvE_clEvENKUlvE0_clEvEUlffE_fEEDaPvRmT3_T4_T5_mT6_P12ihipStream_tbENKUlT_T0_E_clISt17integral_constantIbLb1EESW_EEDaSR_SS_EUlSR_E_NS1_11comp_targetILNS1_3genE10ELNS1_11target_archE1200ELNS1_3gpuE4ELNS1_3repE0EEENS1_30default_config_static_selectorELNS0_4arch9wavefront6targetE0EEEvT1_
		.amdhsa_group_segment_fixed_size 0
		.amdhsa_private_segment_fixed_size 0
		.amdhsa_kernarg_size 96
		.amdhsa_user_sgpr_count 2
		.amdhsa_user_sgpr_dispatch_ptr 0
		.amdhsa_user_sgpr_queue_ptr 0
		.amdhsa_user_sgpr_kernarg_segment_ptr 1
		.amdhsa_user_sgpr_dispatch_id 0
		.amdhsa_user_sgpr_private_segment_size 0
		.amdhsa_wavefront_size32 1
		.amdhsa_uses_dynamic_stack 0
		.amdhsa_enable_private_segment 0
		.amdhsa_system_sgpr_workgroup_id_x 1
		.amdhsa_system_sgpr_workgroup_id_y 0
		.amdhsa_system_sgpr_workgroup_id_z 0
		.amdhsa_system_sgpr_workgroup_info 0
		.amdhsa_system_vgpr_workitem_id 0
		.amdhsa_next_free_vgpr 1
		.amdhsa_next_free_sgpr 1
		.amdhsa_reserve_vcc 0
		.amdhsa_float_round_mode_32 0
		.amdhsa_float_round_mode_16_64 0
		.amdhsa_float_denorm_mode_32 3
		.amdhsa_float_denorm_mode_16_64 3
		.amdhsa_fp16_overflow 0
		.amdhsa_workgroup_processor_mode 1
		.amdhsa_memory_ordered 1
		.amdhsa_forward_progress 1
		.amdhsa_inst_pref_size 0
		.amdhsa_round_robin_scheduling 0
		.amdhsa_exception_fp_ieee_invalid_op 0
		.amdhsa_exception_fp_denorm_src 0
		.amdhsa_exception_fp_ieee_div_zero 0
		.amdhsa_exception_fp_ieee_overflow 0
		.amdhsa_exception_fp_ieee_underflow 0
		.amdhsa_exception_fp_ieee_inexact 0
		.amdhsa_exception_int_div_zero 0
	.end_amdhsa_kernel
	.section	.text._ZN7rocprim17ROCPRIM_400000_NS6detail17trampoline_kernelINS0_14default_configENS1_20scan_config_selectorIfEEZZNS1_9scan_implILNS1_25lookback_scan_determinismE0ELb0ELb0ES3_PKfPffZZZN2at6native31launch_logcumsumexp_cuda_kernelERKNSB_10TensorBaseESF_lENKUlvE_clEvENKUlvE0_clEvEUlffE_fEEDaPvRmT3_T4_T5_mT6_P12ihipStream_tbENKUlT_T0_E_clISt17integral_constantIbLb1EESW_EEDaSR_SS_EUlSR_E_NS1_11comp_targetILNS1_3genE10ELNS1_11target_archE1200ELNS1_3gpuE4ELNS1_3repE0EEENS1_30default_config_static_selectorELNS0_4arch9wavefront6targetE0EEEvT1_,"axG",@progbits,_ZN7rocprim17ROCPRIM_400000_NS6detail17trampoline_kernelINS0_14default_configENS1_20scan_config_selectorIfEEZZNS1_9scan_implILNS1_25lookback_scan_determinismE0ELb0ELb0ES3_PKfPffZZZN2at6native31launch_logcumsumexp_cuda_kernelERKNSB_10TensorBaseESF_lENKUlvE_clEvENKUlvE0_clEvEUlffE_fEEDaPvRmT3_T4_T5_mT6_P12ihipStream_tbENKUlT_T0_E_clISt17integral_constantIbLb1EESW_EEDaSR_SS_EUlSR_E_NS1_11comp_targetILNS1_3genE10ELNS1_11target_archE1200ELNS1_3gpuE4ELNS1_3repE0EEENS1_30default_config_static_selectorELNS0_4arch9wavefront6targetE0EEEvT1_,comdat
.Lfunc_end121:
	.size	_ZN7rocprim17ROCPRIM_400000_NS6detail17trampoline_kernelINS0_14default_configENS1_20scan_config_selectorIfEEZZNS1_9scan_implILNS1_25lookback_scan_determinismE0ELb0ELb0ES3_PKfPffZZZN2at6native31launch_logcumsumexp_cuda_kernelERKNSB_10TensorBaseESF_lENKUlvE_clEvENKUlvE0_clEvEUlffE_fEEDaPvRmT3_T4_T5_mT6_P12ihipStream_tbENKUlT_T0_E_clISt17integral_constantIbLb1EESW_EEDaSR_SS_EUlSR_E_NS1_11comp_targetILNS1_3genE10ELNS1_11target_archE1200ELNS1_3gpuE4ELNS1_3repE0EEENS1_30default_config_static_selectorELNS0_4arch9wavefront6targetE0EEEvT1_, .Lfunc_end121-_ZN7rocprim17ROCPRIM_400000_NS6detail17trampoline_kernelINS0_14default_configENS1_20scan_config_selectorIfEEZZNS1_9scan_implILNS1_25lookback_scan_determinismE0ELb0ELb0ES3_PKfPffZZZN2at6native31launch_logcumsumexp_cuda_kernelERKNSB_10TensorBaseESF_lENKUlvE_clEvENKUlvE0_clEvEUlffE_fEEDaPvRmT3_T4_T5_mT6_P12ihipStream_tbENKUlT_T0_E_clISt17integral_constantIbLb1EESW_EEDaSR_SS_EUlSR_E_NS1_11comp_targetILNS1_3genE10ELNS1_11target_archE1200ELNS1_3gpuE4ELNS1_3repE0EEENS1_30default_config_static_selectorELNS0_4arch9wavefront6targetE0EEEvT1_
                                        ; -- End function
	.set _ZN7rocprim17ROCPRIM_400000_NS6detail17trampoline_kernelINS0_14default_configENS1_20scan_config_selectorIfEEZZNS1_9scan_implILNS1_25lookback_scan_determinismE0ELb0ELb0ES3_PKfPffZZZN2at6native31launch_logcumsumexp_cuda_kernelERKNSB_10TensorBaseESF_lENKUlvE_clEvENKUlvE0_clEvEUlffE_fEEDaPvRmT3_T4_T5_mT6_P12ihipStream_tbENKUlT_T0_E_clISt17integral_constantIbLb1EESW_EEDaSR_SS_EUlSR_E_NS1_11comp_targetILNS1_3genE10ELNS1_11target_archE1200ELNS1_3gpuE4ELNS1_3repE0EEENS1_30default_config_static_selectorELNS0_4arch9wavefront6targetE0EEEvT1_.num_vgpr, 0
	.set _ZN7rocprim17ROCPRIM_400000_NS6detail17trampoline_kernelINS0_14default_configENS1_20scan_config_selectorIfEEZZNS1_9scan_implILNS1_25lookback_scan_determinismE0ELb0ELb0ES3_PKfPffZZZN2at6native31launch_logcumsumexp_cuda_kernelERKNSB_10TensorBaseESF_lENKUlvE_clEvENKUlvE0_clEvEUlffE_fEEDaPvRmT3_T4_T5_mT6_P12ihipStream_tbENKUlT_T0_E_clISt17integral_constantIbLb1EESW_EEDaSR_SS_EUlSR_E_NS1_11comp_targetILNS1_3genE10ELNS1_11target_archE1200ELNS1_3gpuE4ELNS1_3repE0EEENS1_30default_config_static_selectorELNS0_4arch9wavefront6targetE0EEEvT1_.num_agpr, 0
	.set _ZN7rocprim17ROCPRIM_400000_NS6detail17trampoline_kernelINS0_14default_configENS1_20scan_config_selectorIfEEZZNS1_9scan_implILNS1_25lookback_scan_determinismE0ELb0ELb0ES3_PKfPffZZZN2at6native31launch_logcumsumexp_cuda_kernelERKNSB_10TensorBaseESF_lENKUlvE_clEvENKUlvE0_clEvEUlffE_fEEDaPvRmT3_T4_T5_mT6_P12ihipStream_tbENKUlT_T0_E_clISt17integral_constantIbLb1EESW_EEDaSR_SS_EUlSR_E_NS1_11comp_targetILNS1_3genE10ELNS1_11target_archE1200ELNS1_3gpuE4ELNS1_3repE0EEENS1_30default_config_static_selectorELNS0_4arch9wavefront6targetE0EEEvT1_.numbered_sgpr, 0
	.set _ZN7rocprim17ROCPRIM_400000_NS6detail17trampoline_kernelINS0_14default_configENS1_20scan_config_selectorIfEEZZNS1_9scan_implILNS1_25lookback_scan_determinismE0ELb0ELb0ES3_PKfPffZZZN2at6native31launch_logcumsumexp_cuda_kernelERKNSB_10TensorBaseESF_lENKUlvE_clEvENKUlvE0_clEvEUlffE_fEEDaPvRmT3_T4_T5_mT6_P12ihipStream_tbENKUlT_T0_E_clISt17integral_constantIbLb1EESW_EEDaSR_SS_EUlSR_E_NS1_11comp_targetILNS1_3genE10ELNS1_11target_archE1200ELNS1_3gpuE4ELNS1_3repE0EEENS1_30default_config_static_selectorELNS0_4arch9wavefront6targetE0EEEvT1_.num_named_barrier, 0
	.set _ZN7rocprim17ROCPRIM_400000_NS6detail17trampoline_kernelINS0_14default_configENS1_20scan_config_selectorIfEEZZNS1_9scan_implILNS1_25lookback_scan_determinismE0ELb0ELb0ES3_PKfPffZZZN2at6native31launch_logcumsumexp_cuda_kernelERKNSB_10TensorBaseESF_lENKUlvE_clEvENKUlvE0_clEvEUlffE_fEEDaPvRmT3_T4_T5_mT6_P12ihipStream_tbENKUlT_T0_E_clISt17integral_constantIbLb1EESW_EEDaSR_SS_EUlSR_E_NS1_11comp_targetILNS1_3genE10ELNS1_11target_archE1200ELNS1_3gpuE4ELNS1_3repE0EEENS1_30default_config_static_selectorELNS0_4arch9wavefront6targetE0EEEvT1_.private_seg_size, 0
	.set _ZN7rocprim17ROCPRIM_400000_NS6detail17trampoline_kernelINS0_14default_configENS1_20scan_config_selectorIfEEZZNS1_9scan_implILNS1_25lookback_scan_determinismE0ELb0ELb0ES3_PKfPffZZZN2at6native31launch_logcumsumexp_cuda_kernelERKNSB_10TensorBaseESF_lENKUlvE_clEvENKUlvE0_clEvEUlffE_fEEDaPvRmT3_T4_T5_mT6_P12ihipStream_tbENKUlT_T0_E_clISt17integral_constantIbLb1EESW_EEDaSR_SS_EUlSR_E_NS1_11comp_targetILNS1_3genE10ELNS1_11target_archE1200ELNS1_3gpuE4ELNS1_3repE0EEENS1_30default_config_static_selectorELNS0_4arch9wavefront6targetE0EEEvT1_.uses_vcc, 0
	.set _ZN7rocprim17ROCPRIM_400000_NS6detail17trampoline_kernelINS0_14default_configENS1_20scan_config_selectorIfEEZZNS1_9scan_implILNS1_25lookback_scan_determinismE0ELb0ELb0ES3_PKfPffZZZN2at6native31launch_logcumsumexp_cuda_kernelERKNSB_10TensorBaseESF_lENKUlvE_clEvENKUlvE0_clEvEUlffE_fEEDaPvRmT3_T4_T5_mT6_P12ihipStream_tbENKUlT_T0_E_clISt17integral_constantIbLb1EESW_EEDaSR_SS_EUlSR_E_NS1_11comp_targetILNS1_3genE10ELNS1_11target_archE1200ELNS1_3gpuE4ELNS1_3repE0EEENS1_30default_config_static_selectorELNS0_4arch9wavefront6targetE0EEEvT1_.uses_flat_scratch, 0
	.set _ZN7rocprim17ROCPRIM_400000_NS6detail17trampoline_kernelINS0_14default_configENS1_20scan_config_selectorIfEEZZNS1_9scan_implILNS1_25lookback_scan_determinismE0ELb0ELb0ES3_PKfPffZZZN2at6native31launch_logcumsumexp_cuda_kernelERKNSB_10TensorBaseESF_lENKUlvE_clEvENKUlvE0_clEvEUlffE_fEEDaPvRmT3_T4_T5_mT6_P12ihipStream_tbENKUlT_T0_E_clISt17integral_constantIbLb1EESW_EEDaSR_SS_EUlSR_E_NS1_11comp_targetILNS1_3genE10ELNS1_11target_archE1200ELNS1_3gpuE4ELNS1_3repE0EEENS1_30default_config_static_selectorELNS0_4arch9wavefront6targetE0EEEvT1_.has_dyn_sized_stack, 0
	.set _ZN7rocprim17ROCPRIM_400000_NS6detail17trampoline_kernelINS0_14default_configENS1_20scan_config_selectorIfEEZZNS1_9scan_implILNS1_25lookback_scan_determinismE0ELb0ELb0ES3_PKfPffZZZN2at6native31launch_logcumsumexp_cuda_kernelERKNSB_10TensorBaseESF_lENKUlvE_clEvENKUlvE0_clEvEUlffE_fEEDaPvRmT3_T4_T5_mT6_P12ihipStream_tbENKUlT_T0_E_clISt17integral_constantIbLb1EESW_EEDaSR_SS_EUlSR_E_NS1_11comp_targetILNS1_3genE10ELNS1_11target_archE1200ELNS1_3gpuE4ELNS1_3repE0EEENS1_30default_config_static_selectorELNS0_4arch9wavefront6targetE0EEEvT1_.has_recursion, 0
	.set _ZN7rocprim17ROCPRIM_400000_NS6detail17trampoline_kernelINS0_14default_configENS1_20scan_config_selectorIfEEZZNS1_9scan_implILNS1_25lookback_scan_determinismE0ELb0ELb0ES3_PKfPffZZZN2at6native31launch_logcumsumexp_cuda_kernelERKNSB_10TensorBaseESF_lENKUlvE_clEvENKUlvE0_clEvEUlffE_fEEDaPvRmT3_T4_T5_mT6_P12ihipStream_tbENKUlT_T0_E_clISt17integral_constantIbLb1EESW_EEDaSR_SS_EUlSR_E_NS1_11comp_targetILNS1_3genE10ELNS1_11target_archE1200ELNS1_3gpuE4ELNS1_3repE0EEENS1_30default_config_static_selectorELNS0_4arch9wavefront6targetE0EEEvT1_.has_indirect_call, 0
	.section	.AMDGPU.csdata,"",@progbits
; Kernel info:
; codeLenInByte = 0
; TotalNumSgprs: 0
; NumVgprs: 0
; ScratchSize: 0
; MemoryBound: 0
; FloatMode: 240
; IeeeMode: 1
; LDSByteSize: 0 bytes/workgroup (compile time only)
; SGPRBlocks: 0
; VGPRBlocks: 0
; NumSGPRsForWavesPerEU: 1
; NumVGPRsForWavesPerEU: 1
; Occupancy: 16
; WaveLimiterHint : 0
; COMPUTE_PGM_RSRC2:SCRATCH_EN: 0
; COMPUTE_PGM_RSRC2:USER_SGPR: 2
; COMPUTE_PGM_RSRC2:TRAP_HANDLER: 0
; COMPUTE_PGM_RSRC2:TGID_X_EN: 1
; COMPUTE_PGM_RSRC2:TGID_Y_EN: 0
; COMPUTE_PGM_RSRC2:TGID_Z_EN: 0
; COMPUTE_PGM_RSRC2:TIDIG_COMP_CNT: 0
	.section	.text._ZN7rocprim17ROCPRIM_400000_NS6detail17trampoline_kernelINS0_14default_configENS1_20scan_config_selectorIfEEZZNS1_9scan_implILNS1_25lookback_scan_determinismE0ELb0ELb0ES3_PKfPffZZZN2at6native31launch_logcumsumexp_cuda_kernelERKNSB_10TensorBaseESF_lENKUlvE_clEvENKUlvE0_clEvEUlffE_fEEDaPvRmT3_T4_T5_mT6_P12ihipStream_tbENKUlT_T0_E_clISt17integral_constantIbLb1EESW_EEDaSR_SS_EUlSR_E_NS1_11comp_targetILNS1_3genE9ELNS1_11target_archE1100ELNS1_3gpuE3ELNS1_3repE0EEENS1_30default_config_static_selectorELNS0_4arch9wavefront6targetE0EEEvT1_,"axG",@progbits,_ZN7rocprim17ROCPRIM_400000_NS6detail17trampoline_kernelINS0_14default_configENS1_20scan_config_selectorIfEEZZNS1_9scan_implILNS1_25lookback_scan_determinismE0ELb0ELb0ES3_PKfPffZZZN2at6native31launch_logcumsumexp_cuda_kernelERKNSB_10TensorBaseESF_lENKUlvE_clEvENKUlvE0_clEvEUlffE_fEEDaPvRmT3_T4_T5_mT6_P12ihipStream_tbENKUlT_T0_E_clISt17integral_constantIbLb1EESW_EEDaSR_SS_EUlSR_E_NS1_11comp_targetILNS1_3genE9ELNS1_11target_archE1100ELNS1_3gpuE3ELNS1_3repE0EEENS1_30default_config_static_selectorELNS0_4arch9wavefront6targetE0EEEvT1_,comdat
	.globl	_ZN7rocprim17ROCPRIM_400000_NS6detail17trampoline_kernelINS0_14default_configENS1_20scan_config_selectorIfEEZZNS1_9scan_implILNS1_25lookback_scan_determinismE0ELb0ELb0ES3_PKfPffZZZN2at6native31launch_logcumsumexp_cuda_kernelERKNSB_10TensorBaseESF_lENKUlvE_clEvENKUlvE0_clEvEUlffE_fEEDaPvRmT3_T4_T5_mT6_P12ihipStream_tbENKUlT_T0_E_clISt17integral_constantIbLb1EESW_EEDaSR_SS_EUlSR_E_NS1_11comp_targetILNS1_3genE9ELNS1_11target_archE1100ELNS1_3gpuE3ELNS1_3repE0EEENS1_30default_config_static_selectorELNS0_4arch9wavefront6targetE0EEEvT1_ ; -- Begin function _ZN7rocprim17ROCPRIM_400000_NS6detail17trampoline_kernelINS0_14default_configENS1_20scan_config_selectorIfEEZZNS1_9scan_implILNS1_25lookback_scan_determinismE0ELb0ELb0ES3_PKfPffZZZN2at6native31launch_logcumsumexp_cuda_kernelERKNSB_10TensorBaseESF_lENKUlvE_clEvENKUlvE0_clEvEUlffE_fEEDaPvRmT3_T4_T5_mT6_P12ihipStream_tbENKUlT_T0_E_clISt17integral_constantIbLb1EESW_EEDaSR_SS_EUlSR_E_NS1_11comp_targetILNS1_3genE9ELNS1_11target_archE1100ELNS1_3gpuE3ELNS1_3repE0EEENS1_30default_config_static_selectorELNS0_4arch9wavefront6targetE0EEEvT1_
	.p2align	8
	.type	_ZN7rocprim17ROCPRIM_400000_NS6detail17trampoline_kernelINS0_14default_configENS1_20scan_config_selectorIfEEZZNS1_9scan_implILNS1_25lookback_scan_determinismE0ELb0ELb0ES3_PKfPffZZZN2at6native31launch_logcumsumexp_cuda_kernelERKNSB_10TensorBaseESF_lENKUlvE_clEvENKUlvE0_clEvEUlffE_fEEDaPvRmT3_T4_T5_mT6_P12ihipStream_tbENKUlT_T0_E_clISt17integral_constantIbLb1EESW_EEDaSR_SS_EUlSR_E_NS1_11comp_targetILNS1_3genE9ELNS1_11target_archE1100ELNS1_3gpuE3ELNS1_3repE0EEENS1_30default_config_static_selectorELNS0_4arch9wavefront6targetE0EEEvT1_,@function
_ZN7rocprim17ROCPRIM_400000_NS6detail17trampoline_kernelINS0_14default_configENS1_20scan_config_selectorIfEEZZNS1_9scan_implILNS1_25lookback_scan_determinismE0ELb0ELb0ES3_PKfPffZZZN2at6native31launch_logcumsumexp_cuda_kernelERKNSB_10TensorBaseESF_lENKUlvE_clEvENKUlvE0_clEvEUlffE_fEEDaPvRmT3_T4_T5_mT6_P12ihipStream_tbENKUlT_T0_E_clISt17integral_constantIbLb1EESW_EEDaSR_SS_EUlSR_E_NS1_11comp_targetILNS1_3genE9ELNS1_11target_archE1100ELNS1_3gpuE3ELNS1_3repE0EEENS1_30default_config_static_selectorELNS0_4arch9wavefront6targetE0EEEvT1_: ; @_ZN7rocprim17ROCPRIM_400000_NS6detail17trampoline_kernelINS0_14default_configENS1_20scan_config_selectorIfEEZZNS1_9scan_implILNS1_25lookback_scan_determinismE0ELb0ELb0ES3_PKfPffZZZN2at6native31launch_logcumsumexp_cuda_kernelERKNSB_10TensorBaseESF_lENKUlvE_clEvENKUlvE0_clEvEUlffE_fEEDaPvRmT3_T4_T5_mT6_P12ihipStream_tbENKUlT_T0_E_clISt17integral_constantIbLb1EESW_EEDaSR_SS_EUlSR_E_NS1_11comp_targetILNS1_3genE9ELNS1_11target_archE1100ELNS1_3gpuE3ELNS1_3repE0EEENS1_30default_config_static_selectorELNS0_4arch9wavefront6targetE0EEEvT1_
; %bb.0:
	.section	.rodata,"a",@progbits
	.p2align	6, 0x0
	.amdhsa_kernel _ZN7rocprim17ROCPRIM_400000_NS6detail17trampoline_kernelINS0_14default_configENS1_20scan_config_selectorIfEEZZNS1_9scan_implILNS1_25lookback_scan_determinismE0ELb0ELb0ES3_PKfPffZZZN2at6native31launch_logcumsumexp_cuda_kernelERKNSB_10TensorBaseESF_lENKUlvE_clEvENKUlvE0_clEvEUlffE_fEEDaPvRmT3_T4_T5_mT6_P12ihipStream_tbENKUlT_T0_E_clISt17integral_constantIbLb1EESW_EEDaSR_SS_EUlSR_E_NS1_11comp_targetILNS1_3genE9ELNS1_11target_archE1100ELNS1_3gpuE3ELNS1_3repE0EEENS1_30default_config_static_selectorELNS0_4arch9wavefront6targetE0EEEvT1_
		.amdhsa_group_segment_fixed_size 0
		.amdhsa_private_segment_fixed_size 0
		.amdhsa_kernarg_size 96
		.amdhsa_user_sgpr_count 2
		.amdhsa_user_sgpr_dispatch_ptr 0
		.amdhsa_user_sgpr_queue_ptr 0
		.amdhsa_user_sgpr_kernarg_segment_ptr 1
		.amdhsa_user_sgpr_dispatch_id 0
		.amdhsa_user_sgpr_private_segment_size 0
		.amdhsa_wavefront_size32 1
		.amdhsa_uses_dynamic_stack 0
		.amdhsa_enable_private_segment 0
		.amdhsa_system_sgpr_workgroup_id_x 1
		.amdhsa_system_sgpr_workgroup_id_y 0
		.amdhsa_system_sgpr_workgroup_id_z 0
		.amdhsa_system_sgpr_workgroup_info 0
		.amdhsa_system_vgpr_workitem_id 0
		.amdhsa_next_free_vgpr 1
		.amdhsa_next_free_sgpr 1
		.amdhsa_reserve_vcc 0
		.amdhsa_float_round_mode_32 0
		.amdhsa_float_round_mode_16_64 0
		.amdhsa_float_denorm_mode_32 3
		.amdhsa_float_denorm_mode_16_64 3
		.amdhsa_fp16_overflow 0
		.amdhsa_workgroup_processor_mode 1
		.amdhsa_memory_ordered 1
		.amdhsa_forward_progress 1
		.amdhsa_inst_pref_size 0
		.amdhsa_round_robin_scheduling 0
		.amdhsa_exception_fp_ieee_invalid_op 0
		.amdhsa_exception_fp_denorm_src 0
		.amdhsa_exception_fp_ieee_div_zero 0
		.amdhsa_exception_fp_ieee_overflow 0
		.amdhsa_exception_fp_ieee_underflow 0
		.amdhsa_exception_fp_ieee_inexact 0
		.amdhsa_exception_int_div_zero 0
	.end_amdhsa_kernel
	.section	.text._ZN7rocprim17ROCPRIM_400000_NS6detail17trampoline_kernelINS0_14default_configENS1_20scan_config_selectorIfEEZZNS1_9scan_implILNS1_25lookback_scan_determinismE0ELb0ELb0ES3_PKfPffZZZN2at6native31launch_logcumsumexp_cuda_kernelERKNSB_10TensorBaseESF_lENKUlvE_clEvENKUlvE0_clEvEUlffE_fEEDaPvRmT3_T4_T5_mT6_P12ihipStream_tbENKUlT_T0_E_clISt17integral_constantIbLb1EESW_EEDaSR_SS_EUlSR_E_NS1_11comp_targetILNS1_3genE9ELNS1_11target_archE1100ELNS1_3gpuE3ELNS1_3repE0EEENS1_30default_config_static_selectorELNS0_4arch9wavefront6targetE0EEEvT1_,"axG",@progbits,_ZN7rocprim17ROCPRIM_400000_NS6detail17trampoline_kernelINS0_14default_configENS1_20scan_config_selectorIfEEZZNS1_9scan_implILNS1_25lookback_scan_determinismE0ELb0ELb0ES3_PKfPffZZZN2at6native31launch_logcumsumexp_cuda_kernelERKNSB_10TensorBaseESF_lENKUlvE_clEvENKUlvE0_clEvEUlffE_fEEDaPvRmT3_T4_T5_mT6_P12ihipStream_tbENKUlT_T0_E_clISt17integral_constantIbLb1EESW_EEDaSR_SS_EUlSR_E_NS1_11comp_targetILNS1_3genE9ELNS1_11target_archE1100ELNS1_3gpuE3ELNS1_3repE0EEENS1_30default_config_static_selectorELNS0_4arch9wavefront6targetE0EEEvT1_,comdat
.Lfunc_end122:
	.size	_ZN7rocprim17ROCPRIM_400000_NS6detail17trampoline_kernelINS0_14default_configENS1_20scan_config_selectorIfEEZZNS1_9scan_implILNS1_25lookback_scan_determinismE0ELb0ELb0ES3_PKfPffZZZN2at6native31launch_logcumsumexp_cuda_kernelERKNSB_10TensorBaseESF_lENKUlvE_clEvENKUlvE0_clEvEUlffE_fEEDaPvRmT3_T4_T5_mT6_P12ihipStream_tbENKUlT_T0_E_clISt17integral_constantIbLb1EESW_EEDaSR_SS_EUlSR_E_NS1_11comp_targetILNS1_3genE9ELNS1_11target_archE1100ELNS1_3gpuE3ELNS1_3repE0EEENS1_30default_config_static_selectorELNS0_4arch9wavefront6targetE0EEEvT1_, .Lfunc_end122-_ZN7rocprim17ROCPRIM_400000_NS6detail17trampoline_kernelINS0_14default_configENS1_20scan_config_selectorIfEEZZNS1_9scan_implILNS1_25lookback_scan_determinismE0ELb0ELb0ES3_PKfPffZZZN2at6native31launch_logcumsumexp_cuda_kernelERKNSB_10TensorBaseESF_lENKUlvE_clEvENKUlvE0_clEvEUlffE_fEEDaPvRmT3_T4_T5_mT6_P12ihipStream_tbENKUlT_T0_E_clISt17integral_constantIbLb1EESW_EEDaSR_SS_EUlSR_E_NS1_11comp_targetILNS1_3genE9ELNS1_11target_archE1100ELNS1_3gpuE3ELNS1_3repE0EEENS1_30default_config_static_selectorELNS0_4arch9wavefront6targetE0EEEvT1_
                                        ; -- End function
	.set _ZN7rocprim17ROCPRIM_400000_NS6detail17trampoline_kernelINS0_14default_configENS1_20scan_config_selectorIfEEZZNS1_9scan_implILNS1_25lookback_scan_determinismE0ELb0ELb0ES3_PKfPffZZZN2at6native31launch_logcumsumexp_cuda_kernelERKNSB_10TensorBaseESF_lENKUlvE_clEvENKUlvE0_clEvEUlffE_fEEDaPvRmT3_T4_T5_mT6_P12ihipStream_tbENKUlT_T0_E_clISt17integral_constantIbLb1EESW_EEDaSR_SS_EUlSR_E_NS1_11comp_targetILNS1_3genE9ELNS1_11target_archE1100ELNS1_3gpuE3ELNS1_3repE0EEENS1_30default_config_static_selectorELNS0_4arch9wavefront6targetE0EEEvT1_.num_vgpr, 0
	.set _ZN7rocprim17ROCPRIM_400000_NS6detail17trampoline_kernelINS0_14default_configENS1_20scan_config_selectorIfEEZZNS1_9scan_implILNS1_25lookback_scan_determinismE0ELb0ELb0ES3_PKfPffZZZN2at6native31launch_logcumsumexp_cuda_kernelERKNSB_10TensorBaseESF_lENKUlvE_clEvENKUlvE0_clEvEUlffE_fEEDaPvRmT3_T4_T5_mT6_P12ihipStream_tbENKUlT_T0_E_clISt17integral_constantIbLb1EESW_EEDaSR_SS_EUlSR_E_NS1_11comp_targetILNS1_3genE9ELNS1_11target_archE1100ELNS1_3gpuE3ELNS1_3repE0EEENS1_30default_config_static_selectorELNS0_4arch9wavefront6targetE0EEEvT1_.num_agpr, 0
	.set _ZN7rocprim17ROCPRIM_400000_NS6detail17trampoline_kernelINS0_14default_configENS1_20scan_config_selectorIfEEZZNS1_9scan_implILNS1_25lookback_scan_determinismE0ELb0ELb0ES3_PKfPffZZZN2at6native31launch_logcumsumexp_cuda_kernelERKNSB_10TensorBaseESF_lENKUlvE_clEvENKUlvE0_clEvEUlffE_fEEDaPvRmT3_T4_T5_mT6_P12ihipStream_tbENKUlT_T0_E_clISt17integral_constantIbLb1EESW_EEDaSR_SS_EUlSR_E_NS1_11comp_targetILNS1_3genE9ELNS1_11target_archE1100ELNS1_3gpuE3ELNS1_3repE0EEENS1_30default_config_static_selectorELNS0_4arch9wavefront6targetE0EEEvT1_.numbered_sgpr, 0
	.set _ZN7rocprim17ROCPRIM_400000_NS6detail17trampoline_kernelINS0_14default_configENS1_20scan_config_selectorIfEEZZNS1_9scan_implILNS1_25lookback_scan_determinismE0ELb0ELb0ES3_PKfPffZZZN2at6native31launch_logcumsumexp_cuda_kernelERKNSB_10TensorBaseESF_lENKUlvE_clEvENKUlvE0_clEvEUlffE_fEEDaPvRmT3_T4_T5_mT6_P12ihipStream_tbENKUlT_T0_E_clISt17integral_constantIbLb1EESW_EEDaSR_SS_EUlSR_E_NS1_11comp_targetILNS1_3genE9ELNS1_11target_archE1100ELNS1_3gpuE3ELNS1_3repE0EEENS1_30default_config_static_selectorELNS0_4arch9wavefront6targetE0EEEvT1_.num_named_barrier, 0
	.set _ZN7rocprim17ROCPRIM_400000_NS6detail17trampoline_kernelINS0_14default_configENS1_20scan_config_selectorIfEEZZNS1_9scan_implILNS1_25lookback_scan_determinismE0ELb0ELb0ES3_PKfPffZZZN2at6native31launch_logcumsumexp_cuda_kernelERKNSB_10TensorBaseESF_lENKUlvE_clEvENKUlvE0_clEvEUlffE_fEEDaPvRmT3_T4_T5_mT6_P12ihipStream_tbENKUlT_T0_E_clISt17integral_constantIbLb1EESW_EEDaSR_SS_EUlSR_E_NS1_11comp_targetILNS1_3genE9ELNS1_11target_archE1100ELNS1_3gpuE3ELNS1_3repE0EEENS1_30default_config_static_selectorELNS0_4arch9wavefront6targetE0EEEvT1_.private_seg_size, 0
	.set _ZN7rocprim17ROCPRIM_400000_NS6detail17trampoline_kernelINS0_14default_configENS1_20scan_config_selectorIfEEZZNS1_9scan_implILNS1_25lookback_scan_determinismE0ELb0ELb0ES3_PKfPffZZZN2at6native31launch_logcumsumexp_cuda_kernelERKNSB_10TensorBaseESF_lENKUlvE_clEvENKUlvE0_clEvEUlffE_fEEDaPvRmT3_T4_T5_mT6_P12ihipStream_tbENKUlT_T0_E_clISt17integral_constantIbLb1EESW_EEDaSR_SS_EUlSR_E_NS1_11comp_targetILNS1_3genE9ELNS1_11target_archE1100ELNS1_3gpuE3ELNS1_3repE0EEENS1_30default_config_static_selectorELNS0_4arch9wavefront6targetE0EEEvT1_.uses_vcc, 0
	.set _ZN7rocprim17ROCPRIM_400000_NS6detail17trampoline_kernelINS0_14default_configENS1_20scan_config_selectorIfEEZZNS1_9scan_implILNS1_25lookback_scan_determinismE0ELb0ELb0ES3_PKfPffZZZN2at6native31launch_logcumsumexp_cuda_kernelERKNSB_10TensorBaseESF_lENKUlvE_clEvENKUlvE0_clEvEUlffE_fEEDaPvRmT3_T4_T5_mT6_P12ihipStream_tbENKUlT_T0_E_clISt17integral_constantIbLb1EESW_EEDaSR_SS_EUlSR_E_NS1_11comp_targetILNS1_3genE9ELNS1_11target_archE1100ELNS1_3gpuE3ELNS1_3repE0EEENS1_30default_config_static_selectorELNS0_4arch9wavefront6targetE0EEEvT1_.uses_flat_scratch, 0
	.set _ZN7rocprim17ROCPRIM_400000_NS6detail17trampoline_kernelINS0_14default_configENS1_20scan_config_selectorIfEEZZNS1_9scan_implILNS1_25lookback_scan_determinismE0ELb0ELb0ES3_PKfPffZZZN2at6native31launch_logcumsumexp_cuda_kernelERKNSB_10TensorBaseESF_lENKUlvE_clEvENKUlvE0_clEvEUlffE_fEEDaPvRmT3_T4_T5_mT6_P12ihipStream_tbENKUlT_T0_E_clISt17integral_constantIbLb1EESW_EEDaSR_SS_EUlSR_E_NS1_11comp_targetILNS1_3genE9ELNS1_11target_archE1100ELNS1_3gpuE3ELNS1_3repE0EEENS1_30default_config_static_selectorELNS0_4arch9wavefront6targetE0EEEvT1_.has_dyn_sized_stack, 0
	.set _ZN7rocprim17ROCPRIM_400000_NS6detail17trampoline_kernelINS0_14default_configENS1_20scan_config_selectorIfEEZZNS1_9scan_implILNS1_25lookback_scan_determinismE0ELb0ELb0ES3_PKfPffZZZN2at6native31launch_logcumsumexp_cuda_kernelERKNSB_10TensorBaseESF_lENKUlvE_clEvENKUlvE0_clEvEUlffE_fEEDaPvRmT3_T4_T5_mT6_P12ihipStream_tbENKUlT_T0_E_clISt17integral_constantIbLb1EESW_EEDaSR_SS_EUlSR_E_NS1_11comp_targetILNS1_3genE9ELNS1_11target_archE1100ELNS1_3gpuE3ELNS1_3repE0EEENS1_30default_config_static_selectorELNS0_4arch9wavefront6targetE0EEEvT1_.has_recursion, 0
	.set _ZN7rocprim17ROCPRIM_400000_NS6detail17trampoline_kernelINS0_14default_configENS1_20scan_config_selectorIfEEZZNS1_9scan_implILNS1_25lookback_scan_determinismE0ELb0ELb0ES3_PKfPffZZZN2at6native31launch_logcumsumexp_cuda_kernelERKNSB_10TensorBaseESF_lENKUlvE_clEvENKUlvE0_clEvEUlffE_fEEDaPvRmT3_T4_T5_mT6_P12ihipStream_tbENKUlT_T0_E_clISt17integral_constantIbLb1EESW_EEDaSR_SS_EUlSR_E_NS1_11comp_targetILNS1_3genE9ELNS1_11target_archE1100ELNS1_3gpuE3ELNS1_3repE0EEENS1_30default_config_static_selectorELNS0_4arch9wavefront6targetE0EEEvT1_.has_indirect_call, 0
	.section	.AMDGPU.csdata,"",@progbits
; Kernel info:
; codeLenInByte = 0
; TotalNumSgprs: 0
; NumVgprs: 0
; ScratchSize: 0
; MemoryBound: 0
; FloatMode: 240
; IeeeMode: 1
; LDSByteSize: 0 bytes/workgroup (compile time only)
; SGPRBlocks: 0
; VGPRBlocks: 0
; NumSGPRsForWavesPerEU: 1
; NumVGPRsForWavesPerEU: 1
; Occupancy: 16
; WaveLimiterHint : 0
; COMPUTE_PGM_RSRC2:SCRATCH_EN: 0
; COMPUTE_PGM_RSRC2:USER_SGPR: 2
; COMPUTE_PGM_RSRC2:TRAP_HANDLER: 0
; COMPUTE_PGM_RSRC2:TGID_X_EN: 1
; COMPUTE_PGM_RSRC2:TGID_Y_EN: 0
; COMPUTE_PGM_RSRC2:TGID_Z_EN: 0
; COMPUTE_PGM_RSRC2:TIDIG_COMP_CNT: 0
	.section	.text._ZN7rocprim17ROCPRIM_400000_NS6detail17trampoline_kernelINS0_14default_configENS1_20scan_config_selectorIfEEZZNS1_9scan_implILNS1_25lookback_scan_determinismE0ELb0ELb0ES3_PKfPffZZZN2at6native31launch_logcumsumexp_cuda_kernelERKNSB_10TensorBaseESF_lENKUlvE_clEvENKUlvE0_clEvEUlffE_fEEDaPvRmT3_T4_T5_mT6_P12ihipStream_tbENKUlT_T0_E_clISt17integral_constantIbLb1EESW_EEDaSR_SS_EUlSR_E_NS1_11comp_targetILNS1_3genE8ELNS1_11target_archE1030ELNS1_3gpuE2ELNS1_3repE0EEENS1_30default_config_static_selectorELNS0_4arch9wavefront6targetE0EEEvT1_,"axG",@progbits,_ZN7rocprim17ROCPRIM_400000_NS6detail17trampoline_kernelINS0_14default_configENS1_20scan_config_selectorIfEEZZNS1_9scan_implILNS1_25lookback_scan_determinismE0ELb0ELb0ES3_PKfPffZZZN2at6native31launch_logcumsumexp_cuda_kernelERKNSB_10TensorBaseESF_lENKUlvE_clEvENKUlvE0_clEvEUlffE_fEEDaPvRmT3_T4_T5_mT6_P12ihipStream_tbENKUlT_T0_E_clISt17integral_constantIbLb1EESW_EEDaSR_SS_EUlSR_E_NS1_11comp_targetILNS1_3genE8ELNS1_11target_archE1030ELNS1_3gpuE2ELNS1_3repE0EEENS1_30default_config_static_selectorELNS0_4arch9wavefront6targetE0EEEvT1_,comdat
	.globl	_ZN7rocprim17ROCPRIM_400000_NS6detail17trampoline_kernelINS0_14default_configENS1_20scan_config_selectorIfEEZZNS1_9scan_implILNS1_25lookback_scan_determinismE0ELb0ELb0ES3_PKfPffZZZN2at6native31launch_logcumsumexp_cuda_kernelERKNSB_10TensorBaseESF_lENKUlvE_clEvENKUlvE0_clEvEUlffE_fEEDaPvRmT3_T4_T5_mT6_P12ihipStream_tbENKUlT_T0_E_clISt17integral_constantIbLb1EESW_EEDaSR_SS_EUlSR_E_NS1_11comp_targetILNS1_3genE8ELNS1_11target_archE1030ELNS1_3gpuE2ELNS1_3repE0EEENS1_30default_config_static_selectorELNS0_4arch9wavefront6targetE0EEEvT1_ ; -- Begin function _ZN7rocprim17ROCPRIM_400000_NS6detail17trampoline_kernelINS0_14default_configENS1_20scan_config_selectorIfEEZZNS1_9scan_implILNS1_25lookback_scan_determinismE0ELb0ELb0ES3_PKfPffZZZN2at6native31launch_logcumsumexp_cuda_kernelERKNSB_10TensorBaseESF_lENKUlvE_clEvENKUlvE0_clEvEUlffE_fEEDaPvRmT3_T4_T5_mT6_P12ihipStream_tbENKUlT_T0_E_clISt17integral_constantIbLb1EESW_EEDaSR_SS_EUlSR_E_NS1_11comp_targetILNS1_3genE8ELNS1_11target_archE1030ELNS1_3gpuE2ELNS1_3repE0EEENS1_30default_config_static_selectorELNS0_4arch9wavefront6targetE0EEEvT1_
	.p2align	8
	.type	_ZN7rocprim17ROCPRIM_400000_NS6detail17trampoline_kernelINS0_14default_configENS1_20scan_config_selectorIfEEZZNS1_9scan_implILNS1_25lookback_scan_determinismE0ELb0ELb0ES3_PKfPffZZZN2at6native31launch_logcumsumexp_cuda_kernelERKNSB_10TensorBaseESF_lENKUlvE_clEvENKUlvE0_clEvEUlffE_fEEDaPvRmT3_T4_T5_mT6_P12ihipStream_tbENKUlT_T0_E_clISt17integral_constantIbLb1EESW_EEDaSR_SS_EUlSR_E_NS1_11comp_targetILNS1_3genE8ELNS1_11target_archE1030ELNS1_3gpuE2ELNS1_3repE0EEENS1_30default_config_static_selectorELNS0_4arch9wavefront6targetE0EEEvT1_,@function
_ZN7rocprim17ROCPRIM_400000_NS6detail17trampoline_kernelINS0_14default_configENS1_20scan_config_selectorIfEEZZNS1_9scan_implILNS1_25lookback_scan_determinismE0ELb0ELb0ES3_PKfPffZZZN2at6native31launch_logcumsumexp_cuda_kernelERKNSB_10TensorBaseESF_lENKUlvE_clEvENKUlvE0_clEvEUlffE_fEEDaPvRmT3_T4_T5_mT6_P12ihipStream_tbENKUlT_T0_E_clISt17integral_constantIbLb1EESW_EEDaSR_SS_EUlSR_E_NS1_11comp_targetILNS1_3genE8ELNS1_11target_archE1030ELNS1_3gpuE2ELNS1_3repE0EEENS1_30default_config_static_selectorELNS0_4arch9wavefront6targetE0EEEvT1_: ; @_ZN7rocprim17ROCPRIM_400000_NS6detail17trampoline_kernelINS0_14default_configENS1_20scan_config_selectorIfEEZZNS1_9scan_implILNS1_25lookback_scan_determinismE0ELb0ELb0ES3_PKfPffZZZN2at6native31launch_logcumsumexp_cuda_kernelERKNSB_10TensorBaseESF_lENKUlvE_clEvENKUlvE0_clEvEUlffE_fEEDaPvRmT3_T4_T5_mT6_P12ihipStream_tbENKUlT_T0_E_clISt17integral_constantIbLb1EESW_EEDaSR_SS_EUlSR_E_NS1_11comp_targetILNS1_3genE8ELNS1_11target_archE1030ELNS1_3gpuE2ELNS1_3repE0EEENS1_30default_config_static_selectorELNS0_4arch9wavefront6targetE0EEEvT1_
; %bb.0:
	.section	.rodata,"a",@progbits
	.p2align	6, 0x0
	.amdhsa_kernel _ZN7rocprim17ROCPRIM_400000_NS6detail17trampoline_kernelINS0_14default_configENS1_20scan_config_selectorIfEEZZNS1_9scan_implILNS1_25lookback_scan_determinismE0ELb0ELb0ES3_PKfPffZZZN2at6native31launch_logcumsumexp_cuda_kernelERKNSB_10TensorBaseESF_lENKUlvE_clEvENKUlvE0_clEvEUlffE_fEEDaPvRmT3_T4_T5_mT6_P12ihipStream_tbENKUlT_T0_E_clISt17integral_constantIbLb1EESW_EEDaSR_SS_EUlSR_E_NS1_11comp_targetILNS1_3genE8ELNS1_11target_archE1030ELNS1_3gpuE2ELNS1_3repE0EEENS1_30default_config_static_selectorELNS0_4arch9wavefront6targetE0EEEvT1_
		.amdhsa_group_segment_fixed_size 0
		.amdhsa_private_segment_fixed_size 0
		.amdhsa_kernarg_size 96
		.amdhsa_user_sgpr_count 2
		.amdhsa_user_sgpr_dispatch_ptr 0
		.amdhsa_user_sgpr_queue_ptr 0
		.amdhsa_user_sgpr_kernarg_segment_ptr 1
		.amdhsa_user_sgpr_dispatch_id 0
		.amdhsa_user_sgpr_private_segment_size 0
		.amdhsa_wavefront_size32 1
		.amdhsa_uses_dynamic_stack 0
		.amdhsa_enable_private_segment 0
		.amdhsa_system_sgpr_workgroup_id_x 1
		.amdhsa_system_sgpr_workgroup_id_y 0
		.amdhsa_system_sgpr_workgroup_id_z 0
		.amdhsa_system_sgpr_workgroup_info 0
		.amdhsa_system_vgpr_workitem_id 0
		.amdhsa_next_free_vgpr 1
		.amdhsa_next_free_sgpr 1
		.amdhsa_reserve_vcc 0
		.amdhsa_float_round_mode_32 0
		.amdhsa_float_round_mode_16_64 0
		.amdhsa_float_denorm_mode_32 3
		.amdhsa_float_denorm_mode_16_64 3
		.amdhsa_fp16_overflow 0
		.amdhsa_workgroup_processor_mode 1
		.amdhsa_memory_ordered 1
		.amdhsa_forward_progress 1
		.amdhsa_inst_pref_size 0
		.amdhsa_round_robin_scheduling 0
		.amdhsa_exception_fp_ieee_invalid_op 0
		.amdhsa_exception_fp_denorm_src 0
		.amdhsa_exception_fp_ieee_div_zero 0
		.amdhsa_exception_fp_ieee_overflow 0
		.amdhsa_exception_fp_ieee_underflow 0
		.amdhsa_exception_fp_ieee_inexact 0
		.amdhsa_exception_int_div_zero 0
	.end_amdhsa_kernel
	.section	.text._ZN7rocprim17ROCPRIM_400000_NS6detail17trampoline_kernelINS0_14default_configENS1_20scan_config_selectorIfEEZZNS1_9scan_implILNS1_25lookback_scan_determinismE0ELb0ELb0ES3_PKfPffZZZN2at6native31launch_logcumsumexp_cuda_kernelERKNSB_10TensorBaseESF_lENKUlvE_clEvENKUlvE0_clEvEUlffE_fEEDaPvRmT3_T4_T5_mT6_P12ihipStream_tbENKUlT_T0_E_clISt17integral_constantIbLb1EESW_EEDaSR_SS_EUlSR_E_NS1_11comp_targetILNS1_3genE8ELNS1_11target_archE1030ELNS1_3gpuE2ELNS1_3repE0EEENS1_30default_config_static_selectorELNS0_4arch9wavefront6targetE0EEEvT1_,"axG",@progbits,_ZN7rocprim17ROCPRIM_400000_NS6detail17trampoline_kernelINS0_14default_configENS1_20scan_config_selectorIfEEZZNS1_9scan_implILNS1_25lookback_scan_determinismE0ELb0ELb0ES3_PKfPffZZZN2at6native31launch_logcumsumexp_cuda_kernelERKNSB_10TensorBaseESF_lENKUlvE_clEvENKUlvE0_clEvEUlffE_fEEDaPvRmT3_T4_T5_mT6_P12ihipStream_tbENKUlT_T0_E_clISt17integral_constantIbLb1EESW_EEDaSR_SS_EUlSR_E_NS1_11comp_targetILNS1_3genE8ELNS1_11target_archE1030ELNS1_3gpuE2ELNS1_3repE0EEENS1_30default_config_static_selectorELNS0_4arch9wavefront6targetE0EEEvT1_,comdat
.Lfunc_end123:
	.size	_ZN7rocprim17ROCPRIM_400000_NS6detail17trampoline_kernelINS0_14default_configENS1_20scan_config_selectorIfEEZZNS1_9scan_implILNS1_25lookback_scan_determinismE0ELb0ELb0ES3_PKfPffZZZN2at6native31launch_logcumsumexp_cuda_kernelERKNSB_10TensorBaseESF_lENKUlvE_clEvENKUlvE0_clEvEUlffE_fEEDaPvRmT3_T4_T5_mT6_P12ihipStream_tbENKUlT_T0_E_clISt17integral_constantIbLb1EESW_EEDaSR_SS_EUlSR_E_NS1_11comp_targetILNS1_3genE8ELNS1_11target_archE1030ELNS1_3gpuE2ELNS1_3repE0EEENS1_30default_config_static_selectorELNS0_4arch9wavefront6targetE0EEEvT1_, .Lfunc_end123-_ZN7rocprim17ROCPRIM_400000_NS6detail17trampoline_kernelINS0_14default_configENS1_20scan_config_selectorIfEEZZNS1_9scan_implILNS1_25lookback_scan_determinismE0ELb0ELb0ES3_PKfPffZZZN2at6native31launch_logcumsumexp_cuda_kernelERKNSB_10TensorBaseESF_lENKUlvE_clEvENKUlvE0_clEvEUlffE_fEEDaPvRmT3_T4_T5_mT6_P12ihipStream_tbENKUlT_T0_E_clISt17integral_constantIbLb1EESW_EEDaSR_SS_EUlSR_E_NS1_11comp_targetILNS1_3genE8ELNS1_11target_archE1030ELNS1_3gpuE2ELNS1_3repE0EEENS1_30default_config_static_selectorELNS0_4arch9wavefront6targetE0EEEvT1_
                                        ; -- End function
	.set _ZN7rocprim17ROCPRIM_400000_NS6detail17trampoline_kernelINS0_14default_configENS1_20scan_config_selectorIfEEZZNS1_9scan_implILNS1_25lookback_scan_determinismE0ELb0ELb0ES3_PKfPffZZZN2at6native31launch_logcumsumexp_cuda_kernelERKNSB_10TensorBaseESF_lENKUlvE_clEvENKUlvE0_clEvEUlffE_fEEDaPvRmT3_T4_T5_mT6_P12ihipStream_tbENKUlT_T0_E_clISt17integral_constantIbLb1EESW_EEDaSR_SS_EUlSR_E_NS1_11comp_targetILNS1_3genE8ELNS1_11target_archE1030ELNS1_3gpuE2ELNS1_3repE0EEENS1_30default_config_static_selectorELNS0_4arch9wavefront6targetE0EEEvT1_.num_vgpr, 0
	.set _ZN7rocprim17ROCPRIM_400000_NS6detail17trampoline_kernelINS0_14default_configENS1_20scan_config_selectorIfEEZZNS1_9scan_implILNS1_25lookback_scan_determinismE0ELb0ELb0ES3_PKfPffZZZN2at6native31launch_logcumsumexp_cuda_kernelERKNSB_10TensorBaseESF_lENKUlvE_clEvENKUlvE0_clEvEUlffE_fEEDaPvRmT3_T4_T5_mT6_P12ihipStream_tbENKUlT_T0_E_clISt17integral_constantIbLb1EESW_EEDaSR_SS_EUlSR_E_NS1_11comp_targetILNS1_3genE8ELNS1_11target_archE1030ELNS1_3gpuE2ELNS1_3repE0EEENS1_30default_config_static_selectorELNS0_4arch9wavefront6targetE0EEEvT1_.num_agpr, 0
	.set _ZN7rocprim17ROCPRIM_400000_NS6detail17trampoline_kernelINS0_14default_configENS1_20scan_config_selectorIfEEZZNS1_9scan_implILNS1_25lookback_scan_determinismE0ELb0ELb0ES3_PKfPffZZZN2at6native31launch_logcumsumexp_cuda_kernelERKNSB_10TensorBaseESF_lENKUlvE_clEvENKUlvE0_clEvEUlffE_fEEDaPvRmT3_T4_T5_mT6_P12ihipStream_tbENKUlT_T0_E_clISt17integral_constantIbLb1EESW_EEDaSR_SS_EUlSR_E_NS1_11comp_targetILNS1_3genE8ELNS1_11target_archE1030ELNS1_3gpuE2ELNS1_3repE0EEENS1_30default_config_static_selectorELNS0_4arch9wavefront6targetE0EEEvT1_.numbered_sgpr, 0
	.set _ZN7rocprim17ROCPRIM_400000_NS6detail17trampoline_kernelINS0_14default_configENS1_20scan_config_selectorIfEEZZNS1_9scan_implILNS1_25lookback_scan_determinismE0ELb0ELb0ES3_PKfPffZZZN2at6native31launch_logcumsumexp_cuda_kernelERKNSB_10TensorBaseESF_lENKUlvE_clEvENKUlvE0_clEvEUlffE_fEEDaPvRmT3_T4_T5_mT6_P12ihipStream_tbENKUlT_T0_E_clISt17integral_constantIbLb1EESW_EEDaSR_SS_EUlSR_E_NS1_11comp_targetILNS1_3genE8ELNS1_11target_archE1030ELNS1_3gpuE2ELNS1_3repE0EEENS1_30default_config_static_selectorELNS0_4arch9wavefront6targetE0EEEvT1_.num_named_barrier, 0
	.set _ZN7rocprim17ROCPRIM_400000_NS6detail17trampoline_kernelINS0_14default_configENS1_20scan_config_selectorIfEEZZNS1_9scan_implILNS1_25lookback_scan_determinismE0ELb0ELb0ES3_PKfPffZZZN2at6native31launch_logcumsumexp_cuda_kernelERKNSB_10TensorBaseESF_lENKUlvE_clEvENKUlvE0_clEvEUlffE_fEEDaPvRmT3_T4_T5_mT6_P12ihipStream_tbENKUlT_T0_E_clISt17integral_constantIbLb1EESW_EEDaSR_SS_EUlSR_E_NS1_11comp_targetILNS1_3genE8ELNS1_11target_archE1030ELNS1_3gpuE2ELNS1_3repE0EEENS1_30default_config_static_selectorELNS0_4arch9wavefront6targetE0EEEvT1_.private_seg_size, 0
	.set _ZN7rocprim17ROCPRIM_400000_NS6detail17trampoline_kernelINS0_14default_configENS1_20scan_config_selectorIfEEZZNS1_9scan_implILNS1_25lookback_scan_determinismE0ELb0ELb0ES3_PKfPffZZZN2at6native31launch_logcumsumexp_cuda_kernelERKNSB_10TensorBaseESF_lENKUlvE_clEvENKUlvE0_clEvEUlffE_fEEDaPvRmT3_T4_T5_mT6_P12ihipStream_tbENKUlT_T0_E_clISt17integral_constantIbLb1EESW_EEDaSR_SS_EUlSR_E_NS1_11comp_targetILNS1_3genE8ELNS1_11target_archE1030ELNS1_3gpuE2ELNS1_3repE0EEENS1_30default_config_static_selectorELNS0_4arch9wavefront6targetE0EEEvT1_.uses_vcc, 0
	.set _ZN7rocprim17ROCPRIM_400000_NS6detail17trampoline_kernelINS0_14default_configENS1_20scan_config_selectorIfEEZZNS1_9scan_implILNS1_25lookback_scan_determinismE0ELb0ELb0ES3_PKfPffZZZN2at6native31launch_logcumsumexp_cuda_kernelERKNSB_10TensorBaseESF_lENKUlvE_clEvENKUlvE0_clEvEUlffE_fEEDaPvRmT3_T4_T5_mT6_P12ihipStream_tbENKUlT_T0_E_clISt17integral_constantIbLb1EESW_EEDaSR_SS_EUlSR_E_NS1_11comp_targetILNS1_3genE8ELNS1_11target_archE1030ELNS1_3gpuE2ELNS1_3repE0EEENS1_30default_config_static_selectorELNS0_4arch9wavefront6targetE0EEEvT1_.uses_flat_scratch, 0
	.set _ZN7rocprim17ROCPRIM_400000_NS6detail17trampoline_kernelINS0_14default_configENS1_20scan_config_selectorIfEEZZNS1_9scan_implILNS1_25lookback_scan_determinismE0ELb0ELb0ES3_PKfPffZZZN2at6native31launch_logcumsumexp_cuda_kernelERKNSB_10TensorBaseESF_lENKUlvE_clEvENKUlvE0_clEvEUlffE_fEEDaPvRmT3_T4_T5_mT6_P12ihipStream_tbENKUlT_T0_E_clISt17integral_constantIbLb1EESW_EEDaSR_SS_EUlSR_E_NS1_11comp_targetILNS1_3genE8ELNS1_11target_archE1030ELNS1_3gpuE2ELNS1_3repE0EEENS1_30default_config_static_selectorELNS0_4arch9wavefront6targetE0EEEvT1_.has_dyn_sized_stack, 0
	.set _ZN7rocprim17ROCPRIM_400000_NS6detail17trampoline_kernelINS0_14default_configENS1_20scan_config_selectorIfEEZZNS1_9scan_implILNS1_25lookback_scan_determinismE0ELb0ELb0ES3_PKfPffZZZN2at6native31launch_logcumsumexp_cuda_kernelERKNSB_10TensorBaseESF_lENKUlvE_clEvENKUlvE0_clEvEUlffE_fEEDaPvRmT3_T4_T5_mT6_P12ihipStream_tbENKUlT_T0_E_clISt17integral_constantIbLb1EESW_EEDaSR_SS_EUlSR_E_NS1_11comp_targetILNS1_3genE8ELNS1_11target_archE1030ELNS1_3gpuE2ELNS1_3repE0EEENS1_30default_config_static_selectorELNS0_4arch9wavefront6targetE0EEEvT1_.has_recursion, 0
	.set _ZN7rocprim17ROCPRIM_400000_NS6detail17trampoline_kernelINS0_14default_configENS1_20scan_config_selectorIfEEZZNS1_9scan_implILNS1_25lookback_scan_determinismE0ELb0ELb0ES3_PKfPffZZZN2at6native31launch_logcumsumexp_cuda_kernelERKNSB_10TensorBaseESF_lENKUlvE_clEvENKUlvE0_clEvEUlffE_fEEDaPvRmT3_T4_T5_mT6_P12ihipStream_tbENKUlT_T0_E_clISt17integral_constantIbLb1EESW_EEDaSR_SS_EUlSR_E_NS1_11comp_targetILNS1_3genE8ELNS1_11target_archE1030ELNS1_3gpuE2ELNS1_3repE0EEENS1_30default_config_static_selectorELNS0_4arch9wavefront6targetE0EEEvT1_.has_indirect_call, 0
	.section	.AMDGPU.csdata,"",@progbits
; Kernel info:
; codeLenInByte = 0
; TotalNumSgprs: 0
; NumVgprs: 0
; ScratchSize: 0
; MemoryBound: 0
; FloatMode: 240
; IeeeMode: 1
; LDSByteSize: 0 bytes/workgroup (compile time only)
; SGPRBlocks: 0
; VGPRBlocks: 0
; NumSGPRsForWavesPerEU: 1
; NumVGPRsForWavesPerEU: 1
; Occupancy: 16
; WaveLimiterHint : 0
; COMPUTE_PGM_RSRC2:SCRATCH_EN: 0
; COMPUTE_PGM_RSRC2:USER_SGPR: 2
; COMPUTE_PGM_RSRC2:TRAP_HANDLER: 0
; COMPUTE_PGM_RSRC2:TGID_X_EN: 1
; COMPUTE_PGM_RSRC2:TGID_Y_EN: 0
; COMPUTE_PGM_RSRC2:TGID_Z_EN: 0
; COMPUTE_PGM_RSRC2:TIDIG_COMP_CNT: 0
	.section	.text._ZN7rocprim17ROCPRIM_400000_NS6detail17trampoline_kernelINS0_14default_configENS1_20scan_config_selectorIfEEZZNS1_9scan_implILNS1_25lookback_scan_determinismE0ELb0ELb0ES3_PKfPffZZZN2at6native31launch_logcumsumexp_cuda_kernelERKNSB_10TensorBaseESF_lENKUlvE_clEvENKUlvE0_clEvEUlffE_fEEDaPvRmT3_T4_T5_mT6_P12ihipStream_tbENKUlT_T0_E_clISt17integral_constantIbLb1EESW_EEDaSR_SS_EUlSR_E0_NS1_11comp_targetILNS1_3genE0ELNS1_11target_archE4294967295ELNS1_3gpuE0ELNS1_3repE0EEENS1_30default_config_static_selectorELNS0_4arch9wavefront6targetE0EEEvT1_,"axG",@progbits,_ZN7rocprim17ROCPRIM_400000_NS6detail17trampoline_kernelINS0_14default_configENS1_20scan_config_selectorIfEEZZNS1_9scan_implILNS1_25lookback_scan_determinismE0ELb0ELb0ES3_PKfPffZZZN2at6native31launch_logcumsumexp_cuda_kernelERKNSB_10TensorBaseESF_lENKUlvE_clEvENKUlvE0_clEvEUlffE_fEEDaPvRmT3_T4_T5_mT6_P12ihipStream_tbENKUlT_T0_E_clISt17integral_constantIbLb1EESW_EEDaSR_SS_EUlSR_E0_NS1_11comp_targetILNS1_3genE0ELNS1_11target_archE4294967295ELNS1_3gpuE0ELNS1_3repE0EEENS1_30default_config_static_selectorELNS0_4arch9wavefront6targetE0EEEvT1_,comdat
	.globl	_ZN7rocprim17ROCPRIM_400000_NS6detail17trampoline_kernelINS0_14default_configENS1_20scan_config_selectorIfEEZZNS1_9scan_implILNS1_25lookback_scan_determinismE0ELb0ELb0ES3_PKfPffZZZN2at6native31launch_logcumsumexp_cuda_kernelERKNSB_10TensorBaseESF_lENKUlvE_clEvENKUlvE0_clEvEUlffE_fEEDaPvRmT3_T4_T5_mT6_P12ihipStream_tbENKUlT_T0_E_clISt17integral_constantIbLb1EESW_EEDaSR_SS_EUlSR_E0_NS1_11comp_targetILNS1_3genE0ELNS1_11target_archE4294967295ELNS1_3gpuE0ELNS1_3repE0EEENS1_30default_config_static_selectorELNS0_4arch9wavefront6targetE0EEEvT1_ ; -- Begin function _ZN7rocprim17ROCPRIM_400000_NS6detail17trampoline_kernelINS0_14default_configENS1_20scan_config_selectorIfEEZZNS1_9scan_implILNS1_25lookback_scan_determinismE0ELb0ELb0ES3_PKfPffZZZN2at6native31launch_logcumsumexp_cuda_kernelERKNSB_10TensorBaseESF_lENKUlvE_clEvENKUlvE0_clEvEUlffE_fEEDaPvRmT3_T4_T5_mT6_P12ihipStream_tbENKUlT_T0_E_clISt17integral_constantIbLb1EESW_EEDaSR_SS_EUlSR_E0_NS1_11comp_targetILNS1_3genE0ELNS1_11target_archE4294967295ELNS1_3gpuE0ELNS1_3repE0EEENS1_30default_config_static_selectorELNS0_4arch9wavefront6targetE0EEEvT1_
	.p2align	8
	.type	_ZN7rocprim17ROCPRIM_400000_NS6detail17trampoline_kernelINS0_14default_configENS1_20scan_config_selectorIfEEZZNS1_9scan_implILNS1_25lookback_scan_determinismE0ELb0ELb0ES3_PKfPffZZZN2at6native31launch_logcumsumexp_cuda_kernelERKNSB_10TensorBaseESF_lENKUlvE_clEvENKUlvE0_clEvEUlffE_fEEDaPvRmT3_T4_T5_mT6_P12ihipStream_tbENKUlT_T0_E_clISt17integral_constantIbLb1EESW_EEDaSR_SS_EUlSR_E0_NS1_11comp_targetILNS1_3genE0ELNS1_11target_archE4294967295ELNS1_3gpuE0ELNS1_3repE0EEENS1_30default_config_static_selectorELNS0_4arch9wavefront6targetE0EEEvT1_,@function
_ZN7rocprim17ROCPRIM_400000_NS6detail17trampoline_kernelINS0_14default_configENS1_20scan_config_selectorIfEEZZNS1_9scan_implILNS1_25lookback_scan_determinismE0ELb0ELb0ES3_PKfPffZZZN2at6native31launch_logcumsumexp_cuda_kernelERKNSB_10TensorBaseESF_lENKUlvE_clEvENKUlvE0_clEvEUlffE_fEEDaPvRmT3_T4_T5_mT6_P12ihipStream_tbENKUlT_T0_E_clISt17integral_constantIbLb1EESW_EEDaSR_SS_EUlSR_E0_NS1_11comp_targetILNS1_3genE0ELNS1_11target_archE4294967295ELNS1_3gpuE0ELNS1_3repE0EEENS1_30default_config_static_selectorELNS0_4arch9wavefront6targetE0EEEvT1_: ; @_ZN7rocprim17ROCPRIM_400000_NS6detail17trampoline_kernelINS0_14default_configENS1_20scan_config_selectorIfEEZZNS1_9scan_implILNS1_25lookback_scan_determinismE0ELb0ELb0ES3_PKfPffZZZN2at6native31launch_logcumsumexp_cuda_kernelERKNSB_10TensorBaseESF_lENKUlvE_clEvENKUlvE0_clEvEUlffE_fEEDaPvRmT3_T4_T5_mT6_P12ihipStream_tbENKUlT_T0_E_clISt17integral_constantIbLb1EESW_EEDaSR_SS_EUlSR_E0_NS1_11comp_targetILNS1_3genE0ELNS1_11target_archE4294967295ELNS1_3gpuE0ELNS1_3repE0EEENS1_30default_config_static_selectorELNS0_4arch9wavefront6targetE0EEEvT1_
; %bb.0:
	.section	.rodata,"a",@progbits
	.p2align	6, 0x0
	.amdhsa_kernel _ZN7rocprim17ROCPRIM_400000_NS6detail17trampoline_kernelINS0_14default_configENS1_20scan_config_selectorIfEEZZNS1_9scan_implILNS1_25lookback_scan_determinismE0ELb0ELb0ES3_PKfPffZZZN2at6native31launch_logcumsumexp_cuda_kernelERKNSB_10TensorBaseESF_lENKUlvE_clEvENKUlvE0_clEvEUlffE_fEEDaPvRmT3_T4_T5_mT6_P12ihipStream_tbENKUlT_T0_E_clISt17integral_constantIbLb1EESW_EEDaSR_SS_EUlSR_E0_NS1_11comp_targetILNS1_3genE0ELNS1_11target_archE4294967295ELNS1_3gpuE0ELNS1_3repE0EEENS1_30default_config_static_selectorELNS0_4arch9wavefront6targetE0EEEvT1_
		.amdhsa_group_segment_fixed_size 0
		.amdhsa_private_segment_fixed_size 0
		.amdhsa_kernarg_size 32
		.amdhsa_user_sgpr_count 2
		.amdhsa_user_sgpr_dispatch_ptr 0
		.amdhsa_user_sgpr_queue_ptr 0
		.amdhsa_user_sgpr_kernarg_segment_ptr 1
		.amdhsa_user_sgpr_dispatch_id 0
		.amdhsa_user_sgpr_private_segment_size 0
		.amdhsa_wavefront_size32 1
		.amdhsa_uses_dynamic_stack 0
		.amdhsa_enable_private_segment 0
		.amdhsa_system_sgpr_workgroup_id_x 1
		.amdhsa_system_sgpr_workgroup_id_y 0
		.amdhsa_system_sgpr_workgroup_id_z 0
		.amdhsa_system_sgpr_workgroup_info 0
		.amdhsa_system_vgpr_workitem_id 0
		.amdhsa_next_free_vgpr 1
		.amdhsa_next_free_sgpr 1
		.amdhsa_reserve_vcc 0
		.amdhsa_float_round_mode_32 0
		.amdhsa_float_round_mode_16_64 0
		.amdhsa_float_denorm_mode_32 3
		.amdhsa_float_denorm_mode_16_64 3
		.amdhsa_fp16_overflow 0
		.amdhsa_workgroup_processor_mode 1
		.amdhsa_memory_ordered 1
		.amdhsa_forward_progress 1
		.amdhsa_inst_pref_size 0
		.amdhsa_round_robin_scheduling 0
		.amdhsa_exception_fp_ieee_invalid_op 0
		.amdhsa_exception_fp_denorm_src 0
		.amdhsa_exception_fp_ieee_div_zero 0
		.amdhsa_exception_fp_ieee_overflow 0
		.amdhsa_exception_fp_ieee_underflow 0
		.amdhsa_exception_fp_ieee_inexact 0
		.amdhsa_exception_int_div_zero 0
	.end_amdhsa_kernel
	.section	.text._ZN7rocprim17ROCPRIM_400000_NS6detail17trampoline_kernelINS0_14default_configENS1_20scan_config_selectorIfEEZZNS1_9scan_implILNS1_25lookback_scan_determinismE0ELb0ELb0ES3_PKfPffZZZN2at6native31launch_logcumsumexp_cuda_kernelERKNSB_10TensorBaseESF_lENKUlvE_clEvENKUlvE0_clEvEUlffE_fEEDaPvRmT3_T4_T5_mT6_P12ihipStream_tbENKUlT_T0_E_clISt17integral_constantIbLb1EESW_EEDaSR_SS_EUlSR_E0_NS1_11comp_targetILNS1_3genE0ELNS1_11target_archE4294967295ELNS1_3gpuE0ELNS1_3repE0EEENS1_30default_config_static_selectorELNS0_4arch9wavefront6targetE0EEEvT1_,"axG",@progbits,_ZN7rocprim17ROCPRIM_400000_NS6detail17trampoline_kernelINS0_14default_configENS1_20scan_config_selectorIfEEZZNS1_9scan_implILNS1_25lookback_scan_determinismE0ELb0ELb0ES3_PKfPffZZZN2at6native31launch_logcumsumexp_cuda_kernelERKNSB_10TensorBaseESF_lENKUlvE_clEvENKUlvE0_clEvEUlffE_fEEDaPvRmT3_T4_T5_mT6_P12ihipStream_tbENKUlT_T0_E_clISt17integral_constantIbLb1EESW_EEDaSR_SS_EUlSR_E0_NS1_11comp_targetILNS1_3genE0ELNS1_11target_archE4294967295ELNS1_3gpuE0ELNS1_3repE0EEENS1_30default_config_static_selectorELNS0_4arch9wavefront6targetE0EEEvT1_,comdat
.Lfunc_end124:
	.size	_ZN7rocprim17ROCPRIM_400000_NS6detail17trampoline_kernelINS0_14default_configENS1_20scan_config_selectorIfEEZZNS1_9scan_implILNS1_25lookback_scan_determinismE0ELb0ELb0ES3_PKfPffZZZN2at6native31launch_logcumsumexp_cuda_kernelERKNSB_10TensorBaseESF_lENKUlvE_clEvENKUlvE0_clEvEUlffE_fEEDaPvRmT3_T4_T5_mT6_P12ihipStream_tbENKUlT_T0_E_clISt17integral_constantIbLb1EESW_EEDaSR_SS_EUlSR_E0_NS1_11comp_targetILNS1_3genE0ELNS1_11target_archE4294967295ELNS1_3gpuE0ELNS1_3repE0EEENS1_30default_config_static_selectorELNS0_4arch9wavefront6targetE0EEEvT1_, .Lfunc_end124-_ZN7rocprim17ROCPRIM_400000_NS6detail17trampoline_kernelINS0_14default_configENS1_20scan_config_selectorIfEEZZNS1_9scan_implILNS1_25lookback_scan_determinismE0ELb0ELb0ES3_PKfPffZZZN2at6native31launch_logcumsumexp_cuda_kernelERKNSB_10TensorBaseESF_lENKUlvE_clEvENKUlvE0_clEvEUlffE_fEEDaPvRmT3_T4_T5_mT6_P12ihipStream_tbENKUlT_T0_E_clISt17integral_constantIbLb1EESW_EEDaSR_SS_EUlSR_E0_NS1_11comp_targetILNS1_3genE0ELNS1_11target_archE4294967295ELNS1_3gpuE0ELNS1_3repE0EEENS1_30default_config_static_selectorELNS0_4arch9wavefront6targetE0EEEvT1_
                                        ; -- End function
	.set _ZN7rocprim17ROCPRIM_400000_NS6detail17trampoline_kernelINS0_14default_configENS1_20scan_config_selectorIfEEZZNS1_9scan_implILNS1_25lookback_scan_determinismE0ELb0ELb0ES3_PKfPffZZZN2at6native31launch_logcumsumexp_cuda_kernelERKNSB_10TensorBaseESF_lENKUlvE_clEvENKUlvE0_clEvEUlffE_fEEDaPvRmT3_T4_T5_mT6_P12ihipStream_tbENKUlT_T0_E_clISt17integral_constantIbLb1EESW_EEDaSR_SS_EUlSR_E0_NS1_11comp_targetILNS1_3genE0ELNS1_11target_archE4294967295ELNS1_3gpuE0ELNS1_3repE0EEENS1_30default_config_static_selectorELNS0_4arch9wavefront6targetE0EEEvT1_.num_vgpr, 0
	.set _ZN7rocprim17ROCPRIM_400000_NS6detail17trampoline_kernelINS0_14default_configENS1_20scan_config_selectorIfEEZZNS1_9scan_implILNS1_25lookback_scan_determinismE0ELb0ELb0ES3_PKfPffZZZN2at6native31launch_logcumsumexp_cuda_kernelERKNSB_10TensorBaseESF_lENKUlvE_clEvENKUlvE0_clEvEUlffE_fEEDaPvRmT3_T4_T5_mT6_P12ihipStream_tbENKUlT_T0_E_clISt17integral_constantIbLb1EESW_EEDaSR_SS_EUlSR_E0_NS1_11comp_targetILNS1_3genE0ELNS1_11target_archE4294967295ELNS1_3gpuE0ELNS1_3repE0EEENS1_30default_config_static_selectorELNS0_4arch9wavefront6targetE0EEEvT1_.num_agpr, 0
	.set _ZN7rocprim17ROCPRIM_400000_NS6detail17trampoline_kernelINS0_14default_configENS1_20scan_config_selectorIfEEZZNS1_9scan_implILNS1_25lookback_scan_determinismE0ELb0ELb0ES3_PKfPffZZZN2at6native31launch_logcumsumexp_cuda_kernelERKNSB_10TensorBaseESF_lENKUlvE_clEvENKUlvE0_clEvEUlffE_fEEDaPvRmT3_T4_T5_mT6_P12ihipStream_tbENKUlT_T0_E_clISt17integral_constantIbLb1EESW_EEDaSR_SS_EUlSR_E0_NS1_11comp_targetILNS1_3genE0ELNS1_11target_archE4294967295ELNS1_3gpuE0ELNS1_3repE0EEENS1_30default_config_static_selectorELNS0_4arch9wavefront6targetE0EEEvT1_.numbered_sgpr, 0
	.set _ZN7rocprim17ROCPRIM_400000_NS6detail17trampoline_kernelINS0_14default_configENS1_20scan_config_selectorIfEEZZNS1_9scan_implILNS1_25lookback_scan_determinismE0ELb0ELb0ES3_PKfPffZZZN2at6native31launch_logcumsumexp_cuda_kernelERKNSB_10TensorBaseESF_lENKUlvE_clEvENKUlvE0_clEvEUlffE_fEEDaPvRmT3_T4_T5_mT6_P12ihipStream_tbENKUlT_T0_E_clISt17integral_constantIbLb1EESW_EEDaSR_SS_EUlSR_E0_NS1_11comp_targetILNS1_3genE0ELNS1_11target_archE4294967295ELNS1_3gpuE0ELNS1_3repE0EEENS1_30default_config_static_selectorELNS0_4arch9wavefront6targetE0EEEvT1_.num_named_barrier, 0
	.set _ZN7rocprim17ROCPRIM_400000_NS6detail17trampoline_kernelINS0_14default_configENS1_20scan_config_selectorIfEEZZNS1_9scan_implILNS1_25lookback_scan_determinismE0ELb0ELb0ES3_PKfPffZZZN2at6native31launch_logcumsumexp_cuda_kernelERKNSB_10TensorBaseESF_lENKUlvE_clEvENKUlvE0_clEvEUlffE_fEEDaPvRmT3_T4_T5_mT6_P12ihipStream_tbENKUlT_T0_E_clISt17integral_constantIbLb1EESW_EEDaSR_SS_EUlSR_E0_NS1_11comp_targetILNS1_3genE0ELNS1_11target_archE4294967295ELNS1_3gpuE0ELNS1_3repE0EEENS1_30default_config_static_selectorELNS0_4arch9wavefront6targetE0EEEvT1_.private_seg_size, 0
	.set _ZN7rocprim17ROCPRIM_400000_NS6detail17trampoline_kernelINS0_14default_configENS1_20scan_config_selectorIfEEZZNS1_9scan_implILNS1_25lookback_scan_determinismE0ELb0ELb0ES3_PKfPffZZZN2at6native31launch_logcumsumexp_cuda_kernelERKNSB_10TensorBaseESF_lENKUlvE_clEvENKUlvE0_clEvEUlffE_fEEDaPvRmT3_T4_T5_mT6_P12ihipStream_tbENKUlT_T0_E_clISt17integral_constantIbLb1EESW_EEDaSR_SS_EUlSR_E0_NS1_11comp_targetILNS1_3genE0ELNS1_11target_archE4294967295ELNS1_3gpuE0ELNS1_3repE0EEENS1_30default_config_static_selectorELNS0_4arch9wavefront6targetE0EEEvT1_.uses_vcc, 0
	.set _ZN7rocprim17ROCPRIM_400000_NS6detail17trampoline_kernelINS0_14default_configENS1_20scan_config_selectorIfEEZZNS1_9scan_implILNS1_25lookback_scan_determinismE0ELb0ELb0ES3_PKfPffZZZN2at6native31launch_logcumsumexp_cuda_kernelERKNSB_10TensorBaseESF_lENKUlvE_clEvENKUlvE0_clEvEUlffE_fEEDaPvRmT3_T4_T5_mT6_P12ihipStream_tbENKUlT_T0_E_clISt17integral_constantIbLb1EESW_EEDaSR_SS_EUlSR_E0_NS1_11comp_targetILNS1_3genE0ELNS1_11target_archE4294967295ELNS1_3gpuE0ELNS1_3repE0EEENS1_30default_config_static_selectorELNS0_4arch9wavefront6targetE0EEEvT1_.uses_flat_scratch, 0
	.set _ZN7rocprim17ROCPRIM_400000_NS6detail17trampoline_kernelINS0_14default_configENS1_20scan_config_selectorIfEEZZNS1_9scan_implILNS1_25lookback_scan_determinismE0ELb0ELb0ES3_PKfPffZZZN2at6native31launch_logcumsumexp_cuda_kernelERKNSB_10TensorBaseESF_lENKUlvE_clEvENKUlvE0_clEvEUlffE_fEEDaPvRmT3_T4_T5_mT6_P12ihipStream_tbENKUlT_T0_E_clISt17integral_constantIbLb1EESW_EEDaSR_SS_EUlSR_E0_NS1_11comp_targetILNS1_3genE0ELNS1_11target_archE4294967295ELNS1_3gpuE0ELNS1_3repE0EEENS1_30default_config_static_selectorELNS0_4arch9wavefront6targetE0EEEvT1_.has_dyn_sized_stack, 0
	.set _ZN7rocprim17ROCPRIM_400000_NS6detail17trampoline_kernelINS0_14default_configENS1_20scan_config_selectorIfEEZZNS1_9scan_implILNS1_25lookback_scan_determinismE0ELb0ELb0ES3_PKfPffZZZN2at6native31launch_logcumsumexp_cuda_kernelERKNSB_10TensorBaseESF_lENKUlvE_clEvENKUlvE0_clEvEUlffE_fEEDaPvRmT3_T4_T5_mT6_P12ihipStream_tbENKUlT_T0_E_clISt17integral_constantIbLb1EESW_EEDaSR_SS_EUlSR_E0_NS1_11comp_targetILNS1_3genE0ELNS1_11target_archE4294967295ELNS1_3gpuE0ELNS1_3repE0EEENS1_30default_config_static_selectorELNS0_4arch9wavefront6targetE0EEEvT1_.has_recursion, 0
	.set _ZN7rocprim17ROCPRIM_400000_NS6detail17trampoline_kernelINS0_14default_configENS1_20scan_config_selectorIfEEZZNS1_9scan_implILNS1_25lookback_scan_determinismE0ELb0ELb0ES3_PKfPffZZZN2at6native31launch_logcumsumexp_cuda_kernelERKNSB_10TensorBaseESF_lENKUlvE_clEvENKUlvE0_clEvEUlffE_fEEDaPvRmT3_T4_T5_mT6_P12ihipStream_tbENKUlT_T0_E_clISt17integral_constantIbLb1EESW_EEDaSR_SS_EUlSR_E0_NS1_11comp_targetILNS1_3genE0ELNS1_11target_archE4294967295ELNS1_3gpuE0ELNS1_3repE0EEENS1_30default_config_static_selectorELNS0_4arch9wavefront6targetE0EEEvT1_.has_indirect_call, 0
	.section	.AMDGPU.csdata,"",@progbits
; Kernel info:
; codeLenInByte = 0
; TotalNumSgprs: 0
; NumVgprs: 0
; ScratchSize: 0
; MemoryBound: 0
; FloatMode: 240
; IeeeMode: 1
; LDSByteSize: 0 bytes/workgroup (compile time only)
; SGPRBlocks: 0
; VGPRBlocks: 0
; NumSGPRsForWavesPerEU: 1
; NumVGPRsForWavesPerEU: 1
; Occupancy: 16
; WaveLimiterHint : 0
; COMPUTE_PGM_RSRC2:SCRATCH_EN: 0
; COMPUTE_PGM_RSRC2:USER_SGPR: 2
; COMPUTE_PGM_RSRC2:TRAP_HANDLER: 0
; COMPUTE_PGM_RSRC2:TGID_X_EN: 1
; COMPUTE_PGM_RSRC2:TGID_Y_EN: 0
; COMPUTE_PGM_RSRC2:TGID_Z_EN: 0
; COMPUTE_PGM_RSRC2:TIDIG_COMP_CNT: 0
	.section	.text._ZN7rocprim17ROCPRIM_400000_NS6detail17trampoline_kernelINS0_14default_configENS1_20scan_config_selectorIfEEZZNS1_9scan_implILNS1_25lookback_scan_determinismE0ELb0ELb0ES3_PKfPffZZZN2at6native31launch_logcumsumexp_cuda_kernelERKNSB_10TensorBaseESF_lENKUlvE_clEvENKUlvE0_clEvEUlffE_fEEDaPvRmT3_T4_T5_mT6_P12ihipStream_tbENKUlT_T0_E_clISt17integral_constantIbLb1EESW_EEDaSR_SS_EUlSR_E0_NS1_11comp_targetILNS1_3genE5ELNS1_11target_archE942ELNS1_3gpuE9ELNS1_3repE0EEENS1_30default_config_static_selectorELNS0_4arch9wavefront6targetE0EEEvT1_,"axG",@progbits,_ZN7rocprim17ROCPRIM_400000_NS6detail17trampoline_kernelINS0_14default_configENS1_20scan_config_selectorIfEEZZNS1_9scan_implILNS1_25lookback_scan_determinismE0ELb0ELb0ES3_PKfPffZZZN2at6native31launch_logcumsumexp_cuda_kernelERKNSB_10TensorBaseESF_lENKUlvE_clEvENKUlvE0_clEvEUlffE_fEEDaPvRmT3_T4_T5_mT6_P12ihipStream_tbENKUlT_T0_E_clISt17integral_constantIbLb1EESW_EEDaSR_SS_EUlSR_E0_NS1_11comp_targetILNS1_3genE5ELNS1_11target_archE942ELNS1_3gpuE9ELNS1_3repE0EEENS1_30default_config_static_selectorELNS0_4arch9wavefront6targetE0EEEvT1_,comdat
	.globl	_ZN7rocprim17ROCPRIM_400000_NS6detail17trampoline_kernelINS0_14default_configENS1_20scan_config_selectorIfEEZZNS1_9scan_implILNS1_25lookback_scan_determinismE0ELb0ELb0ES3_PKfPffZZZN2at6native31launch_logcumsumexp_cuda_kernelERKNSB_10TensorBaseESF_lENKUlvE_clEvENKUlvE0_clEvEUlffE_fEEDaPvRmT3_T4_T5_mT6_P12ihipStream_tbENKUlT_T0_E_clISt17integral_constantIbLb1EESW_EEDaSR_SS_EUlSR_E0_NS1_11comp_targetILNS1_3genE5ELNS1_11target_archE942ELNS1_3gpuE9ELNS1_3repE0EEENS1_30default_config_static_selectorELNS0_4arch9wavefront6targetE0EEEvT1_ ; -- Begin function _ZN7rocprim17ROCPRIM_400000_NS6detail17trampoline_kernelINS0_14default_configENS1_20scan_config_selectorIfEEZZNS1_9scan_implILNS1_25lookback_scan_determinismE0ELb0ELb0ES3_PKfPffZZZN2at6native31launch_logcumsumexp_cuda_kernelERKNSB_10TensorBaseESF_lENKUlvE_clEvENKUlvE0_clEvEUlffE_fEEDaPvRmT3_T4_T5_mT6_P12ihipStream_tbENKUlT_T0_E_clISt17integral_constantIbLb1EESW_EEDaSR_SS_EUlSR_E0_NS1_11comp_targetILNS1_3genE5ELNS1_11target_archE942ELNS1_3gpuE9ELNS1_3repE0EEENS1_30default_config_static_selectorELNS0_4arch9wavefront6targetE0EEEvT1_
	.p2align	8
	.type	_ZN7rocprim17ROCPRIM_400000_NS6detail17trampoline_kernelINS0_14default_configENS1_20scan_config_selectorIfEEZZNS1_9scan_implILNS1_25lookback_scan_determinismE0ELb0ELb0ES3_PKfPffZZZN2at6native31launch_logcumsumexp_cuda_kernelERKNSB_10TensorBaseESF_lENKUlvE_clEvENKUlvE0_clEvEUlffE_fEEDaPvRmT3_T4_T5_mT6_P12ihipStream_tbENKUlT_T0_E_clISt17integral_constantIbLb1EESW_EEDaSR_SS_EUlSR_E0_NS1_11comp_targetILNS1_3genE5ELNS1_11target_archE942ELNS1_3gpuE9ELNS1_3repE0EEENS1_30default_config_static_selectorELNS0_4arch9wavefront6targetE0EEEvT1_,@function
_ZN7rocprim17ROCPRIM_400000_NS6detail17trampoline_kernelINS0_14default_configENS1_20scan_config_selectorIfEEZZNS1_9scan_implILNS1_25lookback_scan_determinismE0ELb0ELb0ES3_PKfPffZZZN2at6native31launch_logcumsumexp_cuda_kernelERKNSB_10TensorBaseESF_lENKUlvE_clEvENKUlvE0_clEvEUlffE_fEEDaPvRmT3_T4_T5_mT6_P12ihipStream_tbENKUlT_T0_E_clISt17integral_constantIbLb1EESW_EEDaSR_SS_EUlSR_E0_NS1_11comp_targetILNS1_3genE5ELNS1_11target_archE942ELNS1_3gpuE9ELNS1_3repE0EEENS1_30default_config_static_selectorELNS0_4arch9wavefront6targetE0EEEvT1_: ; @_ZN7rocprim17ROCPRIM_400000_NS6detail17trampoline_kernelINS0_14default_configENS1_20scan_config_selectorIfEEZZNS1_9scan_implILNS1_25lookback_scan_determinismE0ELb0ELb0ES3_PKfPffZZZN2at6native31launch_logcumsumexp_cuda_kernelERKNSB_10TensorBaseESF_lENKUlvE_clEvENKUlvE0_clEvEUlffE_fEEDaPvRmT3_T4_T5_mT6_P12ihipStream_tbENKUlT_T0_E_clISt17integral_constantIbLb1EESW_EEDaSR_SS_EUlSR_E0_NS1_11comp_targetILNS1_3genE5ELNS1_11target_archE942ELNS1_3gpuE9ELNS1_3repE0EEENS1_30default_config_static_selectorELNS0_4arch9wavefront6targetE0EEEvT1_
; %bb.0:
	.section	.rodata,"a",@progbits
	.p2align	6, 0x0
	.amdhsa_kernel _ZN7rocprim17ROCPRIM_400000_NS6detail17trampoline_kernelINS0_14default_configENS1_20scan_config_selectorIfEEZZNS1_9scan_implILNS1_25lookback_scan_determinismE0ELb0ELb0ES3_PKfPffZZZN2at6native31launch_logcumsumexp_cuda_kernelERKNSB_10TensorBaseESF_lENKUlvE_clEvENKUlvE0_clEvEUlffE_fEEDaPvRmT3_T4_T5_mT6_P12ihipStream_tbENKUlT_T0_E_clISt17integral_constantIbLb1EESW_EEDaSR_SS_EUlSR_E0_NS1_11comp_targetILNS1_3genE5ELNS1_11target_archE942ELNS1_3gpuE9ELNS1_3repE0EEENS1_30default_config_static_selectorELNS0_4arch9wavefront6targetE0EEEvT1_
		.amdhsa_group_segment_fixed_size 0
		.amdhsa_private_segment_fixed_size 0
		.amdhsa_kernarg_size 32
		.amdhsa_user_sgpr_count 2
		.amdhsa_user_sgpr_dispatch_ptr 0
		.amdhsa_user_sgpr_queue_ptr 0
		.amdhsa_user_sgpr_kernarg_segment_ptr 1
		.amdhsa_user_sgpr_dispatch_id 0
		.amdhsa_user_sgpr_private_segment_size 0
		.amdhsa_wavefront_size32 1
		.amdhsa_uses_dynamic_stack 0
		.amdhsa_enable_private_segment 0
		.amdhsa_system_sgpr_workgroup_id_x 1
		.amdhsa_system_sgpr_workgroup_id_y 0
		.amdhsa_system_sgpr_workgroup_id_z 0
		.amdhsa_system_sgpr_workgroup_info 0
		.amdhsa_system_vgpr_workitem_id 0
		.amdhsa_next_free_vgpr 1
		.amdhsa_next_free_sgpr 1
		.amdhsa_reserve_vcc 0
		.amdhsa_float_round_mode_32 0
		.amdhsa_float_round_mode_16_64 0
		.amdhsa_float_denorm_mode_32 3
		.amdhsa_float_denorm_mode_16_64 3
		.amdhsa_fp16_overflow 0
		.amdhsa_workgroup_processor_mode 1
		.amdhsa_memory_ordered 1
		.amdhsa_forward_progress 1
		.amdhsa_inst_pref_size 0
		.amdhsa_round_robin_scheduling 0
		.amdhsa_exception_fp_ieee_invalid_op 0
		.amdhsa_exception_fp_denorm_src 0
		.amdhsa_exception_fp_ieee_div_zero 0
		.amdhsa_exception_fp_ieee_overflow 0
		.amdhsa_exception_fp_ieee_underflow 0
		.amdhsa_exception_fp_ieee_inexact 0
		.amdhsa_exception_int_div_zero 0
	.end_amdhsa_kernel
	.section	.text._ZN7rocprim17ROCPRIM_400000_NS6detail17trampoline_kernelINS0_14default_configENS1_20scan_config_selectorIfEEZZNS1_9scan_implILNS1_25lookback_scan_determinismE0ELb0ELb0ES3_PKfPffZZZN2at6native31launch_logcumsumexp_cuda_kernelERKNSB_10TensorBaseESF_lENKUlvE_clEvENKUlvE0_clEvEUlffE_fEEDaPvRmT3_T4_T5_mT6_P12ihipStream_tbENKUlT_T0_E_clISt17integral_constantIbLb1EESW_EEDaSR_SS_EUlSR_E0_NS1_11comp_targetILNS1_3genE5ELNS1_11target_archE942ELNS1_3gpuE9ELNS1_3repE0EEENS1_30default_config_static_selectorELNS0_4arch9wavefront6targetE0EEEvT1_,"axG",@progbits,_ZN7rocprim17ROCPRIM_400000_NS6detail17trampoline_kernelINS0_14default_configENS1_20scan_config_selectorIfEEZZNS1_9scan_implILNS1_25lookback_scan_determinismE0ELb0ELb0ES3_PKfPffZZZN2at6native31launch_logcumsumexp_cuda_kernelERKNSB_10TensorBaseESF_lENKUlvE_clEvENKUlvE0_clEvEUlffE_fEEDaPvRmT3_T4_T5_mT6_P12ihipStream_tbENKUlT_T0_E_clISt17integral_constantIbLb1EESW_EEDaSR_SS_EUlSR_E0_NS1_11comp_targetILNS1_3genE5ELNS1_11target_archE942ELNS1_3gpuE9ELNS1_3repE0EEENS1_30default_config_static_selectorELNS0_4arch9wavefront6targetE0EEEvT1_,comdat
.Lfunc_end125:
	.size	_ZN7rocprim17ROCPRIM_400000_NS6detail17trampoline_kernelINS0_14default_configENS1_20scan_config_selectorIfEEZZNS1_9scan_implILNS1_25lookback_scan_determinismE0ELb0ELb0ES3_PKfPffZZZN2at6native31launch_logcumsumexp_cuda_kernelERKNSB_10TensorBaseESF_lENKUlvE_clEvENKUlvE0_clEvEUlffE_fEEDaPvRmT3_T4_T5_mT6_P12ihipStream_tbENKUlT_T0_E_clISt17integral_constantIbLb1EESW_EEDaSR_SS_EUlSR_E0_NS1_11comp_targetILNS1_3genE5ELNS1_11target_archE942ELNS1_3gpuE9ELNS1_3repE0EEENS1_30default_config_static_selectorELNS0_4arch9wavefront6targetE0EEEvT1_, .Lfunc_end125-_ZN7rocprim17ROCPRIM_400000_NS6detail17trampoline_kernelINS0_14default_configENS1_20scan_config_selectorIfEEZZNS1_9scan_implILNS1_25lookback_scan_determinismE0ELb0ELb0ES3_PKfPffZZZN2at6native31launch_logcumsumexp_cuda_kernelERKNSB_10TensorBaseESF_lENKUlvE_clEvENKUlvE0_clEvEUlffE_fEEDaPvRmT3_T4_T5_mT6_P12ihipStream_tbENKUlT_T0_E_clISt17integral_constantIbLb1EESW_EEDaSR_SS_EUlSR_E0_NS1_11comp_targetILNS1_3genE5ELNS1_11target_archE942ELNS1_3gpuE9ELNS1_3repE0EEENS1_30default_config_static_selectorELNS0_4arch9wavefront6targetE0EEEvT1_
                                        ; -- End function
	.set _ZN7rocprim17ROCPRIM_400000_NS6detail17trampoline_kernelINS0_14default_configENS1_20scan_config_selectorIfEEZZNS1_9scan_implILNS1_25lookback_scan_determinismE0ELb0ELb0ES3_PKfPffZZZN2at6native31launch_logcumsumexp_cuda_kernelERKNSB_10TensorBaseESF_lENKUlvE_clEvENKUlvE0_clEvEUlffE_fEEDaPvRmT3_T4_T5_mT6_P12ihipStream_tbENKUlT_T0_E_clISt17integral_constantIbLb1EESW_EEDaSR_SS_EUlSR_E0_NS1_11comp_targetILNS1_3genE5ELNS1_11target_archE942ELNS1_3gpuE9ELNS1_3repE0EEENS1_30default_config_static_selectorELNS0_4arch9wavefront6targetE0EEEvT1_.num_vgpr, 0
	.set _ZN7rocprim17ROCPRIM_400000_NS6detail17trampoline_kernelINS0_14default_configENS1_20scan_config_selectorIfEEZZNS1_9scan_implILNS1_25lookback_scan_determinismE0ELb0ELb0ES3_PKfPffZZZN2at6native31launch_logcumsumexp_cuda_kernelERKNSB_10TensorBaseESF_lENKUlvE_clEvENKUlvE0_clEvEUlffE_fEEDaPvRmT3_T4_T5_mT6_P12ihipStream_tbENKUlT_T0_E_clISt17integral_constantIbLb1EESW_EEDaSR_SS_EUlSR_E0_NS1_11comp_targetILNS1_3genE5ELNS1_11target_archE942ELNS1_3gpuE9ELNS1_3repE0EEENS1_30default_config_static_selectorELNS0_4arch9wavefront6targetE0EEEvT1_.num_agpr, 0
	.set _ZN7rocprim17ROCPRIM_400000_NS6detail17trampoline_kernelINS0_14default_configENS1_20scan_config_selectorIfEEZZNS1_9scan_implILNS1_25lookback_scan_determinismE0ELb0ELb0ES3_PKfPffZZZN2at6native31launch_logcumsumexp_cuda_kernelERKNSB_10TensorBaseESF_lENKUlvE_clEvENKUlvE0_clEvEUlffE_fEEDaPvRmT3_T4_T5_mT6_P12ihipStream_tbENKUlT_T0_E_clISt17integral_constantIbLb1EESW_EEDaSR_SS_EUlSR_E0_NS1_11comp_targetILNS1_3genE5ELNS1_11target_archE942ELNS1_3gpuE9ELNS1_3repE0EEENS1_30default_config_static_selectorELNS0_4arch9wavefront6targetE0EEEvT1_.numbered_sgpr, 0
	.set _ZN7rocprim17ROCPRIM_400000_NS6detail17trampoline_kernelINS0_14default_configENS1_20scan_config_selectorIfEEZZNS1_9scan_implILNS1_25lookback_scan_determinismE0ELb0ELb0ES3_PKfPffZZZN2at6native31launch_logcumsumexp_cuda_kernelERKNSB_10TensorBaseESF_lENKUlvE_clEvENKUlvE0_clEvEUlffE_fEEDaPvRmT3_T4_T5_mT6_P12ihipStream_tbENKUlT_T0_E_clISt17integral_constantIbLb1EESW_EEDaSR_SS_EUlSR_E0_NS1_11comp_targetILNS1_3genE5ELNS1_11target_archE942ELNS1_3gpuE9ELNS1_3repE0EEENS1_30default_config_static_selectorELNS0_4arch9wavefront6targetE0EEEvT1_.num_named_barrier, 0
	.set _ZN7rocprim17ROCPRIM_400000_NS6detail17trampoline_kernelINS0_14default_configENS1_20scan_config_selectorIfEEZZNS1_9scan_implILNS1_25lookback_scan_determinismE0ELb0ELb0ES3_PKfPffZZZN2at6native31launch_logcumsumexp_cuda_kernelERKNSB_10TensorBaseESF_lENKUlvE_clEvENKUlvE0_clEvEUlffE_fEEDaPvRmT3_T4_T5_mT6_P12ihipStream_tbENKUlT_T0_E_clISt17integral_constantIbLb1EESW_EEDaSR_SS_EUlSR_E0_NS1_11comp_targetILNS1_3genE5ELNS1_11target_archE942ELNS1_3gpuE9ELNS1_3repE0EEENS1_30default_config_static_selectorELNS0_4arch9wavefront6targetE0EEEvT1_.private_seg_size, 0
	.set _ZN7rocprim17ROCPRIM_400000_NS6detail17trampoline_kernelINS0_14default_configENS1_20scan_config_selectorIfEEZZNS1_9scan_implILNS1_25lookback_scan_determinismE0ELb0ELb0ES3_PKfPffZZZN2at6native31launch_logcumsumexp_cuda_kernelERKNSB_10TensorBaseESF_lENKUlvE_clEvENKUlvE0_clEvEUlffE_fEEDaPvRmT3_T4_T5_mT6_P12ihipStream_tbENKUlT_T0_E_clISt17integral_constantIbLb1EESW_EEDaSR_SS_EUlSR_E0_NS1_11comp_targetILNS1_3genE5ELNS1_11target_archE942ELNS1_3gpuE9ELNS1_3repE0EEENS1_30default_config_static_selectorELNS0_4arch9wavefront6targetE0EEEvT1_.uses_vcc, 0
	.set _ZN7rocprim17ROCPRIM_400000_NS6detail17trampoline_kernelINS0_14default_configENS1_20scan_config_selectorIfEEZZNS1_9scan_implILNS1_25lookback_scan_determinismE0ELb0ELb0ES3_PKfPffZZZN2at6native31launch_logcumsumexp_cuda_kernelERKNSB_10TensorBaseESF_lENKUlvE_clEvENKUlvE0_clEvEUlffE_fEEDaPvRmT3_T4_T5_mT6_P12ihipStream_tbENKUlT_T0_E_clISt17integral_constantIbLb1EESW_EEDaSR_SS_EUlSR_E0_NS1_11comp_targetILNS1_3genE5ELNS1_11target_archE942ELNS1_3gpuE9ELNS1_3repE0EEENS1_30default_config_static_selectorELNS0_4arch9wavefront6targetE0EEEvT1_.uses_flat_scratch, 0
	.set _ZN7rocprim17ROCPRIM_400000_NS6detail17trampoline_kernelINS0_14default_configENS1_20scan_config_selectorIfEEZZNS1_9scan_implILNS1_25lookback_scan_determinismE0ELb0ELb0ES3_PKfPffZZZN2at6native31launch_logcumsumexp_cuda_kernelERKNSB_10TensorBaseESF_lENKUlvE_clEvENKUlvE0_clEvEUlffE_fEEDaPvRmT3_T4_T5_mT6_P12ihipStream_tbENKUlT_T0_E_clISt17integral_constantIbLb1EESW_EEDaSR_SS_EUlSR_E0_NS1_11comp_targetILNS1_3genE5ELNS1_11target_archE942ELNS1_3gpuE9ELNS1_3repE0EEENS1_30default_config_static_selectorELNS0_4arch9wavefront6targetE0EEEvT1_.has_dyn_sized_stack, 0
	.set _ZN7rocprim17ROCPRIM_400000_NS6detail17trampoline_kernelINS0_14default_configENS1_20scan_config_selectorIfEEZZNS1_9scan_implILNS1_25lookback_scan_determinismE0ELb0ELb0ES3_PKfPffZZZN2at6native31launch_logcumsumexp_cuda_kernelERKNSB_10TensorBaseESF_lENKUlvE_clEvENKUlvE0_clEvEUlffE_fEEDaPvRmT3_T4_T5_mT6_P12ihipStream_tbENKUlT_T0_E_clISt17integral_constantIbLb1EESW_EEDaSR_SS_EUlSR_E0_NS1_11comp_targetILNS1_3genE5ELNS1_11target_archE942ELNS1_3gpuE9ELNS1_3repE0EEENS1_30default_config_static_selectorELNS0_4arch9wavefront6targetE0EEEvT1_.has_recursion, 0
	.set _ZN7rocprim17ROCPRIM_400000_NS6detail17trampoline_kernelINS0_14default_configENS1_20scan_config_selectorIfEEZZNS1_9scan_implILNS1_25lookback_scan_determinismE0ELb0ELb0ES3_PKfPffZZZN2at6native31launch_logcumsumexp_cuda_kernelERKNSB_10TensorBaseESF_lENKUlvE_clEvENKUlvE0_clEvEUlffE_fEEDaPvRmT3_T4_T5_mT6_P12ihipStream_tbENKUlT_T0_E_clISt17integral_constantIbLb1EESW_EEDaSR_SS_EUlSR_E0_NS1_11comp_targetILNS1_3genE5ELNS1_11target_archE942ELNS1_3gpuE9ELNS1_3repE0EEENS1_30default_config_static_selectorELNS0_4arch9wavefront6targetE0EEEvT1_.has_indirect_call, 0
	.section	.AMDGPU.csdata,"",@progbits
; Kernel info:
; codeLenInByte = 0
; TotalNumSgprs: 0
; NumVgprs: 0
; ScratchSize: 0
; MemoryBound: 0
; FloatMode: 240
; IeeeMode: 1
; LDSByteSize: 0 bytes/workgroup (compile time only)
; SGPRBlocks: 0
; VGPRBlocks: 0
; NumSGPRsForWavesPerEU: 1
; NumVGPRsForWavesPerEU: 1
; Occupancy: 16
; WaveLimiterHint : 0
; COMPUTE_PGM_RSRC2:SCRATCH_EN: 0
; COMPUTE_PGM_RSRC2:USER_SGPR: 2
; COMPUTE_PGM_RSRC2:TRAP_HANDLER: 0
; COMPUTE_PGM_RSRC2:TGID_X_EN: 1
; COMPUTE_PGM_RSRC2:TGID_Y_EN: 0
; COMPUTE_PGM_RSRC2:TGID_Z_EN: 0
; COMPUTE_PGM_RSRC2:TIDIG_COMP_CNT: 0
	.section	.text._ZN7rocprim17ROCPRIM_400000_NS6detail17trampoline_kernelINS0_14default_configENS1_20scan_config_selectorIfEEZZNS1_9scan_implILNS1_25lookback_scan_determinismE0ELb0ELb0ES3_PKfPffZZZN2at6native31launch_logcumsumexp_cuda_kernelERKNSB_10TensorBaseESF_lENKUlvE_clEvENKUlvE0_clEvEUlffE_fEEDaPvRmT3_T4_T5_mT6_P12ihipStream_tbENKUlT_T0_E_clISt17integral_constantIbLb1EESW_EEDaSR_SS_EUlSR_E0_NS1_11comp_targetILNS1_3genE4ELNS1_11target_archE910ELNS1_3gpuE8ELNS1_3repE0EEENS1_30default_config_static_selectorELNS0_4arch9wavefront6targetE0EEEvT1_,"axG",@progbits,_ZN7rocprim17ROCPRIM_400000_NS6detail17trampoline_kernelINS0_14default_configENS1_20scan_config_selectorIfEEZZNS1_9scan_implILNS1_25lookback_scan_determinismE0ELb0ELb0ES3_PKfPffZZZN2at6native31launch_logcumsumexp_cuda_kernelERKNSB_10TensorBaseESF_lENKUlvE_clEvENKUlvE0_clEvEUlffE_fEEDaPvRmT3_T4_T5_mT6_P12ihipStream_tbENKUlT_T0_E_clISt17integral_constantIbLb1EESW_EEDaSR_SS_EUlSR_E0_NS1_11comp_targetILNS1_3genE4ELNS1_11target_archE910ELNS1_3gpuE8ELNS1_3repE0EEENS1_30default_config_static_selectorELNS0_4arch9wavefront6targetE0EEEvT1_,comdat
	.globl	_ZN7rocprim17ROCPRIM_400000_NS6detail17trampoline_kernelINS0_14default_configENS1_20scan_config_selectorIfEEZZNS1_9scan_implILNS1_25lookback_scan_determinismE0ELb0ELb0ES3_PKfPffZZZN2at6native31launch_logcumsumexp_cuda_kernelERKNSB_10TensorBaseESF_lENKUlvE_clEvENKUlvE0_clEvEUlffE_fEEDaPvRmT3_T4_T5_mT6_P12ihipStream_tbENKUlT_T0_E_clISt17integral_constantIbLb1EESW_EEDaSR_SS_EUlSR_E0_NS1_11comp_targetILNS1_3genE4ELNS1_11target_archE910ELNS1_3gpuE8ELNS1_3repE0EEENS1_30default_config_static_selectorELNS0_4arch9wavefront6targetE0EEEvT1_ ; -- Begin function _ZN7rocprim17ROCPRIM_400000_NS6detail17trampoline_kernelINS0_14default_configENS1_20scan_config_selectorIfEEZZNS1_9scan_implILNS1_25lookback_scan_determinismE0ELb0ELb0ES3_PKfPffZZZN2at6native31launch_logcumsumexp_cuda_kernelERKNSB_10TensorBaseESF_lENKUlvE_clEvENKUlvE0_clEvEUlffE_fEEDaPvRmT3_T4_T5_mT6_P12ihipStream_tbENKUlT_T0_E_clISt17integral_constantIbLb1EESW_EEDaSR_SS_EUlSR_E0_NS1_11comp_targetILNS1_3genE4ELNS1_11target_archE910ELNS1_3gpuE8ELNS1_3repE0EEENS1_30default_config_static_selectorELNS0_4arch9wavefront6targetE0EEEvT1_
	.p2align	8
	.type	_ZN7rocprim17ROCPRIM_400000_NS6detail17trampoline_kernelINS0_14default_configENS1_20scan_config_selectorIfEEZZNS1_9scan_implILNS1_25lookback_scan_determinismE0ELb0ELb0ES3_PKfPffZZZN2at6native31launch_logcumsumexp_cuda_kernelERKNSB_10TensorBaseESF_lENKUlvE_clEvENKUlvE0_clEvEUlffE_fEEDaPvRmT3_T4_T5_mT6_P12ihipStream_tbENKUlT_T0_E_clISt17integral_constantIbLb1EESW_EEDaSR_SS_EUlSR_E0_NS1_11comp_targetILNS1_3genE4ELNS1_11target_archE910ELNS1_3gpuE8ELNS1_3repE0EEENS1_30default_config_static_selectorELNS0_4arch9wavefront6targetE0EEEvT1_,@function
_ZN7rocprim17ROCPRIM_400000_NS6detail17trampoline_kernelINS0_14default_configENS1_20scan_config_selectorIfEEZZNS1_9scan_implILNS1_25lookback_scan_determinismE0ELb0ELb0ES3_PKfPffZZZN2at6native31launch_logcumsumexp_cuda_kernelERKNSB_10TensorBaseESF_lENKUlvE_clEvENKUlvE0_clEvEUlffE_fEEDaPvRmT3_T4_T5_mT6_P12ihipStream_tbENKUlT_T0_E_clISt17integral_constantIbLb1EESW_EEDaSR_SS_EUlSR_E0_NS1_11comp_targetILNS1_3genE4ELNS1_11target_archE910ELNS1_3gpuE8ELNS1_3repE0EEENS1_30default_config_static_selectorELNS0_4arch9wavefront6targetE0EEEvT1_: ; @_ZN7rocprim17ROCPRIM_400000_NS6detail17trampoline_kernelINS0_14default_configENS1_20scan_config_selectorIfEEZZNS1_9scan_implILNS1_25lookback_scan_determinismE0ELb0ELb0ES3_PKfPffZZZN2at6native31launch_logcumsumexp_cuda_kernelERKNSB_10TensorBaseESF_lENKUlvE_clEvENKUlvE0_clEvEUlffE_fEEDaPvRmT3_T4_T5_mT6_P12ihipStream_tbENKUlT_T0_E_clISt17integral_constantIbLb1EESW_EEDaSR_SS_EUlSR_E0_NS1_11comp_targetILNS1_3genE4ELNS1_11target_archE910ELNS1_3gpuE8ELNS1_3repE0EEENS1_30default_config_static_selectorELNS0_4arch9wavefront6targetE0EEEvT1_
; %bb.0:
	.section	.rodata,"a",@progbits
	.p2align	6, 0x0
	.amdhsa_kernel _ZN7rocprim17ROCPRIM_400000_NS6detail17trampoline_kernelINS0_14default_configENS1_20scan_config_selectorIfEEZZNS1_9scan_implILNS1_25lookback_scan_determinismE0ELb0ELb0ES3_PKfPffZZZN2at6native31launch_logcumsumexp_cuda_kernelERKNSB_10TensorBaseESF_lENKUlvE_clEvENKUlvE0_clEvEUlffE_fEEDaPvRmT3_T4_T5_mT6_P12ihipStream_tbENKUlT_T0_E_clISt17integral_constantIbLb1EESW_EEDaSR_SS_EUlSR_E0_NS1_11comp_targetILNS1_3genE4ELNS1_11target_archE910ELNS1_3gpuE8ELNS1_3repE0EEENS1_30default_config_static_selectorELNS0_4arch9wavefront6targetE0EEEvT1_
		.amdhsa_group_segment_fixed_size 0
		.amdhsa_private_segment_fixed_size 0
		.amdhsa_kernarg_size 32
		.amdhsa_user_sgpr_count 2
		.amdhsa_user_sgpr_dispatch_ptr 0
		.amdhsa_user_sgpr_queue_ptr 0
		.amdhsa_user_sgpr_kernarg_segment_ptr 1
		.amdhsa_user_sgpr_dispatch_id 0
		.amdhsa_user_sgpr_private_segment_size 0
		.amdhsa_wavefront_size32 1
		.amdhsa_uses_dynamic_stack 0
		.amdhsa_enable_private_segment 0
		.amdhsa_system_sgpr_workgroup_id_x 1
		.amdhsa_system_sgpr_workgroup_id_y 0
		.amdhsa_system_sgpr_workgroup_id_z 0
		.amdhsa_system_sgpr_workgroup_info 0
		.amdhsa_system_vgpr_workitem_id 0
		.amdhsa_next_free_vgpr 1
		.amdhsa_next_free_sgpr 1
		.amdhsa_reserve_vcc 0
		.amdhsa_float_round_mode_32 0
		.amdhsa_float_round_mode_16_64 0
		.amdhsa_float_denorm_mode_32 3
		.amdhsa_float_denorm_mode_16_64 3
		.amdhsa_fp16_overflow 0
		.amdhsa_workgroup_processor_mode 1
		.amdhsa_memory_ordered 1
		.amdhsa_forward_progress 1
		.amdhsa_inst_pref_size 0
		.amdhsa_round_robin_scheduling 0
		.amdhsa_exception_fp_ieee_invalid_op 0
		.amdhsa_exception_fp_denorm_src 0
		.amdhsa_exception_fp_ieee_div_zero 0
		.amdhsa_exception_fp_ieee_overflow 0
		.amdhsa_exception_fp_ieee_underflow 0
		.amdhsa_exception_fp_ieee_inexact 0
		.amdhsa_exception_int_div_zero 0
	.end_amdhsa_kernel
	.section	.text._ZN7rocprim17ROCPRIM_400000_NS6detail17trampoline_kernelINS0_14default_configENS1_20scan_config_selectorIfEEZZNS1_9scan_implILNS1_25lookback_scan_determinismE0ELb0ELb0ES3_PKfPffZZZN2at6native31launch_logcumsumexp_cuda_kernelERKNSB_10TensorBaseESF_lENKUlvE_clEvENKUlvE0_clEvEUlffE_fEEDaPvRmT3_T4_T5_mT6_P12ihipStream_tbENKUlT_T0_E_clISt17integral_constantIbLb1EESW_EEDaSR_SS_EUlSR_E0_NS1_11comp_targetILNS1_3genE4ELNS1_11target_archE910ELNS1_3gpuE8ELNS1_3repE0EEENS1_30default_config_static_selectorELNS0_4arch9wavefront6targetE0EEEvT1_,"axG",@progbits,_ZN7rocprim17ROCPRIM_400000_NS6detail17trampoline_kernelINS0_14default_configENS1_20scan_config_selectorIfEEZZNS1_9scan_implILNS1_25lookback_scan_determinismE0ELb0ELb0ES3_PKfPffZZZN2at6native31launch_logcumsumexp_cuda_kernelERKNSB_10TensorBaseESF_lENKUlvE_clEvENKUlvE0_clEvEUlffE_fEEDaPvRmT3_T4_T5_mT6_P12ihipStream_tbENKUlT_T0_E_clISt17integral_constantIbLb1EESW_EEDaSR_SS_EUlSR_E0_NS1_11comp_targetILNS1_3genE4ELNS1_11target_archE910ELNS1_3gpuE8ELNS1_3repE0EEENS1_30default_config_static_selectorELNS0_4arch9wavefront6targetE0EEEvT1_,comdat
.Lfunc_end126:
	.size	_ZN7rocprim17ROCPRIM_400000_NS6detail17trampoline_kernelINS0_14default_configENS1_20scan_config_selectorIfEEZZNS1_9scan_implILNS1_25lookback_scan_determinismE0ELb0ELb0ES3_PKfPffZZZN2at6native31launch_logcumsumexp_cuda_kernelERKNSB_10TensorBaseESF_lENKUlvE_clEvENKUlvE0_clEvEUlffE_fEEDaPvRmT3_T4_T5_mT6_P12ihipStream_tbENKUlT_T0_E_clISt17integral_constantIbLb1EESW_EEDaSR_SS_EUlSR_E0_NS1_11comp_targetILNS1_3genE4ELNS1_11target_archE910ELNS1_3gpuE8ELNS1_3repE0EEENS1_30default_config_static_selectorELNS0_4arch9wavefront6targetE0EEEvT1_, .Lfunc_end126-_ZN7rocprim17ROCPRIM_400000_NS6detail17trampoline_kernelINS0_14default_configENS1_20scan_config_selectorIfEEZZNS1_9scan_implILNS1_25lookback_scan_determinismE0ELb0ELb0ES3_PKfPffZZZN2at6native31launch_logcumsumexp_cuda_kernelERKNSB_10TensorBaseESF_lENKUlvE_clEvENKUlvE0_clEvEUlffE_fEEDaPvRmT3_T4_T5_mT6_P12ihipStream_tbENKUlT_T0_E_clISt17integral_constantIbLb1EESW_EEDaSR_SS_EUlSR_E0_NS1_11comp_targetILNS1_3genE4ELNS1_11target_archE910ELNS1_3gpuE8ELNS1_3repE0EEENS1_30default_config_static_selectorELNS0_4arch9wavefront6targetE0EEEvT1_
                                        ; -- End function
	.set _ZN7rocprim17ROCPRIM_400000_NS6detail17trampoline_kernelINS0_14default_configENS1_20scan_config_selectorIfEEZZNS1_9scan_implILNS1_25lookback_scan_determinismE0ELb0ELb0ES3_PKfPffZZZN2at6native31launch_logcumsumexp_cuda_kernelERKNSB_10TensorBaseESF_lENKUlvE_clEvENKUlvE0_clEvEUlffE_fEEDaPvRmT3_T4_T5_mT6_P12ihipStream_tbENKUlT_T0_E_clISt17integral_constantIbLb1EESW_EEDaSR_SS_EUlSR_E0_NS1_11comp_targetILNS1_3genE4ELNS1_11target_archE910ELNS1_3gpuE8ELNS1_3repE0EEENS1_30default_config_static_selectorELNS0_4arch9wavefront6targetE0EEEvT1_.num_vgpr, 0
	.set _ZN7rocprim17ROCPRIM_400000_NS6detail17trampoline_kernelINS0_14default_configENS1_20scan_config_selectorIfEEZZNS1_9scan_implILNS1_25lookback_scan_determinismE0ELb0ELb0ES3_PKfPffZZZN2at6native31launch_logcumsumexp_cuda_kernelERKNSB_10TensorBaseESF_lENKUlvE_clEvENKUlvE0_clEvEUlffE_fEEDaPvRmT3_T4_T5_mT6_P12ihipStream_tbENKUlT_T0_E_clISt17integral_constantIbLb1EESW_EEDaSR_SS_EUlSR_E0_NS1_11comp_targetILNS1_3genE4ELNS1_11target_archE910ELNS1_3gpuE8ELNS1_3repE0EEENS1_30default_config_static_selectorELNS0_4arch9wavefront6targetE0EEEvT1_.num_agpr, 0
	.set _ZN7rocprim17ROCPRIM_400000_NS6detail17trampoline_kernelINS0_14default_configENS1_20scan_config_selectorIfEEZZNS1_9scan_implILNS1_25lookback_scan_determinismE0ELb0ELb0ES3_PKfPffZZZN2at6native31launch_logcumsumexp_cuda_kernelERKNSB_10TensorBaseESF_lENKUlvE_clEvENKUlvE0_clEvEUlffE_fEEDaPvRmT3_T4_T5_mT6_P12ihipStream_tbENKUlT_T0_E_clISt17integral_constantIbLb1EESW_EEDaSR_SS_EUlSR_E0_NS1_11comp_targetILNS1_3genE4ELNS1_11target_archE910ELNS1_3gpuE8ELNS1_3repE0EEENS1_30default_config_static_selectorELNS0_4arch9wavefront6targetE0EEEvT1_.numbered_sgpr, 0
	.set _ZN7rocprim17ROCPRIM_400000_NS6detail17trampoline_kernelINS0_14default_configENS1_20scan_config_selectorIfEEZZNS1_9scan_implILNS1_25lookback_scan_determinismE0ELb0ELb0ES3_PKfPffZZZN2at6native31launch_logcumsumexp_cuda_kernelERKNSB_10TensorBaseESF_lENKUlvE_clEvENKUlvE0_clEvEUlffE_fEEDaPvRmT3_T4_T5_mT6_P12ihipStream_tbENKUlT_T0_E_clISt17integral_constantIbLb1EESW_EEDaSR_SS_EUlSR_E0_NS1_11comp_targetILNS1_3genE4ELNS1_11target_archE910ELNS1_3gpuE8ELNS1_3repE0EEENS1_30default_config_static_selectorELNS0_4arch9wavefront6targetE0EEEvT1_.num_named_barrier, 0
	.set _ZN7rocprim17ROCPRIM_400000_NS6detail17trampoline_kernelINS0_14default_configENS1_20scan_config_selectorIfEEZZNS1_9scan_implILNS1_25lookback_scan_determinismE0ELb0ELb0ES3_PKfPffZZZN2at6native31launch_logcumsumexp_cuda_kernelERKNSB_10TensorBaseESF_lENKUlvE_clEvENKUlvE0_clEvEUlffE_fEEDaPvRmT3_T4_T5_mT6_P12ihipStream_tbENKUlT_T0_E_clISt17integral_constantIbLb1EESW_EEDaSR_SS_EUlSR_E0_NS1_11comp_targetILNS1_3genE4ELNS1_11target_archE910ELNS1_3gpuE8ELNS1_3repE0EEENS1_30default_config_static_selectorELNS0_4arch9wavefront6targetE0EEEvT1_.private_seg_size, 0
	.set _ZN7rocprim17ROCPRIM_400000_NS6detail17trampoline_kernelINS0_14default_configENS1_20scan_config_selectorIfEEZZNS1_9scan_implILNS1_25lookback_scan_determinismE0ELb0ELb0ES3_PKfPffZZZN2at6native31launch_logcumsumexp_cuda_kernelERKNSB_10TensorBaseESF_lENKUlvE_clEvENKUlvE0_clEvEUlffE_fEEDaPvRmT3_T4_T5_mT6_P12ihipStream_tbENKUlT_T0_E_clISt17integral_constantIbLb1EESW_EEDaSR_SS_EUlSR_E0_NS1_11comp_targetILNS1_3genE4ELNS1_11target_archE910ELNS1_3gpuE8ELNS1_3repE0EEENS1_30default_config_static_selectorELNS0_4arch9wavefront6targetE0EEEvT1_.uses_vcc, 0
	.set _ZN7rocprim17ROCPRIM_400000_NS6detail17trampoline_kernelINS0_14default_configENS1_20scan_config_selectorIfEEZZNS1_9scan_implILNS1_25lookback_scan_determinismE0ELb0ELb0ES3_PKfPffZZZN2at6native31launch_logcumsumexp_cuda_kernelERKNSB_10TensorBaseESF_lENKUlvE_clEvENKUlvE0_clEvEUlffE_fEEDaPvRmT3_T4_T5_mT6_P12ihipStream_tbENKUlT_T0_E_clISt17integral_constantIbLb1EESW_EEDaSR_SS_EUlSR_E0_NS1_11comp_targetILNS1_3genE4ELNS1_11target_archE910ELNS1_3gpuE8ELNS1_3repE0EEENS1_30default_config_static_selectorELNS0_4arch9wavefront6targetE0EEEvT1_.uses_flat_scratch, 0
	.set _ZN7rocprim17ROCPRIM_400000_NS6detail17trampoline_kernelINS0_14default_configENS1_20scan_config_selectorIfEEZZNS1_9scan_implILNS1_25lookback_scan_determinismE0ELb0ELb0ES3_PKfPffZZZN2at6native31launch_logcumsumexp_cuda_kernelERKNSB_10TensorBaseESF_lENKUlvE_clEvENKUlvE0_clEvEUlffE_fEEDaPvRmT3_T4_T5_mT6_P12ihipStream_tbENKUlT_T0_E_clISt17integral_constantIbLb1EESW_EEDaSR_SS_EUlSR_E0_NS1_11comp_targetILNS1_3genE4ELNS1_11target_archE910ELNS1_3gpuE8ELNS1_3repE0EEENS1_30default_config_static_selectorELNS0_4arch9wavefront6targetE0EEEvT1_.has_dyn_sized_stack, 0
	.set _ZN7rocprim17ROCPRIM_400000_NS6detail17trampoline_kernelINS0_14default_configENS1_20scan_config_selectorIfEEZZNS1_9scan_implILNS1_25lookback_scan_determinismE0ELb0ELb0ES3_PKfPffZZZN2at6native31launch_logcumsumexp_cuda_kernelERKNSB_10TensorBaseESF_lENKUlvE_clEvENKUlvE0_clEvEUlffE_fEEDaPvRmT3_T4_T5_mT6_P12ihipStream_tbENKUlT_T0_E_clISt17integral_constantIbLb1EESW_EEDaSR_SS_EUlSR_E0_NS1_11comp_targetILNS1_3genE4ELNS1_11target_archE910ELNS1_3gpuE8ELNS1_3repE0EEENS1_30default_config_static_selectorELNS0_4arch9wavefront6targetE0EEEvT1_.has_recursion, 0
	.set _ZN7rocprim17ROCPRIM_400000_NS6detail17trampoline_kernelINS0_14default_configENS1_20scan_config_selectorIfEEZZNS1_9scan_implILNS1_25lookback_scan_determinismE0ELb0ELb0ES3_PKfPffZZZN2at6native31launch_logcumsumexp_cuda_kernelERKNSB_10TensorBaseESF_lENKUlvE_clEvENKUlvE0_clEvEUlffE_fEEDaPvRmT3_T4_T5_mT6_P12ihipStream_tbENKUlT_T0_E_clISt17integral_constantIbLb1EESW_EEDaSR_SS_EUlSR_E0_NS1_11comp_targetILNS1_3genE4ELNS1_11target_archE910ELNS1_3gpuE8ELNS1_3repE0EEENS1_30default_config_static_selectorELNS0_4arch9wavefront6targetE0EEEvT1_.has_indirect_call, 0
	.section	.AMDGPU.csdata,"",@progbits
; Kernel info:
; codeLenInByte = 0
; TotalNumSgprs: 0
; NumVgprs: 0
; ScratchSize: 0
; MemoryBound: 0
; FloatMode: 240
; IeeeMode: 1
; LDSByteSize: 0 bytes/workgroup (compile time only)
; SGPRBlocks: 0
; VGPRBlocks: 0
; NumSGPRsForWavesPerEU: 1
; NumVGPRsForWavesPerEU: 1
; Occupancy: 16
; WaveLimiterHint : 0
; COMPUTE_PGM_RSRC2:SCRATCH_EN: 0
; COMPUTE_PGM_RSRC2:USER_SGPR: 2
; COMPUTE_PGM_RSRC2:TRAP_HANDLER: 0
; COMPUTE_PGM_RSRC2:TGID_X_EN: 1
; COMPUTE_PGM_RSRC2:TGID_Y_EN: 0
; COMPUTE_PGM_RSRC2:TGID_Z_EN: 0
; COMPUTE_PGM_RSRC2:TIDIG_COMP_CNT: 0
	.section	.text._ZN7rocprim17ROCPRIM_400000_NS6detail17trampoline_kernelINS0_14default_configENS1_20scan_config_selectorIfEEZZNS1_9scan_implILNS1_25lookback_scan_determinismE0ELb0ELb0ES3_PKfPffZZZN2at6native31launch_logcumsumexp_cuda_kernelERKNSB_10TensorBaseESF_lENKUlvE_clEvENKUlvE0_clEvEUlffE_fEEDaPvRmT3_T4_T5_mT6_P12ihipStream_tbENKUlT_T0_E_clISt17integral_constantIbLb1EESW_EEDaSR_SS_EUlSR_E0_NS1_11comp_targetILNS1_3genE3ELNS1_11target_archE908ELNS1_3gpuE7ELNS1_3repE0EEENS1_30default_config_static_selectorELNS0_4arch9wavefront6targetE0EEEvT1_,"axG",@progbits,_ZN7rocprim17ROCPRIM_400000_NS6detail17trampoline_kernelINS0_14default_configENS1_20scan_config_selectorIfEEZZNS1_9scan_implILNS1_25lookback_scan_determinismE0ELb0ELb0ES3_PKfPffZZZN2at6native31launch_logcumsumexp_cuda_kernelERKNSB_10TensorBaseESF_lENKUlvE_clEvENKUlvE0_clEvEUlffE_fEEDaPvRmT3_T4_T5_mT6_P12ihipStream_tbENKUlT_T0_E_clISt17integral_constantIbLb1EESW_EEDaSR_SS_EUlSR_E0_NS1_11comp_targetILNS1_3genE3ELNS1_11target_archE908ELNS1_3gpuE7ELNS1_3repE0EEENS1_30default_config_static_selectorELNS0_4arch9wavefront6targetE0EEEvT1_,comdat
	.globl	_ZN7rocprim17ROCPRIM_400000_NS6detail17trampoline_kernelINS0_14default_configENS1_20scan_config_selectorIfEEZZNS1_9scan_implILNS1_25lookback_scan_determinismE0ELb0ELb0ES3_PKfPffZZZN2at6native31launch_logcumsumexp_cuda_kernelERKNSB_10TensorBaseESF_lENKUlvE_clEvENKUlvE0_clEvEUlffE_fEEDaPvRmT3_T4_T5_mT6_P12ihipStream_tbENKUlT_T0_E_clISt17integral_constantIbLb1EESW_EEDaSR_SS_EUlSR_E0_NS1_11comp_targetILNS1_3genE3ELNS1_11target_archE908ELNS1_3gpuE7ELNS1_3repE0EEENS1_30default_config_static_selectorELNS0_4arch9wavefront6targetE0EEEvT1_ ; -- Begin function _ZN7rocprim17ROCPRIM_400000_NS6detail17trampoline_kernelINS0_14default_configENS1_20scan_config_selectorIfEEZZNS1_9scan_implILNS1_25lookback_scan_determinismE0ELb0ELb0ES3_PKfPffZZZN2at6native31launch_logcumsumexp_cuda_kernelERKNSB_10TensorBaseESF_lENKUlvE_clEvENKUlvE0_clEvEUlffE_fEEDaPvRmT3_T4_T5_mT6_P12ihipStream_tbENKUlT_T0_E_clISt17integral_constantIbLb1EESW_EEDaSR_SS_EUlSR_E0_NS1_11comp_targetILNS1_3genE3ELNS1_11target_archE908ELNS1_3gpuE7ELNS1_3repE0EEENS1_30default_config_static_selectorELNS0_4arch9wavefront6targetE0EEEvT1_
	.p2align	8
	.type	_ZN7rocprim17ROCPRIM_400000_NS6detail17trampoline_kernelINS0_14default_configENS1_20scan_config_selectorIfEEZZNS1_9scan_implILNS1_25lookback_scan_determinismE0ELb0ELb0ES3_PKfPffZZZN2at6native31launch_logcumsumexp_cuda_kernelERKNSB_10TensorBaseESF_lENKUlvE_clEvENKUlvE0_clEvEUlffE_fEEDaPvRmT3_T4_T5_mT6_P12ihipStream_tbENKUlT_T0_E_clISt17integral_constantIbLb1EESW_EEDaSR_SS_EUlSR_E0_NS1_11comp_targetILNS1_3genE3ELNS1_11target_archE908ELNS1_3gpuE7ELNS1_3repE0EEENS1_30default_config_static_selectorELNS0_4arch9wavefront6targetE0EEEvT1_,@function
_ZN7rocprim17ROCPRIM_400000_NS6detail17trampoline_kernelINS0_14default_configENS1_20scan_config_selectorIfEEZZNS1_9scan_implILNS1_25lookback_scan_determinismE0ELb0ELb0ES3_PKfPffZZZN2at6native31launch_logcumsumexp_cuda_kernelERKNSB_10TensorBaseESF_lENKUlvE_clEvENKUlvE0_clEvEUlffE_fEEDaPvRmT3_T4_T5_mT6_P12ihipStream_tbENKUlT_T0_E_clISt17integral_constantIbLb1EESW_EEDaSR_SS_EUlSR_E0_NS1_11comp_targetILNS1_3genE3ELNS1_11target_archE908ELNS1_3gpuE7ELNS1_3repE0EEENS1_30default_config_static_selectorELNS0_4arch9wavefront6targetE0EEEvT1_: ; @_ZN7rocprim17ROCPRIM_400000_NS6detail17trampoline_kernelINS0_14default_configENS1_20scan_config_selectorIfEEZZNS1_9scan_implILNS1_25lookback_scan_determinismE0ELb0ELb0ES3_PKfPffZZZN2at6native31launch_logcumsumexp_cuda_kernelERKNSB_10TensorBaseESF_lENKUlvE_clEvENKUlvE0_clEvEUlffE_fEEDaPvRmT3_T4_T5_mT6_P12ihipStream_tbENKUlT_T0_E_clISt17integral_constantIbLb1EESW_EEDaSR_SS_EUlSR_E0_NS1_11comp_targetILNS1_3genE3ELNS1_11target_archE908ELNS1_3gpuE7ELNS1_3repE0EEENS1_30default_config_static_selectorELNS0_4arch9wavefront6targetE0EEEvT1_
; %bb.0:
	.section	.rodata,"a",@progbits
	.p2align	6, 0x0
	.amdhsa_kernel _ZN7rocprim17ROCPRIM_400000_NS6detail17trampoline_kernelINS0_14default_configENS1_20scan_config_selectorIfEEZZNS1_9scan_implILNS1_25lookback_scan_determinismE0ELb0ELb0ES3_PKfPffZZZN2at6native31launch_logcumsumexp_cuda_kernelERKNSB_10TensorBaseESF_lENKUlvE_clEvENKUlvE0_clEvEUlffE_fEEDaPvRmT3_T4_T5_mT6_P12ihipStream_tbENKUlT_T0_E_clISt17integral_constantIbLb1EESW_EEDaSR_SS_EUlSR_E0_NS1_11comp_targetILNS1_3genE3ELNS1_11target_archE908ELNS1_3gpuE7ELNS1_3repE0EEENS1_30default_config_static_selectorELNS0_4arch9wavefront6targetE0EEEvT1_
		.amdhsa_group_segment_fixed_size 0
		.amdhsa_private_segment_fixed_size 0
		.amdhsa_kernarg_size 32
		.amdhsa_user_sgpr_count 2
		.amdhsa_user_sgpr_dispatch_ptr 0
		.amdhsa_user_sgpr_queue_ptr 0
		.amdhsa_user_sgpr_kernarg_segment_ptr 1
		.amdhsa_user_sgpr_dispatch_id 0
		.amdhsa_user_sgpr_private_segment_size 0
		.amdhsa_wavefront_size32 1
		.amdhsa_uses_dynamic_stack 0
		.amdhsa_enable_private_segment 0
		.amdhsa_system_sgpr_workgroup_id_x 1
		.amdhsa_system_sgpr_workgroup_id_y 0
		.amdhsa_system_sgpr_workgroup_id_z 0
		.amdhsa_system_sgpr_workgroup_info 0
		.amdhsa_system_vgpr_workitem_id 0
		.amdhsa_next_free_vgpr 1
		.amdhsa_next_free_sgpr 1
		.amdhsa_reserve_vcc 0
		.amdhsa_float_round_mode_32 0
		.amdhsa_float_round_mode_16_64 0
		.amdhsa_float_denorm_mode_32 3
		.amdhsa_float_denorm_mode_16_64 3
		.amdhsa_fp16_overflow 0
		.amdhsa_workgroup_processor_mode 1
		.amdhsa_memory_ordered 1
		.amdhsa_forward_progress 1
		.amdhsa_inst_pref_size 0
		.amdhsa_round_robin_scheduling 0
		.amdhsa_exception_fp_ieee_invalid_op 0
		.amdhsa_exception_fp_denorm_src 0
		.amdhsa_exception_fp_ieee_div_zero 0
		.amdhsa_exception_fp_ieee_overflow 0
		.amdhsa_exception_fp_ieee_underflow 0
		.amdhsa_exception_fp_ieee_inexact 0
		.amdhsa_exception_int_div_zero 0
	.end_amdhsa_kernel
	.section	.text._ZN7rocprim17ROCPRIM_400000_NS6detail17trampoline_kernelINS0_14default_configENS1_20scan_config_selectorIfEEZZNS1_9scan_implILNS1_25lookback_scan_determinismE0ELb0ELb0ES3_PKfPffZZZN2at6native31launch_logcumsumexp_cuda_kernelERKNSB_10TensorBaseESF_lENKUlvE_clEvENKUlvE0_clEvEUlffE_fEEDaPvRmT3_T4_T5_mT6_P12ihipStream_tbENKUlT_T0_E_clISt17integral_constantIbLb1EESW_EEDaSR_SS_EUlSR_E0_NS1_11comp_targetILNS1_3genE3ELNS1_11target_archE908ELNS1_3gpuE7ELNS1_3repE0EEENS1_30default_config_static_selectorELNS0_4arch9wavefront6targetE0EEEvT1_,"axG",@progbits,_ZN7rocprim17ROCPRIM_400000_NS6detail17trampoline_kernelINS0_14default_configENS1_20scan_config_selectorIfEEZZNS1_9scan_implILNS1_25lookback_scan_determinismE0ELb0ELb0ES3_PKfPffZZZN2at6native31launch_logcumsumexp_cuda_kernelERKNSB_10TensorBaseESF_lENKUlvE_clEvENKUlvE0_clEvEUlffE_fEEDaPvRmT3_T4_T5_mT6_P12ihipStream_tbENKUlT_T0_E_clISt17integral_constantIbLb1EESW_EEDaSR_SS_EUlSR_E0_NS1_11comp_targetILNS1_3genE3ELNS1_11target_archE908ELNS1_3gpuE7ELNS1_3repE0EEENS1_30default_config_static_selectorELNS0_4arch9wavefront6targetE0EEEvT1_,comdat
.Lfunc_end127:
	.size	_ZN7rocprim17ROCPRIM_400000_NS6detail17trampoline_kernelINS0_14default_configENS1_20scan_config_selectorIfEEZZNS1_9scan_implILNS1_25lookback_scan_determinismE0ELb0ELb0ES3_PKfPffZZZN2at6native31launch_logcumsumexp_cuda_kernelERKNSB_10TensorBaseESF_lENKUlvE_clEvENKUlvE0_clEvEUlffE_fEEDaPvRmT3_T4_T5_mT6_P12ihipStream_tbENKUlT_T0_E_clISt17integral_constantIbLb1EESW_EEDaSR_SS_EUlSR_E0_NS1_11comp_targetILNS1_3genE3ELNS1_11target_archE908ELNS1_3gpuE7ELNS1_3repE0EEENS1_30default_config_static_selectorELNS0_4arch9wavefront6targetE0EEEvT1_, .Lfunc_end127-_ZN7rocprim17ROCPRIM_400000_NS6detail17trampoline_kernelINS0_14default_configENS1_20scan_config_selectorIfEEZZNS1_9scan_implILNS1_25lookback_scan_determinismE0ELb0ELb0ES3_PKfPffZZZN2at6native31launch_logcumsumexp_cuda_kernelERKNSB_10TensorBaseESF_lENKUlvE_clEvENKUlvE0_clEvEUlffE_fEEDaPvRmT3_T4_T5_mT6_P12ihipStream_tbENKUlT_T0_E_clISt17integral_constantIbLb1EESW_EEDaSR_SS_EUlSR_E0_NS1_11comp_targetILNS1_3genE3ELNS1_11target_archE908ELNS1_3gpuE7ELNS1_3repE0EEENS1_30default_config_static_selectorELNS0_4arch9wavefront6targetE0EEEvT1_
                                        ; -- End function
	.set _ZN7rocprim17ROCPRIM_400000_NS6detail17trampoline_kernelINS0_14default_configENS1_20scan_config_selectorIfEEZZNS1_9scan_implILNS1_25lookback_scan_determinismE0ELb0ELb0ES3_PKfPffZZZN2at6native31launch_logcumsumexp_cuda_kernelERKNSB_10TensorBaseESF_lENKUlvE_clEvENKUlvE0_clEvEUlffE_fEEDaPvRmT3_T4_T5_mT6_P12ihipStream_tbENKUlT_T0_E_clISt17integral_constantIbLb1EESW_EEDaSR_SS_EUlSR_E0_NS1_11comp_targetILNS1_3genE3ELNS1_11target_archE908ELNS1_3gpuE7ELNS1_3repE0EEENS1_30default_config_static_selectorELNS0_4arch9wavefront6targetE0EEEvT1_.num_vgpr, 0
	.set _ZN7rocprim17ROCPRIM_400000_NS6detail17trampoline_kernelINS0_14default_configENS1_20scan_config_selectorIfEEZZNS1_9scan_implILNS1_25lookback_scan_determinismE0ELb0ELb0ES3_PKfPffZZZN2at6native31launch_logcumsumexp_cuda_kernelERKNSB_10TensorBaseESF_lENKUlvE_clEvENKUlvE0_clEvEUlffE_fEEDaPvRmT3_T4_T5_mT6_P12ihipStream_tbENKUlT_T0_E_clISt17integral_constantIbLb1EESW_EEDaSR_SS_EUlSR_E0_NS1_11comp_targetILNS1_3genE3ELNS1_11target_archE908ELNS1_3gpuE7ELNS1_3repE0EEENS1_30default_config_static_selectorELNS0_4arch9wavefront6targetE0EEEvT1_.num_agpr, 0
	.set _ZN7rocprim17ROCPRIM_400000_NS6detail17trampoline_kernelINS0_14default_configENS1_20scan_config_selectorIfEEZZNS1_9scan_implILNS1_25lookback_scan_determinismE0ELb0ELb0ES3_PKfPffZZZN2at6native31launch_logcumsumexp_cuda_kernelERKNSB_10TensorBaseESF_lENKUlvE_clEvENKUlvE0_clEvEUlffE_fEEDaPvRmT3_T4_T5_mT6_P12ihipStream_tbENKUlT_T0_E_clISt17integral_constantIbLb1EESW_EEDaSR_SS_EUlSR_E0_NS1_11comp_targetILNS1_3genE3ELNS1_11target_archE908ELNS1_3gpuE7ELNS1_3repE0EEENS1_30default_config_static_selectorELNS0_4arch9wavefront6targetE0EEEvT1_.numbered_sgpr, 0
	.set _ZN7rocprim17ROCPRIM_400000_NS6detail17trampoline_kernelINS0_14default_configENS1_20scan_config_selectorIfEEZZNS1_9scan_implILNS1_25lookback_scan_determinismE0ELb0ELb0ES3_PKfPffZZZN2at6native31launch_logcumsumexp_cuda_kernelERKNSB_10TensorBaseESF_lENKUlvE_clEvENKUlvE0_clEvEUlffE_fEEDaPvRmT3_T4_T5_mT6_P12ihipStream_tbENKUlT_T0_E_clISt17integral_constantIbLb1EESW_EEDaSR_SS_EUlSR_E0_NS1_11comp_targetILNS1_3genE3ELNS1_11target_archE908ELNS1_3gpuE7ELNS1_3repE0EEENS1_30default_config_static_selectorELNS0_4arch9wavefront6targetE0EEEvT1_.num_named_barrier, 0
	.set _ZN7rocprim17ROCPRIM_400000_NS6detail17trampoline_kernelINS0_14default_configENS1_20scan_config_selectorIfEEZZNS1_9scan_implILNS1_25lookback_scan_determinismE0ELb0ELb0ES3_PKfPffZZZN2at6native31launch_logcumsumexp_cuda_kernelERKNSB_10TensorBaseESF_lENKUlvE_clEvENKUlvE0_clEvEUlffE_fEEDaPvRmT3_T4_T5_mT6_P12ihipStream_tbENKUlT_T0_E_clISt17integral_constantIbLb1EESW_EEDaSR_SS_EUlSR_E0_NS1_11comp_targetILNS1_3genE3ELNS1_11target_archE908ELNS1_3gpuE7ELNS1_3repE0EEENS1_30default_config_static_selectorELNS0_4arch9wavefront6targetE0EEEvT1_.private_seg_size, 0
	.set _ZN7rocprim17ROCPRIM_400000_NS6detail17trampoline_kernelINS0_14default_configENS1_20scan_config_selectorIfEEZZNS1_9scan_implILNS1_25lookback_scan_determinismE0ELb0ELb0ES3_PKfPffZZZN2at6native31launch_logcumsumexp_cuda_kernelERKNSB_10TensorBaseESF_lENKUlvE_clEvENKUlvE0_clEvEUlffE_fEEDaPvRmT3_T4_T5_mT6_P12ihipStream_tbENKUlT_T0_E_clISt17integral_constantIbLb1EESW_EEDaSR_SS_EUlSR_E0_NS1_11comp_targetILNS1_3genE3ELNS1_11target_archE908ELNS1_3gpuE7ELNS1_3repE0EEENS1_30default_config_static_selectorELNS0_4arch9wavefront6targetE0EEEvT1_.uses_vcc, 0
	.set _ZN7rocprim17ROCPRIM_400000_NS6detail17trampoline_kernelINS0_14default_configENS1_20scan_config_selectorIfEEZZNS1_9scan_implILNS1_25lookback_scan_determinismE0ELb0ELb0ES3_PKfPffZZZN2at6native31launch_logcumsumexp_cuda_kernelERKNSB_10TensorBaseESF_lENKUlvE_clEvENKUlvE0_clEvEUlffE_fEEDaPvRmT3_T4_T5_mT6_P12ihipStream_tbENKUlT_T0_E_clISt17integral_constantIbLb1EESW_EEDaSR_SS_EUlSR_E0_NS1_11comp_targetILNS1_3genE3ELNS1_11target_archE908ELNS1_3gpuE7ELNS1_3repE0EEENS1_30default_config_static_selectorELNS0_4arch9wavefront6targetE0EEEvT1_.uses_flat_scratch, 0
	.set _ZN7rocprim17ROCPRIM_400000_NS6detail17trampoline_kernelINS0_14default_configENS1_20scan_config_selectorIfEEZZNS1_9scan_implILNS1_25lookback_scan_determinismE0ELb0ELb0ES3_PKfPffZZZN2at6native31launch_logcumsumexp_cuda_kernelERKNSB_10TensorBaseESF_lENKUlvE_clEvENKUlvE0_clEvEUlffE_fEEDaPvRmT3_T4_T5_mT6_P12ihipStream_tbENKUlT_T0_E_clISt17integral_constantIbLb1EESW_EEDaSR_SS_EUlSR_E0_NS1_11comp_targetILNS1_3genE3ELNS1_11target_archE908ELNS1_3gpuE7ELNS1_3repE0EEENS1_30default_config_static_selectorELNS0_4arch9wavefront6targetE0EEEvT1_.has_dyn_sized_stack, 0
	.set _ZN7rocprim17ROCPRIM_400000_NS6detail17trampoline_kernelINS0_14default_configENS1_20scan_config_selectorIfEEZZNS1_9scan_implILNS1_25lookback_scan_determinismE0ELb0ELb0ES3_PKfPffZZZN2at6native31launch_logcumsumexp_cuda_kernelERKNSB_10TensorBaseESF_lENKUlvE_clEvENKUlvE0_clEvEUlffE_fEEDaPvRmT3_T4_T5_mT6_P12ihipStream_tbENKUlT_T0_E_clISt17integral_constantIbLb1EESW_EEDaSR_SS_EUlSR_E0_NS1_11comp_targetILNS1_3genE3ELNS1_11target_archE908ELNS1_3gpuE7ELNS1_3repE0EEENS1_30default_config_static_selectorELNS0_4arch9wavefront6targetE0EEEvT1_.has_recursion, 0
	.set _ZN7rocprim17ROCPRIM_400000_NS6detail17trampoline_kernelINS0_14default_configENS1_20scan_config_selectorIfEEZZNS1_9scan_implILNS1_25lookback_scan_determinismE0ELb0ELb0ES3_PKfPffZZZN2at6native31launch_logcumsumexp_cuda_kernelERKNSB_10TensorBaseESF_lENKUlvE_clEvENKUlvE0_clEvEUlffE_fEEDaPvRmT3_T4_T5_mT6_P12ihipStream_tbENKUlT_T0_E_clISt17integral_constantIbLb1EESW_EEDaSR_SS_EUlSR_E0_NS1_11comp_targetILNS1_3genE3ELNS1_11target_archE908ELNS1_3gpuE7ELNS1_3repE0EEENS1_30default_config_static_selectorELNS0_4arch9wavefront6targetE0EEEvT1_.has_indirect_call, 0
	.section	.AMDGPU.csdata,"",@progbits
; Kernel info:
; codeLenInByte = 0
; TotalNumSgprs: 0
; NumVgprs: 0
; ScratchSize: 0
; MemoryBound: 0
; FloatMode: 240
; IeeeMode: 1
; LDSByteSize: 0 bytes/workgroup (compile time only)
; SGPRBlocks: 0
; VGPRBlocks: 0
; NumSGPRsForWavesPerEU: 1
; NumVGPRsForWavesPerEU: 1
; Occupancy: 16
; WaveLimiterHint : 0
; COMPUTE_PGM_RSRC2:SCRATCH_EN: 0
; COMPUTE_PGM_RSRC2:USER_SGPR: 2
; COMPUTE_PGM_RSRC2:TRAP_HANDLER: 0
; COMPUTE_PGM_RSRC2:TGID_X_EN: 1
; COMPUTE_PGM_RSRC2:TGID_Y_EN: 0
; COMPUTE_PGM_RSRC2:TGID_Z_EN: 0
; COMPUTE_PGM_RSRC2:TIDIG_COMP_CNT: 0
	.section	.text._ZN7rocprim17ROCPRIM_400000_NS6detail17trampoline_kernelINS0_14default_configENS1_20scan_config_selectorIfEEZZNS1_9scan_implILNS1_25lookback_scan_determinismE0ELb0ELb0ES3_PKfPffZZZN2at6native31launch_logcumsumexp_cuda_kernelERKNSB_10TensorBaseESF_lENKUlvE_clEvENKUlvE0_clEvEUlffE_fEEDaPvRmT3_T4_T5_mT6_P12ihipStream_tbENKUlT_T0_E_clISt17integral_constantIbLb1EESW_EEDaSR_SS_EUlSR_E0_NS1_11comp_targetILNS1_3genE2ELNS1_11target_archE906ELNS1_3gpuE6ELNS1_3repE0EEENS1_30default_config_static_selectorELNS0_4arch9wavefront6targetE0EEEvT1_,"axG",@progbits,_ZN7rocprim17ROCPRIM_400000_NS6detail17trampoline_kernelINS0_14default_configENS1_20scan_config_selectorIfEEZZNS1_9scan_implILNS1_25lookback_scan_determinismE0ELb0ELb0ES3_PKfPffZZZN2at6native31launch_logcumsumexp_cuda_kernelERKNSB_10TensorBaseESF_lENKUlvE_clEvENKUlvE0_clEvEUlffE_fEEDaPvRmT3_T4_T5_mT6_P12ihipStream_tbENKUlT_T0_E_clISt17integral_constantIbLb1EESW_EEDaSR_SS_EUlSR_E0_NS1_11comp_targetILNS1_3genE2ELNS1_11target_archE906ELNS1_3gpuE6ELNS1_3repE0EEENS1_30default_config_static_selectorELNS0_4arch9wavefront6targetE0EEEvT1_,comdat
	.globl	_ZN7rocprim17ROCPRIM_400000_NS6detail17trampoline_kernelINS0_14default_configENS1_20scan_config_selectorIfEEZZNS1_9scan_implILNS1_25lookback_scan_determinismE0ELb0ELb0ES3_PKfPffZZZN2at6native31launch_logcumsumexp_cuda_kernelERKNSB_10TensorBaseESF_lENKUlvE_clEvENKUlvE0_clEvEUlffE_fEEDaPvRmT3_T4_T5_mT6_P12ihipStream_tbENKUlT_T0_E_clISt17integral_constantIbLb1EESW_EEDaSR_SS_EUlSR_E0_NS1_11comp_targetILNS1_3genE2ELNS1_11target_archE906ELNS1_3gpuE6ELNS1_3repE0EEENS1_30default_config_static_selectorELNS0_4arch9wavefront6targetE0EEEvT1_ ; -- Begin function _ZN7rocprim17ROCPRIM_400000_NS6detail17trampoline_kernelINS0_14default_configENS1_20scan_config_selectorIfEEZZNS1_9scan_implILNS1_25lookback_scan_determinismE0ELb0ELb0ES3_PKfPffZZZN2at6native31launch_logcumsumexp_cuda_kernelERKNSB_10TensorBaseESF_lENKUlvE_clEvENKUlvE0_clEvEUlffE_fEEDaPvRmT3_T4_T5_mT6_P12ihipStream_tbENKUlT_T0_E_clISt17integral_constantIbLb1EESW_EEDaSR_SS_EUlSR_E0_NS1_11comp_targetILNS1_3genE2ELNS1_11target_archE906ELNS1_3gpuE6ELNS1_3repE0EEENS1_30default_config_static_selectorELNS0_4arch9wavefront6targetE0EEEvT1_
	.p2align	8
	.type	_ZN7rocprim17ROCPRIM_400000_NS6detail17trampoline_kernelINS0_14default_configENS1_20scan_config_selectorIfEEZZNS1_9scan_implILNS1_25lookback_scan_determinismE0ELb0ELb0ES3_PKfPffZZZN2at6native31launch_logcumsumexp_cuda_kernelERKNSB_10TensorBaseESF_lENKUlvE_clEvENKUlvE0_clEvEUlffE_fEEDaPvRmT3_T4_T5_mT6_P12ihipStream_tbENKUlT_T0_E_clISt17integral_constantIbLb1EESW_EEDaSR_SS_EUlSR_E0_NS1_11comp_targetILNS1_3genE2ELNS1_11target_archE906ELNS1_3gpuE6ELNS1_3repE0EEENS1_30default_config_static_selectorELNS0_4arch9wavefront6targetE0EEEvT1_,@function
_ZN7rocprim17ROCPRIM_400000_NS6detail17trampoline_kernelINS0_14default_configENS1_20scan_config_selectorIfEEZZNS1_9scan_implILNS1_25lookback_scan_determinismE0ELb0ELb0ES3_PKfPffZZZN2at6native31launch_logcumsumexp_cuda_kernelERKNSB_10TensorBaseESF_lENKUlvE_clEvENKUlvE0_clEvEUlffE_fEEDaPvRmT3_T4_T5_mT6_P12ihipStream_tbENKUlT_T0_E_clISt17integral_constantIbLb1EESW_EEDaSR_SS_EUlSR_E0_NS1_11comp_targetILNS1_3genE2ELNS1_11target_archE906ELNS1_3gpuE6ELNS1_3repE0EEENS1_30default_config_static_selectorELNS0_4arch9wavefront6targetE0EEEvT1_: ; @_ZN7rocprim17ROCPRIM_400000_NS6detail17trampoline_kernelINS0_14default_configENS1_20scan_config_selectorIfEEZZNS1_9scan_implILNS1_25lookback_scan_determinismE0ELb0ELb0ES3_PKfPffZZZN2at6native31launch_logcumsumexp_cuda_kernelERKNSB_10TensorBaseESF_lENKUlvE_clEvENKUlvE0_clEvEUlffE_fEEDaPvRmT3_T4_T5_mT6_P12ihipStream_tbENKUlT_T0_E_clISt17integral_constantIbLb1EESW_EEDaSR_SS_EUlSR_E0_NS1_11comp_targetILNS1_3genE2ELNS1_11target_archE906ELNS1_3gpuE6ELNS1_3repE0EEENS1_30default_config_static_selectorELNS0_4arch9wavefront6targetE0EEEvT1_
; %bb.0:
	.section	.rodata,"a",@progbits
	.p2align	6, 0x0
	.amdhsa_kernel _ZN7rocprim17ROCPRIM_400000_NS6detail17trampoline_kernelINS0_14default_configENS1_20scan_config_selectorIfEEZZNS1_9scan_implILNS1_25lookback_scan_determinismE0ELb0ELb0ES3_PKfPffZZZN2at6native31launch_logcumsumexp_cuda_kernelERKNSB_10TensorBaseESF_lENKUlvE_clEvENKUlvE0_clEvEUlffE_fEEDaPvRmT3_T4_T5_mT6_P12ihipStream_tbENKUlT_T0_E_clISt17integral_constantIbLb1EESW_EEDaSR_SS_EUlSR_E0_NS1_11comp_targetILNS1_3genE2ELNS1_11target_archE906ELNS1_3gpuE6ELNS1_3repE0EEENS1_30default_config_static_selectorELNS0_4arch9wavefront6targetE0EEEvT1_
		.amdhsa_group_segment_fixed_size 0
		.amdhsa_private_segment_fixed_size 0
		.amdhsa_kernarg_size 32
		.amdhsa_user_sgpr_count 2
		.amdhsa_user_sgpr_dispatch_ptr 0
		.amdhsa_user_sgpr_queue_ptr 0
		.amdhsa_user_sgpr_kernarg_segment_ptr 1
		.amdhsa_user_sgpr_dispatch_id 0
		.amdhsa_user_sgpr_private_segment_size 0
		.amdhsa_wavefront_size32 1
		.amdhsa_uses_dynamic_stack 0
		.amdhsa_enable_private_segment 0
		.amdhsa_system_sgpr_workgroup_id_x 1
		.amdhsa_system_sgpr_workgroup_id_y 0
		.amdhsa_system_sgpr_workgroup_id_z 0
		.amdhsa_system_sgpr_workgroup_info 0
		.amdhsa_system_vgpr_workitem_id 0
		.amdhsa_next_free_vgpr 1
		.amdhsa_next_free_sgpr 1
		.amdhsa_reserve_vcc 0
		.amdhsa_float_round_mode_32 0
		.amdhsa_float_round_mode_16_64 0
		.amdhsa_float_denorm_mode_32 3
		.amdhsa_float_denorm_mode_16_64 3
		.amdhsa_fp16_overflow 0
		.amdhsa_workgroup_processor_mode 1
		.amdhsa_memory_ordered 1
		.amdhsa_forward_progress 1
		.amdhsa_inst_pref_size 0
		.amdhsa_round_robin_scheduling 0
		.amdhsa_exception_fp_ieee_invalid_op 0
		.amdhsa_exception_fp_denorm_src 0
		.amdhsa_exception_fp_ieee_div_zero 0
		.amdhsa_exception_fp_ieee_overflow 0
		.amdhsa_exception_fp_ieee_underflow 0
		.amdhsa_exception_fp_ieee_inexact 0
		.amdhsa_exception_int_div_zero 0
	.end_amdhsa_kernel
	.section	.text._ZN7rocprim17ROCPRIM_400000_NS6detail17trampoline_kernelINS0_14default_configENS1_20scan_config_selectorIfEEZZNS1_9scan_implILNS1_25lookback_scan_determinismE0ELb0ELb0ES3_PKfPffZZZN2at6native31launch_logcumsumexp_cuda_kernelERKNSB_10TensorBaseESF_lENKUlvE_clEvENKUlvE0_clEvEUlffE_fEEDaPvRmT3_T4_T5_mT6_P12ihipStream_tbENKUlT_T0_E_clISt17integral_constantIbLb1EESW_EEDaSR_SS_EUlSR_E0_NS1_11comp_targetILNS1_3genE2ELNS1_11target_archE906ELNS1_3gpuE6ELNS1_3repE0EEENS1_30default_config_static_selectorELNS0_4arch9wavefront6targetE0EEEvT1_,"axG",@progbits,_ZN7rocprim17ROCPRIM_400000_NS6detail17trampoline_kernelINS0_14default_configENS1_20scan_config_selectorIfEEZZNS1_9scan_implILNS1_25lookback_scan_determinismE0ELb0ELb0ES3_PKfPffZZZN2at6native31launch_logcumsumexp_cuda_kernelERKNSB_10TensorBaseESF_lENKUlvE_clEvENKUlvE0_clEvEUlffE_fEEDaPvRmT3_T4_T5_mT6_P12ihipStream_tbENKUlT_T0_E_clISt17integral_constantIbLb1EESW_EEDaSR_SS_EUlSR_E0_NS1_11comp_targetILNS1_3genE2ELNS1_11target_archE906ELNS1_3gpuE6ELNS1_3repE0EEENS1_30default_config_static_selectorELNS0_4arch9wavefront6targetE0EEEvT1_,comdat
.Lfunc_end128:
	.size	_ZN7rocprim17ROCPRIM_400000_NS6detail17trampoline_kernelINS0_14default_configENS1_20scan_config_selectorIfEEZZNS1_9scan_implILNS1_25lookback_scan_determinismE0ELb0ELb0ES3_PKfPffZZZN2at6native31launch_logcumsumexp_cuda_kernelERKNSB_10TensorBaseESF_lENKUlvE_clEvENKUlvE0_clEvEUlffE_fEEDaPvRmT3_T4_T5_mT6_P12ihipStream_tbENKUlT_T0_E_clISt17integral_constantIbLb1EESW_EEDaSR_SS_EUlSR_E0_NS1_11comp_targetILNS1_3genE2ELNS1_11target_archE906ELNS1_3gpuE6ELNS1_3repE0EEENS1_30default_config_static_selectorELNS0_4arch9wavefront6targetE0EEEvT1_, .Lfunc_end128-_ZN7rocprim17ROCPRIM_400000_NS6detail17trampoline_kernelINS0_14default_configENS1_20scan_config_selectorIfEEZZNS1_9scan_implILNS1_25lookback_scan_determinismE0ELb0ELb0ES3_PKfPffZZZN2at6native31launch_logcumsumexp_cuda_kernelERKNSB_10TensorBaseESF_lENKUlvE_clEvENKUlvE0_clEvEUlffE_fEEDaPvRmT3_T4_T5_mT6_P12ihipStream_tbENKUlT_T0_E_clISt17integral_constantIbLb1EESW_EEDaSR_SS_EUlSR_E0_NS1_11comp_targetILNS1_3genE2ELNS1_11target_archE906ELNS1_3gpuE6ELNS1_3repE0EEENS1_30default_config_static_selectorELNS0_4arch9wavefront6targetE0EEEvT1_
                                        ; -- End function
	.set _ZN7rocprim17ROCPRIM_400000_NS6detail17trampoline_kernelINS0_14default_configENS1_20scan_config_selectorIfEEZZNS1_9scan_implILNS1_25lookback_scan_determinismE0ELb0ELb0ES3_PKfPffZZZN2at6native31launch_logcumsumexp_cuda_kernelERKNSB_10TensorBaseESF_lENKUlvE_clEvENKUlvE0_clEvEUlffE_fEEDaPvRmT3_T4_T5_mT6_P12ihipStream_tbENKUlT_T0_E_clISt17integral_constantIbLb1EESW_EEDaSR_SS_EUlSR_E0_NS1_11comp_targetILNS1_3genE2ELNS1_11target_archE906ELNS1_3gpuE6ELNS1_3repE0EEENS1_30default_config_static_selectorELNS0_4arch9wavefront6targetE0EEEvT1_.num_vgpr, 0
	.set _ZN7rocprim17ROCPRIM_400000_NS6detail17trampoline_kernelINS0_14default_configENS1_20scan_config_selectorIfEEZZNS1_9scan_implILNS1_25lookback_scan_determinismE0ELb0ELb0ES3_PKfPffZZZN2at6native31launch_logcumsumexp_cuda_kernelERKNSB_10TensorBaseESF_lENKUlvE_clEvENKUlvE0_clEvEUlffE_fEEDaPvRmT3_T4_T5_mT6_P12ihipStream_tbENKUlT_T0_E_clISt17integral_constantIbLb1EESW_EEDaSR_SS_EUlSR_E0_NS1_11comp_targetILNS1_3genE2ELNS1_11target_archE906ELNS1_3gpuE6ELNS1_3repE0EEENS1_30default_config_static_selectorELNS0_4arch9wavefront6targetE0EEEvT1_.num_agpr, 0
	.set _ZN7rocprim17ROCPRIM_400000_NS6detail17trampoline_kernelINS0_14default_configENS1_20scan_config_selectorIfEEZZNS1_9scan_implILNS1_25lookback_scan_determinismE0ELb0ELb0ES3_PKfPffZZZN2at6native31launch_logcumsumexp_cuda_kernelERKNSB_10TensorBaseESF_lENKUlvE_clEvENKUlvE0_clEvEUlffE_fEEDaPvRmT3_T4_T5_mT6_P12ihipStream_tbENKUlT_T0_E_clISt17integral_constantIbLb1EESW_EEDaSR_SS_EUlSR_E0_NS1_11comp_targetILNS1_3genE2ELNS1_11target_archE906ELNS1_3gpuE6ELNS1_3repE0EEENS1_30default_config_static_selectorELNS0_4arch9wavefront6targetE0EEEvT1_.numbered_sgpr, 0
	.set _ZN7rocprim17ROCPRIM_400000_NS6detail17trampoline_kernelINS0_14default_configENS1_20scan_config_selectorIfEEZZNS1_9scan_implILNS1_25lookback_scan_determinismE0ELb0ELb0ES3_PKfPffZZZN2at6native31launch_logcumsumexp_cuda_kernelERKNSB_10TensorBaseESF_lENKUlvE_clEvENKUlvE0_clEvEUlffE_fEEDaPvRmT3_T4_T5_mT6_P12ihipStream_tbENKUlT_T0_E_clISt17integral_constantIbLb1EESW_EEDaSR_SS_EUlSR_E0_NS1_11comp_targetILNS1_3genE2ELNS1_11target_archE906ELNS1_3gpuE6ELNS1_3repE0EEENS1_30default_config_static_selectorELNS0_4arch9wavefront6targetE0EEEvT1_.num_named_barrier, 0
	.set _ZN7rocprim17ROCPRIM_400000_NS6detail17trampoline_kernelINS0_14default_configENS1_20scan_config_selectorIfEEZZNS1_9scan_implILNS1_25lookback_scan_determinismE0ELb0ELb0ES3_PKfPffZZZN2at6native31launch_logcumsumexp_cuda_kernelERKNSB_10TensorBaseESF_lENKUlvE_clEvENKUlvE0_clEvEUlffE_fEEDaPvRmT3_T4_T5_mT6_P12ihipStream_tbENKUlT_T0_E_clISt17integral_constantIbLb1EESW_EEDaSR_SS_EUlSR_E0_NS1_11comp_targetILNS1_3genE2ELNS1_11target_archE906ELNS1_3gpuE6ELNS1_3repE0EEENS1_30default_config_static_selectorELNS0_4arch9wavefront6targetE0EEEvT1_.private_seg_size, 0
	.set _ZN7rocprim17ROCPRIM_400000_NS6detail17trampoline_kernelINS0_14default_configENS1_20scan_config_selectorIfEEZZNS1_9scan_implILNS1_25lookback_scan_determinismE0ELb0ELb0ES3_PKfPffZZZN2at6native31launch_logcumsumexp_cuda_kernelERKNSB_10TensorBaseESF_lENKUlvE_clEvENKUlvE0_clEvEUlffE_fEEDaPvRmT3_T4_T5_mT6_P12ihipStream_tbENKUlT_T0_E_clISt17integral_constantIbLb1EESW_EEDaSR_SS_EUlSR_E0_NS1_11comp_targetILNS1_3genE2ELNS1_11target_archE906ELNS1_3gpuE6ELNS1_3repE0EEENS1_30default_config_static_selectorELNS0_4arch9wavefront6targetE0EEEvT1_.uses_vcc, 0
	.set _ZN7rocprim17ROCPRIM_400000_NS6detail17trampoline_kernelINS0_14default_configENS1_20scan_config_selectorIfEEZZNS1_9scan_implILNS1_25lookback_scan_determinismE0ELb0ELb0ES3_PKfPffZZZN2at6native31launch_logcumsumexp_cuda_kernelERKNSB_10TensorBaseESF_lENKUlvE_clEvENKUlvE0_clEvEUlffE_fEEDaPvRmT3_T4_T5_mT6_P12ihipStream_tbENKUlT_T0_E_clISt17integral_constantIbLb1EESW_EEDaSR_SS_EUlSR_E0_NS1_11comp_targetILNS1_3genE2ELNS1_11target_archE906ELNS1_3gpuE6ELNS1_3repE0EEENS1_30default_config_static_selectorELNS0_4arch9wavefront6targetE0EEEvT1_.uses_flat_scratch, 0
	.set _ZN7rocprim17ROCPRIM_400000_NS6detail17trampoline_kernelINS0_14default_configENS1_20scan_config_selectorIfEEZZNS1_9scan_implILNS1_25lookback_scan_determinismE0ELb0ELb0ES3_PKfPffZZZN2at6native31launch_logcumsumexp_cuda_kernelERKNSB_10TensorBaseESF_lENKUlvE_clEvENKUlvE0_clEvEUlffE_fEEDaPvRmT3_T4_T5_mT6_P12ihipStream_tbENKUlT_T0_E_clISt17integral_constantIbLb1EESW_EEDaSR_SS_EUlSR_E0_NS1_11comp_targetILNS1_3genE2ELNS1_11target_archE906ELNS1_3gpuE6ELNS1_3repE0EEENS1_30default_config_static_selectorELNS0_4arch9wavefront6targetE0EEEvT1_.has_dyn_sized_stack, 0
	.set _ZN7rocprim17ROCPRIM_400000_NS6detail17trampoline_kernelINS0_14default_configENS1_20scan_config_selectorIfEEZZNS1_9scan_implILNS1_25lookback_scan_determinismE0ELb0ELb0ES3_PKfPffZZZN2at6native31launch_logcumsumexp_cuda_kernelERKNSB_10TensorBaseESF_lENKUlvE_clEvENKUlvE0_clEvEUlffE_fEEDaPvRmT3_T4_T5_mT6_P12ihipStream_tbENKUlT_T0_E_clISt17integral_constantIbLb1EESW_EEDaSR_SS_EUlSR_E0_NS1_11comp_targetILNS1_3genE2ELNS1_11target_archE906ELNS1_3gpuE6ELNS1_3repE0EEENS1_30default_config_static_selectorELNS0_4arch9wavefront6targetE0EEEvT1_.has_recursion, 0
	.set _ZN7rocprim17ROCPRIM_400000_NS6detail17trampoline_kernelINS0_14default_configENS1_20scan_config_selectorIfEEZZNS1_9scan_implILNS1_25lookback_scan_determinismE0ELb0ELb0ES3_PKfPffZZZN2at6native31launch_logcumsumexp_cuda_kernelERKNSB_10TensorBaseESF_lENKUlvE_clEvENKUlvE0_clEvEUlffE_fEEDaPvRmT3_T4_T5_mT6_P12ihipStream_tbENKUlT_T0_E_clISt17integral_constantIbLb1EESW_EEDaSR_SS_EUlSR_E0_NS1_11comp_targetILNS1_3genE2ELNS1_11target_archE906ELNS1_3gpuE6ELNS1_3repE0EEENS1_30default_config_static_selectorELNS0_4arch9wavefront6targetE0EEEvT1_.has_indirect_call, 0
	.section	.AMDGPU.csdata,"",@progbits
; Kernel info:
; codeLenInByte = 0
; TotalNumSgprs: 0
; NumVgprs: 0
; ScratchSize: 0
; MemoryBound: 0
; FloatMode: 240
; IeeeMode: 1
; LDSByteSize: 0 bytes/workgroup (compile time only)
; SGPRBlocks: 0
; VGPRBlocks: 0
; NumSGPRsForWavesPerEU: 1
; NumVGPRsForWavesPerEU: 1
; Occupancy: 16
; WaveLimiterHint : 0
; COMPUTE_PGM_RSRC2:SCRATCH_EN: 0
; COMPUTE_PGM_RSRC2:USER_SGPR: 2
; COMPUTE_PGM_RSRC2:TRAP_HANDLER: 0
; COMPUTE_PGM_RSRC2:TGID_X_EN: 1
; COMPUTE_PGM_RSRC2:TGID_Y_EN: 0
; COMPUTE_PGM_RSRC2:TGID_Z_EN: 0
; COMPUTE_PGM_RSRC2:TIDIG_COMP_CNT: 0
	.section	.text._ZN7rocprim17ROCPRIM_400000_NS6detail17trampoline_kernelINS0_14default_configENS1_20scan_config_selectorIfEEZZNS1_9scan_implILNS1_25lookback_scan_determinismE0ELb0ELb0ES3_PKfPffZZZN2at6native31launch_logcumsumexp_cuda_kernelERKNSB_10TensorBaseESF_lENKUlvE_clEvENKUlvE0_clEvEUlffE_fEEDaPvRmT3_T4_T5_mT6_P12ihipStream_tbENKUlT_T0_E_clISt17integral_constantIbLb1EESW_EEDaSR_SS_EUlSR_E0_NS1_11comp_targetILNS1_3genE10ELNS1_11target_archE1201ELNS1_3gpuE5ELNS1_3repE0EEENS1_30default_config_static_selectorELNS0_4arch9wavefront6targetE0EEEvT1_,"axG",@progbits,_ZN7rocprim17ROCPRIM_400000_NS6detail17trampoline_kernelINS0_14default_configENS1_20scan_config_selectorIfEEZZNS1_9scan_implILNS1_25lookback_scan_determinismE0ELb0ELb0ES3_PKfPffZZZN2at6native31launch_logcumsumexp_cuda_kernelERKNSB_10TensorBaseESF_lENKUlvE_clEvENKUlvE0_clEvEUlffE_fEEDaPvRmT3_T4_T5_mT6_P12ihipStream_tbENKUlT_T0_E_clISt17integral_constantIbLb1EESW_EEDaSR_SS_EUlSR_E0_NS1_11comp_targetILNS1_3genE10ELNS1_11target_archE1201ELNS1_3gpuE5ELNS1_3repE0EEENS1_30default_config_static_selectorELNS0_4arch9wavefront6targetE0EEEvT1_,comdat
	.globl	_ZN7rocprim17ROCPRIM_400000_NS6detail17trampoline_kernelINS0_14default_configENS1_20scan_config_selectorIfEEZZNS1_9scan_implILNS1_25lookback_scan_determinismE0ELb0ELb0ES3_PKfPffZZZN2at6native31launch_logcumsumexp_cuda_kernelERKNSB_10TensorBaseESF_lENKUlvE_clEvENKUlvE0_clEvEUlffE_fEEDaPvRmT3_T4_T5_mT6_P12ihipStream_tbENKUlT_T0_E_clISt17integral_constantIbLb1EESW_EEDaSR_SS_EUlSR_E0_NS1_11comp_targetILNS1_3genE10ELNS1_11target_archE1201ELNS1_3gpuE5ELNS1_3repE0EEENS1_30default_config_static_selectorELNS0_4arch9wavefront6targetE0EEEvT1_ ; -- Begin function _ZN7rocprim17ROCPRIM_400000_NS6detail17trampoline_kernelINS0_14default_configENS1_20scan_config_selectorIfEEZZNS1_9scan_implILNS1_25lookback_scan_determinismE0ELb0ELb0ES3_PKfPffZZZN2at6native31launch_logcumsumexp_cuda_kernelERKNSB_10TensorBaseESF_lENKUlvE_clEvENKUlvE0_clEvEUlffE_fEEDaPvRmT3_T4_T5_mT6_P12ihipStream_tbENKUlT_T0_E_clISt17integral_constantIbLb1EESW_EEDaSR_SS_EUlSR_E0_NS1_11comp_targetILNS1_3genE10ELNS1_11target_archE1201ELNS1_3gpuE5ELNS1_3repE0EEENS1_30default_config_static_selectorELNS0_4arch9wavefront6targetE0EEEvT1_
	.p2align	8
	.type	_ZN7rocprim17ROCPRIM_400000_NS6detail17trampoline_kernelINS0_14default_configENS1_20scan_config_selectorIfEEZZNS1_9scan_implILNS1_25lookback_scan_determinismE0ELb0ELb0ES3_PKfPffZZZN2at6native31launch_logcumsumexp_cuda_kernelERKNSB_10TensorBaseESF_lENKUlvE_clEvENKUlvE0_clEvEUlffE_fEEDaPvRmT3_T4_T5_mT6_P12ihipStream_tbENKUlT_T0_E_clISt17integral_constantIbLb1EESW_EEDaSR_SS_EUlSR_E0_NS1_11comp_targetILNS1_3genE10ELNS1_11target_archE1201ELNS1_3gpuE5ELNS1_3repE0EEENS1_30default_config_static_selectorELNS0_4arch9wavefront6targetE0EEEvT1_,@function
_ZN7rocprim17ROCPRIM_400000_NS6detail17trampoline_kernelINS0_14default_configENS1_20scan_config_selectorIfEEZZNS1_9scan_implILNS1_25lookback_scan_determinismE0ELb0ELb0ES3_PKfPffZZZN2at6native31launch_logcumsumexp_cuda_kernelERKNSB_10TensorBaseESF_lENKUlvE_clEvENKUlvE0_clEvEUlffE_fEEDaPvRmT3_T4_T5_mT6_P12ihipStream_tbENKUlT_T0_E_clISt17integral_constantIbLb1EESW_EEDaSR_SS_EUlSR_E0_NS1_11comp_targetILNS1_3genE10ELNS1_11target_archE1201ELNS1_3gpuE5ELNS1_3repE0EEENS1_30default_config_static_selectorELNS0_4arch9wavefront6targetE0EEEvT1_: ; @_ZN7rocprim17ROCPRIM_400000_NS6detail17trampoline_kernelINS0_14default_configENS1_20scan_config_selectorIfEEZZNS1_9scan_implILNS1_25lookback_scan_determinismE0ELb0ELb0ES3_PKfPffZZZN2at6native31launch_logcumsumexp_cuda_kernelERKNSB_10TensorBaseESF_lENKUlvE_clEvENKUlvE0_clEvEUlffE_fEEDaPvRmT3_T4_T5_mT6_P12ihipStream_tbENKUlT_T0_E_clISt17integral_constantIbLb1EESW_EEDaSR_SS_EUlSR_E0_NS1_11comp_targetILNS1_3genE10ELNS1_11target_archE1201ELNS1_3gpuE5ELNS1_3repE0EEENS1_30default_config_static_selectorELNS0_4arch9wavefront6targetE0EEEvT1_
; %bb.0:
	s_load_b128 s[12:15], s[0:1], 0x0
	v_lshlrev_b32_e32 v7, 2, v0
	s_wait_kmcnt 0x0
	s_load_b32 s4, s[12:13], 0x0
	v_cmp_gt_u32_e32 vcc_lo, s14, v0
	s_wait_kmcnt 0x0
	s_mov_b32 s5, s4
	s_mov_b32 s6, s4
	;; [unrolled: 1-line block ×5, first 2 shown]
	v_dual_mov_b32 v8, s4 :: v_dual_mov_b32 v1, s4
	v_dual_mov_b32 v2, s5 :: v_dual_mov_b32 v3, s6
	v_dual_mov_b32 v4, s7 :: v_dual_mov_b32 v5, s8
	v_mov_b32_e32 v6, s9
	s_and_saveexec_b32 s2, vcc_lo
	s_cbranch_execz .LBB129_2
; %bb.1:
	global_load_b32 v8, v7, s[12:13]
	v_dual_mov_b32 v1, s4 :: v_dual_mov_b32 v2, s5
	v_dual_mov_b32 v3, s6 :: v_dual_mov_b32 v4, s7
	;; [unrolled: 1-line block ×3, first 2 shown]
.LBB129_2:
	s_or_b32 exec_lo, exec_lo, s2
	v_or_b32_e32 v1, 0x100, v0
	s_delay_alu instid0(VALU_DEP_1)
	v_cmp_gt_u32_e64 s2, s14, v1
	s_and_saveexec_b32 s3, s2
	s_cbranch_execz .LBB129_4
; %bb.3:
	global_load_b32 v2, v7, s[12:13] offset:1024
.LBB129_4:
	s_or_b32 exec_lo, exec_lo, s3
	v_or_b32_e32 v1, 0x200, v0
	s_delay_alu instid0(VALU_DEP_1)
	v_cmp_gt_u32_e64 s3, s14, v1
	s_and_saveexec_b32 s4, s3
	s_cbranch_execz .LBB129_6
; %bb.5:
	global_load_b32 v3, v7, s[12:13] offset:2048
.LBB129_6:
	s_wait_alu 0xfffe
	s_or_b32 exec_lo, exec_lo, s4
	v_or_b32_e32 v1, 0x300, v0
	s_delay_alu instid0(VALU_DEP_1)
	v_cmp_gt_u32_e64 s4, s14, v1
	s_and_saveexec_b32 s5, s4
	s_cbranch_execz .LBB129_8
; %bb.7:
	global_load_b32 v4, v7, s[12:13] offset:3072
.LBB129_8:
	s_wait_alu 0xfffe
	;; [unrolled: 10-line block ×3, first 2 shown]
	s_or_b32 exec_lo, exec_lo, s6
	v_or_b32_e32 v1, 0x500, v0
	s_delay_alu instid0(VALU_DEP_1)
	v_cmp_gt_u32_e64 s6, s14, v1
	v_cmp_le_u32_e64 s7, s14, v1
	s_and_saveexec_b32 s8, s7
	s_wait_alu 0xfffe
	s_xor_b32 s7, exec_lo, s8
	s_wait_alu 0xfffe
	s_and_not1_saveexec_b32 s7, s7
	s_cbranch_execz .LBB129_12
; %bb.11:
	v_lshlrev_b32_e32 v1, 2, v0
	global_load_b32 v6, v1, s[12:13] offset:5120
.LBB129_12:
	s_wait_alu 0xfffe
	s_or_b32 exec_lo, exec_lo, s7
	s_wait_loadcnt 0x0
	ds_store_2addr_stride64_b32 v7, v8, v2 offset1:4
	ds_store_2addr_stride64_b32 v7, v3, v4 offset0:8 offset1:12
	ds_store_2addr_stride64_b32 v7, v5, v6 offset0:16 offset1:20
	v_mad_u32_u24 v5, v0, 20, v7
	s_wait_dscnt 0x0
	s_barrier_signal -1
	s_barrier_wait -1
	global_inv scope:SCOPE_SE
	ds_load_2addr_b64 v[1:4], v5 offset1:1
	ds_load_b64 v[5:6], v5 offset:16
	s_wait_loadcnt_dscnt 0x0
	s_barrier_signal -1
	s_barrier_wait -1
	global_inv scope:SCOPE_SE
	v_dual_max_num_f32 v12, v2, v2 :: v_dual_max_num_f32 v15, v1, v1
	v_cmp_u_f32_e64 s12, v1, v1
	v_cmp_u_f32_e64 s7, v2, v2
	s_delay_alu instid0(VALU_DEP_3) | instskip(SKIP_1) | instid1(VALU_DEP_2)
	v_dual_mov_b32 v18, v1 :: v_dual_min_num_f32 v13, v15, v12
	v_max_num_f32_e32 v14, v15, v12
	v_cndmask_b32_e64 v8, v13, v1, s12
	s_delay_alu instid0(VALU_DEP_2) | instskip(SKIP_1) | instid1(VALU_DEP_2)
	v_cndmask_b32_e64 v10, v14, v1, s12
	s_wait_alu 0xf1ff
	v_cndmask_b32_e64 v9, v8, v2, s7
	s_delay_alu instid0(VALU_DEP_2) | instskip(NEXT) | instid1(VALU_DEP_2)
	v_cndmask_b32_e64 v8, v10, v2, s7
	v_cmp_class_f32_e64 s9, v9, 0x1f8
	s_delay_alu instid0(VALU_DEP_2)
	v_cmp_neq_f32_e64 s8, v9, v8
	s_or_b32 s8, s8, s9
	s_wait_alu 0xfffe
	s_and_saveexec_b32 s9, s8
	s_cbranch_execz .LBB129_14
; %bb.13:
	v_sub_f32_e32 v9, v9, v8
	s_delay_alu instid0(VALU_DEP_1) | instskip(NEXT) | instid1(VALU_DEP_1)
	v_mul_f32_e32 v10, 0x3fb8aa3b, v9
	v_fma_f32 v11, 0x3fb8aa3b, v9, -v10
	v_rndne_f32_e32 v16, v10
	s_delay_alu instid0(VALU_DEP_1) | instskip(NEXT) | instid1(VALU_DEP_1)
	v_dual_fmamk_f32 v11, v9, 0x32a5705f, v11 :: v_dual_sub_f32 v10, v10, v16
	v_add_f32_e32 v10, v10, v11
	v_cvt_i32_f32_e32 v11, v16
	v_cmp_ngt_f32_e64 s8, 0xc2ce8ed0, v9
	s_delay_alu instid0(VALU_DEP_3) | instskip(NEXT) | instid1(TRANS32_DEP_1)
	v_exp_f32_e32 v10, v10
	v_ldexp_f32 v10, v10, v11
	s_wait_alu 0xf1ff
	s_delay_alu instid0(VALU_DEP_1) | instskip(SKIP_2) | instid1(VALU_DEP_1)
	v_cndmask_b32_e64 v10, 0, v10, s8
	v_cmp_nlt_f32_e64 s8, 0x42b17218, v9
	s_wait_alu 0xf1ff
	v_cndmask_b32_e64 v11, 0x7f800000, v10, s8
	s_delay_alu instid0(VALU_DEP_1) | instskip(NEXT) | instid1(VALU_DEP_1)
	v_add_f32_e32 v16, 1.0, v11
	v_cvt_f64_f32_e32 v[9:10], v16
	s_delay_alu instid0(VALU_DEP_1) | instskip(SKIP_1) | instid1(VALU_DEP_1)
	v_frexp_exp_i32_f64_e32 v9, v[9:10]
	v_frexp_mant_f32_e32 v10, v16
	v_cmp_gt_f32_e64 s8, 0x3f2aaaab, v10
	v_add_f32_e32 v10, -1.0, v16
	s_delay_alu instid0(VALU_DEP_1) | instskip(SKIP_1) | instid1(VALU_DEP_3)
	v_sub_f32_e32 v18, v10, v16
	s_wait_alu 0xf1ff
	v_subrev_co_ci_u32_e64 v9, null, 0, v9, s8
	s_mov_b32 s8, 0x3e9b6dac
	v_sub_nc_u32_e32 v17, 0, v9
	v_cvt_f32_i32_e32 v9, v9
	s_delay_alu instid0(VALU_DEP_2) | instskip(NEXT) | instid1(VALU_DEP_1)
	v_ldexp_f32 v16, v16, v17
	v_dual_sub_f32 v10, v11, v10 :: v_dual_add_f32 v19, 1.0, v16
	v_add_f32_e32 v18, 1.0, v18
	s_delay_alu instid0(VALU_DEP_1) | instskip(NEXT) | instid1(VALU_DEP_3)
	v_add_f32_e32 v10, v10, v18
	v_add_f32_e32 v18, -1.0, v19
	s_delay_alu instid0(VALU_DEP_2) | instskip(NEXT) | instid1(VALU_DEP_2)
	v_ldexp_f32 v10, v10, v17
	v_dual_add_f32 v17, -1.0, v16 :: v_dual_sub_f32 v18, v16, v18
	s_delay_alu instid0(VALU_DEP_1) | instskip(NEXT) | instid1(VALU_DEP_2)
	v_add_f32_e32 v20, 1.0, v17
	v_add_f32_e32 v18, v10, v18
	s_delay_alu instid0(VALU_DEP_2) | instskip(NEXT) | instid1(VALU_DEP_2)
	v_sub_f32_e32 v16, v16, v20
	v_add_f32_e32 v20, v19, v18
	s_delay_alu instid0(VALU_DEP_2) | instskip(NEXT) | instid1(VALU_DEP_2)
	v_add_f32_e32 v10, v10, v16
	v_rcp_f32_e32 v16, v20
	v_sub_f32_e32 v19, v19, v20
	s_delay_alu instid0(VALU_DEP_1) | instskip(NEXT) | instid1(VALU_DEP_1)
	v_dual_add_f32 v21, v17, v10 :: v_dual_add_f32 v18, v18, v19
	v_sub_f32_e32 v17, v17, v21
	s_delay_alu instid0(TRANS32_DEP_1) | instskip(NEXT) | instid1(VALU_DEP_1)
	v_mul_f32_e32 v22, v21, v16
	v_dual_add_f32 v10, v10, v17 :: v_dual_mul_f32 v23, v20, v22
	s_delay_alu instid0(VALU_DEP_1) | instskip(NEXT) | instid1(VALU_DEP_1)
	v_fma_f32 v19, v22, v20, -v23
	v_fmac_f32_e32 v19, v22, v18
	s_delay_alu instid0(VALU_DEP_1) | instskip(NEXT) | instid1(VALU_DEP_1)
	v_add_f32_e32 v24, v23, v19
	v_sub_f32_e32 v25, v21, v24
	v_sub_f32_e32 v17, v24, v23
	s_delay_alu instid0(VALU_DEP_2) | instskip(NEXT) | instid1(VALU_DEP_2)
	v_sub_f32_e32 v21, v21, v25
	v_sub_f32_e32 v17, v17, v19
	s_delay_alu instid0(VALU_DEP_2) | instskip(NEXT) | instid1(VALU_DEP_1)
	v_sub_f32_e32 v21, v21, v24
	v_add_f32_e32 v10, v10, v21
	s_delay_alu instid0(VALU_DEP_1) | instskip(NEXT) | instid1(VALU_DEP_1)
	v_add_f32_e32 v10, v17, v10
	v_add_f32_e32 v17, v25, v10
	s_delay_alu instid0(VALU_DEP_1) | instskip(NEXT) | instid1(VALU_DEP_1)
	v_mul_f32_e32 v19, v16, v17
	v_dual_sub_f32 v24, v25, v17 :: v_dual_mul_f32 v21, v20, v19
	s_delay_alu instid0(VALU_DEP_1) | instskip(NEXT) | instid1(VALU_DEP_2)
	v_add_f32_e32 v10, v10, v24
	v_fma_f32 v20, v19, v20, -v21
	s_delay_alu instid0(VALU_DEP_1) | instskip(NEXT) | instid1(VALU_DEP_1)
	v_fmac_f32_e32 v20, v19, v18
	v_add_f32_e32 v18, v21, v20
	s_delay_alu instid0(VALU_DEP_1) | instskip(SKIP_1) | instid1(VALU_DEP_2)
	v_sub_f32_e32 v23, v17, v18
	v_sub_f32_e32 v21, v18, v21
	;; [unrolled: 1-line block ×3, first 2 shown]
	s_delay_alu instid0(VALU_DEP_1) | instskip(NEXT) | instid1(VALU_DEP_3)
	v_sub_f32_e32 v17, v17, v18
	v_sub_f32_e32 v18, v21, v20
	s_delay_alu instid0(VALU_DEP_2) | instskip(SKIP_1) | instid1(VALU_DEP_2)
	v_add_f32_e32 v10, v10, v17
	v_add_f32_e32 v17, v22, v19
	;; [unrolled: 1-line block ×3, first 2 shown]
	s_delay_alu instid0(VALU_DEP_2) | instskip(NEXT) | instid1(VALU_DEP_2)
	v_sub_f32_e32 v18, v17, v22
	v_add_f32_e32 v10, v23, v10
	s_delay_alu instid0(VALU_DEP_2) | instskip(NEXT) | instid1(VALU_DEP_2)
	v_sub_f32_e32 v18, v19, v18
	v_mul_f32_e32 v10, v16, v10
	s_delay_alu instid0(VALU_DEP_1) | instskip(NEXT) | instid1(VALU_DEP_1)
	v_add_f32_e32 v10, v18, v10
	v_add_f32_e32 v16, v17, v10
	s_delay_alu instid0(VALU_DEP_1) | instskip(SKIP_1) | instid1(VALU_DEP_1)
	v_mul_f32_e32 v18, v16, v16
	s_wait_alu 0xfffe
	v_fmaak_f32 v19, s8, v18, 0x3ecc95a3
	v_mul_f32_e32 v20, v16, v18
	v_cmp_neq_f32_e64 s8, 0x7f800000, v11
	s_delay_alu instid0(VALU_DEP_3) | instskip(SKIP_2) | instid1(VALU_DEP_3)
	v_fmaak_f32 v18, v18, v19, 0x3f2aaada
	v_ldexp_f32 v19, v16, 1
	v_sub_f32_e32 v16, v16, v17
	v_mul_f32_e32 v18, v20, v18
	v_mul_f32_e32 v20, 0x3f317218, v9
	s_delay_alu instid0(VALU_DEP_2) | instskip(NEXT) | instid1(VALU_DEP_1)
	v_dual_sub_f32 v10, v10, v16 :: v_dual_add_f32 v17, v19, v18
	v_ldexp_f32 v10, v10, 1
	s_delay_alu instid0(VALU_DEP_2) | instskip(NEXT) | instid1(VALU_DEP_4)
	v_sub_f32_e32 v16, v17, v19
	v_fma_f32 v19, 0x3f317218, v9, -v20
	s_delay_alu instid0(VALU_DEP_1) | instskip(NEXT) | instid1(VALU_DEP_1)
	v_dual_sub_f32 v16, v18, v16 :: v_dual_fmamk_f32 v9, v9, 0xb102e308, v19
	v_add_f32_e32 v10, v10, v16
	s_delay_alu instid0(VALU_DEP_2) | instskip(NEXT) | instid1(VALU_DEP_2)
	v_add_f32_e32 v16, v20, v9
	v_add_f32_e32 v18, v17, v10
	s_delay_alu instid0(VALU_DEP_2) | instskip(NEXT) | instid1(VALU_DEP_2)
	v_sub_f32_e32 v20, v16, v20
	v_add_f32_e32 v19, v16, v18
	v_sub_f32_e32 v17, v18, v17
	s_delay_alu instid0(VALU_DEP_3) | instskip(NEXT) | instid1(VALU_DEP_2)
	v_sub_f32_e32 v9, v9, v20
	v_dual_sub_f32 v21, v19, v16 :: v_dual_sub_f32 v10, v10, v17
	s_delay_alu instid0(VALU_DEP_1) | instskip(NEXT) | instid1(VALU_DEP_2)
	v_sub_f32_e32 v22, v19, v21
	v_dual_sub_f32 v17, v18, v21 :: v_dual_add_f32 v18, v9, v10
	s_delay_alu instid0(VALU_DEP_2) | instskip(NEXT) | instid1(VALU_DEP_1)
	v_sub_f32_e32 v16, v16, v22
	v_dual_add_f32 v16, v17, v16 :: v_dual_sub_f32 v17, v18, v9
	s_delay_alu instid0(VALU_DEP_1) | instskip(NEXT) | instid1(VALU_DEP_2)
	v_add_f32_e32 v16, v18, v16
	v_sub_f32_e32 v18, v18, v17
	v_sub_f32_e32 v10, v10, v17
	s_delay_alu instid0(VALU_DEP_2) | instskip(NEXT) | instid1(VALU_DEP_1)
	v_dual_add_f32 v20, v19, v16 :: v_dual_sub_f32 v9, v9, v18
	v_sub_f32_e32 v17, v20, v19
	s_delay_alu instid0(VALU_DEP_2) | instskip(NEXT) | instid1(VALU_DEP_2)
	v_add_f32_e32 v9, v10, v9
	v_sub_f32_e32 v10, v16, v17
	s_delay_alu instid0(VALU_DEP_1) | instskip(NEXT) | instid1(VALU_DEP_1)
	v_add_f32_e32 v9, v9, v10
	v_add_f32_e32 v9, v20, v9
	s_wait_alu 0xf1ff
	s_delay_alu instid0(VALU_DEP_1) | instskip(SKIP_2) | instid1(VALU_DEP_1)
	v_cndmask_b32_e64 v9, 0x7f800000, v9, s8
	v_cmp_gt_f32_e64 s8, 0x33800000, |v11|
	s_wait_alu 0xf1ff
	v_cndmask_b32_e64 v9, v9, v11, s8
	s_delay_alu instid0(VALU_DEP_1)
	v_add_f32_e32 v18, v8, v9
.LBB129_14:
	s_wait_alu 0xfffe
	s_or_b32 exec_lo, exec_lo, s9
	s_delay_alu instid0(VALU_DEP_1) | instskip(SKIP_1) | instid1(VALU_DEP_2)
	v_dual_max_num_f32 v9, v18, v18 :: v_dual_max_num_f32 v8, v3, v3
	v_cmp_u_f32_e64 s8, v18, v18
	v_min_num_f32_e32 v10, v9, v8
	v_max_num_f32_e32 v9, v9, v8
	s_wait_alu 0xf1ff
	s_delay_alu instid0(VALU_DEP_2) | instskip(NEXT) | instid1(VALU_DEP_2)
	v_cndmask_b32_e64 v10, v10, v18, s8
	v_cndmask_b32_e64 v9, v9, v18, s8
	v_cmp_u_f32_e64 s8, v3, v3
	s_wait_alu 0xf1ff
	s_delay_alu instid0(VALU_DEP_1) | instskip(NEXT) | instid1(VALU_DEP_3)
	v_cndmask_b32_e64 v10, v10, v3, s8
	v_cndmask_b32_e64 v9, v9, v3, s8
	s_delay_alu instid0(VALU_DEP_2) | instskip(NEXT) | instid1(VALU_DEP_2)
	v_cmp_class_f32_e64 s10, v10, 0x1f8
	v_cmp_neq_f32_e64 s9, v10, v9
	s_or_b32 s9, s9, s10
	s_wait_alu 0xfffe
	s_and_saveexec_b32 s10, s9
	s_cbranch_execz .LBB129_16
; %bb.15:
	v_sub_f32_e32 v10, v10, v9
	s_delay_alu instid0(VALU_DEP_1) | instskip(NEXT) | instid1(VALU_DEP_1)
	v_mul_f32_e32 v11, 0x3fb8aa3b, v10
	v_fma_f32 v16, 0x3fb8aa3b, v10, -v11
	v_rndne_f32_e32 v17, v11
	s_delay_alu instid0(VALU_DEP_1) | instskip(NEXT) | instid1(VALU_DEP_1)
	v_dual_fmamk_f32 v16, v10, 0x32a5705f, v16 :: v_dual_sub_f32 v11, v11, v17
	v_add_f32_e32 v11, v11, v16
	v_cvt_i32_f32_e32 v16, v17
	v_cmp_ngt_f32_e64 s9, 0xc2ce8ed0, v10
	s_delay_alu instid0(VALU_DEP_3) | instskip(NEXT) | instid1(TRANS32_DEP_1)
	v_exp_f32_e32 v11, v11
	v_ldexp_f32 v11, v11, v16
	s_wait_alu 0xf1ff
	s_delay_alu instid0(VALU_DEP_1) | instskip(SKIP_2) | instid1(VALU_DEP_1)
	v_cndmask_b32_e64 v11, 0, v11, s9
	v_cmp_nlt_f32_e64 s9, 0x42b17218, v10
	s_wait_alu 0xf1ff
	v_cndmask_b32_e64 v16, 0x7f800000, v11, s9
	s_delay_alu instid0(VALU_DEP_1) | instskip(NEXT) | instid1(VALU_DEP_1)
	v_add_f32_e32 v17, 1.0, v16
	v_cvt_f64_f32_e32 v[10:11], v17
	s_delay_alu instid0(VALU_DEP_1) | instskip(SKIP_1) | instid1(VALU_DEP_1)
	v_frexp_exp_i32_f64_e32 v10, v[10:11]
	v_frexp_mant_f32_e32 v11, v17
	v_cmp_gt_f32_e64 s9, 0x3f2aaaab, v11
	v_add_f32_e32 v11, -1.0, v17
	s_delay_alu instid0(VALU_DEP_1) | instskip(SKIP_1) | instid1(VALU_DEP_3)
	v_sub_f32_e32 v19, v11, v17
	s_wait_alu 0xf1ff
	v_subrev_co_ci_u32_e64 v10, null, 0, v10, s9
	s_mov_b32 s9, 0x3e9b6dac
	v_sub_nc_u32_e32 v18, 0, v10
	v_cvt_f32_i32_e32 v10, v10
	s_delay_alu instid0(VALU_DEP_2) | instskip(NEXT) | instid1(VALU_DEP_1)
	v_ldexp_f32 v17, v17, v18
	v_dual_sub_f32 v11, v16, v11 :: v_dual_add_f32 v20, 1.0, v17
	v_add_f32_e32 v19, 1.0, v19
	s_delay_alu instid0(VALU_DEP_1) | instskip(NEXT) | instid1(VALU_DEP_3)
	v_add_f32_e32 v11, v11, v19
	v_add_f32_e32 v19, -1.0, v20
	s_delay_alu instid0(VALU_DEP_2) | instskip(NEXT) | instid1(VALU_DEP_2)
	v_ldexp_f32 v11, v11, v18
	v_dual_add_f32 v18, -1.0, v17 :: v_dual_sub_f32 v19, v17, v19
	s_delay_alu instid0(VALU_DEP_1) | instskip(NEXT) | instid1(VALU_DEP_2)
	v_add_f32_e32 v21, 1.0, v18
	v_add_f32_e32 v19, v11, v19
	s_delay_alu instid0(VALU_DEP_2) | instskip(NEXT) | instid1(VALU_DEP_2)
	v_sub_f32_e32 v17, v17, v21
	v_add_f32_e32 v21, v20, v19
	s_delay_alu instid0(VALU_DEP_2) | instskip(NEXT) | instid1(VALU_DEP_2)
	v_add_f32_e32 v11, v11, v17
	v_rcp_f32_e32 v17, v21
	v_sub_f32_e32 v20, v20, v21
	s_delay_alu instid0(VALU_DEP_1) | instskip(NEXT) | instid1(VALU_DEP_1)
	v_dual_add_f32 v22, v18, v11 :: v_dual_add_f32 v19, v19, v20
	v_sub_f32_e32 v18, v18, v22
	s_delay_alu instid0(TRANS32_DEP_1) | instskip(NEXT) | instid1(VALU_DEP_1)
	v_mul_f32_e32 v23, v22, v17
	v_dual_add_f32 v11, v11, v18 :: v_dual_mul_f32 v24, v21, v23
	s_delay_alu instid0(VALU_DEP_1) | instskip(NEXT) | instid1(VALU_DEP_1)
	v_fma_f32 v20, v23, v21, -v24
	v_fmac_f32_e32 v20, v23, v19
	s_delay_alu instid0(VALU_DEP_1) | instskip(NEXT) | instid1(VALU_DEP_1)
	v_add_f32_e32 v25, v24, v20
	v_sub_f32_e32 v26, v22, v25
	v_sub_f32_e32 v18, v25, v24
	s_delay_alu instid0(VALU_DEP_2) | instskip(NEXT) | instid1(VALU_DEP_2)
	v_sub_f32_e32 v22, v22, v26
	v_sub_f32_e32 v18, v18, v20
	s_delay_alu instid0(VALU_DEP_2) | instskip(NEXT) | instid1(VALU_DEP_1)
	v_sub_f32_e32 v22, v22, v25
	v_add_f32_e32 v11, v11, v22
	s_delay_alu instid0(VALU_DEP_1) | instskip(NEXT) | instid1(VALU_DEP_1)
	v_add_f32_e32 v11, v18, v11
	v_add_f32_e32 v18, v26, v11
	s_delay_alu instid0(VALU_DEP_1) | instskip(NEXT) | instid1(VALU_DEP_1)
	v_mul_f32_e32 v20, v17, v18
	v_dual_sub_f32 v25, v26, v18 :: v_dual_mul_f32 v22, v21, v20
	s_delay_alu instid0(VALU_DEP_1) | instskip(NEXT) | instid1(VALU_DEP_2)
	v_add_f32_e32 v11, v11, v25
	v_fma_f32 v21, v20, v21, -v22
	s_delay_alu instid0(VALU_DEP_1) | instskip(NEXT) | instid1(VALU_DEP_1)
	v_fmac_f32_e32 v21, v20, v19
	v_add_f32_e32 v19, v22, v21
	s_delay_alu instid0(VALU_DEP_1) | instskip(SKIP_1) | instid1(VALU_DEP_2)
	v_sub_f32_e32 v24, v18, v19
	v_sub_f32_e32 v22, v19, v22
	;; [unrolled: 1-line block ×3, first 2 shown]
	s_delay_alu instid0(VALU_DEP_1) | instskip(NEXT) | instid1(VALU_DEP_3)
	v_sub_f32_e32 v18, v18, v19
	v_sub_f32_e32 v19, v22, v21
	s_delay_alu instid0(VALU_DEP_2) | instskip(SKIP_1) | instid1(VALU_DEP_2)
	v_add_f32_e32 v11, v11, v18
	v_add_f32_e32 v18, v23, v20
	;; [unrolled: 1-line block ×3, first 2 shown]
	s_delay_alu instid0(VALU_DEP_2) | instskip(NEXT) | instid1(VALU_DEP_2)
	v_sub_f32_e32 v19, v18, v23
	v_add_f32_e32 v11, v24, v11
	s_delay_alu instid0(VALU_DEP_2) | instskip(NEXT) | instid1(VALU_DEP_2)
	v_sub_f32_e32 v19, v20, v19
	v_mul_f32_e32 v11, v17, v11
	s_delay_alu instid0(VALU_DEP_1) | instskip(NEXT) | instid1(VALU_DEP_1)
	v_add_f32_e32 v11, v19, v11
	v_add_f32_e32 v17, v18, v11
	s_delay_alu instid0(VALU_DEP_1) | instskip(SKIP_1) | instid1(VALU_DEP_1)
	v_mul_f32_e32 v19, v17, v17
	s_wait_alu 0xfffe
	v_fmaak_f32 v20, s9, v19, 0x3ecc95a3
	v_mul_f32_e32 v21, v17, v19
	v_cmp_neq_f32_e64 s9, 0x7f800000, v16
	s_delay_alu instid0(VALU_DEP_3) | instskip(SKIP_2) | instid1(VALU_DEP_3)
	v_fmaak_f32 v19, v19, v20, 0x3f2aaada
	v_ldexp_f32 v20, v17, 1
	v_sub_f32_e32 v17, v17, v18
	v_mul_f32_e32 v19, v21, v19
	v_mul_f32_e32 v21, 0x3f317218, v10
	s_delay_alu instid0(VALU_DEP_2) | instskip(NEXT) | instid1(VALU_DEP_1)
	v_dual_sub_f32 v11, v11, v17 :: v_dual_add_f32 v18, v20, v19
	v_ldexp_f32 v11, v11, 1
	s_delay_alu instid0(VALU_DEP_2) | instskip(NEXT) | instid1(VALU_DEP_4)
	v_sub_f32_e32 v17, v18, v20
	v_fma_f32 v20, 0x3f317218, v10, -v21
	s_delay_alu instid0(VALU_DEP_1) | instskip(NEXT) | instid1(VALU_DEP_1)
	v_dual_sub_f32 v17, v19, v17 :: v_dual_fmamk_f32 v10, v10, 0xb102e308, v20
	v_add_f32_e32 v11, v11, v17
	s_delay_alu instid0(VALU_DEP_2) | instskip(NEXT) | instid1(VALU_DEP_2)
	v_add_f32_e32 v17, v21, v10
	v_add_f32_e32 v19, v18, v11
	s_delay_alu instid0(VALU_DEP_2) | instskip(NEXT) | instid1(VALU_DEP_2)
	v_sub_f32_e32 v21, v17, v21
	v_add_f32_e32 v20, v17, v19
	v_sub_f32_e32 v18, v19, v18
	s_delay_alu instid0(VALU_DEP_3) | instskip(NEXT) | instid1(VALU_DEP_2)
	v_sub_f32_e32 v10, v10, v21
	v_dual_sub_f32 v22, v20, v17 :: v_dual_sub_f32 v11, v11, v18
	s_delay_alu instid0(VALU_DEP_1) | instskip(NEXT) | instid1(VALU_DEP_2)
	v_sub_f32_e32 v23, v20, v22
	v_dual_sub_f32 v18, v19, v22 :: v_dual_add_f32 v19, v10, v11
	s_delay_alu instid0(VALU_DEP_2) | instskip(NEXT) | instid1(VALU_DEP_1)
	v_sub_f32_e32 v17, v17, v23
	v_dual_add_f32 v17, v18, v17 :: v_dual_sub_f32 v18, v19, v10
	s_delay_alu instid0(VALU_DEP_1) | instskip(NEXT) | instid1(VALU_DEP_2)
	v_add_f32_e32 v17, v19, v17
	v_sub_f32_e32 v19, v19, v18
	v_sub_f32_e32 v11, v11, v18
	s_delay_alu instid0(VALU_DEP_2) | instskip(NEXT) | instid1(VALU_DEP_1)
	v_dual_add_f32 v21, v20, v17 :: v_dual_sub_f32 v10, v10, v19
	v_sub_f32_e32 v18, v21, v20
	s_delay_alu instid0(VALU_DEP_2) | instskip(NEXT) | instid1(VALU_DEP_2)
	v_add_f32_e32 v10, v11, v10
	v_sub_f32_e32 v11, v17, v18
	s_delay_alu instid0(VALU_DEP_1) | instskip(NEXT) | instid1(VALU_DEP_1)
	v_add_f32_e32 v10, v10, v11
	v_add_f32_e32 v10, v21, v10
	s_wait_alu 0xf1ff
	s_delay_alu instid0(VALU_DEP_1) | instskip(SKIP_2) | instid1(VALU_DEP_1)
	v_cndmask_b32_e64 v10, 0x7f800000, v10, s9
	v_cmp_gt_f32_e64 s9, 0x33800000, |v16|
	s_wait_alu 0xf1ff
	v_cndmask_b32_e64 v10, v10, v16, s9
	s_delay_alu instid0(VALU_DEP_1)
	v_add_f32_e32 v18, v9, v10
.LBB129_16:
	s_or_b32 exec_lo, exec_lo, s10
	s_delay_alu instid0(VALU_DEP_1) | instskip(SKIP_1) | instid1(VALU_DEP_2)
	v_dual_max_num_f32 v10, v18, v18 :: v_dual_max_num_f32 v9, v4, v4
	v_cmp_u_f32_e64 s9, v18, v18
	v_min_num_f32_e32 v11, v10, v9
	v_max_num_f32_e32 v10, v10, v9
	s_wait_alu 0xf1ff
	s_delay_alu instid0(VALU_DEP_2) | instskip(NEXT) | instid1(VALU_DEP_2)
	v_cndmask_b32_e64 v11, v11, v18, s9
	v_cndmask_b32_e64 v10, v10, v18, s9
	v_cmp_u_f32_e64 s9, v4, v4
	s_wait_alu 0xf1ff
	s_delay_alu instid0(VALU_DEP_1) | instskip(NEXT) | instid1(VALU_DEP_3)
	v_cndmask_b32_e64 v11, v11, v4, s9
	v_cndmask_b32_e64 v10, v10, v4, s9
	s_delay_alu instid0(VALU_DEP_2) | instskip(NEXT) | instid1(VALU_DEP_2)
	v_cmp_class_f32_e64 s11, v11, 0x1f8
	v_cmp_neq_f32_e64 s10, v11, v10
	s_or_b32 s10, s10, s11
	s_delay_alu instid0(SALU_CYCLE_1)
	s_and_saveexec_b32 s11, s10
	s_cbranch_execz .LBB129_18
; %bb.17:
	v_sub_f32_e32 v11, v11, v10
	s_delay_alu instid0(VALU_DEP_1) | instskip(NEXT) | instid1(VALU_DEP_1)
	v_mul_f32_e32 v16, 0x3fb8aa3b, v11
	v_fma_f32 v17, 0x3fb8aa3b, v11, -v16
	v_rndne_f32_e32 v18, v16
	s_delay_alu instid0(VALU_DEP_1) | instskip(NEXT) | instid1(VALU_DEP_1)
	v_dual_fmamk_f32 v17, v11, 0x32a5705f, v17 :: v_dual_sub_f32 v16, v16, v18
	v_add_f32_e32 v16, v16, v17
	v_cvt_i32_f32_e32 v17, v18
	v_cmp_ngt_f32_e64 s10, 0xc2ce8ed0, v11
	s_delay_alu instid0(VALU_DEP_3) | instskip(NEXT) | instid1(TRANS32_DEP_1)
	v_exp_f32_e32 v16, v16
	v_ldexp_f32 v16, v16, v17
	s_delay_alu instid0(VALU_DEP_1) | instskip(SKIP_2) | instid1(VALU_DEP_1)
	v_cndmask_b32_e64 v16, 0, v16, s10
	v_cmp_nlt_f32_e64 s10, 0x42b17218, v11
	s_wait_alu 0xf1ff
	v_cndmask_b32_e64 v11, 0x7f800000, v16, s10
	s_delay_alu instid0(VALU_DEP_1) | instskip(NEXT) | instid1(VALU_DEP_1)
	v_add_f32_e32 v18, 1.0, v11
	v_cvt_f64_f32_e32 v[16:17], v18
	s_delay_alu instid0(VALU_DEP_1) | instskip(SKIP_1) | instid1(VALU_DEP_1)
	v_frexp_exp_i32_f64_e32 v16, v[16:17]
	v_frexp_mant_f32_e32 v17, v18
	v_cmp_gt_f32_e64 s10, 0x3f2aaaab, v17
	v_add_f32_e32 v17, -1.0, v18
	s_delay_alu instid0(VALU_DEP_1) | instskip(SKIP_1) | instid1(VALU_DEP_3)
	v_dual_sub_f32 v20, v17, v18 :: v_dual_sub_f32 v17, v11, v17
	s_wait_alu 0xf1ff
	v_subrev_co_ci_u32_e64 v16, null, 0, v16, s10
	s_mov_b32 s10, 0x3e9b6dac
	v_sub_nc_u32_e32 v19, 0, v16
	v_cvt_f32_i32_e32 v16, v16
	s_delay_alu instid0(VALU_DEP_2) | instskip(NEXT) | instid1(VALU_DEP_1)
	v_ldexp_f32 v18, v18, v19
	v_dual_add_f32 v20, 1.0, v20 :: v_dual_add_f32 v21, 1.0, v18
	s_delay_alu instid0(VALU_DEP_1) | instskip(NEXT) | instid1(VALU_DEP_1)
	v_dual_add_f32 v17, v17, v20 :: v_dual_add_f32 v20, -1.0, v21
	v_ldexp_f32 v17, v17, v19
	s_delay_alu instid0(VALU_DEP_2) | instskip(NEXT) | instid1(VALU_DEP_1)
	v_dual_add_f32 v19, -1.0, v18 :: v_dual_sub_f32 v20, v18, v20
	v_add_f32_e32 v22, 1.0, v19
	s_delay_alu instid0(VALU_DEP_2) | instskip(NEXT) | instid1(VALU_DEP_2)
	v_add_f32_e32 v20, v17, v20
	v_sub_f32_e32 v18, v18, v22
	s_delay_alu instid0(VALU_DEP_1) | instskip(NEXT) | instid1(VALU_DEP_1)
	v_add_f32_e32 v17, v17, v18
	v_dual_add_f32 v23, v19, v17 :: v_dual_add_f32 v22, v21, v20
	s_delay_alu instid0(VALU_DEP_1) | instskip(NEXT) | instid1(VALU_DEP_2)
	v_sub_f32_e32 v19, v19, v23
	v_rcp_f32_e32 v18, v22
	v_sub_f32_e32 v21, v21, v22
	s_delay_alu instid0(VALU_DEP_1) | instskip(NEXT) | instid1(TRANS32_DEP_1)
	v_dual_add_f32 v17, v17, v19 :: v_dual_add_f32 v20, v20, v21
	v_mul_f32_e32 v24, v23, v18
	s_delay_alu instid0(VALU_DEP_1) | instskip(NEXT) | instid1(VALU_DEP_1)
	v_mul_f32_e32 v25, v22, v24
	v_fma_f32 v21, v24, v22, -v25
	s_delay_alu instid0(VALU_DEP_1) | instskip(NEXT) | instid1(VALU_DEP_1)
	v_fmac_f32_e32 v21, v24, v20
	v_add_f32_e32 v26, v25, v21
	s_delay_alu instid0(VALU_DEP_1) | instskip(NEXT) | instid1(VALU_DEP_1)
	v_sub_f32_e32 v27, v23, v26
	v_sub_f32_e32 v23, v23, v27
	;; [unrolled: 1-line block ×3, first 2 shown]
	s_delay_alu instid0(VALU_DEP_2) | instskip(NEXT) | instid1(VALU_DEP_2)
	v_sub_f32_e32 v23, v23, v26
	v_sub_f32_e32 v19, v19, v21
	s_delay_alu instid0(VALU_DEP_2) | instskip(NEXT) | instid1(VALU_DEP_1)
	v_add_f32_e32 v17, v17, v23
	v_add_f32_e32 v17, v19, v17
	s_delay_alu instid0(VALU_DEP_1) | instskip(NEXT) | instid1(VALU_DEP_1)
	v_add_f32_e32 v19, v27, v17
	v_mul_f32_e32 v21, v18, v19
	s_delay_alu instid0(VALU_DEP_1) | instskip(NEXT) | instid1(VALU_DEP_1)
	v_dual_sub_f32 v26, v27, v19 :: v_dual_mul_f32 v23, v22, v21
	v_add_f32_e32 v17, v17, v26
	s_delay_alu instid0(VALU_DEP_2) | instskip(NEXT) | instid1(VALU_DEP_1)
	v_fma_f32 v22, v21, v22, -v23
	v_fmac_f32_e32 v22, v21, v20
	s_delay_alu instid0(VALU_DEP_1) | instskip(NEXT) | instid1(VALU_DEP_1)
	v_add_f32_e32 v20, v23, v22
	v_sub_f32_e32 v25, v19, v20
	v_sub_f32_e32 v23, v20, v23
	s_delay_alu instid0(VALU_DEP_2) | instskip(NEXT) | instid1(VALU_DEP_1)
	v_sub_f32_e32 v19, v19, v25
	v_sub_f32_e32 v19, v19, v20
	s_delay_alu instid0(VALU_DEP_1) | instskip(SKIP_1) | instid1(VALU_DEP_1)
	v_dual_sub_f32 v20, v23, v22 :: v_dual_add_f32 v17, v17, v19
	v_add_f32_e32 v19, v24, v21
	v_dual_add_f32 v17, v20, v17 :: v_dual_sub_f32 v20, v19, v24
	s_delay_alu instid0(VALU_DEP_1) | instskip(NEXT) | instid1(VALU_DEP_1)
	v_add_f32_e32 v17, v25, v17
	v_dual_sub_f32 v20, v21, v20 :: v_dual_mul_f32 v17, v18, v17
	s_delay_alu instid0(VALU_DEP_1) | instskip(NEXT) | instid1(VALU_DEP_1)
	v_add_f32_e32 v17, v20, v17
	v_add_f32_e32 v18, v19, v17
	s_delay_alu instid0(VALU_DEP_1) | instskip(SKIP_1) | instid1(VALU_DEP_1)
	v_mul_f32_e32 v20, v18, v18
	s_wait_alu 0xfffe
	v_fmaak_f32 v21, s10, v20, 0x3ecc95a3
	v_mul_f32_e32 v22, v18, v20
	v_cmp_neq_f32_e64 s10, 0x7f800000, v11
	s_delay_alu instid0(VALU_DEP_3) | instskip(SKIP_2) | instid1(VALU_DEP_3)
	v_fmaak_f32 v20, v20, v21, 0x3f2aaada
	v_ldexp_f32 v21, v18, 1
	v_sub_f32_e32 v18, v18, v19
	v_mul_f32_e32 v20, v22, v20
	s_delay_alu instid0(VALU_DEP_2) | instskip(NEXT) | instid1(VALU_DEP_2)
	v_dual_mul_f32 v22, 0x3f317218, v16 :: v_dual_sub_f32 v17, v17, v18
	v_add_f32_e32 v19, v21, v20
	s_delay_alu instid0(VALU_DEP_2) | instskip(NEXT) | instid1(VALU_DEP_2)
	v_ldexp_f32 v17, v17, 1
	v_sub_f32_e32 v18, v19, v21
	s_delay_alu instid0(VALU_DEP_4) | instskip(NEXT) | instid1(VALU_DEP_2)
	v_fma_f32 v21, 0x3f317218, v16, -v22
	v_sub_f32_e32 v18, v20, v18
	s_delay_alu instid0(VALU_DEP_1) | instskip(NEXT) | instid1(VALU_DEP_1)
	v_dual_fmamk_f32 v16, v16, 0xb102e308, v21 :: v_dual_add_f32 v17, v17, v18
	v_add_f32_e32 v18, v22, v16
	s_delay_alu instid0(VALU_DEP_1) | instskip(NEXT) | instid1(VALU_DEP_1)
	v_sub_f32_e32 v22, v18, v22
	v_sub_f32_e32 v16, v16, v22
	s_delay_alu instid0(VALU_DEP_4) | instskip(NEXT) | instid1(VALU_DEP_1)
	v_add_f32_e32 v20, v19, v17
	v_sub_f32_e32 v19, v20, v19
	s_delay_alu instid0(VALU_DEP_1) | instskip(SKIP_1) | instid1(VALU_DEP_1)
	v_sub_f32_e32 v17, v17, v19
	v_add_f32_e32 v21, v18, v20
	v_sub_f32_e32 v23, v21, v18
	s_delay_alu instid0(VALU_DEP_1) | instskip(NEXT) | instid1(VALU_DEP_4)
	v_sub_f32_e32 v19, v20, v23
	v_add_f32_e32 v20, v16, v17
	v_sub_f32_e32 v24, v21, v23
	s_delay_alu instid0(VALU_DEP_1) | instskip(NEXT) | instid1(VALU_DEP_1)
	v_sub_f32_e32 v18, v18, v24
	v_dual_add_f32 v18, v19, v18 :: v_dual_sub_f32 v19, v20, v16
	s_delay_alu instid0(VALU_DEP_1) | instskip(SKIP_1) | instid1(VALU_DEP_2)
	v_dual_add_f32 v18, v20, v18 :: v_dual_sub_f32 v17, v17, v19
	v_sub_f32_e32 v20, v20, v19
	v_add_f32_e32 v22, v21, v18
	s_delay_alu instid0(VALU_DEP_1) | instskip(NEXT) | instid1(VALU_DEP_1)
	v_dual_sub_f32 v16, v16, v20 :: v_dual_sub_f32 v19, v22, v21
	v_dual_add_f32 v16, v17, v16 :: v_dual_sub_f32 v17, v18, v19
	s_delay_alu instid0(VALU_DEP_1) | instskip(NEXT) | instid1(VALU_DEP_1)
	v_add_f32_e32 v16, v16, v17
	v_add_f32_e32 v16, v22, v16
	s_wait_alu 0xf1ff
	s_delay_alu instid0(VALU_DEP_1) | instskip(SKIP_2) | instid1(VALU_DEP_1)
	v_cndmask_b32_e64 v16, 0x7f800000, v16, s10
	v_cmp_gt_f32_e64 s10, 0x33800000, |v11|
	s_wait_alu 0xf1ff
	v_cndmask_b32_e64 v11, v16, v11, s10
	s_delay_alu instid0(VALU_DEP_1)
	v_add_f32_e32 v18, v10, v11
.LBB129_18:
	s_or_b32 exec_lo, exec_lo, s11
	s_delay_alu instid0(VALU_DEP_1) | instskip(SKIP_1) | instid1(VALU_DEP_2)
	v_dual_max_num_f32 v11, v18, v18 :: v_dual_max_num_f32 v10, v5, v5
	v_cmp_u_f32_e64 s10, v18, v18
	v_min_num_f32_e32 v16, v11, v10
	v_max_num_f32_e32 v11, v11, v10
	s_wait_alu 0xf1ff
	s_delay_alu instid0(VALU_DEP_2) | instskip(NEXT) | instid1(VALU_DEP_2)
	v_cndmask_b32_e64 v16, v16, v18, s10
	v_cndmask_b32_e64 v11, v11, v18, s10
	v_cmp_u_f32_e64 s10, v5, v5
	s_wait_alu 0xf1ff
	s_delay_alu instid0(VALU_DEP_1) | instskip(NEXT) | instid1(VALU_DEP_3)
	v_cndmask_b32_e64 v16, v16, v5, s10
	v_cndmask_b32_e64 v11, v11, v5, s10
	s_delay_alu instid0(VALU_DEP_2) | instskip(NEXT) | instid1(VALU_DEP_2)
	v_cmp_class_f32_e64 s13, v16, 0x1f8
	v_cmp_neq_f32_e64 s11, v16, v11
	s_or_b32 s11, s11, s13
	s_wait_alu 0xfffe
	s_and_saveexec_b32 s13, s11
	s_cbranch_execz .LBB129_20
; %bb.19:
	v_sub_f32_e32 v16, v16, v11
	s_delay_alu instid0(VALU_DEP_1) | instskip(NEXT) | instid1(VALU_DEP_1)
	v_mul_f32_e32 v17, 0x3fb8aa3b, v16
	v_fma_f32 v18, 0x3fb8aa3b, v16, -v17
	v_rndne_f32_e32 v19, v17
	s_delay_alu instid0(VALU_DEP_1) | instskip(NEXT) | instid1(VALU_DEP_1)
	v_dual_fmamk_f32 v18, v16, 0x32a5705f, v18 :: v_dual_sub_f32 v17, v17, v19
	v_add_f32_e32 v17, v17, v18
	v_cvt_i32_f32_e32 v18, v19
	v_cmp_ngt_f32_e64 s11, 0xc2ce8ed0, v16
	s_delay_alu instid0(VALU_DEP_3) | instskip(NEXT) | instid1(TRANS32_DEP_1)
	v_exp_f32_e32 v17, v17
	v_ldexp_f32 v17, v17, v18
	s_wait_alu 0xf1ff
	s_delay_alu instid0(VALU_DEP_1) | instskip(SKIP_2) | instid1(VALU_DEP_1)
	v_cndmask_b32_e64 v17, 0, v17, s11
	v_cmp_nlt_f32_e64 s11, 0x42b17218, v16
	s_wait_alu 0xf1ff
	v_cndmask_b32_e64 v18, 0x7f800000, v17, s11
	s_delay_alu instid0(VALU_DEP_1) | instskip(NEXT) | instid1(VALU_DEP_1)
	v_add_f32_e32 v19, 1.0, v18
	v_cvt_f64_f32_e32 v[16:17], v19
	s_delay_alu instid0(VALU_DEP_1) | instskip(SKIP_1) | instid1(VALU_DEP_1)
	v_frexp_exp_i32_f64_e32 v16, v[16:17]
	v_frexp_mant_f32_e32 v17, v19
	v_cmp_gt_f32_e64 s11, 0x3f2aaaab, v17
	v_add_f32_e32 v17, -1.0, v19
	s_delay_alu instid0(VALU_DEP_1) | instskip(SKIP_1) | instid1(VALU_DEP_3)
	v_sub_f32_e32 v21, v17, v19
	s_wait_alu 0xf1ff
	v_subrev_co_ci_u32_e64 v16, null, 0, v16, s11
	s_mov_b32 s11, 0x3e9b6dac
	v_sub_nc_u32_e32 v20, 0, v16
	v_cvt_f32_i32_e32 v16, v16
	s_delay_alu instid0(VALU_DEP_2) | instskip(NEXT) | instid1(VALU_DEP_1)
	v_ldexp_f32 v19, v19, v20
	v_dual_sub_f32 v17, v18, v17 :: v_dual_add_f32 v22, 1.0, v19
	v_add_f32_e32 v21, 1.0, v21
	s_delay_alu instid0(VALU_DEP_1) | instskip(NEXT) | instid1(VALU_DEP_3)
	v_add_f32_e32 v17, v17, v21
	v_add_f32_e32 v21, -1.0, v22
	s_delay_alu instid0(VALU_DEP_2) | instskip(NEXT) | instid1(VALU_DEP_2)
	v_ldexp_f32 v17, v17, v20
	v_dual_add_f32 v20, -1.0, v19 :: v_dual_sub_f32 v21, v19, v21
	s_delay_alu instid0(VALU_DEP_1) | instskip(NEXT) | instid1(VALU_DEP_2)
	v_add_f32_e32 v23, 1.0, v20
	v_add_f32_e32 v21, v17, v21
	s_delay_alu instid0(VALU_DEP_2) | instskip(NEXT) | instid1(VALU_DEP_2)
	v_sub_f32_e32 v19, v19, v23
	v_add_f32_e32 v23, v22, v21
	s_delay_alu instid0(VALU_DEP_2) | instskip(NEXT) | instid1(VALU_DEP_2)
	v_add_f32_e32 v17, v17, v19
	v_rcp_f32_e32 v19, v23
	v_sub_f32_e32 v22, v22, v23
	s_delay_alu instid0(VALU_DEP_1) | instskip(NEXT) | instid1(VALU_DEP_1)
	v_dual_add_f32 v24, v20, v17 :: v_dual_add_f32 v21, v21, v22
	v_sub_f32_e32 v20, v20, v24
	s_delay_alu instid0(TRANS32_DEP_1) | instskip(NEXT) | instid1(VALU_DEP_1)
	v_mul_f32_e32 v25, v24, v19
	v_dual_add_f32 v17, v17, v20 :: v_dual_mul_f32 v26, v23, v25
	s_delay_alu instid0(VALU_DEP_1) | instskip(NEXT) | instid1(VALU_DEP_1)
	v_fma_f32 v22, v25, v23, -v26
	v_fmac_f32_e32 v22, v25, v21
	s_delay_alu instid0(VALU_DEP_1) | instskip(NEXT) | instid1(VALU_DEP_1)
	v_add_f32_e32 v27, v26, v22
	v_sub_f32_e32 v28, v24, v27
	v_sub_f32_e32 v20, v27, v26
	s_delay_alu instid0(VALU_DEP_2) | instskip(NEXT) | instid1(VALU_DEP_2)
	v_sub_f32_e32 v24, v24, v28
	v_sub_f32_e32 v20, v20, v22
	s_delay_alu instid0(VALU_DEP_2) | instskip(NEXT) | instid1(VALU_DEP_1)
	v_sub_f32_e32 v24, v24, v27
	v_add_f32_e32 v17, v17, v24
	s_delay_alu instid0(VALU_DEP_1) | instskip(NEXT) | instid1(VALU_DEP_1)
	v_add_f32_e32 v17, v20, v17
	v_add_f32_e32 v20, v28, v17
	s_delay_alu instid0(VALU_DEP_1) | instskip(NEXT) | instid1(VALU_DEP_1)
	v_mul_f32_e32 v22, v19, v20
	v_dual_sub_f32 v27, v28, v20 :: v_dual_mul_f32 v24, v23, v22
	s_delay_alu instid0(VALU_DEP_1) | instskip(NEXT) | instid1(VALU_DEP_2)
	v_add_f32_e32 v17, v17, v27
	v_fma_f32 v23, v22, v23, -v24
	s_delay_alu instid0(VALU_DEP_1) | instskip(NEXT) | instid1(VALU_DEP_1)
	v_fmac_f32_e32 v23, v22, v21
	v_add_f32_e32 v21, v24, v23
	s_delay_alu instid0(VALU_DEP_1) | instskip(SKIP_1) | instid1(VALU_DEP_2)
	v_sub_f32_e32 v26, v20, v21
	v_sub_f32_e32 v24, v21, v24
	;; [unrolled: 1-line block ×3, first 2 shown]
	s_delay_alu instid0(VALU_DEP_1) | instskip(NEXT) | instid1(VALU_DEP_3)
	v_sub_f32_e32 v20, v20, v21
	v_sub_f32_e32 v21, v24, v23
	s_delay_alu instid0(VALU_DEP_2) | instskip(SKIP_1) | instid1(VALU_DEP_2)
	v_add_f32_e32 v17, v17, v20
	v_add_f32_e32 v20, v25, v22
	;; [unrolled: 1-line block ×3, first 2 shown]
	s_delay_alu instid0(VALU_DEP_2) | instskip(NEXT) | instid1(VALU_DEP_2)
	v_sub_f32_e32 v21, v20, v25
	v_add_f32_e32 v17, v26, v17
	s_delay_alu instid0(VALU_DEP_2) | instskip(NEXT) | instid1(VALU_DEP_2)
	v_sub_f32_e32 v21, v22, v21
	v_mul_f32_e32 v17, v19, v17
	s_delay_alu instid0(VALU_DEP_1) | instskip(NEXT) | instid1(VALU_DEP_1)
	v_add_f32_e32 v17, v21, v17
	v_add_f32_e32 v19, v20, v17
	s_delay_alu instid0(VALU_DEP_1) | instskip(SKIP_1) | instid1(VALU_DEP_1)
	v_mul_f32_e32 v21, v19, v19
	s_wait_alu 0xfffe
	v_fmaak_f32 v22, s11, v21, 0x3ecc95a3
	v_mul_f32_e32 v23, v19, v21
	v_cmp_neq_f32_e64 s11, 0x7f800000, v18
	s_delay_alu instid0(VALU_DEP_3) | instskip(SKIP_2) | instid1(VALU_DEP_3)
	v_fmaak_f32 v21, v21, v22, 0x3f2aaada
	v_ldexp_f32 v22, v19, 1
	v_sub_f32_e32 v19, v19, v20
	v_mul_f32_e32 v21, v23, v21
	v_mul_f32_e32 v23, 0x3f317218, v16
	s_delay_alu instid0(VALU_DEP_2) | instskip(NEXT) | instid1(VALU_DEP_1)
	v_dual_sub_f32 v17, v17, v19 :: v_dual_add_f32 v20, v22, v21
	v_ldexp_f32 v17, v17, 1
	s_delay_alu instid0(VALU_DEP_2) | instskip(NEXT) | instid1(VALU_DEP_4)
	v_sub_f32_e32 v19, v20, v22
	v_fma_f32 v22, 0x3f317218, v16, -v23
	s_delay_alu instid0(VALU_DEP_1) | instskip(NEXT) | instid1(VALU_DEP_1)
	v_dual_sub_f32 v19, v21, v19 :: v_dual_fmamk_f32 v16, v16, 0xb102e308, v22
	v_add_f32_e32 v17, v17, v19
	s_delay_alu instid0(VALU_DEP_2) | instskip(NEXT) | instid1(VALU_DEP_2)
	v_add_f32_e32 v19, v23, v16
	v_add_f32_e32 v21, v20, v17
	s_delay_alu instid0(VALU_DEP_2) | instskip(NEXT) | instid1(VALU_DEP_2)
	v_sub_f32_e32 v23, v19, v23
	v_add_f32_e32 v22, v19, v21
	v_sub_f32_e32 v20, v21, v20
	s_delay_alu instid0(VALU_DEP_3) | instskip(NEXT) | instid1(VALU_DEP_2)
	v_sub_f32_e32 v16, v16, v23
	v_dual_sub_f32 v24, v22, v19 :: v_dual_sub_f32 v17, v17, v20
	s_delay_alu instid0(VALU_DEP_1) | instskip(NEXT) | instid1(VALU_DEP_2)
	v_sub_f32_e32 v25, v22, v24
	v_dual_sub_f32 v20, v21, v24 :: v_dual_add_f32 v21, v16, v17
	s_delay_alu instid0(VALU_DEP_2) | instskip(NEXT) | instid1(VALU_DEP_1)
	v_sub_f32_e32 v19, v19, v25
	v_dual_add_f32 v19, v20, v19 :: v_dual_sub_f32 v20, v21, v16
	s_delay_alu instid0(VALU_DEP_1) | instskip(NEXT) | instid1(VALU_DEP_2)
	v_add_f32_e32 v19, v21, v19
	v_sub_f32_e32 v21, v21, v20
	v_sub_f32_e32 v17, v17, v20
	s_delay_alu instid0(VALU_DEP_2) | instskip(NEXT) | instid1(VALU_DEP_1)
	v_dual_add_f32 v23, v22, v19 :: v_dual_sub_f32 v16, v16, v21
	v_sub_f32_e32 v20, v23, v22
	s_delay_alu instid0(VALU_DEP_2) | instskip(NEXT) | instid1(VALU_DEP_2)
	v_add_f32_e32 v16, v17, v16
	v_sub_f32_e32 v17, v19, v20
	s_delay_alu instid0(VALU_DEP_1) | instskip(NEXT) | instid1(VALU_DEP_1)
	v_add_f32_e32 v16, v16, v17
	v_add_f32_e32 v16, v23, v16
	s_wait_alu 0xf1ff
	s_delay_alu instid0(VALU_DEP_1) | instskip(SKIP_2) | instid1(VALU_DEP_1)
	v_cndmask_b32_e64 v16, 0x7f800000, v16, s11
	v_cmp_gt_f32_e64 s11, 0x33800000, |v18|
	s_wait_alu 0xf1ff
	v_cndmask_b32_e64 v16, v16, v18, s11
	s_delay_alu instid0(VALU_DEP_1)
	v_add_f32_e32 v18, v11, v16
.LBB129_20:
	s_wait_alu 0xfffe
	s_or_b32 exec_lo, exec_lo, s13
	s_delay_alu instid0(VALU_DEP_1) | instskip(SKIP_2) | instid1(VALU_DEP_2)
	v_max_num_f32_e32 v16, v18, v18
	v_max_num_f32_e32 v11, v6, v6
	v_cmp_u_f32_e64 s11, v18, v18
	v_min_num_f32_e32 v17, v16, v11
	v_max_num_f32_e32 v16, v16, v11
	s_wait_alu 0xf1ff
	s_delay_alu instid0(VALU_DEP_2) | instskip(NEXT) | instid1(VALU_DEP_2)
	v_cndmask_b32_e64 v17, v17, v18, s11
	v_cndmask_b32_e64 v16, v16, v18, s11
	v_cmp_u_f32_e64 s11, v6, v6
	s_wait_alu 0xf1ff
	s_delay_alu instid0(VALU_DEP_1) | instskip(NEXT) | instid1(VALU_DEP_3)
	v_cndmask_b32_e64 v17, v17, v6, s11
	v_cndmask_b32_e64 v16, v16, v6, s11
	s_delay_alu instid0(VALU_DEP_2) | instskip(NEXT) | instid1(VALU_DEP_2)
	v_cmp_class_f32_e64 s14, v17, 0x1f8
	v_cmp_neq_f32_e64 s13, v17, v16
	s_or_b32 s13, s13, s14
	s_wait_alu 0xfffe
	s_and_saveexec_b32 s14, s13
	s_cbranch_execz .LBB129_22
; %bb.21:
	v_sub_f32_e32 v17, v17, v16
	s_delay_alu instid0(VALU_DEP_1) | instskip(NEXT) | instid1(VALU_DEP_1)
	v_mul_f32_e32 v18, 0x3fb8aa3b, v17
	v_fma_f32 v19, 0x3fb8aa3b, v17, -v18
	v_rndne_f32_e32 v20, v18
	s_delay_alu instid0(VALU_DEP_1) | instskip(NEXT) | instid1(VALU_DEP_1)
	v_dual_fmamk_f32 v19, v17, 0x32a5705f, v19 :: v_dual_sub_f32 v18, v18, v20
	v_add_f32_e32 v18, v18, v19
	v_cvt_i32_f32_e32 v19, v20
	v_cmp_ngt_f32_e64 s13, 0xc2ce8ed0, v17
	s_delay_alu instid0(VALU_DEP_3) | instskip(NEXT) | instid1(TRANS32_DEP_1)
	v_exp_f32_e32 v18, v18
	v_ldexp_f32 v18, v18, v19
	s_wait_alu 0xf1ff
	s_delay_alu instid0(VALU_DEP_1) | instskip(SKIP_2) | instid1(VALU_DEP_1)
	v_cndmask_b32_e64 v18, 0, v18, s13
	v_cmp_nlt_f32_e64 s13, 0x42b17218, v17
	s_wait_alu 0xf1ff
	v_cndmask_b32_e64 v19, 0x7f800000, v18, s13
	s_delay_alu instid0(VALU_DEP_1) | instskip(NEXT) | instid1(VALU_DEP_1)
	v_add_f32_e32 v20, 1.0, v19
	v_cvt_f64_f32_e32 v[17:18], v20
	s_delay_alu instid0(VALU_DEP_1) | instskip(SKIP_1) | instid1(VALU_DEP_1)
	v_frexp_exp_i32_f64_e32 v17, v[17:18]
	v_frexp_mant_f32_e32 v18, v20
	v_cmp_gt_f32_e64 s13, 0x3f2aaaab, v18
	v_add_f32_e32 v18, -1.0, v20
	s_delay_alu instid0(VALU_DEP_1) | instskip(SKIP_1) | instid1(VALU_DEP_3)
	v_sub_f32_e32 v22, v18, v20
	s_wait_alu 0xf1ff
	v_subrev_co_ci_u32_e64 v17, null, 0, v17, s13
	s_mov_b32 s13, 0x3e9b6dac
	v_sub_nc_u32_e32 v21, 0, v17
	v_cvt_f32_i32_e32 v17, v17
	s_delay_alu instid0(VALU_DEP_2) | instskip(NEXT) | instid1(VALU_DEP_1)
	v_ldexp_f32 v20, v20, v21
	v_dual_sub_f32 v18, v19, v18 :: v_dual_add_f32 v23, 1.0, v20
	v_add_f32_e32 v22, 1.0, v22
	s_delay_alu instid0(VALU_DEP_1) | instskip(NEXT) | instid1(VALU_DEP_3)
	v_add_f32_e32 v18, v18, v22
	v_add_f32_e32 v22, -1.0, v23
	s_delay_alu instid0(VALU_DEP_2) | instskip(NEXT) | instid1(VALU_DEP_2)
	v_ldexp_f32 v18, v18, v21
	v_dual_add_f32 v21, -1.0, v20 :: v_dual_sub_f32 v22, v20, v22
	s_delay_alu instid0(VALU_DEP_1) | instskip(NEXT) | instid1(VALU_DEP_2)
	v_add_f32_e32 v24, 1.0, v21
	v_add_f32_e32 v22, v18, v22
	s_delay_alu instid0(VALU_DEP_2) | instskip(NEXT) | instid1(VALU_DEP_2)
	v_sub_f32_e32 v20, v20, v24
	v_add_f32_e32 v24, v23, v22
	s_delay_alu instid0(VALU_DEP_2) | instskip(NEXT) | instid1(VALU_DEP_2)
	v_add_f32_e32 v18, v18, v20
	v_rcp_f32_e32 v20, v24
	v_sub_f32_e32 v23, v23, v24
	s_delay_alu instid0(VALU_DEP_1) | instskip(NEXT) | instid1(VALU_DEP_1)
	v_dual_add_f32 v25, v21, v18 :: v_dual_add_f32 v22, v22, v23
	v_sub_f32_e32 v21, v21, v25
	s_delay_alu instid0(TRANS32_DEP_1) | instskip(NEXT) | instid1(VALU_DEP_1)
	v_mul_f32_e32 v26, v25, v20
	v_dual_add_f32 v18, v18, v21 :: v_dual_mul_f32 v27, v24, v26
	s_delay_alu instid0(VALU_DEP_1) | instskip(NEXT) | instid1(VALU_DEP_1)
	v_fma_f32 v23, v26, v24, -v27
	v_fmac_f32_e32 v23, v26, v22
	s_delay_alu instid0(VALU_DEP_1) | instskip(NEXT) | instid1(VALU_DEP_1)
	v_add_f32_e32 v28, v27, v23
	v_sub_f32_e32 v29, v25, v28
	v_sub_f32_e32 v21, v28, v27
	s_delay_alu instid0(VALU_DEP_2) | instskip(NEXT) | instid1(VALU_DEP_2)
	v_sub_f32_e32 v25, v25, v29
	v_sub_f32_e32 v21, v21, v23
	s_delay_alu instid0(VALU_DEP_2) | instskip(NEXT) | instid1(VALU_DEP_1)
	v_sub_f32_e32 v25, v25, v28
	v_add_f32_e32 v18, v18, v25
	s_delay_alu instid0(VALU_DEP_1) | instskip(NEXT) | instid1(VALU_DEP_1)
	v_add_f32_e32 v18, v21, v18
	v_add_f32_e32 v21, v29, v18
	s_delay_alu instid0(VALU_DEP_1) | instskip(NEXT) | instid1(VALU_DEP_1)
	v_mul_f32_e32 v23, v20, v21
	v_dual_sub_f32 v28, v29, v21 :: v_dual_mul_f32 v25, v24, v23
	s_delay_alu instid0(VALU_DEP_1) | instskip(NEXT) | instid1(VALU_DEP_2)
	v_add_f32_e32 v18, v18, v28
	v_fma_f32 v24, v23, v24, -v25
	s_delay_alu instid0(VALU_DEP_1) | instskip(NEXT) | instid1(VALU_DEP_1)
	v_fmac_f32_e32 v24, v23, v22
	v_add_f32_e32 v22, v25, v24
	s_delay_alu instid0(VALU_DEP_1) | instskip(SKIP_1) | instid1(VALU_DEP_2)
	v_sub_f32_e32 v27, v21, v22
	v_sub_f32_e32 v25, v22, v25
	;; [unrolled: 1-line block ×3, first 2 shown]
	s_delay_alu instid0(VALU_DEP_1) | instskip(NEXT) | instid1(VALU_DEP_3)
	v_sub_f32_e32 v21, v21, v22
	v_sub_f32_e32 v22, v25, v24
	s_delay_alu instid0(VALU_DEP_2) | instskip(SKIP_1) | instid1(VALU_DEP_2)
	v_add_f32_e32 v18, v18, v21
	v_add_f32_e32 v21, v26, v23
	;; [unrolled: 1-line block ×3, first 2 shown]
	s_delay_alu instid0(VALU_DEP_2) | instskip(NEXT) | instid1(VALU_DEP_2)
	v_sub_f32_e32 v22, v21, v26
	v_add_f32_e32 v18, v27, v18
	s_delay_alu instid0(VALU_DEP_2) | instskip(NEXT) | instid1(VALU_DEP_2)
	v_sub_f32_e32 v22, v23, v22
	v_mul_f32_e32 v18, v20, v18
	s_delay_alu instid0(VALU_DEP_1) | instskip(NEXT) | instid1(VALU_DEP_1)
	v_add_f32_e32 v18, v22, v18
	v_add_f32_e32 v20, v21, v18
	s_delay_alu instid0(VALU_DEP_1) | instskip(SKIP_1) | instid1(VALU_DEP_1)
	v_mul_f32_e32 v22, v20, v20
	s_wait_alu 0xfffe
	v_fmaak_f32 v23, s13, v22, 0x3ecc95a3
	v_mul_f32_e32 v24, v20, v22
	v_cmp_neq_f32_e64 s13, 0x7f800000, v19
	s_delay_alu instid0(VALU_DEP_3) | instskip(SKIP_2) | instid1(VALU_DEP_3)
	v_fmaak_f32 v22, v22, v23, 0x3f2aaada
	v_ldexp_f32 v23, v20, 1
	v_sub_f32_e32 v20, v20, v21
	v_mul_f32_e32 v22, v24, v22
	v_mul_f32_e32 v24, 0x3f317218, v17
	s_delay_alu instid0(VALU_DEP_2) | instskip(NEXT) | instid1(VALU_DEP_1)
	v_dual_sub_f32 v18, v18, v20 :: v_dual_add_f32 v21, v23, v22
	v_ldexp_f32 v18, v18, 1
	s_delay_alu instid0(VALU_DEP_2) | instskip(NEXT) | instid1(VALU_DEP_4)
	v_sub_f32_e32 v20, v21, v23
	v_fma_f32 v23, 0x3f317218, v17, -v24
	s_delay_alu instid0(VALU_DEP_1) | instskip(NEXT) | instid1(VALU_DEP_1)
	v_dual_sub_f32 v20, v22, v20 :: v_dual_fmamk_f32 v17, v17, 0xb102e308, v23
	v_add_f32_e32 v18, v18, v20
	s_delay_alu instid0(VALU_DEP_2) | instskip(NEXT) | instid1(VALU_DEP_2)
	v_add_f32_e32 v20, v24, v17
	v_add_f32_e32 v22, v21, v18
	s_delay_alu instid0(VALU_DEP_2) | instskip(NEXT) | instid1(VALU_DEP_2)
	v_sub_f32_e32 v24, v20, v24
	v_add_f32_e32 v23, v20, v22
	v_sub_f32_e32 v21, v22, v21
	s_delay_alu instid0(VALU_DEP_3) | instskip(NEXT) | instid1(VALU_DEP_2)
	v_sub_f32_e32 v17, v17, v24
	v_dual_sub_f32 v25, v23, v20 :: v_dual_sub_f32 v18, v18, v21
	s_delay_alu instid0(VALU_DEP_1) | instskip(NEXT) | instid1(VALU_DEP_2)
	v_sub_f32_e32 v26, v23, v25
	v_dual_sub_f32 v21, v22, v25 :: v_dual_add_f32 v22, v17, v18
	s_delay_alu instid0(VALU_DEP_2) | instskip(NEXT) | instid1(VALU_DEP_1)
	v_sub_f32_e32 v20, v20, v26
	v_dual_add_f32 v20, v21, v20 :: v_dual_sub_f32 v21, v22, v17
	s_delay_alu instid0(VALU_DEP_1) | instskip(NEXT) | instid1(VALU_DEP_2)
	v_add_f32_e32 v20, v22, v20
	v_sub_f32_e32 v22, v22, v21
	v_sub_f32_e32 v18, v18, v21
	s_delay_alu instid0(VALU_DEP_2) | instskip(NEXT) | instid1(VALU_DEP_1)
	v_dual_add_f32 v24, v23, v20 :: v_dual_sub_f32 v17, v17, v22
	v_sub_f32_e32 v21, v24, v23
	s_delay_alu instid0(VALU_DEP_2) | instskip(NEXT) | instid1(VALU_DEP_2)
	v_add_f32_e32 v17, v18, v17
	v_sub_f32_e32 v18, v20, v21
	s_delay_alu instid0(VALU_DEP_1) | instskip(NEXT) | instid1(VALU_DEP_1)
	v_add_f32_e32 v17, v17, v18
	v_add_f32_e32 v17, v24, v17
	s_wait_alu 0xf1ff
	s_delay_alu instid0(VALU_DEP_1) | instskip(SKIP_2) | instid1(VALU_DEP_1)
	v_cndmask_b32_e64 v17, 0x7f800000, v17, s13
	v_cmp_gt_f32_e64 s13, 0x33800000, |v19|
	s_wait_alu 0xf1ff
	v_cndmask_b32_e64 v17, v17, v19, s13
	s_delay_alu instid0(VALU_DEP_1)
	v_add_f32_e32 v18, v16, v17
.LBB129_22:
	s_wait_alu 0xfffe
	s_or_b32 exec_lo, exec_lo, s14
	s_load_b64 s[14:15], s[0:1], 0x18
	v_mbcnt_lo_u32_b32 v17, -1, 0
	v_mov_b32_dpp v20, v18 row_shr:1 row_mask:0xf bank_mask:0xf
	s_mov_b32 s1, exec_lo
	s_delay_alu instid0(VALU_DEP_2) | instskip(NEXT) | instid1(VALU_DEP_1)
	v_and_b32_e32 v19, 15, v17
	v_cmpx_ne_u32_e32 0, v19
	s_cbranch_execz .LBB129_26
; %bb.23:
	v_dual_max_num_f32 v16, v18, v18 :: v_dual_max_num_f32 v21, v20, v20
	v_cmp_u_f32_e64 s0, v20, v20
	s_delay_alu instid0(VALU_DEP_2) | instskip(SKIP_1) | instid1(VALU_DEP_2)
	v_min_num_f32_e32 v22, v21, v16
	v_max_num_f32_e32 v16, v21, v16
	v_cndmask_b32_e64 v21, v22, v20, s0
	s_delay_alu instid0(VALU_DEP_2) | instskip(SKIP_2) | instid1(VALU_DEP_1)
	v_cndmask_b32_e64 v16, v16, v20, s0
	v_cmp_u_f32_e64 s0, v18, v18
	s_wait_alu 0xf1ff
	v_cndmask_b32_e64 v21, v21, v18, s0
	s_delay_alu instid0(VALU_DEP_3) | instskip(NEXT) | instid1(VALU_DEP_2)
	v_cndmask_b32_e64 v16, v16, v18, s0
	v_cmp_class_f32_e64 s13, v21, 0x1f8
	s_delay_alu instid0(VALU_DEP_2)
	v_cmp_neq_f32_e64 s0, v21, v16
	s_or_b32 s0, s0, s13
	s_wait_alu 0xfffe
	s_and_saveexec_b32 s13, s0
	s_cbranch_execz .LBB129_25
; %bb.24:
	v_sub_f32_e32 v18, v21, v16
	s_delay_alu instid0(VALU_DEP_1) | instskip(SKIP_1) | instid1(VALU_DEP_2)
	v_mul_f32_e32 v20, 0x3fb8aa3b, v18
	v_cmp_ngt_f32_e64 s0, 0xc2ce8ed0, v18
	v_fma_f32 v21, 0x3fb8aa3b, v18, -v20
	v_rndne_f32_e32 v22, v20
	s_delay_alu instid0(VALU_DEP_1) | instskip(NEXT) | instid1(VALU_DEP_1)
	v_dual_fmamk_f32 v21, v18, 0x32a5705f, v21 :: v_dual_sub_f32 v20, v20, v22
	v_add_f32_e32 v20, v20, v21
	v_cvt_i32_f32_e32 v21, v22
	s_delay_alu instid0(VALU_DEP_2) | instskip(NEXT) | instid1(TRANS32_DEP_1)
	v_exp_f32_e32 v20, v20
	v_ldexp_f32 v20, v20, v21
	s_wait_alu 0xf1ff
	s_delay_alu instid0(VALU_DEP_1) | instskip(SKIP_2) | instid1(VALU_DEP_1)
	v_cndmask_b32_e64 v20, 0, v20, s0
	v_cmp_nlt_f32_e64 s0, 0x42b17218, v18
	s_wait_alu 0xf1ff
	v_cndmask_b32_e64 v18, 0x7f800000, v20, s0
	s_delay_alu instid0(VALU_DEP_1) | instskip(NEXT) | instid1(VALU_DEP_1)
	v_add_f32_e32 v22, 1.0, v18
	v_cvt_f64_f32_e32 v[20:21], v22
	s_delay_alu instid0(VALU_DEP_1) | instskip(SKIP_1) | instid1(VALU_DEP_1)
	v_frexp_exp_i32_f64_e32 v20, v[20:21]
	v_frexp_mant_f32_e32 v21, v22
	v_cmp_gt_f32_e64 s0, 0x3f2aaaab, v21
	v_add_f32_e32 v21, -1.0, v22
	s_delay_alu instid0(VALU_DEP_1) | instskip(NEXT) | instid1(VALU_DEP_1)
	v_dual_sub_f32 v24, v21, v22 :: v_dual_sub_f32 v21, v18, v21
	v_add_f32_e32 v24, 1.0, v24
	s_delay_alu instid0(VALU_DEP_1)
	v_add_f32_e32 v21, v21, v24
	s_wait_alu 0xf1ff
	v_subrev_co_ci_u32_e64 v20, null, 0, v20, s0
	s_mov_b32 s0, 0x3e9b6dac
	v_sub_nc_u32_e32 v23, 0, v20
	v_cvt_f32_i32_e32 v20, v20
	s_delay_alu instid0(VALU_DEP_2) | instskip(SKIP_1) | instid1(VALU_DEP_2)
	v_ldexp_f32 v22, v22, v23
	v_ldexp_f32 v21, v21, v23
	v_add_f32_e32 v25, 1.0, v22
	s_delay_alu instid0(VALU_DEP_1) | instskip(NEXT) | instid1(VALU_DEP_1)
	v_dual_add_f32 v23, -1.0, v22 :: v_dual_add_f32 v24, -1.0, v25
	v_add_f32_e32 v26, 1.0, v23
	s_delay_alu instid0(VALU_DEP_2) | instskip(NEXT) | instid1(VALU_DEP_2)
	v_sub_f32_e32 v24, v22, v24
	v_sub_f32_e32 v22, v22, v26
	s_delay_alu instid0(VALU_DEP_2) | instskip(NEXT) | instid1(VALU_DEP_2)
	v_add_f32_e32 v24, v21, v24
	v_add_f32_e32 v21, v21, v22
	s_delay_alu instid0(VALU_DEP_1) | instskip(NEXT) | instid1(VALU_DEP_1)
	v_dual_add_f32 v27, v23, v21 :: v_dual_add_f32 v26, v25, v24
	v_sub_f32_e32 v23, v23, v27
	s_delay_alu instid0(VALU_DEP_2) | instskip(SKIP_1) | instid1(VALU_DEP_1)
	v_rcp_f32_e32 v22, v26
	v_sub_f32_e32 v25, v25, v26
	v_dual_add_f32 v21, v21, v23 :: v_dual_add_f32 v24, v24, v25
	s_delay_alu instid0(TRANS32_DEP_1) | instskip(NEXT) | instid1(VALU_DEP_1)
	v_mul_f32_e32 v28, v27, v22
	v_mul_f32_e32 v29, v26, v28
	s_delay_alu instid0(VALU_DEP_1) | instskip(NEXT) | instid1(VALU_DEP_1)
	v_fma_f32 v25, v28, v26, -v29
	v_fmac_f32_e32 v25, v28, v24
	s_delay_alu instid0(VALU_DEP_1) | instskip(NEXT) | instid1(VALU_DEP_1)
	v_add_f32_e32 v30, v29, v25
	v_sub_f32_e32 v31, v27, v30
	v_sub_f32_e32 v23, v30, v29
	s_delay_alu instid0(VALU_DEP_2) | instskip(NEXT) | instid1(VALU_DEP_2)
	v_sub_f32_e32 v27, v27, v31
	v_sub_f32_e32 v23, v23, v25
	s_delay_alu instid0(VALU_DEP_2) | instskip(NEXT) | instid1(VALU_DEP_1)
	v_sub_f32_e32 v27, v27, v30
	v_add_f32_e32 v21, v21, v27
	s_delay_alu instid0(VALU_DEP_1) | instskip(NEXT) | instid1(VALU_DEP_1)
	v_add_f32_e32 v21, v23, v21
	v_add_f32_e32 v23, v31, v21
	s_delay_alu instid0(VALU_DEP_1) | instskip(NEXT) | instid1(VALU_DEP_1)
	v_mul_f32_e32 v25, v22, v23
	v_dual_sub_f32 v30, v31, v23 :: v_dual_mul_f32 v27, v26, v25
	s_delay_alu instid0(VALU_DEP_1) | instskip(NEXT) | instid1(VALU_DEP_2)
	v_add_f32_e32 v21, v21, v30
	v_fma_f32 v26, v25, v26, -v27
	s_delay_alu instid0(VALU_DEP_1) | instskip(NEXT) | instid1(VALU_DEP_1)
	v_fmac_f32_e32 v26, v25, v24
	v_add_f32_e32 v24, v27, v26
	s_delay_alu instid0(VALU_DEP_1) | instskip(NEXT) | instid1(VALU_DEP_1)
	v_sub_f32_e32 v29, v23, v24
	v_sub_f32_e32 v23, v23, v29
	s_delay_alu instid0(VALU_DEP_1) | instskip(NEXT) | instid1(VALU_DEP_1)
	v_sub_f32_e32 v23, v23, v24
	v_add_f32_e32 v21, v21, v23
	v_add_f32_e32 v23, v28, v25
	v_sub_f32_e32 v27, v24, v27
	s_delay_alu instid0(VALU_DEP_1) | instskip(NEXT) | instid1(VALU_DEP_1)
	v_sub_f32_e32 v24, v27, v26
	v_dual_add_f32 v21, v24, v21 :: v_dual_sub_f32 v24, v23, v28
	s_delay_alu instid0(VALU_DEP_1) | instskip(NEXT) | instid1(VALU_DEP_1)
	v_add_f32_e32 v21, v29, v21
	v_dual_sub_f32 v24, v25, v24 :: v_dual_mul_f32 v21, v22, v21
	s_delay_alu instid0(VALU_DEP_1) | instskip(NEXT) | instid1(VALU_DEP_1)
	v_add_f32_e32 v21, v24, v21
	v_add_f32_e32 v22, v23, v21
	s_delay_alu instid0(VALU_DEP_1) | instskip(SKIP_1) | instid1(VALU_DEP_1)
	v_mul_f32_e32 v24, v22, v22
	s_wait_alu 0xfffe
	v_fmaak_f32 v25, s0, v24, 0x3ecc95a3
	v_mul_f32_e32 v26, v22, v24
	v_cmp_neq_f32_e64 s0, 0x7f800000, v18
	s_delay_alu instid0(VALU_DEP_3) | instskip(SKIP_2) | instid1(VALU_DEP_3)
	v_fmaak_f32 v24, v24, v25, 0x3f2aaada
	v_ldexp_f32 v25, v22, 1
	v_sub_f32_e32 v22, v22, v23
	v_mul_f32_e32 v24, v26, v24
	s_delay_alu instid0(VALU_DEP_2) | instskip(NEXT) | instid1(VALU_DEP_2)
	v_dual_mul_f32 v26, 0x3f317218, v20 :: v_dual_sub_f32 v21, v21, v22
	v_add_f32_e32 v23, v25, v24
	s_delay_alu instid0(VALU_DEP_2) | instskip(NEXT) | instid1(VALU_DEP_2)
	v_ldexp_f32 v21, v21, 1
	v_sub_f32_e32 v22, v23, v25
	s_delay_alu instid0(VALU_DEP_4) | instskip(NEXT) | instid1(VALU_DEP_2)
	v_fma_f32 v25, 0x3f317218, v20, -v26
	v_sub_f32_e32 v22, v24, v22
	s_delay_alu instid0(VALU_DEP_1) | instskip(NEXT) | instid1(VALU_DEP_1)
	v_dual_fmamk_f32 v20, v20, 0xb102e308, v25 :: v_dual_add_f32 v21, v21, v22
	v_add_f32_e32 v22, v26, v20
	s_delay_alu instid0(VALU_DEP_1) | instskip(NEXT) | instid1(VALU_DEP_1)
	v_sub_f32_e32 v26, v22, v26
	v_sub_f32_e32 v20, v20, v26
	s_delay_alu instid0(VALU_DEP_4) | instskip(NEXT) | instid1(VALU_DEP_1)
	v_add_f32_e32 v24, v23, v21
	v_sub_f32_e32 v23, v24, v23
	s_delay_alu instid0(VALU_DEP_1) | instskip(SKIP_1) | instid1(VALU_DEP_1)
	v_sub_f32_e32 v21, v21, v23
	v_add_f32_e32 v25, v22, v24
	v_sub_f32_e32 v27, v25, v22
	s_delay_alu instid0(VALU_DEP_1) | instskip(NEXT) | instid1(VALU_DEP_4)
	v_sub_f32_e32 v23, v24, v27
	v_add_f32_e32 v24, v20, v21
	v_sub_f32_e32 v28, v25, v27
	s_delay_alu instid0(VALU_DEP_1) | instskip(NEXT) | instid1(VALU_DEP_1)
	v_sub_f32_e32 v22, v22, v28
	v_dual_add_f32 v22, v23, v22 :: v_dual_sub_f32 v23, v24, v20
	s_delay_alu instid0(VALU_DEP_1) | instskip(SKIP_1) | instid1(VALU_DEP_2)
	v_dual_add_f32 v22, v24, v22 :: v_dual_sub_f32 v21, v21, v23
	v_sub_f32_e32 v24, v24, v23
	v_add_f32_e32 v26, v25, v22
	s_delay_alu instid0(VALU_DEP_1) | instskip(NEXT) | instid1(VALU_DEP_1)
	v_dual_sub_f32 v20, v20, v24 :: v_dual_sub_f32 v23, v26, v25
	v_dual_add_f32 v20, v21, v20 :: v_dual_sub_f32 v21, v22, v23
	s_delay_alu instid0(VALU_DEP_1) | instskip(NEXT) | instid1(VALU_DEP_1)
	v_add_f32_e32 v20, v20, v21
	v_add_f32_e32 v20, v26, v20
	s_wait_alu 0xf1ff
	s_delay_alu instid0(VALU_DEP_1) | instskip(SKIP_2) | instid1(VALU_DEP_1)
	v_cndmask_b32_e64 v20, 0x7f800000, v20, s0
	v_cmp_gt_f32_e64 s0, 0x33800000, |v18|
	s_wait_alu 0xf1ff
	v_cndmask_b32_e64 v18, v20, v18, s0
	s_delay_alu instid0(VALU_DEP_1)
	v_add_f32_e32 v20, v16, v18
.LBB129_25:
	s_wait_alu 0xfffe
	s_or_b32 exec_lo, exec_lo, s13
	s_delay_alu instid0(VALU_DEP_1)
	v_mov_b32_e32 v18, v20
.LBB129_26:
	s_or_b32 exec_lo, exec_lo, s1
	v_mul_u32_u24_e32 v16, 20, v0
	s_delay_alu instid0(VALU_DEP_2)
	v_mov_b32_dpp v20, v18 row_shr:2 row_mask:0xf bank_mask:0xf
	s_mov_b32 s1, exec_lo
	v_cmpx_lt_u32_e32 1, v19
	s_cbranch_execz .LBB129_30
; %bb.27:
	s_delay_alu instid0(VALU_DEP_2) | instskip(SKIP_1) | instid1(VALU_DEP_2)
	v_dual_max_num_f32 v21, v18, v18 :: v_dual_max_num_f32 v22, v20, v20
	v_cmp_u_f32_e64 s0, v20, v20
	v_min_num_f32_e32 v23, v22, v21
	v_max_num_f32_e32 v21, v22, v21
	s_wait_alu 0xf1ff
	s_delay_alu instid0(VALU_DEP_2) | instskip(NEXT) | instid1(VALU_DEP_2)
	v_cndmask_b32_e64 v22, v23, v20, s0
	v_cndmask_b32_e64 v23, v21, v20, s0
	v_cmp_u_f32_e64 s0, v18, v18
	s_wait_alu 0xf1ff
	s_delay_alu instid0(VALU_DEP_1) | instskip(NEXT) | instid1(VALU_DEP_3)
	v_cndmask_b32_e64 v21, v22, v18, s0
	v_cndmask_b32_e64 v18, v23, v18, s0
	s_delay_alu instid0(VALU_DEP_2) | instskip(NEXT) | instid1(VALU_DEP_2)
	v_cmp_class_f32_e64 s13, v21, 0x1f8
	v_cmp_neq_f32_e64 s0, v21, v18
	s_or_b32 s0, s0, s13
	s_wait_alu 0xfffe
	s_and_saveexec_b32 s13, s0
	s_cbranch_execz .LBB129_29
; %bb.28:
	v_sub_f32_e32 v20, v21, v18
	s_delay_alu instid0(VALU_DEP_1) | instskip(SKIP_1) | instid1(VALU_DEP_2)
	v_mul_f32_e32 v21, 0x3fb8aa3b, v20
	v_cmp_ngt_f32_e64 s0, 0xc2ce8ed0, v20
	v_fma_f32 v22, 0x3fb8aa3b, v20, -v21
	v_rndne_f32_e32 v23, v21
	s_delay_alu instid0(VALU_DEP_1) | instskip(NEXT) | instid1(VALU_DEP_1)
	v_dual_fmamk_f32 v22, v20, 0x32a5705f, v22 :: v_dual_sub_f32 v21, v21, v23
	v_add_f32_e32 v21, v21, v22
	v_cvt_i32_f32_e32 v22, v23
	s_delay_alu instid0(VALU_DEP_2) | instskip(NEXT) | instid1(TRANS32_DEP_1)
	v_exp_f32_e32 v21, v21
	v_ldexp_f32 v21, v21, v22
	s_wait_alu 0xf1ff
	s_delay_alu instid0(VALU_DEP_1) | instskip(SKIP_2) | instid1(VALU_DEP_1)
	v_cndmask_b32_e64 v21, 0, v21, s0
	v_cmp_nlt_f32_e64 s0, 0x42b17218, v20
	s_wait_alu 0xf1ff
	v_cndmask_b32_e64 v22, 0x7f800000, v21, s0
	s_delay_alu instid0(VALU_DEP_1) | instskip(NEXT) | instid1(VALU_DEP_1)
	v_add_f32_e32 v23, 1.0, v22
	v_cvt_f64_f32_e32 v[20:21], v23
	s_delay_alu instid0(VALU_DEP_1) | instskip(SKIP_1) | instid1(VALU_DEP_1)
	v_frexp_exp_i32_f64_e32 v20, v[20:21]
	v_frexp_mant_f32_e32 v21, v23
	v_cmp_gt_f32_e64 s0, 0x3f2aaaab, v21
	v_add_f32_e32 v21, -1.0, v23
	s_delay_alu instid0(VALU_DEP_1)
	v_sub_f32_e32 v25, v21, v23
	v_sub_f32_e32 v21, v22, v21
	s_wait_alu 0xf1ff
	v_subrev_co_ci_u32_e64 v20, null, 0, v20, s0
	s_mov_b32 s0, 0x3e9b6dac
	v_sub_nc_u32_e32 v24, 0, v20
	v_cvt_f32_i32_e32 v20, v20
	s_delay_alu instid0(VALU_DEP_2) | instskip(NEXT) | instid1(VALU_DEP_1)
	v_ldexp_f32 v23, v23, v24
	v_dual_add_f32 v26, 1.0, v23 :: v_dual_add_f32 v25, 1.0, v25
	s_delay_alu instid0(VALU_DEP_1) | instskip(NEXT) | instid1(VALU_DEP_2)
	v_add_f32_e32 v21, v21, v25
	v_add_f32_e32 v25, -1.0, v26
	s_delay_alu instid0(VALU_DEP_2) | instskip(NEXT) | instid1(VALU_DEP_2)
	v_ldexp_f32 v21, v21, v24
	v_dual_add_f32 v24, -1.0, v23 :: v_dual_sub_f32 v25, v23, v25
	s_delay_alu instid0(VALU_DEP_1) | instskip(NEXT) | instid1(VALU_DEP_2)
	v_add_f32_e32 v27, 1.0, v24
	v_add_f32_e32 v25, v21, v25
	s_delay_alu instid0(VALU_DEP_2) | instskip(NEXT) | instid1(VALU_DEP_2)
	v_sub_f32_e32 v23, v23, v27
	v_add_f32_e32 v27, v26, v25
	s_delay_alu instid0(VALU_DEP_2) | instskip(NEXT) | instid1(VALU_DEP_2)
	v_add_f32_e32 v21, v21, v23
	v_rcp_f32_e32 v23, v27
	v_sub_f32_e32 v26, v26, v27
	s_delay_alu instid0(VALU_DEP_1) | instskip(NEXT) | instid1(VALU_DEP_1)
	v_dual_add_f32 v28, v24, v21 :: v_dual_add_f32 v25, v25, v26
	v_sub_f32_e32 v24, v24, v28
	s_delay_alu instid0(TRANS32_DEP_1) | instskip(NEXT) | instid1(VALU_DEP_1)
	v_mul_f32_e32 v29, v28, v23
	v_dual_add_f32 v21, v21, v24 :: v_dual_mul_f32 v30, v27, v29
	s_delay_alu instid0(VALU_DEP_1) | instskip(NEXT) | instid1(VALU_DEP_1)
	v_fma_f32 v26, v29, v27, -v30
	v_fmac_f32_e32 v26, v29, v25
	s_delay_alu instid0(VALU_DEP_1) | instskip(NEXT) | instid1(VALU_DEP_1)
	v_add_f32_e32 v31, v30, v26
	v_sub_f32_e32 v32, v28, v31
	v_sub_f32_e32 v24, v31, v30
	s_delay_alu instid0(VALU_DEP_2) | instskip(NEXT) | instid1(VALU_DEP_2)
	v_sub_f32_e32 v28, v28, v32
	v_sub_f32_e32 v24, v24, v26
	s_delay_alu instid0(VALU_DEP_2) | instskip(NEXT) | instid1(VALU_DEP_1)
	v_sub_f32_e32 v28, v28, v31
	v_add_f32_e32 v21, v21, v28
	s_delay_alu instid0(VALU_DEP_1) | instskip(NEXT) | instid1(VALU_DEP_1)
	v_add_f32_e32 v21, v24, v21
	v_add_f32_e32 v24, v32, v21
	s_delay_alu instid0(VALU_DEP_1) | instskip(NEXT) | instid1(VALU_DEP_1)
	v_mul_f32_e32 v26, v23, v24
	v_dual_sub_f32 v31, v32, v24 :: v_dual_mul_f32 v28, v27, v26
	s_delay_alu instid0(VALU_DEP_1) | instskip(NEXT) | instid1(VALU_DEP_2)
	v_add_f32_e32 v21, v21, v31
	v_fma_f32 v27, v26, v27, -v28
	s_delay_alu instid0(VALU_DEP_1) | instskip(NEXT) | instid1(VALU_DEP_1)
	v_fmac_f32_e32 v27, v26, v25
	v_add_f32_e32 v25, v28, v27
	s_delay_alu instid0(VALU_DEP_1) | instskip(SKIP_1) | instid1(VALU_DEP_2)
	v_sub_f32_e32 v30, v24, v25
	v_sub_f32_e32 v28, v25, v28
	v_sub_f32_e32 v24, v24, v30
	s_delay_alu instid0(VALU_DEP_1) | instskip(NEXT) | instid1(VALU_DEP_3)
	v_sub_f32_e32 v24, v24, v25
	v_sub_f32_e32 v25, v28, v27
	s_delay_alu instid0(VALU_DEP_2) | instskip(SKIP_1) | instid1(VALU_DEP_2)
	v_add_f32_e32 v21, v21, v24
	v_add_f32_e32 v24, v29, v26
	;; [unrolled: 1-line block ×3, first 2 shown]
	s_delay_alu instid0(VALU_DEP_2) | instskip(NEXT) | instid1(VALU_DEP_2)
	v_sub_f32_e32 v25, v24, v29
	v_add_f32_e32 v21, v30, v21
	s_delay_alu instid0(VALU_DEP_2) | instskip(NEXT) | instid1(VALU_DEP_2)
	v_sub_f32_e32 v25, v26, v25
	v_mul_f32_e32 v21, v23, v21
	s_delay_alu instid0(VALU_DEP_1) | instskip(NEXT) | instid1(VALU_DEP_1)
	v_add_f32_e32 v21, v25, v21
	v_add_f32_e32 v23, v24, v21
	s_delay_alu instid0(VALU_DEP_1) | instskip(SKIP_1) | instid1(VALU_DEP_1)
	v_mul_f32_e32 v25, v23, v23
	s_wait_alu 0xfffe
	v_fmaak_f32 v26, s0, v25, 0x3ecc95a3
	v_mul_f32_e32 v27, v23, v25
	v_cmp_neq_f32_e64 s0, 0x7f800000, v22
	s_delay_alu instid0(VALU_DEP_3) | instskip(SKIP_2) | instid1(VALU_DEP_3)
	v_fmaak_f32 v25, v25, v26, 0x3f2aaada
	v_ldexp_f32 v26, v23, 1
	v_sub_f32_e32 v23, v23, v24
	v_mul_f32_e32 v25, v27, v25
	v_mul_f32_e32 v27, 0x3f317218, v20
	s_delay_alu instid0(VALU_DEP_2) | instskip(NEXT) | instid1(VALU_DEP_1)
	v_dual_sub_f32 v21, v21, v23 :: v_dual_add_f32 v24, v26, v25
	v_ldexp_f32 v21, v21, 1
	s_delay_alu instid0(VALU_DEP_2) | instskip(NEXT) | instid1(VALU_DEP_4)
	v_sub_f32_e32 v23, v24, v26
	v_fma_f32 v26, 0x3f317218, v20, -v27
	s_delay_alu instid0(VALU_DEP_1) | instskip(NEXT) | instid1(VALU_DEP_1)
	v_dual_sub_f32 v23, v25, v23 :: v_dual_fmamk_f32 v20, v20, 0xb102e308, v26
	v_add_f32_e32 v21, v21, v23
	s_delay_alu instid0(VALU_DEP_2) | instskip(NEXT) | instid1(VALU_DEP_2)
	v_add_f32_e32 v23, v27, v20
	v_add_f32_e32 v25, v24, v21
	s_delay_alu instid0(VALU_DEP_2) | instskip(NEXT) | instid1(VALU_DEP_2)
	v_sub_f32_e32 v27, v23, v27
	v_add_f32_e32 v26, v23, v25
	v_sub_f32_e32 v24, v25, v24
	s_delay_alu instid0(VALU_DEP_3) | instskip(NEXT) | instid1(VALU_DEP_2)
	v_sub_f32_e32 v20, v20, v27
	v_dual_sub_f32 v28, v26, v23 :: v_dual_sub_f32 v21, v21, v24
	s_delay_alu instid0(VALU_DEP_1) | instskip(NEXT) | instid1(VALU_DEP_2)
	v_sub_f32_e32 v29, v26, v28
	v_dual_sub_f32 v24, v25, v28 :: v_dual_add_f32 v25, v20, v21
	s_delay_alu instid0(VALU_DEP_2) | instskip(NEXT) | instid1(VALU_DEP_1)
	v_sub_f32_e32 v23, v23, v29
	v_dual_add_f32 v23, v24, v23 :: v_dual_sub_f32 v24, v25, v20
	s_delay_alu instid0(VALU_DEP_1) | instskip(NEXT) | instid1(VALU_DEP_2)
	v_add_f32_e32 v23, v25, v23
	v_sub_f32_e32 v25, v25, v24
	v_sub_f32_e32 v21, v21, v24
	s_delay_alu instid0(VALU_DEP_2) | instskip(NEXT) | instid1(VALU_DEP_1)
	v_dual_add_f32 v27, v26, v23 :: v_dual_sub_f32 v20, v20, v25
	v_sub_f32_e32 v24, v27, v26
	s_delay_alu instid0(VALU_DEP_2) | instskip(NEXT) | instid1(VALU_DEP_2)
	v_add_f32_e32 v20, v21, v20
	v_sub_f32_e32 v21, v23, v24
	s_delay_alu instid0(VALU_DEP_1) | instskip(NEXT) | instid1(VALU_DEP_1)
	v_add_f32_e32 v20, v20, v21
	v_add_f32_e32 v20, v27, v20
	s_wait_alu 0xf1ff
	s_delay_alu instid0(VALU_DEP_1) | instskip(SKIP_2) | instid1(VALU_DEP_1)
	v_cndmask_b32_e64 v20, 0x7f800000, v20, s0
	v_cmp_gt_f32_e64 s0, 0x33800000, |v22|
	s_wait_alu 0xf1ff
	v_cndmask_b32_e64 v20, v20, v22, s0
	s_delay_alu instid0(VALU_DEP_1)
	v_add_f32_e32 v20, v18, v20
.LBB129_29:
	s_wait_alu 0xfffe
	s_or_b32 exec_lo, exec_lo, s13
	s_delay_alu instid0(VALU_DEP_1)
	v_mov_b32_e32 v18, v20
.LBB129_30:
	s_wait_alu 0xfffe
	s_or_b32 exec_lo, exec_lo, s1
	s_delay_alu instid0(VALU_DEP_1)
	v_mov_b32_dpp v20, v18 row_shr:4 row_mask:0xf bank_mask:0xf
	s_mov_b32 s1, exec_lo
	v_cmpx_lt_u32_e32 3, v19
	s_cbranch_execz .LBB129_34
; %bb.31:
	s_delay_alu instid0(VALU_DEP_2) | instskip(SKIP_1) | instid1(VALU_DEP_2)
	v_dual_max_num_f32 v21, v18, v18 :: v_dual_max_num_f32 v22, v20, v20
	v_cmp_u_f32_e64 s0, v20, v20
	v_min_num_f32_e32 v23, v22, v21
	v_max_num_f32_e32 v21, v22, v21
	s_wait_alu 0xf1ff
	s_delay_alu instid0(VALU_DEP_2) | instskip(NEXT) | instid1(VALU_DEP_2)
	v_cndmask_b32_e64 v22, v23, v20, s0
	v_cndmask_b32_e64 v23, v21, v20, s0
	v_cmp_u_f32_e64 s0, v18, v18
	s_wait_alu 0xf1ff
	s_delay_alu instid0(VALU_DEP_1) | instskip(NEXT) | instid1(VALU_DEP_3)
	v_cndmask_b32_e64 v21, v22, v18, s0
	v_cndmask_b32_e64 v18, v23, v18, s0
	s_delay_alu instid0(VALU_DEP_2) | instskip(NEXT) | instid1(VALU_DEP_2)
	v_cmp_class_f32_e64 s13, v21, 0x1f8
	v_cmp_neq_f32_e64 s0, v21, v18
	s_or_b32 s0, s0, s13
	s_wait_alu 0xfffe
	s_and_saveexec_b32 s13, s0
	s_cbranch_execz .LBB129_33
; %bb.32:
	v_sub_f32_e32 v20, v21, v18
	s_delay_alu instid0(VALU_DEP_1) | instskip(SKIP_1) | instid1(VALU_DEP_2)
	v_mul_f32_e32 v21, 0x3fb8aa3b, v20
	v_cmp_ngt_f32_e64 s0, 0xc2ce8ed0, v20
	v_fma_f32 v22, 0x3fb8aa3b, v20, -v21
	v_rndne_f32_e32 v23, v21
	s_delay_alu instid0(VALU_DEP_1) | instskip(NEXT) | instid1(VALU_DEP_1)
	v_dual_fmamk_f32 v22, v20, 0x32a5705f, v22 :: v_dual_sub_f32 v21, v21, v23
	v_add_f32_e32 v21, v21, v22
	v_cvt_i32_f32_e32 v22, v23
	s_delay_alu instid0(VALU_DEP_2) | instskip(NEXT) | instid1(TRANS32_DEP_1)
	v_exp_f32_e32 v21, v21
	v_ldexp_f32 v21, v21, v22
	s_wait_alu 0xf1ff
	s_delay_alu instid0(VALU_DEP_1) | instskip(SKIP_2) | instid1(VALU_DEP_1)
	v_cndmask_b32_e64 v21, 0, v21, s0
	v_cmp_nlt_f32_e64 s0, 0x42b17218, v20
	s_wait_alu 0xf1ff
	v_cndmask_b32_e64 v22, 0x7f800000, v21, s0
	s_delay_alu instid0(VALU_DEP_1) | instskip(NEXT) | instid1(VALU_DEP_1)
	v_add_f32_e32 v23, 1.0, v22
	v_cvt_f64_f32_e32 v[20:21], v23
	s_delay_alu instid0(VALU_DEP_1) | instskip(SKIP_1) | instid1(VALU_DEP_1)
	v_frexp_exp_i32_f64_e32 v20, v[20:21]
	v_frexp_mant_f32_e32 v21, v23
	v_cmp_gt_f32_e64 s0, 0x3f2aaaab, v21
	v_add_f32_e32 v21, -1.0, v23
	s_delay_alu instid0(VALU_DEP_1)
	v_sub_f32_e32 v25, v21, v23
	v_sub_f32_e32 v21, v22, v21
	s_wait_alu 0xf1ff
	v_subrev_co_ci_u32_e64 v20, null, 0, v20, s0
	s_mov_b32 s0, 0x3e9b6dac
	v_sub_nc_u32_e32 v24, 0, v20
	v_cvt_f32_i32_e32 v20, v20
	s_delay_alu instid0(VALU_DEP_2) | instskip(NEXT) | instid1(VALU_DEP_1)
	v_ldexp_f32 v23, v23, v24
	v_dual_add_f32 v26, 1.0, v23 :: v_dual_add_f32 v25, 1.0, v25
	s_delay_alu instid0(VALU_DEP_1) | instskip(NEXT) | instid1(VALU_DEP_2)
	v_add_f32_e32 v21, v21, v25
	v_add_f32_e32 v25, -1.0, v26
	s_delay_alu instid0(VALU_DEP_2) | instskip(NEXT) | instid1(VALU_DEP_2)
	v_ldexp_f32 v21, v21, v24
	v_dual_add_f32 v24, -1.0, v23 :: v_dual_sub_f32 v25, v23, v25
	s_delay_alu instid0(VALU_DEP_1) | instskip(NEXT) | instid1(VALU_DEP_2)
	v_add_f32_e32 v27, 1.0, v24
	v_add_f32_e32 v25, v21, v25
	s_delay_alu instid0(VALU_DEP_2) | instskip(NEXT) | instid1(VALU_DEP_2)
	v_sub_f32_e32 v23, v23, v27
	v_add_f32_e32 v27, v26, v25
	s_delay_alu instid0(VALU_DEP_2) | instskip(NEXT) | instid1(VALU_DEP_2)
	v_add_f32_e32 v21, v21, v23
	v_rcp_f32_e32 v23, v27
	v_sub_f32_e32 v26, v26, v27
	s_delay_alu instid0(VALU_DEP_1) | instskip(NEXT) | instid1(VALU_DEP_1)
	v_dual_add_f32 v28, v24, v21 :: v_dual_add_f32 v25, v25, v26
	v_sub_f32_e32 v24, v24, v28
	s_delay_alu instid0(TRANS32_DEP_1) | instskip(NEXT) | instid1(VALU_DEP_1)
	v_mul_f32_e32 v29, v28, v23
	v_dual_add_f32 v21, v21, v24 :: v_dual_mul_f32 v30, v27, v29
	s_delay_alu instid0(VALU_DEP_1) | instskip(NEXT) | instid1(VALU_DEP_1)
	v_fma_f32 v26, v29, v27, -v30
	v_fmac_f32_e32 v26, v29, v25
	s_delay_alu instid0(VALU_DEP_1) | instskip(NEXT) | instid1(VALU_DEP_1)
	v_add_f32_e32 v31, v30, v26
	v_sub_f32_e32 v32, v28, v31
	v_sub_f32_e32 v24, v31, v30
	s_delay_alu instid0(VALU_DEP_2) | instskip(NEXT) | instid1(VALU_DEP_2)
	v_sub_f32_e32 v28, v28, v32
	v_sub_f32_e32 v24, v24, v26
	s_delay_alu instid0(VALU_DEP_2) | instskip(NEXT) | instid1(VALU_DEP_1)
	v_sub_f32_e32 v28, v28, v31
	v_add_f32_e32 v21, v21, v28
	s_delay_alu instid0(VALU_DEP_1) | instskip(NEXT) | instid1(VALU_DEP_1)
	v_add_f32_e32 v21, v24, v21
	v_add_f32_e32 v24, v32, v21
	s_delay_alu instid0(VALU_DEP_1) | instskip(NEXT) | instid1(VALU_DEP_1)
	v_mul_f32_e32 v26, v23, v24
	v_dual_sub_f32 v31, v32, v24 :: v_dual_mul_f32 v28, v27, v26
	s_delay_alu instid0(VALU_DEP_1) | instskip(NEXT) | instid1(VALU_DEP_2)
	v_add_f32_e32 v21, v21, v31
	v_fma_f32 v27, v26, v27, -v28
	s_delay_alu instid0(VALU_DEP_1) | instskip(NEXT) | instid1(VALU_DEP_1)
	v_fmac_f32_e32 v27, v26, v25
	v_add_f32_e32 v25, v28, v27
	s_delay_alu instid0(VALU_DEP_1) | instskip(SKIP_1) | instid1(VALU_DEP_2)
	v_sub_f32_e32 v30, v24, v25
	v_sub_f32_e32 v28, v25, v28
	;; [unrolled: 1-line block ×3, first 2 shown]
	s_delay_alu instid0(VALU_DEP_1) | instskip(NEXT) | instid1(VALU_DEP_3)
	v_sub_f32_e32 v24, v24, v25
	v_sub_f32_e32 v25, v28, v27
	s_delay_alu instid0(VALU_DEP_2) | instskip(SKIP_1) | instid1(VALU_DEP_2)
	v_add_f32_e32 v21, v21, v24
	v_add_f32_e32 v24, v29, v26
	;; [unrolled: 1-line block ×3, first 2 shown]
	s_delay_alu instid0(VALU_DEP_2) | instskip(NEXT) | instid1(VALU_DEP_2)
	v_sub_f32_e32 v25, v24, v29
	v_add_f32_e32 v21, v30, v21
	s_delay_alu instid0(VALU_DEP_2) | instskip(NEXT) | instid1(VALU_DEP_2)
	v_sub_f32_e32 v25, v26, v25
	v_mul_f32_e32 v21, v23, v21
	s_delay_alu instid0(VALU_DEP_1) | instskip(NEXT) | instid1(VALU_DEP_1)
	v_add_f32_e32 v21, v25, v21
	v_add_f32_e32 v23, v24, v21
	s_delay_alu instid0(VALU_DEP_1) | instskip(SKIP_1) | instid1(VALU_DEP_1)
	v_mul_f32_e32 v25, v23, v23
	s_wait_alu 0xfffe
	v_fmaak_f32 v26, s0, v25, 0x3ecc95a3
	v_mul_f32_e32 v27, v23, v25
	v_cmp_neq_f32_e64 s0, 0x7f800000, v22
	s_delay_alu instid0(VALU_DEP_3) | instskip(SKIP_2) | instid1(VALU_DEP_3)
	v_fmaak_f32 v25, v25, v26, 0x3f2aaada
	v_ldexp_f32 v26, v23, 1
	v_sub_f32_e32 v23, v23, v24
	v_mul_f32_e32 v25, v27, v25
	v_mul_f32_e32 v27, 0x3f317218, v20
	s_delay_alu instid0(VALU_DEP_2) | instskip(NEXT) | instid1(VALU_DEP_1)
	v_dual_sub_f32 v21, v21, v23 :: v_dual_add_f32 v24, v26, v25
	v_ldexp_f32 v21, v21, 1
	s_delay_alu instid0(VALU_DEP_2) | instskip(NEXT) | instid1(VALU_DEP_4)
	v_sub_f32_e32 v23, v24, v26
	v_fma_f32 v26, 0x3f317218, v20, -v27
	s_delay_alu instid0(VALU_DEP_1) | instskip(NEXT) | instid1(VALU_DEP_1)
	v_dual_sub_f32 v23, v25, v23 :: v_dual_fmamk_f32 v20, v20, 0xb102e308, v26
	v_add_f32_e32 v21, v21, v23
	s_delay_alu instid0(VALU_DEP_2) | instskip(NEXT) | instid1(VALU_DEP_2)
	v_add_f32_e32 v23, v27, v20
	v_add_f32_e32 v25, v24, v21
	s_delay_alu instid0(VALU_DEP_2) | instskip(NEXT) | instid1(VALU_DEP_2)
	v_sub_f32_e32 v27, v23, v27
	v_add_f32_e32 v26, v23, v25
	v_sub_f32_e32 v24, v25, v24
	s_delay_alu instid0(VALU_DEP_3) | instskip(NEXT) | instid1(VALU_DEP_2)
	v_sub_f32_e32 v20, v20, v27
	v_dual_sub_f32 v28, v26, v23 :: v_dual_sub_f32 v21, v21, v24
	s_delay_alu instid0(VALU_DEP_1) | instskip(NEXT) | instid1(VALU_DEP_2)
	v_sub_f32_e32 v29, v26, v28
	v_dual_sub_f32 v24, v25, v28 :: v_dual_add_f32 v25, v20, v21
	s_delay_alu instid0(VALU_DEP_2) | instskip(NEXT) | instid1(VALU_DEP_1)
	v_sub_f32_e32 v23, v23, v29
	v_dual_add_f32 v23, v24, v23 :: v_dual_sub_f32 v24, v25, v20
	s_delay_alu instid0(VALU_DEP_1) | instskip(NEXT) | instid1(VALU_DEP_2)
	v_add_f32_e32 v23, v25, v23
	v_sub_f32_e32 v25, v25, v24
	v_sub_f32_e32 v21, v21, v24
	s_delay_alu instid0(VALU_DEP_2) | instskip(NEXT) | instid1(VALU_DEP_1)
	v_dual_add_f32 v27, v26, v23 :: v_dual_sub_f32 v20, v20, v25
	v_sub_f32_e32 v24, v27, v26
	s_delay_alu instid0(VALU_DEP_2) | instskip(NEXT) | instid1(VALU_DEP_2)
	v_add_f32_e32 v20, v21, v20
	v_sub_f32_e32 v21, v23, v24
	s_delay_alu instid0(VALU_DEP_1) | instskip(NEXT) | instid1(VALU_DEP_1)
	v_add_f32_e32 v20, v20, v21
	v_add_f32_e32 v20, v27, v20
	s_wait_alu 0xf1ff
	s_delay_alu instid0(VALU_DEP_1) | instskip(SKIP_2) | instid1(VALU_DEP_1)
	v_cndmask_b32_e64 v20, 0x7f800000, v20, s0
	v_cmp_gt_f32_e64 s0, 0x33800000, |v22|
	s_wait_alu 0xf1ff
	v_cndmask_b32_e64 v20, v20, v22, s0
	s_delay_alu instid0(VALU_DEP_1)
	v_add_f32_e32 v20, v18, v20
.LBB129_33:
	s_wait_alu 0xfffe
	s_or_b32 exec_lo, exec_lo, s13
	s_delay_alu instid0(VALU_DEP_1)
	v_mov_b32_e32 v18, v20
.LBB129_34:
	s_wait_alu 0xfffe
	s_or_b32 exec_lo, exec_lo, s1
	s_delay_alu instid0(VALU_DEP_1)
	v_mov_b32_dpp v20, v18 row_shr:8 row_mask:0xf bank_mask:0xf
	s_mov_b32 s1, exec_lo
	v_cmpx_lt_u32_e32 7, v19
	s_cbranch_execz .LBB129_38
; %bb.35:
	v_max_num_f32_e32 v19, v18, v18
	v_max_num_f32_e32 v21, v20, v20
	v_cmp_u_f32_e64 s0, v20, v20
	s_delay_alu instid0(VALU_DEP_2) | instskip(SKIP_2) | instid1(VALU_DEP_2)
	v_min_num_f32_e32 v22, v21, v19
	v_max_num_f32_e32 v19, v21, v19
	s_wait_alu 0xf1ff
	v_cndmask_b32_e64 v21, v22, v20, s0
	s_delay_alu instid0(VALU_DEP_2) | instskip(SKIP_2) | instid1(VALU_DEP_1)
	v_cndmask_b32_e64 v22, v19, v20, s0
	v_cmp_u_f32_e64 s0, v18, v18
	s_wait_alu 0xf1ff
	v_cndmask_b32_e64 v19, v21, v18, s0
	s_delay_alu instid0(VALU_DEP_3) | instskip(NEXT) | instid1(VALU_DEP_2)
	v_cndmask_b32_e64 v18, v22, v18, s0
	v_cmp_class_f32_e64 s13, v19, 0x1f8
	s_delay_alu instid0(VALU_DEP_2)
	v_cmp_neq_f32_e64 s0, v19, v18
	s_or_b32 s0, s0, s13
	s_wait_alu 0xfffe
	s_and_saveexec_b32 s13, s0
	s_cbranch_execz .LBB129_37
; %bb.36:
	v_sub_f32_e32 v19, v19, v18
	s_delay_alu instid0(VALU_DEP_1) | instskip(NEXT) | instid1(VALU_DEP_1)
	v_mul_f32_e32 v20, 0x3fb8aa3b, v19
	v_fma_f32 v21, 0x3fb8aa3b, v19, -v20
	v_rndne_f32_e32 v22, v20
	s_delay_alu instid0(VALU_DEP_1) | instskip(NEXT) | instid1(VALU_DEP_1)
	v_dual_fmamk_f32 v21, v19, 0x32a5705f, v21 :: v_dual_sub_f32 v20, v20, v22
	v_add_f32_e32 v20, v20, v21
	v_cvt_i32_f32_e32 v21, v22
	v_cmp_ngt_f32_e64 s0, 0xc2ce8ed0, v19
	s_delay_alu instid0(VALU_DEP_3) | instskip(NEXT) | instid1(TRANS32_DEP_1)
	v_exp_f32_e32 v20, v20
	v_ldexp_f32 v20, v20, v21
	s_wait_alu 0xf1ff
	s_delay_alu instid0(VALU_DEP_1) | instskip(SKIP_2) | instid1(VALU_DEP_1)
	v_cndmask_b32_e64 v20, 0, v20, s0
	v_cmp_nlt_f32_e64 s0, 0x42b17218, v19
	s_wait_alu 0xf1ff
	v_cndmask_b32_e64 v21, 0x7f800000, v20, s0
	s_delay_alu instid0(VALU_DEP_1) | instskip(NEXT) | instid1(VALU_DEP_1)
	v_add_f32_e32 v22, 1.0, v21
	v_cvt_f64_f32_e32 v[19:20], v22
	s_delay_alu instid0(VALU_DEP_1) | instskip(SKIP_1) | instid1(VALU_DEP_1)
	v_frexp_exp_i32_f64_e32 v19, v[19:20]
	v_frexp_mant_f32_e32 v20, v22
	v_cmp_gt_f32_e64 s0, 0x3f2aaaab, v20
	v_add_f32_e32 v20, -1.0, v22
	s_delay_alu instid0(VALU_DEP_1) | instskip(SKIP_1) | instid1(VALU_DEP_3)
	v_sub_f32_e32 v24, v20, v22
	s_wait_alu 0xf1ff
	v_subrev_co_ci_u32_e64 v19, null, 0, v19, s0
	s_mov_b32 s0, 0x3e9b6dac
	v_sub_nc_u32_e32 v23, 0, v19
	v_cvt_f32_i32_e32 v19, v19
	s_delay_alu instid0(VALU_DEP_2) | instskip(NEXT) | instid1(VALU_DEP_1)
	v_ldexp_f32 v22, v22, v23
	v_dual_sub_f32 v20, v21, v20 :: v_dual_add_f32 v25, 1.0, v22
	v_add_f32_e32 v24, 1.0, v24
	s_delay_alu instid0(VALU_DEP_1) | instskip(NEXT) | instid1(VALU_DEP_3)
	v_add_f32_e32 v20, v20, v24
	v_add_f32_e32 v24, -1.0, v25
	s_delay_alu instid0(VALU_DEP_2) | instskip(NEXT) | instid1(VALU_DEP_2)
	v_ldexp_f32 v20, v20, v23
	v_dual_add_f32 v23, -1.0, v22 :: v_dual_sub_f32 v24, v22, v24
	s_delay_alu instid0(VALU_DEP_1) | instskip(NEXT) | instid1(VALU_DEP_2)
	v_add_f32_e32 v26, 1.0, v23
	v_add_f32_e32 v24, v20, v24
	s_delay_alu instid0(VALU_DEP_2) | instskip(NEXT) | instid1(VALU_DEP_2)
	v_sub_f32_e32 v22, v22, v26
	v_add_f32_e32 v26, v25, v24
	s_delay_alu instid0(VALU_DEP_2) | instskip(NEXT) | instid1(VALU_DEP_2)
	v_add_f32_e32 v20, v20, v22
	v_rcp_f32_e32 v22, v26
	v_sub_f32_e32 v25, v25, v26
	s_delay_alu instid0(VALU_DEP_1) | instskip(NEXT) | instid1(VALU_DEP_1)
	v_dual_add_f32 v27, v23, v20 :: v_dual_add_f32 v24, v24, v25
	v_sub_f32_e32 v23, v23, v27
	s_delay_alu instid0(TRANS32_DEP_1) | instskip(NEXT) | instid1(VALU_DEP_1)
	v_mul_f32_e32 v28, v27, v22
	v_dual_add_f32 v20, v20, v23 :: v_dual_mul_f32 v29, v26, v28
	s_delay_alu instid0(VALU_DEP_1) | instskip(NEXT) | instid1(VALU_DEP_1)
	v_fma_f32 v25, v28, v26, -v29
	v_fmac_f32_e32 v25, v28, v24
	s_delay_alu instid0(VALU_DEP_1) | instskip(NEXT) | instid1(VALU_DEP_1)
	v_add_f32_e32 v30, v29, v25
	v_sub_f32_e32 v31, v27, v30
	v_sub_f32_e32 v23, v30, v29
	s_delay_alu instid0(VALU_DEP_2) | instskip(NEXT) | instid1(VALU_DEP_2)
	v_sub_f32_e32 v27, v27, v31
	v_sub_f32_e32 v23, v23, v25
	s_delay_alu instid0(VALU_DEP_2) | instskip(NEXT) | instid1(VALU_DEP_1)
	v_sub_f32_e32 v27, v27, v30
	v_add_f32_e32 v20, v20, v27
	s_delay_alu instid0(VALU_DEP_1) | instskip(NEXT) | instid1(VALU_DEP_1)
	v_add_f32_e32 v20, v23, v20
	v_add_f32_e32 v23, v31, v20
	s_delay_alu instid0(VALU_DEP_1) | instskip(NEXT) | instid1(VALU_DEP_1)
	v_mul_f32_e32 v25, v22, v23
	v_dual_sub_f32 v30, v31, v23 :: v_dual_mul_f32 v27, v26, v25
	s_delay_alu instid0(VALU_DEP_1) | instskip(NEXT) | instid1(VALU_DEP_2)
	v_add_f32_e32 v20, v20, v30
	v_fma_f32 v26, v25, v26, -v27
	s_delay_alu instid0(VALU_DEP_1) | instskip(NEXT) | instid1(VALU_DEP_1)
	v_fmac_f32_e32 v26, v25, v24
	v_add_f32_e32 v24, v27, v26
	s_delay_alu instid0(VALU_DEP_1) | instskip(SKIP_1) | instid1(VALU_DEP_2)
	v_sub_f32_e32 v29, v23, v24
	v_sub_f32_e32 v27, v24, v27
	;; [unrolled: 1-line block ×3, first 2 shown]
	s_delay_alu instid0(VALU_DEP_1) | instskip(NEXT) | instid1(VALU_DEP_3)
	v_sub_f32_e32 v23, v23, v24
	v_sub_f32_e32 v24, v27, v26
	s_delay_alu instid0(VALU_DEP_2) | instskip(SKIP_1) | instid1(VALU_DEP_2)
	v_add_f32_e32 v20, v20, v23
	v_add_f32_e32 v23, v28, v25
	;; [unrolled: 1-line block ×3, first 2 shown]
	s_delay_alu instid0(VALU_DEP_2) | instskip(NEXT) | instid1(VALU_DEP_2)
	v_sub_f32_e32 v24, v23, v28
	v_add_f32_e32 v20, v29, v20
	s_delay_alu instid0(VALU_DEP_2) | instskip(NEXT) | instid1(VALU_DEP_2)
	v_sub_f32_e32 v24, v25, v24
	v_mul_f32_e32 v20, v22, v20
	s_delay_alu instid0(VALU_DEP_1) | instskip(NEXT) | instid1(VALU_DEP_1)
	v_add_f32_e32 v20, v24, v20
	v_add_f32_e32 v22, v23, v20
	s_delay_alu instid0(VALU_DEP_1) | instskip(SKIP_1) | instid1(VALU_DEP_1)
	v_mul_f32_e32 v24, v22, v22
	s_wait_alu 0xfffe
	v_fmaak_f32 v25, s0, v24, 0x3ecc95a3
	v_mul_f32_e32 v26, v22, v24
	v_cmp_neq_f32_e64 s0, 0x7f800000, v21
	s_delay_alu instid0(VALU_DEP_3) | instskip(SKIP_2) | instid1(VALU_DEP_3)
	v_fmaak_f32 v24, v24, v25, 0x3f2aaada
	v_ldexp_f32 v25, v22, 1
	v_sub_f32_e32 v22, v22, v23
	v_mul_f32_e32 v24, v26, v24
	v_mul_f32_e32 v26, 0x3f317218, v19
	s_delay_alu instid0(VALU_DEP_2) | instskip(NEXT) | instid1(VALU_DEP_1)
	v_dual_sub_f32 v20, v20, v22 :: v_dual_add_f32 v23, v25, v24
	v_ldexp_f32 v20, v20, 1
	s_delay_alu instid0(VALU_DEP_2) | instskip(NEXT) | instid1(VALU_DEP_4)
	v_sub_f32_e32 v22, v23, v25
	v_fma_f32 v25, 0x3f317218, v19, -v26
	s_delay_alu instid0(VALU_DEP_1) | instskip(NEXT) | instid1(VALU_DEP_1)
	v_dual_sub_f32 v22, v24, v22 :: v_dual_fmamk_f32 v19, v19, 0xb102e308, v25
	v_add_f32_e32 v20, v20, v22
	s_delay_alu instid0(VALU_DEP_2) | instskip(NEXT) | instid1(VALU_DEP_2)
	v_add_f32_e32 v22, v26, v19
	v_add_f32_e32 v24, v23, v20
	s_delay_alu instid0(VALU_DEP_2) | instskip(NEXT) | instid1(VALU_DEP_2)
	v_sub_f32_e32 v26, v22, v26
	v_add_f32_e32 v25, v22, v24
	v_sub_f32_e32 v23, v24, v23
	s_delay_alu instid0(VALU_DEP_3) | instskip(NEXT) | instid1(VALU_DEP_2)
	v_sub_f32_e32 v19, v19, v26
	v_dual_sub_f32 v27, v25, v22 :: v_dual_sub_f32 v20, v20, v23
	s_delay_alu instid0(VALU_DEP_1) | instskip(NEXT) | instid1(VALU_DEP_2)
	v_sub_f32_e32 v28, v25, v27
	v_dual_sub_f32 v23, v24, v27 :: v_dual_add_f32 v24, v19, v20
	s_delay_alu instid0(VALU_DEP_2) | instskip(NEXT) | instid1(VALU_DEP_1)
	v_sub_f32_e32 v22, v22, v28
	v_dual_add_f32 v22, v23, v22 :: v_dual_sub_f32 v23, v24, v19
	s_delay_alu instid0(VALU_DEP_1) | instskip(NEXT) | instid1(VALU_DEP_2)
	v_add_f32_e32 v22, v24, v22
	v_sub_f32_e32 v24, v24, v23
	v_sub_f32_e32 v20, v20, v23
	s_delay_alu instid0(VALU_DEP_2) | instskip(NEXT) | instid1(VALU_DEP_1)
	v_dual_add_f32 v26, v25, v22 :: v_dual_sub_f32 v19, v19, v24
	v_sub_f32_e32 v23, v26, v25
	s_delay_alu instid0(VALU_DEP_2) | instskip(NEXT) | instid1(VALU_DEP_2)
	v_add_f32_e32 v19, v20, v19
	v_sub_f32_e32 v20, v22, v23
	s_delay_alu instid0(VALU_DEP_1) | instskip(NEXT) | instid1(VALU_DEP_1)
	v_add_f32_e32 v19, v19, v20
	v_add_f32_e32 v19, v26, v19
	s_wait_alu 0xf1ff
	s_delay_alu instid0(VALU_DEP_1) | instskip(SKIP_2) | instid1(VALU_DEP_1)
	v_cndmask_b32_e64 v19, 0x7f800000, v19, s0
	v_cmp_gt_f32_e64 s0, 0x33800000, |v21|
	s_wait_alu 0xf1ff
	v_cndmask_b32_e64 v19, v19, v21, s0
	s_delay_alu instid0(VALU_DEP_1)
	v_add_f32_e32 v20, v18, v19
.LBB129_37:
	s_wait_alu 0xfffe
	s_or_b32 exec_lo, exec_lo, s13
	s_delay_alu instid0(VALU_DEP_1)
	v_mov_b32_e32 v18, v20
.LBB129_38:
	s_wait_alu 0xfffe
	s_or_b32 exec_lo, exec_lo, s1
	ds_swizzle_b32 v19, v18 offset:swizzle(BROADCAST,32,15)
	v_and_b32_e32 v20, 16, v17
	s_mov_b32 s1, exec_lo
	s_delay_alu instid0(VALU_DEP_1)
	v_cmpx_ne_u32_e32 0, v20
	s_cbranch_execz .LBB129_42
; %bb.39:
	s_wait_dscnt 0x0
	v_dual_max_num_f32 v20, v18, v18 :: v_dual_max_num_f32 v21, v19, v19
	v_cmp_u_f32_e64 s0, v19, v19
	s_delay_alu instid0(VALU_DEP_2) | instskip(SKIP_2) | instid1(VALU_DEP_2)
	v_min_num_f32_e32 v22, v21, v20
	v_max_num_f32_e32 v20, v21, v20
	s_wait_alu 0xf1ff
	v_cndmask_b32_e64 v21, v22, v19, s0
	s_delay_alu instid0(VALU_DEP_2) | instskip(SKIP_2) | instid1(VALU_DEP_1)
	v_cndmask_b32_e64 v22, v20, v19, s0
	v_cmp_u_f32_e64 s0, v18, v18
	s_wait_alu 0xf1ff
	v_cndmask_b32_e64 v20, v21, v18, s0
	s_delay_alu instid0(VALU_DEP_3) | instskip(NEXT) | instid1(VALU_DEP_2)
	v_cndmask_b32_e64 v18, v22, v18, s0
	v_cmp_class_f32_e64 s13, v20, 0x1f8
	s_delay_alu instid0(VALU_DEP_2)
	v_cmp_neq_f32_e64 s0, v20, v18
	s_or_b32 s0, s0, s13
	s_wait_alu 0xfffe
	s_and_saveexec_b32 s13, s0
	s_cbranch_execz .LBB129_41
; %bb.40:
	v_sub_f32_e32 v19, v20, v18
	s_delay_alu instid0(VALU_DEP_1) | instskip(SKIP_1) | instid1(VALU_DEP_2)
	v_mul_f32_e32 v20, 0x3fb8aa3b, v19
	v_cmp_ngt_f32_e64 s0, 0xc2ce8ed0, v19
	v_fma_f32 v21, 0x3fb8aa3b, v19, -v20
	v_rndne_f32_e32 v22, v20
	s_delay_alu instid0(VALU_DEP_1) | instskip(NEXT) | instid1(VALU_DEP_1)
	v_dual_fmamk_f32 v21, v19, 0x32a5705f, v21 :: v_dual_sub_f32 v20, v20, v22
	v_add_f32_e32 v20, v20, v21
	v_cvt_i32_f32_e32 v21, v22
	s_delay_alu instid0(VALU_DEP_2) | instskip(NEXT) | instid1(TRANS32_DEP_1)
	v_exp_f32_e32 v20, v20
	v_ldexp_f32 v20, v20, v21
	s_wait_alu 0xf1ff
	s_delay_alu instid0(VALU_DEP_1) | instskip(SKIP_2) | instid1(VALU_DEP_1)
	v_cndmask_b32_e64 v20, 0, v20, s0
	v_cmp_nlt_f32_e64 s0, 0x42b17218, v19
	s_wait_alu 0xf1ff
	v_cndmask_b32_e64 v21, 0x7f800000, v20, s0
	s_delay_alu instid0(VALU_DEP_1) | instskip(NEXT) | instid1(VALU_DEP_1)
	v_add_f32_e32 v22, 1.0, v21
	v_cvt_f64_f32_e32 v[19:20], v22
	s_delay_alu instid0(VALU_DEP_1) | instskip(SKIP_1) | instid1(VALU_DEP_1)
	v_frexp_exp_i32_f64_e32 v19, v[19:20]
	v_frexp_mant_f32_e32 v20, v22
	v_cmp_gt_f32_e64 s0, 0x3f2aaaab, v20
	v_add_f32_e32 v20, -1.0, v22
	s_delay_alu instid0(VALU_DEP_1)
	v_sub_f32_e32 v24, v20, v22
	v_sub_f32_e32 v20, v21, v20
	s_wait_alu 0xf1ff
	v_subrev_co_ci_u32_e64 v19, null, 0, v19, s0
	s_mov_b32 s0, 0x3e9b6dac
	v_sub_nc_u32_e32 v23, 0, v19
	v_cvt_f32_i32_e32 v19, v19
	s_delay_alu instid0(VALU_DEP_2) | instskip(NEXT) | instid1(VALU_DEP_1)
	v_ldexp_f32 v22, v22, v23
	v_dual_add_f32 v25, 1.0, v22 :: v_dual_add_f32 v24, 1.0, v24
	s_delay_alu instid0(VALU_DEP_1) | instskip(NEXT) | instid1(VALU_DEP_2)
	v_add_f32_e32 v20, v20, v24
	v_add_f32_e32 v24, -1.0, v25
	s_delay_alu instid0(VALU_DEP_2) | instskip(NEXT) | instid1(VALU_DEP_2)
	v_ldexp_f32 v20, v20, v23
	v_dual_add_f32 v23, -1.0, v22 :: v_dual_sub_f32 v24, v22, v24
	s_delay_alu instid0(VALU_DEP_1) | instskip(NEXT) | instid1(VALU_DEP_2)
	v_add_f32_e32 v26, 1.0, v23
	v_add_f32_e32 v24, v20, v24
	s_delay_alu instid0(VALU_DEP_2) | instskip(NEXT) | instid1(VALU_DEP_2)
	v_sub_f32_e32 v22, v22, v26
	v_add_f32_e32 v26, v25, v24
	s_delay_alu instid0(VALU_DEP_2) | instskip(NEXT) | instid1(VALU_DEP_2)
	v_add_f32_e32 v20, v20, v22
	v_rcp_f32_e32 v22, v26
	v_sub_f32_e32 v25, v25, v26
	s_delay_alu instid0(VALU_DEP_1) | instskip(NEXT) | instid1(VALU_DEP_1)
	v_dual_add_f32 v27, v23, v20 :: v_dual_add_f32 v24, v24, v25
	v_sub_f32_e32 v23, v23, v27
	s_delay_alu instid0(TRANS32_DEP_1) | instskip(NEXT) | instid1(VALU_DEP_1)
	v_mul_f32_e32 v28, v27, v22
	v_dual_add_f32 v20, v20, v23 :: v_dual_mul_f32 v29, v26, v28
	s_delay_alu instid0(VALU_DEP_1) | instskip(NEXT) | instid1(VALU_DEP_1)
	v_fma_f32 v25, v28, v26, -v29
	v_fmac_f32_e32 v25, v28, v24
	s_delay_alu instid0(VALU_DEP_1) | instskip(NEXT) | instid1(VALU_DEP_1)
	v_add_f32_e32 v30, v29, v25
	v_sub_f32_e32 v31, v27, v30
	v_sub_f32_e32 v23, v30, v29
	s_delay_alu instid0(VALU_DEP_2) | instskip(NEXT) | instid1(VALU_DEP_2)
	v_sub_f32_e32 v27, v27, v31
	v_sub_f32_e32 v23, v23, v25
	s_delay_alu instid0(VALU_DEP_2) | instskip(NEXT) | instid1(VALU_DEP_1)
	v_sub_f32_e32 v27, v27, v30
	v_add_f32_e32 v20, v20, v27
	s_delay_alu instid0(VALU_DEP_1) | instskip(NEXT) | instid1(VALU_DEP_1)
	v_add_f32_e32 v20, v23, v20
	v_add_f32_e32 v23, v31, v20
	s_delay_alu instid0(VALU_DEP_1) | instskip(NEXT) | instid1(VALU_DEP_1)
	v_mul_f32_e32 v25, v22, v23
	v_dual_sub_f32 v30, v31, v23 :: v_dual_mul_f32 v27, v26, v25
	s_delay_alu instid0(VALU_DEP_1) | instskip(NEXT) | instid1(VALU_DEP_2)
	v_add_f32_e32 v20, v20, v30
	v_fma_f32 v26, v25, v26, -v27
	s_delay_alu instid0(VALU_DEP_1) | instskip(NEXT) | instid1(VALU_DEP_1)
	v_fmac_f32_e32 v26, v25, v24
	v_add_f32_e32 v24, v27, v26
	s_delay_alu instid0(VALU_DEP_1) | instskip(SKIP_1) | instid1(VALU_DEP_2)
	v_sub_f32_e32 v29, v23, v24
	v_sub_f32_e32 v27, v24, v27
	v_sub_f32_e32 v23, v23, v29
	s_delay_alu instid0(VALU_DEP_1) | instskip(NEXT) | instid1(VALU_DEP_3)
	v_sub_f32_e32 v23, v23, v24
	v_sub_f32_e32 v24, v27, v26
	s_delay_alu instid0(VALU_DEP_2) | instskip(SKIP_1) | instid1(VALU_DEP_2)
	v_add_f32_e32 v20, v20, v23
	v_add_f32_e32 v23, v28, v25
	;; [unrolled: 1-line block ×3, first 2 shown]
	s_delay_alu instid0(VALU_DEP_2) | instskip(NEXT) | instid1(VALU_DEP_2)
	v_sub_f32_e32 v24, v23, v28
	v_add_f32_e32 v20, v29, v20
	s_delay_alu instid0(VALU_DEP_2) | instskip(NEXT) | instid1(VALU_DEP_2)
	v_sub_f32_e32 v24, v25, v24
	v_mul_f32_e32 v20, v22, v20
	s_delay_alu instid0(VALU_DEP_1) | instskip(NEXT) | instid1(VALU_DEP_1)
	v_add_f32_e32 v20, v24, v20
	v_add_f32_e32 v22, v23, v20
	s_delay_alu instid0(VALU_DEP_1) | instskip(SKIP_1) | instid1(VALU_DEP_1)
	v_mul_f32_e32 v24, v22, v22
	s_wait_alu 0xfffe
	v_fmaak_f32 v25, s0, v24, 0x3ecc95a3
	v_mul_f32_e32 v26, v22, v24
	v_cmp_neq_f32_e64 s0, 0x7f800000, v21
	s_delay_alu instid0(VALU_DEP_3) | instskip(SKIP_2) | instid1(VALU_DEP_3)
	v_fmaak_f32 v24, v24, v25, 0x3f2aaada
	v_ldexp_f32 v25, v22, 1
	v_sub_f32_e32 v22, v22, v23
	v_mul_f32_e32 v24, v26, v24
	v_mul_f32_e32 v26, 0x3f317218, v19
	s_delay_alu instid0(VALU_DEP_2) | instskip(NEXT) | instid1(VALU_DEP_1)
	v_dual_sub_f32 v20, v20, v22 :: v_dual_add_f32 v23, v25, v24
	v_ldexp_f32 v20, v20, 1
	s_delay_alu instid0(VALU_DEP_2) | instskip(NEXT) | instid1(VALU_DEP_4)
	v_sub_f32_e32 v22, v23, v25
	v_fma_f32 v25, 0x3f317218, v19, -v26
	s_delay_alu instid0(VALU_DEP_1) | instskip(NEXT) | instid1(VALU_DEP_1)
	v_dual_sub_f32 v22, v24, v22 :: v_dual_fmamk_f32 v19, v19, 0xb102e308, v25
	v_add_f32_e32 v20, v20, v22
	s_delay_alu instid0(VALU_DEP_2) | instskip(NEXT) | instid1(VALU_DEP_2)
	v_add_f32_e32 v22, v26, v19
	v_add_f32_e32 v24, v23, v20
	s_delay_alu instid0(VALU_DEP_2) | instskip(NEXT) | instid1(VALU_DEP_2)
	v_sub_f32_e32 v26, v22, v26
	v_add_f32_e32 v25, v22, v24
	v_sub_f32_e32 v23, v24, v23
	s_delay_alu instid0(VALU_DEP_3) | instskip(NEXT) | instid1(VALU_DEP_2)
	v_sub_f32_e32 v19, v19, v26
	v_dual_sub_f32 v27, v25, v22 :: v_dual_sub_f32 v20, v20, v23
	s_delay_alu instid0(VALU_DEP_1) | instskip(NEXT) | instid1(VALU_DEP_2)
	v_sub_f32_e32 v28, v25, v27
	v_dual_sub_f32 v23, v24, v27 :: v_dual_add_f32 v24, v19, v20
	s_delay_alu instid0(VALU_DEP_2) | instskip(NEXT) | instid1(VALU_DEP_1)
	v_sub_f32_e32 v22, v22, v28
	v_dual_add_f32 v22, v23, v22 :: v_dual_sub_f32 v23, v24, v19
	s_delay_alu instid0(VALU_DEP_1) | instskip(NEXT) | instid1(VALU_DEP_2)
	v_add_f32_e32 v22, v24, v22
	v_sub_f32_e32 v24, v24, v23
	v_sub_f32_e32 v20, v20, v23
	s_delay_alu instid0(VALU_DEP_2) | instskip(NEXT) | instid1(VALU_DEP_1)
	v_dual_add_f32 v26, v25, v22 :: v_dual_sub_f32 v19, v19, v24
	v_sub_f32_e32 v23, v26, v25
	s_delay_alu instid0(VALU_DEP_2) | instskip(NEXT) | instid1(VALU_DEP_2)
	v_add_f32_e32 v19, v20, v19
	v_sub_f32_e32 v20, v22, v23
	s_delay_alu instid0(VALU_DEP_1) | instskip(NEXT) | instid1(VALU_DEP_1)
	v_add_f32_e32 v19, v19, v20
	v_add_f32_e32 v19, v26, v19
	s_wait_alu 0xf1ff
	s_delay_alu instid0(VALU_DEP_1) | instskip(SKIP_2) | instid1(VALU_DEP_1)
	v_cndmask_b32_e64 v19, 0x7f800000, v19, s0
	v_cmp_gt_f32_e64 s0, 0x33800000, |v21|
	s_wait_alu 0xf1ff
	v_cndmask_b32_e64 v19, v19, v21, s0
	s_delay_alu instid0(VALU_DEP_1)
	v_add_f32_e32 v19, v18, v19
.LBB129_41:
	s_wait_alu 0xfffe
	s_or_b32 exec_lo, exec_lo, s13
	s_delay_alu instid0(VALU_DEP_1)
	v_mov_b32_e32 v18, v19
.LBB129_42:
	s_wait_alu 0xfffe
	s_or_b32 exec_lo, exec_lo, s1
	v_or_b32_e32 v20, 31, v0
	s_wait_dscnt 0x0
	v_lshrrev_b32_e32 v19, 5, v0
	s_mov_b32 s1, exec_lo
	s_delay_alu instid0(VALU_DEP_2)
	v_cmpx_eq_u32_e64 v0, v20
; %bb.43:
	s_delay_alu instid0(VALU_DEP_2)
	v_lshlrev_b32_e32 v20, 2, v19
	ds_store_b32 v20, v18
; %bb.44:
	s_wait_alu 0xfffe
	s_or_b32 exec_lo, exec_lo, s1
	s_delay_alu instid0(SALU_CYCLE_1)
	s_mov_b32 s1, exec_lo
	s_wait_loadcnt_dscnt 0x0
	s_barrier_signal -1
	s_barrier_wait -1
	global_inv scope:SCOPE_SE
	v_cmpx_gt_u32_e32 8, v0
	s_cbranch_execz .LBB129_58
; %bb.45:
	ds_load_b32 v21, v7
	v_and_b32_e32 v20, 7, v17
	s_mov_b32 s13, exec_lo
	s_wait_dscnt 0x0
	v_mov_b32_dpp v22, v21 row_shr:1 row_mask:0xf bank_mask:0xf
	s_delay_alu instid0(VALU_DEP_2)
	v_cmpx_ne_u32_e32 0, v20
	s_cbranch_execz .LBB129_49
; %bb.46:
	s_delay_alu instid0(VALU_DEP_2) | instskip(SKIP_1) | instid1(VALU_DEP_2)
	v_dual_max_num_f32 v23, v21, v21 :: v_dual_max_num_f32 v24, v22, v22
	v_cmp_u_f32_e64 s0, v22, v22
	v_min_num_f32_e32 v25, v24, v23
	v_max_num_f32_e32 v23, v24, v23
	s_wait_alu 0xf1ff
	s_delay_alu instid0(VALU_DEP_2) | instskip(NEXT) | instid1(VALU_DEP_2)
	v_cndmask_b32_e64 v24, v25, v22, s0
	v_cndmask_b32_e64 v25, v23, v22, s0
	v_cmp_u_f32_e64 s0, v21, v21
	s_wait_alu 0xf1ff
	s_delay_alu instid0(VALU_DEP_1) | instskip(NEXT) | instid1(VALU_DEP_3)
	v_cndmask_b32_e64 v23, v24, v21, s0
	v_cndmask_b32_e64 v21, v25, v21, s0
	s_delay_alu instid0(VALU_DEP_2) | instskip(NEXT) | instid1(VALU_DEP_2)
	v_cmp_class_f32_e64 s16, v23, 0x1f8
	v_cmp_neq_f32_e64 s0, v23, v21
	s_or_b32 s0, s0, s16
	s_wait_alu 0xfffe
	s_and_saveexec_b32 s16, s0
	s_cbranch_execz .LBB129_48
; %bb.47:
	v_sub_f32_e32 v22, v23, v21
	s_delay_alu instid0(VALU_DEP_1) | instskip(SKIP_1) | instid1(VALU_DEP_2)
	v_mul_f32_e32 v23, 0x3fb8aa3b, v22
	v_cmp_ngt_f32_e64 s0, 0xc2ce8ed0, v22
	v_fma_f32 v24, 0x3fb8aa3b, v22, -v23
	v_rndne_f32_e32 v25, v23
	s_delay_alu instid0(VALU_DEP_1) | instskip(NEXT) | instid1(VALU_DEP_1)
	v_dual_fmamk_f32 v24, v22, 0x32a5705f, v24 :: v_dual_sub_f32 v23, v23, v25
	v_add_f32_e32 v23, v23, v24
	v_cvt_i32_f32_e32 v24, v25
	s_delay_alu instid0(VALU_DEP_2) | instskip(NEXT) | instid1(TRANS32_DEP_1)
	v_exp_f32_e32 v23, v23
	v_ldexp_f32 v23, v23, v24
	s_wait_alu 0xf1ff
	s_delay_alu instid0(VALU_DEP_1) | instskip(SKIP_2) | instid1(VALU_DEP_1)
	v_cndmask_b32_e64 v23, 0, v23, s0
	v_cmp_nlt_f32_e64 s0, 0x42b17218, v22
	s_wait_alu 0xf1ff
	v_cndmask_b32_e64 v24, 0x7f800000, v23, s0
	s_delay_alu instid0(VALU_DEP_1) | instskip(NEXT) | instid1(VALU_DEP_1)
	v_add_f32_e32 v25, 1.0, v24
	v_cvt_f64_f32_e32 v[22:23], v25
	s_delay_alu instid0(VALU_DEP_1) | instskip(SKIP_1) | instid1(VALU_DEP_1)
	v_frexp_exp_i32_f64_e32 v22, v[22:23]
	v_frexp_mant_f32_e32 v23, v25
	v_cmp_gt_f32_e64 s0, 0x3f2aaaab, v23
	v_add_f32_e32 v23, -1.0, v25
	s_delay_alu instid0(VALU_DEP_1)
	v_sub_f32_e32 v27, v23, v25
	v_sub_f32_e32 v23, v24, v23
	s_wait_alu 0xf1ff
	v_subrev_co_ci_u32_e64 v22, null, 0, v22, s0
	s_mov_b32 s0, 0x3e9b6dac
	v_sub_nc_u32_e32 v26, 0, v22
	v_cvt_f32_i32_e32 v22, v22
	s_delay_alu instid0(VALU_DEP_2) | instskip(NEXT) | instid1(VALU_DEP_1)
	v_ldexp_f32 v25, v25, v26
	v_dual_add_f32 v28, 1.0, v25 :: v_dual_add_f32 v27, 1.0, v27
	s_delay_alu instid0(VALU_DEP_1) | instskip(NEXT) | instid1(VALU_DEP_2)
	v_add_f32_e32 v23, v23, v27
	v_add_f32_e32 v27, -1.0, v28
	s_delay_alu instid0(VALU_DEP_2) | instskip(NEXT) | instid1(VALU_DEP_2)
	v_ldexp_f32 v23, v23, v26
	v_dual_add_f32 v26, -1.0, v25 :: v_dual_sub_f32 v27, v25, v27
	s_delay_alu instid0(VALU_DEP_1) | instskip(NEXT) | instid1(VALU_DEP_2)
	v_add_f32_e32 v29, 1.0, v26
	v_add_f32_e32 v27, v23, v27
	s_delay_alu instid0(VALU_DEP_2) | instskip(NEXT) | instid1(VALU_DEP_2)
	v_sub_f32_e32 v25, v25, v29
	v_add_f32_e32 v29, v28, v27
	s_delay_alu instid0(VALU_DEP_2) | instskip(NEXT) | instid1(VALU_DEP_2)
	v_add_f32_e32 v23, v23, v25
	v_rcp_f32_e32 v25, v29
	v_sub_f32_e32 v28, v28, v29
	s_delay_alu instid0(VALU_DEP_1) | instskip(NEXT) | instid1(VALU_DEP_1)
	v_dual_add_f32 v30, v26, v23 :: v_dual_add_f32 v27, v27, v28
	v_sub_f32_e32 v26, v26, v30
	s_delay_alu instid0(TRANS32_DEP_1) | instskip(NEXT) | instid1(VALU_DEP_1)
	v_mul_f32_e32 v31, v30, v25
	v_dual_add_f32 v23, v23, v26 :: v_dual_mul_f32 v32, v29, v31
	s_delay_alu instid0(VALU_DEP_1) | instskip(NEXT) | instid1(VALU_DEP_1)
	v_fma_f32 v28, v31, v29, -v32
	v_fmac_f32_e32 v28, v31, v27
	s_delay_alu instid0(VALU_DEP_1) | instskip(NEXT) | instid1(VALU_DEP_1)
	v_add_f32_e32 v33, v32, v28
	v_sub_f32_e32 v34, v30, v33
	v_sub_f32_e32 v26, v33, v32
	s_delay_alu instid0(VALU_DEP_2) | instskip(NEXT) | instid1(VALU_DEP_2)
	v_sub_f32_e32 v30, v30, v34
	v_sub_f32_e32 v26, v26, v28
	s_delay_alu instid0(VALU_DEP_2) | instskip(NEXT) | instid1(VALU_DEP_1)
	v_sub_f32_e32 v30, v30, v33
	v_add_f32_e32 v23, v23, v30
	s_delay_alu instid0(VALU_DEP_1) | instskip(NEXT) | instid1(VALU_DEP_1)
	v_add_f32_e32 v23, v26, v23
	v_add_f32_e32 v26, v34, v23
	s_delay_alu instid0(VALU_DEP_1) | instskip(NEXT) | instid1(VALU_DEP_1)
	v_mul_f32_e32 v28, v25, v26
	v_dual_sub_f32 v33, v34, v26 :: v_dual_mul_f32 v30, v29, v28
	s_delay_alu instid0(VALU_DEP_1) | instskip(NEXT) | instid1(VALU_DEP_2)
	v_add_f32_e32 v23, v23, v33
	v_fma_f32 v29, v28, v29, -v30
	s_delay_alu instid0(VALU_DEP_1) | instskip(NEXT) | instid1(VALU_DEP_1)
	v_fmac_f32_e32 v29, v28, v27
	v_add_f32_e32 v27, v30, v29
	s_delay_alu instid0(VALU_DEP_1) | instskip(SKIP_1) | instid1(VALU_DEP_2)
	v_sub_f32_e32 v32, v26, v27
	v_sub_f32_e32 v30, v27, v30
	;; [unrolled: 1-line block ×3, first 2 shown]
	s_delay_alu instid0(VALU_DEP_1) | instskip(NEXT) | instid1(VALU_DEP_3)
	v_sub_f32_e32 v26, v26, v27
	v_sub_f32_e32 v27, v30, v29
	s_delay_alu instid0(VALU_DEP_2) | instskip(SKIP_1) | instid1(VALU_DEP_2)
	v_add_f32_e32 v23, v23, v26
	v_add_f32_e32 v26, v31, v28
	;; [unrolled: 1-line block ×3, first 2 shown]
	s_delay_alu instid0(VALU_DEP_2) | instskip(NEXT) | instid1(VALU_DEP_2)
	v_sub_f32_e32 v27, v26, v31
	v_add_f32_e32 v23, v32, v23
	s_delay_alu instid0(VALU_DEP_2) | instskip(NEXT) | instid1(VALU_DEP_2)
	v_sub_f32_e32 v27, v28, v27
	v_mul_f32_e32 v23, v25, v23
	s_delay_alu instid0(VALU_DEP_1) | instskip(NEXT) | instid1(VALU_DEP_1)
	v_add_f32_e32 v23, v27, v23
	v_add_f32_e32 v25, v26, v23
	s_delay_alu instid0(VALU_DEP_1) | instskip(SKIP_1) | instid1(VALU_DEP_1)
	v_mul_f32_e32 v27, v25, v25
	s_wait_alu 0xfffe
	v_fmaak_f32 v28, s0, v27, 0x3ecc95a3
	v_mul_f32_e32 v29, v25, v27
	v_cmp_neq_f32_e64 s0, 0x7f800000, v24
	s_delay_alu instid0(VALU_DEP_3) | instskip(SKIP_2) | instid1(VALU_DEP_3)
	v_fmaak_f32 v27, v27, v28, 0x3f2aaada
	v_ldexp_f32 v28, v25, 1
	v_sub_f32_e32 v25, v25, v26
	v_mul_f32_e32 v27, v29, v27
	v_mul_f32_e32 v29, 0x3f317218, v22
	s_delay_alu instid0(VALU_DEP_2) | instskip(NEXT) | instid1(VALU_DEP_1)
	v_dual_sub_f32 v23, v23, v25 :: v_dual_add_f32 v26, v28, v27
	v_ldexp_f32 v23, v23, 1
	s_delay_alu instid0(VALU_DEP_2) | instskip(NEXT) | instid1(VALU_DEP_4)
	v_sub_f32_e32 v25, v26, v28
	v_fma_f32 v28, 0x3f317218, v22, -v29
	s_delay_alu instid0(VALU_DEP_1) | instskip(NEXT) | instid1(VALU_DEP_1)
	v_dual_sub_f32 v25, v27, v25 :: v_dual_fmamk_f32 v22, v22, 0xb102e308, v28
	v_add_f32_e32 v23, v23, v25
	s_delay_alu instid0(VALU_DEP_2) | instskip(NEXT) | instid1(VALU_DEP_2)
	v_add_f32_e32 v25, v29, v22
	v_add_f32_e32 v27, v26, v23
	s_delay_alu instid0(VALU_DEP_2) | instskip(NEXT) | instid1(VALU_DEP_2)
	v_sub_f32_e32 v29, v25, v29
	v_add_f32_e32 v28, v25, v27
	v_sub_f32_e32 v26, v27, v26
	s_delay_alu instid0(VALU_DEP_3) | instskip(NEXT) | instid1(VALU_DEP_2)
	v_sub_f32_e32 v22, v22, v29
	v_dual_sub_f32 v30, v28, v25 :: v_dual_sub_f32 v23, v23, v26
	s_delay_alu instid0(VALU_DEP_1) | instskip(NEXT) | instid1(VALU_DEP_2)
	v_sub_f32_e32 v31, v28, v30
	v_dual_sub_f32 v26, v27, v30 :: v_dual_add_f32 v27, v22, v23
	s_delay_alu instid0(VALU_DEP_2) | instskip(NEXT) | instid1(VALU_DEP_1)
	v_sub_f32_e32 v25, v25, v31
	v_dual_add_f32 v25, v26, v25 :: v_dual_sub_f32 v26, v27, v22
	s_delay_alu instid0(VALU_DEP_1) | instskip(NEXT) | instid1(VALU_DEP_2)
	v_add_f32_e32 v25, v27, v25
	v_sub_f32_e32 v27, v27, v26
	v_sub_f32_e32 v23, v23, v26
	s_delay_alu instid0(VALU_DEP_2) | instskip(NEXT) | instid1(VALU_DEP_1)
	v_dual_add_f32 v29, v28, v25 :: v_dual_sub_f32 v22, v22, v27
	v_sub_f32_e32 v26, v29, v28
	s_delay_alu instid0(VALU_DEP_2) | instskip(NEXT) | instid1(VALU_DEP_2)
	v_add_f32_e32 v22, v23, v22
	v_sub_f32_e32 v23, v25, v26
	s_delay_alu instid0(VALU_DEP_1) | instskip(NEXT) | instid1(VALU_DEP_1)
	v_add_f32_e32 v22, v22, v23
	v_add_f32_e32 v22, v29, v22
	s_wait_alu 0xf1ff
	s_delay_alu instid0(VALU_DEP_1) | instskip(SKIP_2) | instid1(VALU_DEP_1)
	v_cndmask_b32_e64 v22, 0x7f800000, v22, s0
	v_cmp_gt_f32_e64 s0, 0x33800000, |v24|
	s_wait_alu 0xf1ff
	v_cndmask_b32_e64 v22, v22, v24, s0
	s_delay_alu instid0(VALU_DEP_1)
	v_add_f32_e32 v22, v21, v22
.LBB129_48:
	s_or_b32 exec_lo, exec_lo, s16
	s_delay_alu instid0(VALU_DEP_1)
	v_mov_b32_e32 v21, v22
.LBB129_49:
	s_wait_alu 0xfffe
	s_or_b32 exec_lo, exec_lo, s13
	s_delay_alu instid0(VALU_DEP_1)
	v_mov_b32_dpp v22, v21 row_shr:2 row_mask:0xf bank_mask:0xf
	s_mov_b32 s13, exec_lo
	v_cmpx_lt_u32_e32 1, v20
	s_cbranch_execz .LBB129_53
; %bb.50:
	s_delay_alu instid0(VALU_DEP_2) | instskip(SKIP_1) | instid1(VALU_DEP_2)
	v_dual_max_num_f32 v23, v21, v21 :: v_dual_max_num_f32 v24, v22, v22
	v_cmp_u_f32_e64 s0, v22, v22
	v_min_num_f32_e32 v25, v24, v23
	v_max_num_f32_e32 v23, v24, v23
	s_wait_alu 0xf1ff
	s_delay_alu instid0(VALU_DEP_2) | instskip(NEXT) | instid1(VALU_DEP_2)
	v_cndmask_b32_e64 v24, v25, v22, s0
	v_cndmask_b32_e64 v25, v23, v22, s0
	v_cmp_u_f32_e64 s0, v21, v21
	s_wait_alu 0xf1ff
	s_delay_alu instid0(VALU_DEP_1) | instskip(NEXT) | instid1(VALU_DEP_3)
	v_cndmask_b32_e64 v23, v24, v21, s0
	v_cndmask_b32_e64 v21, v25, v21, s0
	s_delay_alu instid0(VALU_DEP_2) | instskip(NEXT) | instid1(VALU_DEP_2)
	v_cmp_class_f32_e64 s16, v23, 0x1f8
	v_cmp_neq_f32_e64 s0, v23, v21
	s_or_b32 s0, s0, s16
	s_wait_alu 0xfffe
	s_and_saveexec_b32 s16, s0
	s_cbranch_execz .LBB129_52
; %bb.51:
	v_sub_f32_e32 v22, v23, v21
	s_delay_alu instid0(VALU_DEP_1) | instskip(SKIP_1) | instid1(VALU_DEP_2)
	v_mul_f32_e32 v23, 0x3fb8aa3b, v22
	v_cmp_ngt_f32_e64 s0, 0xc2ce8ed0, v22
	v_fma_f32 v24, 0x3fb8aa3b, v22, -v23
	v_rndne_f32_e32 v25, v23
	s_delay_alu instid0(VALU_DEP_1) | instskip(NEXT) | instid1(VALU_DEP_1)
	v_dual_fmamk_f32 v24, v22, 0x32a5705f, v24 :: v_dual_sub_f32 v23, v23, v25
	v_add_f32_e32 v23, v23, v24
	v_cvt_i32_f32_e32 v24, v25
	s_delay_alu instid0(VALU_DEP_2) | instskip(NEXT) | instid1(TRANS32_DEP_1)
	v_exp_f32_e32 v23, v23
	v_ldexp_f32 v23, v23, v24
	s_wait_alu 0xf1ff
	s_delay_alu instid0(VALU_DEP_1) | instskip(SKIP_2) | instid1(VALU_DEP_1)
	v_cndmask_b32_e64 v23, 0, v23, s0
	v_cmp_nlt_f32_e64 s0, 0x42b17218, v22
	s_wait_alu 0xf1ff
	v_cndmask_b32_e64 v24, 0x7f800000, v23, s0
	s_delay_alu instid0(VALU_DEP_1) | instskip(NEXT) | instid1(VALU_DEP_1)
	v_add_f32_e32 v25, 1.0, v24
	v_cvt_f64_f32_e32 v[22:23], v25
	s_delay_alu instid0(VALU_DEP_1) | instskip(SKIP_1) | instid1(VALU_DEP_1)
	v_frexp_exp_i32_f64_e32 v22, v[22:23]
	v_frexp_mant_f32_e32 v23, v25
	v_cmp_gt_f32_e64 s0, 0x3f2aaaab, v23
	v_add_f32_e32 v23, -1.0, v25
	s_delay_alu instid0(VALU_DEP_1)
	v_sub_f32_e32 v27, v23, v25
	v_sub_f32_e32 v23, v24, v23
	s_wait_alu 0xf1ff
	v_subrev_co_ci_u32_e64 v22, null, 0, v22, s0
	s_mov_b32 s0, 0x3e9b6dac
	v_sub_nc_u32_e32 v26, 0, v22
	v_cvt_f32_i32_e32 v22, v22
	s_delay_alu instid0(VALU_DEP_2) | instskip(NEXT) | instid1(VALU_DEP_1)
	v_ldexp_f32 v25, v25, v26
	v_dual_add_f32 v28, 1.0, v25 :: v_dual_add_f32 v27, 1.0, v27
	s_delay_alu instid0(VALU_DEP_1) | instskip(NEXT) | instid1(VALU_DEP_2)
	v_add_f32_e32 v23, v23, v27
	v_add_f32_e32 v27, -1.0, v28
	s_delay_alu instid0(VALU_DEP_2) | instskip(NEXT) | instid1(VALU_DEP_2)
	v_ldexp_f32 v23, v23, v26
	v_dual_add_f32 v26, -1.0, v25 :: v_dual_sub_f32 v27, v25, v27
	s_delay_alu instid0(VALU_DEP_1) | instskip(NEXT) | instid1(VALU_DEP_2)
	v_add_f32_e32 v29, 1.0, v26
	v_add_f32_e32 v27, v23, v27
	s_delay_alu instid0(VALU_DEP_2) | instskip(NEXT) | instid1(VALU_DEP_2)
	v_sub_f32_e32 v25, v25, v29
	v_add_f32_e32 v29, v28, v27
	s_delay_alu instid0(VALU_DEP_2) | instskip(NEXT) | instid1(VALU_DEP_2)
	v_add_f32_e32 v23, v23, v25
	v_rcp_f32_e32 v25, v29
	v_sub_f32_e32 v28, v28, v29
	s_delay_alu instid0(VALU_DEP_1) | instskip(NEXT) | instid1(VALU_DEP_1)
	v_dual_add_f32 v30, v26, v23 :: v_dual_add_f32 v27, v27, v28
	v_sub_f32_e32 v26, v26, v30
	s_delay_alu instid0(TRANS32_DEP_1) | instskip(NEXT) | instid1(VALU_DEP_1)
	v_mul_f32_e32 v31, v30, v25
	v_dual_add_f32 v23, v23, v26 :: v_dual_mul_f32 v32, v29, v31
	s_delay_alu instid0(VALU_DEP_1) | instskip(NEXT) | instid1(VALU_DEP_1)
	v_fma_f32 v28, v31, v29, -v32
	v_fmac_f32_e32 v28, v31, v27
	s_delay_alu instid0(VALU_DEP_1) | instskip(NEXT) | instid1(VALU_DEP_1)
	v_add_f32_e32 v33, v32, v28
	v_sub_f32_e32 v34, v30, v33
	v_sub_f32_e32 v26, v33, v32
	s_delay_alu instid0(VALU_DEP_2) | instskip(NEXT) | instid1(VALU_DEP_2)
	v_sub_f32_e32 v30, v30, v34
	v_sub_f32_e32 v26, v26, v28
	s_delay_alu instid0(VALU_DEP_2) | instskip(NEXT) | instid1(VALU_DEP_1)
	v_sub_f32_e32 v30, v30, v33
	v_add_f32_e32 v23, v23, v30
	s_delay_alu instid0(VALU_DEP_1) | instskip(NEXT) | instid1(VALU_DEP_1)
	v_add_f32_e32 v23, v26, v23
	v_add_f32_e32 v26, v34, v23
	s_delay_alu instid0(VALU_DEP_1) | instskip(NEXT) | instid1(VALU_DEP_1)
	v_mul_f32_e32 v28, v25, v26
	v_dual_sub_f32 v33, v34, v26 :: v_dual_mul_f32 v30, v29, v28
	s_delay_alu instid0(VALU_DEP_1) | instskip(NEXT) | instid1(VALU_DEP_2)
	v_add_f32_e32 v23, v23, v33
	v_fma_f32 v29, v28, v29, -v30
	s_delay_alu instid0(VALU_DEP_1) | instskip(NEXT) | instid1(VALU_DEP_1)
	v_fmac_f32_e32 v29, v28, v27
	v_add_f32_e32 v27, v30, v29
	s_delay_alu instid0(VALU_DEP_1) | instskip(SKIP_1) | instid1(VALU_DEP_2)
	v_sub_f32_e32 v32, v26, v27
	v_sub_f32_e32 v30, v27, v30
	;; [unrolled: 1-line block ×3, first 2 shown]
	s_delay_alu instid0(VALU_DEP_1) | instskip(NEXT) | instid1(VALU_DEP_3)
	v_sub_f32_e32 v26, v26, v27
	v_sub_f32_e32 v27, v30, v29
	s_delay_alu instid0(VALU_DEP_2) | instskip(SKIP_1) | instid1(VALU_DEP_2)
	v_add_f32_e32 v23, v23, v26
	v_add_f32_e32 v26, v31, v28
	;; [unrolled: 1-line block ×3, first 2 shown]
	s_delay_alu instid0(VALU_DEP_2) | instskip(NEXT) | instid1(VALU_DEP_2)
	v_sub_f32_e32 v27, v26, v31
	v_add_f32_e32 v23, v32, v23
	s_delay_alu instid0(VALU_DEP_2) | instskip(NEXT) | instid1(VALU_DEP_2)
	v_sub_f32_e32 v27, v28, v27
	v_mul_f32_e32 v23, v25, v23
	s_delay_alu instid0(VALU_DEP_1) | instskip(NEXT) | instid1(VALU_DEP_1)
	v_add_f32_e32 v23, v27, v23
	v_add_f32_e32 v25, v26, v23
	s_delay_alu instid0(VALU_DEP_1) | instskip(SKIP_1) | instid1(VALU_DEP_1)
	v_mul_f32_e32 v27, v25, v25
	s_wait_alu 0xfffe
	v_fmaak_f32 v28, s0, v27, 0x3ecc95a3
	v_mul_f32_e32 v29, v25, v27
	v_cmp_neq_f32_e64 s0, 0x7f800000, v24
	s_delay_alu instid0(VALU_DEP_3) | instskip(SKIP_2) | instid1(VALU_DEP_3)
	v_fmaak_f32 v27, v27, v28, 0x3f2aaada
	v_ldexp_f32 v28, v25, 1
	v_sub_f32_e32 v25, v25, v26
	v_mul_f32_e32 v27, v29, v27
	v_mul_f32_e32 v29, 0x3f317218, v22
	s_delay_alu instid0(VALU_DEP_2) | instskip(NEXT) | instid1(VALU_DEP_1)
	v_dual_sub_f32 v23, v23, v25 :: v_dual_add_f32 v26, v28, v27
	v_ldexp_f32 v23, v23, 1
	s_delay_alu instid0(VALU_DEP_2) | instskip(NEXT) | instid1(VALU_DEP_4)
	v_sub_f32_e32 v25, v26, v28
	v_fma_f32 v28, 0x3f317218, v22, -v29
	s_delay_alu instid0(VALU_DEP_1) | instskip(NEXT) | instid1(VALU_DEP_1)
	v_dual_sub_f32 v25, v27, v25 :: v_dual_fmamk_f32 v22, v22, 0xb102e308, v28
	v_add_f32_e32 v23, v23, v25
	s_delay_alu instid0(VALU_DEP_2) | instskip(NEXT) | instid1(VALU_DEP_2)
	v_add_f32_e32 v25, v29, v22
	v_add_f32_e32 v27, v26, v23
	s_delay_alu instid0(VALU_DEP_2) | instskip(NEXT) | instid1(VALU_DEP_2)
	v_sub_f32_e32 v29, v25, v29
	v_add_f32_e32 v28, v25, v27
	v_sub_f32_e32 v26, v27, v26
	s_delay_alu instid0(VALU_DEP_3) | instskip(NEXT) | instid1(VALU_DEP_2)
	v_sub_f32_e32 v22, v22, v29
	v_dual_sub_f32 v30, v28, v25 :: v_dual_sub_f32 v23, v23, v26
	s_delay_alu instid0(VALU_DEP_1) | instskip(NEXT) | instid1(VALU_DEP_2)
	v_sub_f32_e32 v31, v28, v30
	v_dual_sub_f32 v26, v27, v30 :: v_dual_add_f32 v27, v22, v23
	s_delay_alu instid0(VALU_DEP_2) | instskip(NEXT) | instid1(VALU_DEP_1)
	v_sub_f32_e32 v25, v25, v31
	v_dual_add_f32 v25, v26, v25 :: v_dual_sub_f32 v26, v27, v22
	s_delay_alu instid0(VALU_DEP_1) | instskip(NEXT) | instid1(VALU_DEP_2)
	v_add_f32_e32 v25, v27, v25
	v_sub_f32_e32 v27, v27, v26
	v_sub_f32_e32 v23, v23, v26
	s_delay_alu instid0(VALU_DEP_2) | instskip(NEXT) | instid1(VALU_DEP_1)
	v_dual_add_f32 v29, v28, v25 :: v_dual_sub_f32 v22, v22, v27
	v_sub_f32_e32 v26, v29, v28
	s_delay_alu instid0(VALU_DEP_2) | instskip(NEXT) | instid1(VALU_DEP_2)
	v_add_f32_e32 v22, v23, v22
	v_sub_f32_e32 v23, v25, v26
	s_delay_alu instid0(VALU_DEP_1) | instskip(NEXT) | instid1(VALU_DEP_1)
	v_add_f32_e32 v22, v22, v23
	v_add_f32_e32 v22, v29, v22
	s_wait_alu 0xf1ff
	s_delay_alu instid0(VALU_DEP_1) | instskip(SKIP_2) | instid1(VALU_DEP_1)
	v_cndmask_b32_e64 v22, 0x7f800000, v22, s0
	v_cmp_gt_f32_e64 s0, 0x33800000, |v24|
	s_wait_alu 0xf1ff
	v_cndmask_b32_e64 v22, v22, v24, s0
	s_delay_alu instid0(VALU_DEP_1)
	v_add_f32_e32 v22, v21, v22
.LBB129_52:
	s_or_b32 exec_lo, exec_lo, s16
	s_delay_alu instid0(VALU_DEP_1)
	v_mov_b32_e32 v21, v22
.LBB129_53:
	s_wait_alu 0xfffe
	s_or_b32 exec_lo, exec_lo, s13
	s_delay_alu instid0(VALU_DEP_1)
	v_mov_b32_dpp v22, v21 row_shr:4 row_mask:0xf bank_mask:0xf
	s_mov_b32 s13, exec_lo
	v_cmpx_lt_u32_e32 3, v20
	s_cbranch_execz .LBB129_57
; %bb.54:
	s_delay_alu instid0(VALU_DEP_2) | instskip(SKIP_1) | instid1(VALU_DEP_2)
	v_dual_max_num_f32 v20, v21, v21 :: v_dual_max_num_f32 v23, v22, v22
	v_cmp_u_f32_e64 s0, v22, v22
	v_min_num_f32_e32 v24, v23, v20
	v_max_num_f32_e32 v20, v23, v20
	s_wait_alu 0xf1ff
	s_delay_alu instid0(VALU_DEP_2) | instskip(NEXT) | instid1(VALU_DEP_2)
	v_cndmask_b32_e64 v23, v24, v22, s0
	v_cndmask_b32_e64 v20, v20, v22, s0
	v_cmp_u_f32_e64 s0, v21, v21
	s_wait_alu 0xf1ff
	s_delay_alu instid0(VALU_DEP_1) | instskip(NEXT) | instid1(VALU_DEP_3)
	v_cndmask_b32_e64 v23, v23, v21, s0
	v_cndmask_b32_e64 v20, v20, v21, s0
	s_delay_alu instid0(VALU_DEP_2) | instskip(NEXT) | instid1(VALU_DEP_2)
	v_cmp_class_f32_e64 s16, v23, 0x1f8
	v_cmp_neq_f32_e64 s0, v23, v20
	s_or_b32 s0, s0, s16
	s_wait_alu 0xfffe
	s_and_saveexec_b32 s16, s0
	s_cbranch_execz .LBB129_56
; %bb.55:
	v_sub_f32_e32 v21, v23, v20
	s_delay_alu instid0(VALU_DEP_1) | instskip(NEXT) | instid1(VALU_DEP_1)
	v_mul_f32_e32 v22, 0x3fb8aa3b, v21
	v_fma_f32 v23, 0x3fb8aa3b, v21, -v22
	v_rndne_f32_e32 v24, v22
	s_delay_alu instid0(VALU_DEP_1) | instskip(NEXT) | instid1(VALU_DEP_1)
	v_dual_fmamk_f32 v23, v21, 0x32a5705f, v23 :: v_dual_sub_f32 v22, v22, v24
	v_add_f32_e32 v22, v22, v23
	v_cvt_i32_f32_e32 v23, v24
	v_cmp_ngt_f32_e64 s0, 0xc2ce8ed0, v21
	s_delay_alu instid0(VALU_DEP_3) | instskip(NEXT) | instid1(TRANS32_DEP_1)
	v_exp_f32_e32 v22, v22
	v_ldexp_f32 v22, v22, v23
	s_wait_alu 0xf1ff
	s_delay_alu instid0(VALU_DEP_1) | instskip(SKIP_2) | instid1(VALU_DEP_1)
	v_cndmask_b32_e64 v22, 0, v22, s0
	v_cmp_nlt_f32_e64 s0, 0x42b17218, v21
	s_wait_alu 0xf1ff
	v_cndmask_b32_e64 v23, 0x7f800000, v22, s0
	s_delay_alu instid0(VALU_DEP_1) | instskip(NEXT) | instid1(VALU_DEP_1)
	v_add_f32_e32 v24, 1.0, v23
	v_cvt_f64_f32_e32 v[21:22], v24
	s_delay_alu instid0(VALU_DEP_1) | instskip(SKIP_1) | instid1(VALU_DEP_1)
	v_frexp_exp_i32_f64_e32 v21, v[21:22]
	v_frexp_mant_f32_e32 v22, v24
	v_cmp_gt_f32_e64 s0, 0x3f2aaaab, v22
	v_add_f32_e32 v22, -1.0, v24
	s_delay_alu instid0(VALU_DEP_1) | instskip(SKIP_1) | instid1(VALU_DEP_3)
	v_sub_f32_e32 v26, v22, v24
	s_wait_alu 0xf1ff
	v_subrev_co_ci_u32_e64 v21, null, 0, v21, s0
	s_mov_b32 s0, 0x3e9b6dac
	v_sub_nc_u32_e32 v25, 0, v21
	v_cvt_f32_i32_e32 v21, v21
	s_delay_alu instid0(VALU_DEP_2) | instskip(NEXT) | instid1(VALU_DEP_1)
	v_ldexp_f32 v24, v24, v25
	v_dual_sub_f32 v22, v23, v22 :: v_dual_add_f32 v27, 1.0, v24
	v_add_f32_e32 v26, 1.0, v26
	s_delay_alu instid0(VALU_DEP_1) | instskip(NEXT) | instid1(VALU_DEP_3)
	v_add_f32_e32 v22, v22, v26
	v_add_f32_e32 v26, -1.0, v27
	s_delay_alu instid0(VALU_DEP_2) | instskip(NEXT) | instid1(VALU_DEP_2)
	v_ldexp_f32 v22, v22, v25
	v_dual_add_f32 v25, -1.0, v24 :: v_dual_sub_f32 v26, v24, v26
	s_delay_alu instid0(VALU_DEP_1) | instskip(NEXT) | instid1(VALU_DEP_2)
	v_add_f32_e32 v28, 1.0, v25
	v_add_f32_e32 v26, v22, v26
	s_delay_alu instid0(VALU_DEP_2) | instskip(NEXT) | instid1(VALU_DEP_2)
	v_sub_f32_e32 v24, v24, v28
	v_add_f32_e32 v28, v27, v26
	s_delay_alu instid0(VALU_DEP_2) | instskip(NEXT) | instid1(VALU_DEP_2)
	v_add_f32_e32 v22, v22, v24
	v_rcp_f32_e32 v24, v28
	v_sub_f32_e32 v27, v27, v28
	s_delay_alu instid0(VALU_DEP_1) | instskip(NEXT) | instid1(VALU_DEP_1)
	v_dual_add_f32 v29, v25, v22 :: v_dual_add_f32 v26, v26, v27
	v_sub_f32_e32 v25, v25, v29
	s_delay_alu instid0(TRANS32_DEP_1) | instskip(NEXT) | instid1(VALU_DEP_1)
	v_mul_f32_e32 v30, v29, v24
	v_dual_add_f32 v22, v22, v25 :: v_dual_mul_f32 v31, v28, v30
	s_delay_alu instid0(VALU_DEP_1) | instskip(NEXT) | instid1(VALU_DEP_1)
	v_fma_f32 v27, v30, v28, -v31
	v_fmac_f32_e32 v27, v30, v26
	s_delay_alu instid0(VALU_DEP_1) | instskip(NEXT) | instid1(VALU_DEP_1)
	v_add_f32_e32 v32, v31, v27
	v_sub_f32_e32 v33, v29, v32
	v_sub_f32_e32 v25, v32, v31
	s_delay_alu instid0(VALU_DEP_2) | instskip(NEXT) | instid1(VALU_DEP_2)
	v_sub_f32_e32 v29, v29, v33
	v_sub_f32_e32 v25, v25, v27
	s_delay_alu instid0(VALU_DEP_2) | instskip(NEXT) | instid1(VALU_DEP_1)
	v_sub_f32_e32 v29, v29, v32
	v_add_f32_e32 v22, v22, v29
	s_delay_alu instid0(VALU_DEP_1) | instskip(NEXT) | instid1(VALU_DEP_1)
	v_add_f32_e32 v22, v25, v22
	v_add_f32_e32 v25, v33, v22
	s_delay_alu instid0(VALU_DEP_1) | instskip(NEXT) | instid1(VALU_DEP_1)
	v_mul_f32_e32 v27, v24, v25
	v_dual_sub_f32 v32, v33, v25 :: v_dual_mul_f32 v29, v28, v27
	s_delay_alu instid0(VALU_DEP_1) | instskip(NEXT) | instid1(VALU_DEP_2)
	v_add_f32_e32 v22, v22, v32
	v_fma_f32 v28, v27, v28, -v29
	s_delay_alu instid0(VALU_DEP_1) | instskip(NEXT) | instid1(VALU_DEP_1)
	v_fmac_f32_e32 v28, v27, v26
	v_add_f32_e32 v26, v29, v28
	s_delay_alu instid0(VALU_DEP_1) | instskip(SKIP_1) | instid1(VALU_DEP_2)
	v_sub_f32_e32 v31, v25, v26
	v_sub_f32_e32 v29, v26, v29
	;; [unrolled: 1-line block ×3, first 2 shown]
	s_delay_alu instid0(VALU_DEP_1) | instskip(NEXT) | instid1(VALU_DEP_3)
	v_sub_f32_e32 v25, v25, v26
	v_sub_f32_e32 v26, v29, v28
	s_delay_alu instid0(VALU_DEP_2) | instskip(SKIP_1) | instid1(VALU_DEP_2)
	v_add_f32_e32 v22, v22, v25
	v_add_f32_e32 v25, v30, v27
	;; [unrolled: 1-line block ×3, first 2 shown]
	s_delay_alu instid0(VALU_DEP_2) | instskip(NEXT) | instid1(VALU_DEP_2)
	v_sub_f32_e32 v26, v25, v30
	v_add_f32_e32 v22, v31, v22
	s_delay_alu instid0(VALU_DEP_2) | instskip(NEXT) | instid1(VALU_DEP_2)
	v_sub_f32_e32 v26, v27, v26
	v_mul_f32_e32 v22, v24, v22
	s_delay_alu instid0(VALU_DEP_1) | instskip(NEXT) | instid1(VALU_DEP_1)
	v_add_f32_e32 v22, v26, v22
	v_add_f32_e32 v24, v25, v22
	s_delay_alu instid0(VALU_DEP_1) | instskip(SKIP_1) | instid1(VALU_DEP_1)
	v_mul_f32_e32 v26, v24, v24
	s_wait_alu 0xfffe
	v_fmaak_f32 v27, s0, v26, 0x3ecc95a3
	v_mul_f32_e32 v28, v24, v26
	v_cmp_neq_f32_e64 s0, 0x7f800000, v23
	s_delay_alu instid0(VALU_DEP_3) | instskip(SKIP_2) | instid1(VALU_DEP_3)
	v_fmaak_f32 v26, v26, v27, 0x3f2aaada
	v_ldexp_f32 v27, v24, 1
	v_sub_f32_e32 v24, v24, v25
	v_mul_f32_e32 v26, v28, v26
	v_mul_f32_e32 v28, 0x3f317218, v21
	s_delay_alu instid0(VALU_DEP_2) | instskip(NEXT) | instid1(VALU_DEP_1)
	v_dual_sub_f32 v22, v22, v24 :: v_dual_add_f32 v25, v27, v26
	v_ldexp_f32 v22, v22, 1
	s_delay_alu instid0(VALU_DEP_2) | instskip(NEXT) | instid1(VALU_DEP_4)
	v_sub_f32_e32 v24, v25, v27
	v_fma_f32 v27, 0x3f317218, v21, -v28
	s_delay_alu instid0(VALU_DEP_1) | instskip(NEXT) | instid1(VALU_DEP_1)
	v_dual_sub_f32 v24, v26, v24 :: v_dual_fmamk_f32 v21, v21, 0xb102e308, v27
	v_add_f32_e32 v22, v22, v24
	s_delay_alu instid0(VALU_DEP_2) | instskip(NEXT) | instid1(VALU_DEP_2)
	v_add_f32_e32 v24, v28, v21
	v_add_f32_e32 v26, v25, v22
	s_delay_alu instid0(VALU_DEP_2) | instskip(NEXT) | instid1(VALU_DEP_2)
	v_sub_f32_e32 v28, v24, v28
	v_add_f32_e32 v27, v24, v26
	v_sub_f32_e32 v25, v26, v25
	s_delay_alu instid0(VALU_DEP_3) | instskip(NEXT) | instid1(VALU_DEP_2)
	v_sub_f32_e32 v21, v21, v28
	v_dual_sub_f32 v29, v27, v24 :: v_dual_sub_f32 v22, v22, v25
	s_delay_alu instid0(VALU_DEP_1) | instskip(NEXT) | instid1(VALU_DEP_2)
	v_sub_f32_e32 v30, v27, v29
	v_dual_sub_f32 v25, v26, v29 :: v_dual_add_f32 v26, v21, v22
	s_delay_alu instid0(VALU_DEP_2) | instskip(NEXT) | instid1(VALU_DEP_1)
	v_sub_f32_e32 v24, v24, v30
	v_dual_add_f32 v24, v25, v24 :: v_dual_sub_f32 v25, v26, v21
	s_delay_alu instid0(VALU_DEP_1) | instskip(NEXT) | instid1(VALU_DEP_2)
	v_add_f32_e32 v24, v26, v24
	v_sub_f32_e32 v26, v26, v25
	v_sub_f32_e32 v22, v22, v25
	s_delay_alu instid0(VALU_DEP_2) | instskip(NEXT) | instid1(VALU_DEP_1)
	v_dual_add_f32 v28, v27, v24 :: v_dual_sub_f32 v21, v21, v26
	v_sub_f32_e32 v25, v28, v27
	s_delay_alu instid0(VALU_DEP_2) | instskip(NEXT) | instid1(VALU_DEP_2)
	v_add_f32_e32 v21, v22, v21
	v_sub_f32_e32 v22, v24, v25
	s_delay_alu instid0(VALU_DEP_1) | instskip(NEXT) | instid1(VALU_DEP_1)
	v_add_f32_e32 v21, v21, v22
	v_add_f32_e32 v21, v28, v21
	s_wait_alu 0xf1ff
	s_delay_alu instid0(VALU_DEP_1) | instskip(SKIP_2) | instid1(VALU_DEP_1)
	v_cndmask_b32_e64 v21, 0x7f800000, v21, s0
	v_cmp_gt_f32_e64 s0, 0x33800000, |v23|
	s_wait_alu 0xf1ff
	v_cndmask_b32_e64 v21, v21, v23, s0
	s_delay_alu instid0(VALU_DEP_1)
	v_add_f32_e32 v22, v20, v21
.LBB129_56:
	s_or_b32 exec_lo, exec_lo, s16
	s_delay_alu instid0(VALU_DEP_1)
	v_mov_b32_e32 v21, v22
.LBB129_57:
	s_wait_alu 0xfffe
	s_or_b32 exec_lo, exec_lo, s13
	ds_store_b32 v7, v21
.LBB129_58:
	s_wait_alu 0xfffe
	s_or_b32 exec_lo, exec_lo, s1
	s_delay_alu instid0(SALU_CYCLE_1)
	s_mov_b32 s1, exec_lo
	s_wait_loadcnt_dscnt 0x0
	s_barrier_signal -1
	s_barrier_wait -1
	global_inv scope:SCOPE_SE
                                        ; implicit-def: $vgpr20
	v_cmpx_lt_u32_e32 31, v0
	s_cbranch_execz .LBB129_62
; %bb.59:
	v_lshl_add_u32 v19, v19, 2, -4
	ds_load_b32 v20, v19
	v_max_num_f32_e32 v19, v18, v18
	s_wait_dscnt 0x0
	v_max_num_f32_e32 v21, v20, v20
	v_cmp_u_f32_e64 s0, v20, v20
	s_delay_alu instid0(VALU_DEP_2) | instskip(SKIP_2) | instid1(VALU_DEP_2)
	v_min_num_f32_e32 v22, v21, v19
	v_max_num_f32_e32 v19, v21, v19
	s_wait_alu 0xf1ff
	v_cndmask_b32_e64 v21, v22, v20, s0
	s_delay_alu instid0(VALU_DEP_2) | instskip(SKIP_2) | instid1(VALU_DEP_1)
	v_cndmask_b32_e64 v19, v19, v20, s0
	v_cmp_u_f32_e64 s0, v18, v18
	s_wait_alu 0xf1ff
	v_cndmask_b32_e64 v21, v21, v18, s0
	s_delay_alu instid0(VALU_DEP_3) | instskip(SKIP_1) | instid1(VALU_DEP_3)
	v_cndmask_b32_e64 v19, v19, v18, s0
	v_mov_b32_e32 v18, v20
	v_cmp_class_f32_e64 s13, v21, 0x1f8
	s_delay_alu instid0(VALU_DEP_3)
	v_cmp_neq_f32_e64 s0, v21, v19
	s_or_b32 s0, s0, s13
	s_wait_alu 0xfffe
	s_and_saveexec_b32 s13, s0
	s_cbranch_execz .LBB129_61
; %bb.60:
	v_sub_f32_e32 v18, v21, v19
	s_delay_alu instid0(VALU_DEP_1) | instskip(SKIP_1) | instid1(VALU_DEP_2)
	v_mul_f32_e32 v21, 0x3fb8aa3b, v18
	v_cmp_ngt_f32_e64 s0, 0xc2ce8ed0, v18
	v_fma_f32 v22, 0x3fb8aa3b, v18, -v21
	v_rndne_f32_e32 v23, v21
	s_delay_alu instid0(VALU_DEP_1) | instskip(NEXT) | instid1(VALU_DEP_1)
	v_dual_fmamk_f32 v22, v18, 0x32a5705f, v22 :: v_dual_sub_f32 v21, v21, v23
	v_add_f32_e32 v21, v21, v22
	v_cvt_i32_f32_e32 v22, v23
	s_delay_alu instid0(VALU_DEP_2) | instskip(NEXT) | instid1(TRANS32_DEP_1)
	v_exp_f32_e32 v21, v21
	v_ldexp_f32 v21, v21, v22
	s_wait_alu 0xf1ff
	s_delay_alu instid0(VALU_DEP_1) | instskip(SKIP_2) | instid1(VALU_DEP_1)
	v_cndmask_b32_e64 v21, 0, v21, s0
	v_cmp_nlt_f32_e64 s0, 0x42b17218, v18
	s_wait_alu 0xf1ff
	v_cndmask_b32_e64 v18, 0x7f800000, v21, s0
	s_delay_alu instid0(VALU_DEP_1) | instskip(NEXT) | instid1(VALU_DEP_1)
	v_add_f32_e32 v23, 1.0, v18
	v_cvt_f64_f32_e32 v[21:22], v23
	s_delay_alu instid0(VALU_DEP_1) | instskip(SKIP_1) | instid1(VALU_DEP_1)
	v_frexp_exp_i32_f64_e32 v21, v[21:22]
	v_frexp_mant_f32_e32 v22, v23
	v_cmp_gt_f32_e64 s0, 0x3f2aaaab, v22
	v_add_f32_e32 v22, -1.0, v23
	s_delay_alu instid0(VALU_DEP_1) | instskip(NEXT) | instid1(VALU_DEP_1)
	v_sub_f32_e32 v25, v22, v23
	v_dual_sub_f32 v22, v18, v22 :: v_dual_add_f32 v25, 1.0, v25
	s_delay_alu instid0(VALU_DEP_1)
	v_add_f32_e32 v22, v22, v25
	s_wait_alu 0xf1ff
	v_subrev_co_ci_u32_e64 v21, null, 0, v21, s0
	s_mov_b32 s0, 0x3e9b6dac
	v_sub_nc_u32_e32 v24, 0, v21
	v_cvt_f32_i32_e32 v21, v21
	s_delay_alu instid0(VALU_DEP_2) | instskip(SKIP_1) | instid1(VALU_DEP_2)
	v_ldexp_f32 v23, v23, v24
	v_ldexp_f32 v22, v22, v24
	v_add_f32_e32 v26, 1.0, v23
	s_delay_alu instid0(VALU_DEP_1) | instskip(NEXT) | instid1(VALU_DEP_1)
	v_dual_add_f32 v24, -1.0, v23 :: v_dual_add_f32 v25, -1.0, v26
	v_add_f32_e32 v27, 1.0, v24
	s_delay_alu instid0(VALU_DEP_2) | instskip(NEXT) | instid1(VALU_DEP_2)
	v_sub_f32_e32 v25, v23, v25
	v_sub_f32_e32 v23, v23, v27
	s_delay_alu instid0(VALU_DEP_2) | instskip(NEXT) | instid1(VALU_DEP_2)
	v_add_f32_e32 v25, v22, v25
	v_add_f32_e32 v22, v22, v23
	s_delay_alu instid0(VALU_DEP_1) | instskip(NEXT) | instid1(VALU_DEP_1)
	v_dual_add_f32 v28, v24, v22 :: v_dual_add_f32 v27, v26, v25
	v_sub_f32_e32 v24, v24, v28
	s_delay_alu instid0(VALU_DEP_2) | instskip(SKIP_1) | instid1(VALU_DEP_1)
	v_rcp_f32_e32 v23, v27
	v_sub_f32_e32 v26, v26, v27
	v_dual_add_f32 v22, v22, v24 :: v_dual_add_f32 v25, v25, v26
	s_delay_alu instid0(TRANS32_DEP_1) | instskip(NEXT) | instid1(VALU_DEP_1)
	v_mul_f32_e32 v29, v28, v23
	v_mul_f32_e32 v30, v27, v29
	s_delay_alu instid0(VALU_DEP_1) | instskip(NEXT) | instid1(VALU_DEP_1)
	v_fma_f32 v26, v29, v27, -v30
	v_fmac_f32_e32 v26, v29, v25
	s_delay_alu instid0(VALU_DEP_1) | instskip(NEXT) | instid1(VALU_DEP_1)
	v_add_f32_e32 v31, v30, v26
	v_sub_f32_e32 v32, v28, v31
	s_delay_alu instid0(VALU_DEP_1) | instskip(SKIP_1) | instid1(VALU_DEP_2)
	v_sub_f32_e32 v28, v28, v32
	v_sub_f32_e32 v24, v31, v30
	v_sub_f32_e32 v28, v28, v31
	s_delay_alu instid0(VALU_DEP_2) | instskip(NEXT) | instid1(VALU_DEP_2)
	v_sub_f32_e32 v24, v24, v26
	v_add_f32_e32 v22, v22, v28
	s_delay_alu instid0(VALU_DEP_1) | instskip(NEXT) | instid1(VALU_DEP_1)
	v_add_f32_e32 v22, v24, v22
	v_add_f32_e32 v24, v32, v22
	s_delay_alu instid0(VALU_DEP_1) | instskip(NEXT) | instid1(VALU_DEP_1)
	v_mul_f32_e32 v26, v23, v24
	v_dual_sub_f32 v31, v32, v24 :: v_dual_mul_f32 v28, v27, v26
	s_delay_alu instid0(VALU_DEP_1) | instskip(NEXT) | instid1(VALU_DEP_2)
	v_add_f32_e32 v22, v22, v31
	v_fma_f32 v27, v26, v27, -v28
	s_delay_alu instid0(VALU_DEP_1) | instskip(NEXT) | instid1(VALU_DEP_1)
	v_fmac_f32_e32 v27, v26, v25
	v_add_f32_e32 v25, v28, v27
	s_delay_alu instid0(VALU_DEP_1) | instskip(SKIP_1) | instid1(VALU_DEP_2)
	v_sub_f32_e32 v30, v24, v25
	v_sub_f32_e32 v28, v25, v28
	;; [unrolled: 1-line block ×3, first 2 shown]
	s_delay_alu instid0(VALU_DEP_1) | instskip(NEXT) | instid1(VALU_DEP_1)
	v_sub_f32_e32 v24, v24, v25
	v_dual_sub_f32 v25, v28, v27 :: v_dual_add_f32 v22, v22, v24
	v_add_f32_e32 v24, v29, v26
	s_delay_alu instid0(VALU_DEP_1) | instskip(NEXT) | instid1(VALU_DEP_1)
	v_dual_add_f32 v22, v25, v22 :: v_dual_sub_f32 v25, v24, v29
	v_add_f32_e32 v22, v30, v22
	s_delay_alu instid0(VALU_DEP_1) | instskip(NEXT) | instid1(VALU_DEP_1)
	v_dual_sub_f32 v25, v26, v25 :: v_dual_mul_f32 v22, v23, v22
	v_add_f32_e32 v22, v25, v22
	s_delay_alu instid0(VALU_DEP_1) | instskip(NEXT) | instid1(VALU_DEP_1)
	v_add_f32_e32 v23, v24, v22
	v_mul_f32_e32 v25, v23, v23
	s_wait_alu 0xfffe
	s_delay_alu instid0(VALU_DEP_1) | instskip(SKIP_2) | instid1(VALU_DEP_3)
	v_fmaak_f32 v26, s0, v25, 0x3ecc95a3
	v_mul_f32_e32 v27, v23, v25
	v_cmp_neq_f32_e64 s0, 0x7f800000, v18
	v_fmaak_f32 v25, v25, v26, 0x3f2aaada
	v_ldexp_f32 v26, v23, 1
	v_sub_f32_e32 v23, v23, v24
	s_delay_alu instid0(VALU_DEP_3) | instskip(NEXT) | instid1(VALU_DEP_2)
	v_mul_f32_e32 v25, v27, v25
	v_dual_mul_f32 v27, 0x3f317218, v21 :: v_dual_sub_f32 v22, v22, v23
	s_delay_alu instid0(VALU_DEP_2) | instskip(NEXT) | instid1(VALU_DEP_2)
	v_add_f32_e32 v24, v26, v25
	v_ldexp_f32 v22, v22, 1
	s_delay_alu instid0(VALU_DEP_2) | instskip(NEXT) | instid1(VALU_DEP_4)
	v_sub_f32_e32 v23, v24, v26
	v_fma_f32 v26, 0x3f317218, v21, -v27
	s_delay_alu instid0(VALU_DEP_2) | instskip(NEXT) | instid1(VALU_DEP_1)
	v_sub_f32_e32 v23, v25, v23
	v_dual_fmamk_f32 v21, v21, 0xb102e308, v26 :: v_dual_add_f32 v22, v22, v23
	s_delay_alu instid0(VALU_DEP_1) | instskip(NEXT) | instid1(VALU_DEP_1)
	v_add_f32_e32 v23, v27, v21
	v_sub_f32_e32 v27, v23, v27
	s_delay_alu instid0(VALU_DEP_1) | instskip(NEXT) | instid1(VALU_DEP_4)
	v_sub_f32_e32 v21, v21, v27
	v_add_f32_e32 v25, v24, v22
	s_delay_alu instid0(VALU_DEP_1) | instskip(NEXT) | instid1(VALU_DEP_1)
	v_sub_f32_e32 v24, v25, v24
	v_sub_f32_e32 v22, v22, v24
	v_add_f32_e32 v26, v23, v25
	s_delay_alu instid0(VALU_DEP_1) | instskip(NEXT) | instid1(VALU_DEP_1)
	v_sub_f32_e32 v28, v26, v23
	v_sub_f32_e32 v24, v25, v28
	s_delay_alu instid0(VALU_DEP_4) | instskip(SKIP_1) | instid1(VALU_DEP_1)
	v_add_f32_e32 v25, v21, v22
	v_sub_f32_e32 v29, v26, v28
	v_sub_f32_e32 v23, v23, v29
	s_delay_alu instid0(VALU_DEP_1) | instskip(NEXT) | instid1(VALU_DEP_1)
	v_dual_add_f32 v23, v24, v23 :: v_dual_sub_f32 v24, v25, v21
	v_dual_add_f32 v23, v25, v23 :: v_dual_sub_f32 v22, v22, v24
	v_sub_f32_e32 v25, v25, v24
	s_delay_alu instid0(VALU_DEP_2) | instskip(NEXT) | instid1(VALU_DEP_1)
	v_add_f32_e32 v27, v26, v23
	v_dual_sub_f32 v21, v21, v25 :: v_dual_sub_f32 v24, v27, v26
	s_delay_alu instid0(VALU_DEP_1) | instskip(NEXT) | instid1(VALU_DEP_1)
	v_dual_add_f32 v21, v22, v21 :: v_dual_sub_f32 v22, v23, v24
	v_add_f32_e32 v21, v21, v22
	s_delay_alu instid0(VALU_DEP_1) | instskip(SKIP_1) | instid1(VALU_DEP_1)
	v_add_f32_e32 v21, v27, v21
	s_wait_alu 0xf1ff
	v_cndmask_b32_e64 v21, 0x7f800000, v21, s0
	v_cmp_gt_f32_e64 s0, 0x33800000, |v18|
	s_wait_alu 0xf1ff
	s_delay_alu instid0(VALU_DEP_1) | instskip(NEXT) | instid1(VALU_DEP_1)
	v_cndmask_b32_e64 v18, v21, v18, s0
	v_add_f32_e32 v18, v19, v18
.LBB129_61:
	s_wait_alu 0xfffe
	s_or_b32 exec_lo, exec_lo, s13
.LBB129_62:
	s_wait_alu 0xfffe
	s_or_b32 exec_lo, exec_lo, s1
	v_add_nc_u32_e32 v19, -1, v17
	s_mov_b32 s1, exec_lo
	s_delay_alu instid0(VALU_DEP_1) | instskip(SKIP_1) | instid1(VALU_DEP_1)
	v_cmp_gt_i32_e64 s0, 0, v19
	s_wait_alu 0xf1ff
	v_cndmask_b32_e64 v19, v19, v17, s0
	s_delay_alu instid0(VALU_DEP_1)
	v_lshlrev_b32_e32 v19, 2, v19
	ds_bpermute_b32 v18, v19, v18
	v_cmpx_ne_u32_e32 0, v0
	s_cbranch_execz .LBB129_66
; %bb.63:
	v_cmp_eq_u32_e64 s0, 0, v17
	s_wait_dscnt 0x0
	s_wait_alu 0xf1ff
	s_delay_alu instid0(VALU_DEP_1) | instskip(NEXT) | instid1(VALU_DEP_1)
	v_cndmask_b32_e64 v17, v18, v20, s0
	v_max_num_f32_e32 v13, v17, v17
	v_cmp_u_f32_e64 s0, v17, v17
	s_delay_alu instid0(VALU_DEP_2) | instskip(SKIP_2) | instid1(VALU_DEP_2)
	v_min_num_f32_e32 v14, v13, v15
	v_max_num_f32_e32 v13, v13, v15
	s_wait_alu 0xf1ff
	v_cndmask_b32_e64 v14, v14, v17, s0
	s_delay_alu instid0(VALU_DEP_2) | instskip(NEXT) | instid1(VALU_DEP_2)
	v_cndmask_b32_e64 v15, v13, v17, s0
	v_cndmask_b32_e64 v13, v14, v1, s12
	s_delay_alu instid0(VALU_DEP_2) | instskip(NEXT) | instid1(VALU_DEP_2)
	v_cndmask_b32_e64 v1, v15, v1, s12
	v_cmp_class_f32_e64 s12, v13, 0x1f8
	s_delay_alu instid0(VALU_DEP_2)
	v_cmp_neq_f32_e64 s0, v13, v1
	s_or_b32 s0, s0, s12
	s_wait_alu 0xfffe
	s_and_saveexec_b32 s12, s0
	s_cbranch_execz .LBB129_65
; %bb.64:
	v_sub_f32_e32 v13, v13, v1
	s_delay_alu instid0(VALU_DEP_1) | instskip(NEXT) | instid1(VALU_DEP_1)
	v_mul_f32_e32 v14, 0x3fb8aa3b, v13
	v_fma_f32 v15, 0x3fb8aa3b, v13, -v14
	v_rndne_f32_e32 v17, v14
	s_delay_alu instid0(VALU_DEP_1) | instskip(NEXT) | instid1(VALU_DEP_1)
	v_dual_fmamk_f32 v15, v13, 0x32a5705f, v15 :: v_dual_sub_f32 v14, v14, v17
	v_add_f32_e32 v14, v14, v15
	v_cvt_i32_f32_e32 v15, v17
	v_cmp_ngt_f32_e64 s0, 0xc2ce8ed0, v13
	s_delay_alu instid0(VALU_DEP_3) | instskip(NEXT) | instid1(TRANS32_DEP_1)
	v_exp_f32_e32 v14, v14
	v_ldexp_f32 v14, v14, v15
	s_wait_alu 0xf1ff
	s_delay_alu instid0(VALU_DEP_1) | instskip(SKIP_2) | instid1(VALU_DEP_1)
	v_cndmask_b32_e64 v14, 0, v14, s0
	v_cmp_nlt_f32_e64 s0, 0x42b17218, v13
	s_wait_alu 0xf1ff
	v_cndmask_b32_e64 v15, 0x7f800000, v14, s0
	s_delay_alu instid0(VALU_DEP_1) | instskip(NEXT) | instid1(VALU_DEP_1)
	v_add_f32_e32 v17, 1.0, v15
	v_cvt_f64_f32_e32 v[13:14], v17
	s_delay_alu instid0(VALU_DEP_1) | instskip(SKIP_1) | instid1(VALU_DEP_1)
	v_frexp_exp_i32_f64_e32 v13, v[13:14]
	v_frexp_mant_f32_e32 v14, v17
	v_cmp_gt_f32_e64 s0, 0x3f2aaaab, v14
	v_add_f32_e32 v14, -1.0, v17
	s_delay_alu instid0(VALU_DEP_1) | instskip(NEXT) | instid1(VALU_DEP_1)
	v_sub_f32_e32 v19, v14, v17
	v_dual_add_f32 v19, 1.0, v19 :: v_dual_sub_f32 v14, v15, v14
	s_wait_alu 0xf1ff
	v_subrev_co_ci_u32_e64 v13, null, 0, v13, s0
	s_mov_b32 s0, 0x3e9b6dac
	v_sub_nc_u32_e32 v18, 0, v13
	v_cvt_f32_i32_e32 v13, v13
	s_delay_alu instid0(VALU_DEP_2) | instskip(NEXT) | instid1(VALU_DEP_1)
	v_ldexp_f32 v17, v17, v18
	v_add_f32_e32 v20, 1.0, v17
	s_delay_alu instid0(VALU_DEP_1) | instskip(NEXT) | instid1(VALU_DEP_1)
	v_dual_add_f32 v14, v14, v19 :: v_dual_add_f32 v19, -1.0, v20
	v_ldexp_f32 v14, v14, v18
	s_delay_alu instid0(VALU_DEP_2) | instskip(NEXT) | instid1(VALU_DEP_1)
	v_dual_sub_f32 v19, v17, v19 :: v_dual_add_f32 v18, -1.0, v17
	v_add_f32_e32 v19, v14, v19
	s_delay_alu instid0(VALU_DEP_2) | instskip(NEXT) | instid1(VALU_DEP_1)
	v_add_f32_e32 v21, 1.0, v18
	v_sub_f32_e32 v17, v17, v21
	s_delay_alu instid0(VALU_DEP_1) | instskip(NEXT) | instid1(VALU_DEP_1)
	v_add_f32_e32 v14, v14, v17
	v_dual_add_f32 v22, v18, v14 :: v_dual_add_f32 v21, v20, v19
	s_delay_alu instid0(VALU_DEP_1) | instskip(NEXT) | instid1(VALU_DEP_2)
	v_sub_f32_e32 v18, v18, v22
	v_rcp_f32_e32 v17, v21
	v_sub_f32_e32 v20, v20, v21
	s_delay_alu instid0(VALU_DEP_1) | instskip(NEXT) | instid1(TRANS32_DEP_1)
	v_dual_add_f32 v14, v14, v18 :: v_dual_add_f32 v19, v19, v20
	v_mul_f32_e32 v23, v22, v17
	s_delay_alu instid0(VALU_DEP_1) | instskip(NEXT) | instid1(VALU_DEP_1)
	v_mul_f32_e32 v24, v21, v23
	v_fma_f32 v20, v23, v21, -v24
	s_delay_alu instid0(VALU_DEP_1) | instskip(NEXT) | instid1(VALU_DEP_1)
	v_fmac_f32_e32 v20, v23, v19
	v_add_f32_e32 v25, v24, v20
	s_delay_alu instid0(VALU_DEP_1) | instskip(SKIP_1) | instid1(VALU_DEP_2)
	v_sub_f32_e32 v26, v22, v25
	v_sub_f32_e32 v18, v25, v24
	;; [unrolled: 1-line block ×3, first 2 shown]
	s_delay_alu instid0(VALU_DEP_2) | instskip(NEXT) | instid1(VALU_DEP_2)
	v_sub_f32_e32 v18, v18, v20
	v_sub_f32_e32 v22, v22, v25
	s_delay_alu instid0(VALU_DEP_1) | instskip(NEXT) | instid1(VALU_DEP_1)
	v_add_f32_e32 v14, v14, v22
	v_add_f32_e32 v14, v18, v14
	s_delay_alu instid0(VALU_DEP_1) | instskip(NEXT) | instid1(VALU_DEP_1)
	v_add_f32_e32 v18, v26, v14
	v_mul_f32_e32 v20, v17, v18
	s_delay_alu instid0(VALU_DEP_1) | instskip(NEXT) | instid1(VALU_DEP_1)
	v_dual_sub_f32 v25, v26, v18 :: v_dual_mul_f32 v22, v21, v20
	v_add_f32_e32 v14, v14, v25
	s_delay_alu instid0(VALU_DEP_2) | instskip(NEXT) | instid1(VALU_DEP_1)
	v_fma_f32 v21, v20, v21, -v22
	v_fmac_f32_e32 v21, v20, v19
	s_delay_alu instid0(VALU_DEP_1) | instskip(NEXT) | instid1(VALU_DEP_1)
	v_add_f32_e32 v19, v22, v21
	v_sub_f32_e32 v24, v18, v19
	v_sub_f32_e32 v22, v19, v22
	s_delay_alu instid0(VALU_DEP_2) | instskip(NEXT) | instid1(VALU_DEP_1)
	v_sub_f32_e32 v18, v18, v24
	v_sub_f32_e32 v18, v18, v19
	s_delay_alu instid0(VALU_DEP_3) | instskip(NEXT) | instid1(VALU_DEP_2)
	v_sub_f32_e32 v19, v22, v21
	v_add_f32_e32 v14, v14, v18
	v_add_f32_e32 v18, v23, v20
	s_delay_alu instid0(VALU_DEP_1) | instskip(NEXT) | instid1(VALU_DEP_1)
	v_dual_add_f32 v14, v19, v14 :: v_dual_sub_f32 v19, v18, v23
	v_add_f32_e32 v14, v24, v14
	s_delay_alu instid0(VALU_DEP_1) | instskip(NEXT) | instid1(VALU_DEP_1)
	v_dual_sub_f32 v19, v20, v19 :: v_dual_mul_f32 v14, v17, v14
	v_add_f32_e32 v14, v19, v14
	s_delay_alu instid0(VALU_DEP_1) | instskip(NEXT) | instid1(VALU_DEP_1)
	v_add_f32_e32 v17, v18, v14
	v_mul_f32_e32 v19, v17, v17
	s_wait_alu 0xfffe
	s_delay_alu instid0(VALU_DEP_1) | instskip(SKIP_2) | instid1(VALU_DEP_3)
	v_fmaak_f32 v20, s0, v19, 0x3ecc95a3
	v_mul_f32_e32 v21, v17, v19
	v_cmp_neq_f32_e64 s0, 0x7f800000, v15
	v_fmaak_f32 v19, v19, v20, 0x3f2aaada
	v_ldexp_f32 v20, v17, 1
	v_sub_f32_e32 v17, v17, v18
	s_delay_alu instid0(VALU_DEP_3) | instskip(SKIP_1) | instid1(VALU_DEP_3)
	v_mul_f32_e32 v19, v21, v19
	v_mul_f32_e32 v21, 0x3f317218, v13
	v_sub_f32_e32 v14, v14, v17
	s_delay_alu instid0(VALU_DEP_3) | instskip(NEXT) | instid1(VALU_DEP_2)
	v_add_f32_e32 v18, v20, v19
	v_ldexp_f32 v14, v14, 1
	s_delay_alu instid0(VALU_DEP_2) | instskip(SKIP_1) | instid1(VALU_DEP_2)
	v_sub_f32_e32 v17, v18, v20
	v_fma_f32 v20, 0x3f317218, v13, -v21
	v_sub_f32_e32 v17, v19, v17
	s_delay_alu instid0(VALU_DEP_1) | instskip(NEXT) | instid1(VALU_DEP_1)
	v_dual_fmamk_f32 v13, v13, 0xb102e308, v20 :: v_dual_add_f32 v14, v14, v17
	v_add_f32_e32 v17, v21, v13
	s_delay_alu instid0(VALU_DEP_2) | instskip(NEXT) | instid1(VALU_DEP_2)
	v_add_f32_e32 v19, v18, v14
	v_sub_f32_e32 v21, v17, v21
	s_delay_alu instid0(VALU_DEP_2) | instskip(NEXT) | instid1(VALU_DEP_2)
	v_add_f32_e32 v20, v17, v19
	v_sub_f32_e32 v13, v13, v21
	s_delay_alu instid0(VALU_DEP_2) | instskip(SKIP_1) | instid1(VALU_DEP_2)
	v_sub_f32_e32 v22, v20, v17
	v_sub_f32_e32 v18, v19, v18
	;; [unrolled: 1-line block ×3, first 2 shown]
	s_delay_alu instid0(VALU_DEP_2) | instskip(NEXT) | instid1(VALU_DEP_2)
	v_sub_f32_e32 v14, v14, v18
	v_dual_sub_f32 v18, v19, v22 :: v_dual_sub_f32 v17, v17, v23
	s_delay_alu instid0(VALU_DEP_2) | instskip(NEXT) | instid1(VALU_DEP_2)
	v_add_f32_e32 v19, v13, v14
	v_add_f32_e32 v17, v18, v17
	s_delay_alu instid0(VALU_DEP_2) | instskip(NEXT) | instid1(VALU_DEP_2)
	v_sub_f32_e32 v18, v19, v13
	v_add_f32_e32 v17, v19, v17
	s_delay_alu instid0(VALU_DEP_2) | instskip(NEXT) | instid1(VALU_DEP_2)
	v_sub_f32_e32 v19, v19, v18
	v_dual_sub_f32 v14, v14, v18 :: v_dual_add_f32 v21, v20, v17
	s_delay_alu instid0(VALU_DEP_2) | instskip(NEXT) | instid1(VALU_DEP_1)
	v_sub_f32_e32 v13, v13, v19
	v_dual_sub_f32 v18, v21, v20 :: v_dual_add_f32 v13, v14, v13
	s_delay_alu instid0(VALU_DEP_1) | instskip(NEXT) | instid1(VALU_DEP_1)
	v_sub_f32_e32 v14, v17, v18
	v_add_f32_e32 v13, v13, v14
	s_delay_alu instid0(VALU_DEP_1) | instskip(SKIP_1) | instid1(VALU_DEP_1)
	v_add_f32_e32 v13, v21, v13
	s_wait_alu 0xf1ff
	v_cndmask_b32_e64 v13, 0x7f800000, v13, s0
	v_cmp_gt_f32_e64 s0, 0x33800000, |v15|
	s_wait_alu 0xf1ff
	s_delay_alu instid0(VALU_DEP_1) | instskip(NEXT) | instid1(VALU_DEP_1)
	v_cndmask_b32_e64 v13, v13, v15, s0
	v_add_f32_e32 v17, v1, v13
.LBB129_65:
	s_wait_alu 0xfffe
	s_or_b32 exec_lo, exec_lo, s12
	s_delay_alu instid0(VALU_DEP_1) | instskip(SKIP_1) | instid1(VALU_DEP_1)
	v_max_num_f32_e32 v1, v17, v17
	;;#ASMSTART
	;;#ASMEND
	v_min_num_f32_e32 v13, v1, v12
	v_max_num_f32_e32 v14, v1, v12
	v_mov_b32_e32 v1, v17
.LBB129_66:
	s_wait_alu 0xfffe
	s_or_b32 exec_lo, exec_lo, s1
	s_delay_alu instid0(VALU_DEP_1) | instskip(SKIP_1) | instid1(VALU_DEP_1)
	v_cmp_u_f32_e64 s0, v1, v1
	s_wait_alu 0xf1ff
	v_cndmask_b32_e64 v12, v13, v1, s0
	v_cndmask_b32_e64 v14, v14, v1, s0
	s_delay_alu instid0(VALU_DEP_2) | instskip(NEXT) | instid1(VALU_DEP_2)
	v_cndmask_b32_e64 v13, v12, v2, s7
	v_cndmask_b32_e64 v12, v14, v2, s7
	v_mov_b32_e32 v2, v1
	s_delay_alu instid0(VALU_DEP_3) | instskip(NEXT) | instid1(VALU_DEP_3)
	v_cmp_class_f32_e64 s1, v13, 0x1f8
	v_cmp_neq_f32_e64 s0, v13, v12
	s_or_b32 s0, s0, s1
	s_wait_alu 0xfffe
	s_and_saveexec_b32 s1, s0
	s_cbranch_execz .LBB129_68
; %bb.67:
	v_sub_f32_e32 v2, v13, v12
	s_delay_alu instid0(VALU_DEP_1) | instskip(SKIP_1) | instid1(VALU_DEP_2)
	v_mul_f32_e32 v13, 0x3fb8aa3b, v2
	v_cmp_ngt_f32_e64 s0, 0xc2ce8ed0, v2
	v_fma_f32 v14, 0x3fb8aa3b, v2, -v13
	v_rndne_f32_e32 v15, v13
	s_delay_alu instid0(VALU_DEP_1) | instskip(NEXT) | instid1(VALU_DEP_1)
	v_dual_fmamk_f32 v14, v2, 0x32a5705f, v14 :: v_dual_sub_f32 v13, v13, v15
	v_add_f32_e32 v13, v13, v14
	v_cvt_i32_f32_e32 v14, v15
	s_delay_alu instid0(VALU_DEP_2) | instskip(NEXT) | instid1(TRANS32_DEP_1)
	v_exp_f32_e32 v13, v13
	v_ldexp_f32 v13, v13, v14
	s_wait_alu 0xf1ff
	s_delay_alu instid0(VALU_DEP_1) | instskip(SKIP_2) | instid1(VALU_DEP_1)
	v_cndmask_b32_e64 v13, 0, v13, s0
	v_cmp_nlt_f32_e64 s0, 0x42b17218, v2
	s_wait_alu 0xf1ff
	v_cndmask_b32_e64 v2, 0x7f800000, v13, s0
	s_delay_alu instid0(VALU_DEP_1) | instskip(NEXT) | instid1(VALU_DEP_1)
	v_add_f32_e32 v15, 1.0, v2
	v_cvt_f64_f32_e32 v[13:14], v15
	s_delay_alu instid0(VALU_DEP_1) | instskip(SKIP_1) | instid1(VALU_DEP_1)
	v_frexp_exp_i32_f64_e32 v13, v[13:14]
	v_frexp_mant_f32_e32 v14, v15
	v_cmp_gt_f32_e64 s0, 0x3f2aaaab, v14
	v_add_f32_e32 v14, -1.0, v15
	s_wait_dscnt 0x0
	s_delay_alu instid0(VALU_DEP_1)
	v_sub_f32_e32 v18, v14, v15
	s_wait_alu 0xf1ff
	v_subrev_co_ci_u32_e64 v13, null, 0, v13, s0
	s_mov_b32 s0, 0x3e9b6dac
	v_sub_nc_u32_e32 v17, 0, v13
	v_cvt_f32_i32_e32 v13, v13
	s_delay_alu instid0(VALU_DEP_2) | instskip(SKIP_1) | instid1(VALU_DEP_2)
	v_ldexp_f32 v15, v15, v17
	v_sub_f32_e32 v14, v2, v14
	v_dual_add_f32 v18, 1.0, v18 :: v_dual_add_f32 v19, 1.0, v15
	s_delay_alu instid0(VALU_DEP_1) | instskip(NEXT) | instid1(VALU_DEP_2)
	v_add_f32_e32 v14, v14, v18
	v_add_f32_e32 v18, -1.0, v19
	s_delay_alu instid0(VALU_DEP_2) | instskip(NEXT) | instid1(VALU_DEP_2)
	v_ldexp_f32 v14, v14, v17
	v_dual_add_f32 v17, -1.0, v15 :: v_dual_sub_f32 v18, v15, v18
	s_delay_alu instid0(VALU_DEP_1) | instskip(NEXT) | instid1(VALU_DEP_1)
	v_add_f32_e32 v20, 1.0, v17
	v_dual_add_f32 v18, v14, v18 :: v_dual_sub_f32 v15, v15, v20
	s_delay_alu instid0(VALU_DEP_1) | instskip(NEXT) | instid1(VALU_DEP_1)
	v_add_f32_e32 v14, v14, v15
	v_add_f32_e32 v21, v17, v14
	s_delay_alu instid0(VALU_DEP_1) | instskip(NEXT) | instid1(VALU_DEP_1)
	v_dual_sub_f32 v17, v17, v21 :: v_dual_add_f32 v20, v19, v18
	v_rcp_f32_e32 v15, v20
	v_sub_f32_e32 v19, v19, v20
	s_delay_alu instid0(VALU_DEP_1) | instskip(NEXT) | instid1(TRANS32_DEP_1)
	v_add_f32_e32 v18, v18, v19
	v_mul_f32_e32 v22, v21, v15
	s_delay_alu instid0(VALU_DEP_1) | instskip(NEXT) | instid1(VALU_DEP_1)
	v_mul_f32_e32 v23, v20, v22
	v_fma_f32 v19, v22, v20, -v23
	s_delay_alu instid0(VALU_DEP_1) | instskip(NEXT) | instid1(VALU_DEP_1)
	v_fmac_f32_e32 v19, v22, v18
	v_add_f32_e32 v24, v23, v19
	s_delay_alu instid0(VALU_DEP_1) | instskip(SKIP_1) | instid1(VALU_DEP_1)
	v_dual_add_f32 v14, v14, v17 :: v_dual_sub_f32 v17, v24, v23
	v_sub_f32_e32 v25, v21, v24
	v_sub_f32_e32 v21, v21, v25
	s_delay_alu instid0(VALU_DEP_1) | instskip(NEXT) | instid1(VALU_DEP_1)
	v_sub_f32_e32 v21, v21, v24
	v_dual_sub_f32 v17, v17, v19 :: v_dual_add_f32 v14, v14, v21
	s_delay_alu instid0(VALU_DEP_1) | instskip(NEXT) | instid1(VALU_DEP_1)
	v_add_f32_e32 v14, v17, v14
	v_add_f32_e32 v17, v25, v14
	s_delay_alu instid0(VALU_DEP_1) | instskip(NEXT) | instid1(VALU_DEP_1)
	v_mul_f32_e32 v19, v15, v17
	v_dual_sub_f32 v24, v25, v17 :: v_dual_mul_f32 v21, v20, v19
	s_delay_alu instid0(VALU_DEP_1) | instskip(NEXT) | instid1(VALU_DEP_2)
	v_add_f32_e32 v14, v14, v24
	v_fma_f32 v20, v19, v20, -v21
	s_delay_alu instid0(VALU_DEP_1) | instskip(NEXT) | instid1(VALU_DEP_1)
	v_fmac_f32_e32 v20, v19, v18
	v_add_f32_e32 v18, v21, v20
	s_delay_alu instid0(VALU_DEP_1) | instskip(NEXT) | instid1(VALU_DEP_1)
	v_sub_f32_e32 v23, v17, v18
	v_sub_f32_e32 v17, v17, v23
	s_delay_alu instid0(VALU_DEP_1) | instskip(NEXT) | instid1(VALU_DEP_1)
	v_sub_f32_e32 v17, v17, v18
	v_add_f32_e32 v14, v14, v17
	v_add_f32_e32 v17, v22, v19
	v_sub_f32_e32 v21, v18, v21
	s_delay_alu instid0(VALU_DEP_1) | instskip(NEXT) | instid1(VALU_DEP_1)
	v_sub_f32_e32 v18, v21, v20
	v_add_f32_e32 v14, v18, v14
	s_delay_alu instid0(VALU_DEP_4) | instskip(NEXT) | instid1(VALU_DEP_2)
	v_sub_f32_e32 v18, v17, v22
	v_add_f32_e32 v14, v23, v14
	s_delay_alu instid0(VALU_DEP_2) | instskip(NEXT) | instid1(VALU_DEP_2)
	v_sub_f32_e32 v18, v19, v18
	v_mul_f32_e32 v14, v15, v14
	s_delay_alu instid0(VALU_DEP_1) | instskip(NEXT) | instid1(VALU_DEP_1)
	v_add_f32_e32 v14, v18, v14
	v_add_f32_e32 v15, v17, v14
	s_delay_alu instid0(VALU_DEP_1) | instskip(SKIP_1) | instid1(VALU_DEP_1)
	v_mul_f32_e32 v18, v15, v15
	s_wait_alu 0xfffe
	v_fmaak_f32 v19, s0, v18, 0x3ecc95a3
	v_mul_f32_e32 v20, v15, v18
	v_cmp_neq_f32_e64 s0, 0x7f800000, v2
	s_delay_alu instid0(VALU_DEP_3) | instskip(SKIP_1) | instid1(VALU_DEP_2)
	v_fmaak_f32 v18, v18, v19, 0x3f2aaada
	v_ldexp_f32 v19, v15, 1
	v_dual_sub_f32 v15, v15, v17 :: v_dual_mul_f32 v18, v20, v18
	v_mul_f32_e32 v20, 0x3f317218, v13
	s_delay_alu instid0(VALU_DEP_2) | instskip(NEXT) | instid1(VALU_DEP_1)
	v_dual_sub_f32 v14, v14, v15 :: v_dual_add_f32 v17, v19, v18
	v_ldexp_f32 v14, v14, 1
	s_delay_alu instid0(VALU_DEP_2) | instskip(NEXT) | instid1(VALU_DEP_4)
	v_sub_f32_e32 v15, v17, v19
	v_fma_f32 v19, 0x3f317218, v13, -v20
	s_delay_alu instid0(VALU_DEP_2) | instskip(NEXT) | instid1(VALU_DEP_1)
	v_sub_f32_e32 v15, v18, v15
	v_dual_fmamk_f32 v13, v13, 0xb102e308, v19 :: v_dual_add_f32 v14, v14, v15
	s_delay_alu instid0(VALU_DEP_1) | instskip(NEXT) | instid1(VALU_DEP_1)
	v_dual_add_f32 v15, v20, v13 :: v_dual_add_f32 v18, v17, v14
	v_add_f32_e32 v19, v15, v18
	v_sub_f32_e32 v17, v18, v17
	s_delay_alu instid0(VALU_DEP_2) | instskip(SKIP_1) | instid1(VALU_DEP_2)
	v_sub_f32_e32 v21, v19, v15
	v_sub_f32_e32 v20, v15, v20
	;; [unrolled: 1-line block ×3, first 2 shown]
	s_delay_alu instid0(VALU_DEP_1) | instskip(SKIP_1) | instid1(VALU_DEP_4)
	v_dual_sub_f32 v15, v15, v22 :: v_dual_sub_f32 v14, v14, v17
	v_sub_f32_e32 v17, v18, v21
	v_sub_f32_e32 v13, v13, v20
	s_delay_alu instid0(VALU_DEP_2) | instskip(NEXT) | instid1(VALU_DEP_2)
	v_add_f32_e32 v15, v17, v15
	v_add_f32_e32 v18, v13, v14
	s_delay_alu instid0(VALU_DEP_1) | instskip(NEXT) | instid1(VALU_DEP_1)
	v_add_f32_e32 v15, v18, v15
	v_dual_sub_f32 v17, v18, v13 :: v_dual_add_f32 v20, v19, v15
	s_delay_alu instid0(VALU_DEP_1) | instskip(NEXT) | instid1(VALU_DEP_1)
	v_sub_f32_e32 v18, v18, v17
	v_dual_sub_f32 v13, v13, v18 :: v_dual_sub_f32 v14, v14, v17
	s_delay_alu instid0(VALU_DEP_3) | instskip(NEXT) | instid1(VALU_DEP_2)
	v_sub_f32_e32 v17, v20, v19
	v_add_f32_e32 v13, v14, v13
	s_delay_alu instid0(VALU_DEP_2) | instskip(NEXT) | instid1(VALU_DEP_1)
	v_sub_f32_e32 v14, v15, v17
	v_add_f32_e32 v13, v13, v14
	s_delay_alu instid0(VALU_DEP_1) | instskip(SKIP_1) | instid1(VALU_DEP_1)
	v_add_f32_e32 v13, v20, v13
	s_wait_alu 0xf1ff
	v_cndmask_b32_e64 v13, 0x7f800000, v13, s0
	v_cmp_gt_f32_e64 s0, 0x33800000, |v2|
	s_wait_alu 0xf1ff
	s_delay_alu instid0(VALU_DEP_1) | instskip(NEXT) | instid1(VALU_DEP_1)
	v_cndmask_b32_e64 v2, v13, v2, s0
	v_add_f32_e32 v2, v12, v2
.LBB129_68:
	s_wait_alu 0xfffe
	s_or_b32 exec_lo, exec_lo, s1
	s_delay_alu instid0(VALU_DEP_1) | instskip(SKIP_1) | instid1(VALU_DEP_2)
	v_max_num_f32_e32 v12, v2, v2
	v_cmp_u_f32_e64 s0, v2, v2
	v_min_num_f32_e32 v13, v12, v8
	v_max_num_f32_e32 v8, v12, v8
	s_wait_alu 0xf1ff
	s_delay_alu instid0(VALU_DEP_2) | instskip(NEXT) | instid1(VALU_DEP_2)
	v_cndmask_b32_e64 v12, v13, v2, s0
	v_cndmask_b32_e64 v8, v8, v2, s0
	s_delay_alu instid0(VALU_DEP_2) | instskip(NEXT) | instid1(VALU_DEP_2)
	v_cndmask_b32_e64 v12, v12, v3, s8
	v_cndmask_b32_e64 v8, v8, v3, s8
	v_mov_b32_e32 v3, v2
	s_delay_alu instid0(VALU_DEP_3) | instskip(NEXT) | instid1(VALU_DEP_3)
	v_cmp_class_f32_e64 s1, v12, 0x1f8
	v_cmp_neq_f32_e64 s0, v12, v8
	s_or_b32 s0, s0, s1
	s_wait_alu 0xfffe
	s_and_saveexec_b32 s1, s0
	s_cbranch_execz .LBB129_70
; %bb.69:
	v_sub_f32_e32 v3, v12, v8
	s_delay_alu instid0(VALU_DEP_1) | instskip(SKIP_1) | instid1(VALU_DEP_2)
	v_mul_f32_e32 v12, 0x3fb8aa3b, v3
	v_cmp_ngt_f32_e64 s0, 0xc2ce8ed0, v3
	v_fma_f32 v13, 0x3fb8aa3b, v3, -v12
	v_rndne_f32_e32 v14, v12
	s_delay_alu instid0(VALU_DEP_1) | instskip(NEXT) | instid1(VALU_DEP_1)
	v_dual_fmamk_f32 v13, v3, 0x32a5705f, v13 :: v_dual_sub_f32 v12, v12, v14
	v_add_f32_e32 v12, v12, v13
	v_cvt_i32_f32_e32 v13, v14
	s_delay_alu instid0(VALU_DEP_2) | instskip(NEXT) | instid1(TRANS32_DEP_1)
	v_exp_f32_e32 v12, v12
	v_ldexp_f32 v12, v12, v13
	s_wait_alu 0xf1ff
	s_delay_alu instid0(VALU_DEP_1) | instskip(SKIP_2) | instid1(VALU_DEP_1)
	v_cndmask_b32_e64 v12, 0, v12, s0
	v_cmp_nlt_f32_e64 s0, 0x42b17218, v3
	s_wait_alu 0xf1ff
	v_cndmask_b32_e64 v3, 0x7f800000, v12, s0
	s_delay_alu instid0(VALU_DEP_1) | instskip(NEXT) | instid1(VALU_DEP_1)
	v_add_f32_e32 v14, 1.0, v3
	v_cvt_f64_f32_e32 v[12:13], v14
	s_delay_alu instid0(VALU_DEP_1) | instskip(SKIP_1) | instid1(VALU_DEP_1)
	v_frexp_exp_i32_f64_e32 v12, v[12:13]
	v_frexp_mant_f32_e32 v13, v14
	v_cmp_gt_f32_e64 s0, 0x3f2aaaab, v13
	v_add_f32_e32 v13, -1.0, v14
	s_delay_alu instid0(VALU_DEP_1)
	v_sub_f32_e32 v17, v13, v14
	v_sub_f32_e32 v13, v3, v13
	s_wait_alu 0xf1ff
	v_subrev_co_ci_u32_e64 v12, null, 0, v12, s0
	s_mov_b32 s0, 0x3e9b6dac
	v_sub_nc_u32_e32 v15, 0, v12
	v_cvt_f32_i32_e32 v12, v12
	s_delay_alu instid0(VALU_DEP_2) | instskip(SKIP_1) | instid1(VALU_DEP_1)
	v_ldexp_f32 v14, v14, v15
	s_wait_dscnt 0x0
	v_dual_add_f32 v17, 1.0, v17 :: v_dual_add_f32 v18, 1.0, v14
	s_delay_alu instid0(VALU_DEP_1) | instskip(NEXT) | instid1(VALU_DEP_1)
	v_add_f32_e32 v13, v13, v17
	v_ldexp_f32 v13, v13, v15
	v_add_f32_e32 v15, -1.0, v14
	s_delay_alu instid0(VALU_DEP_4) | instskip(NEXT) | instid1(VALU_DEP_2)
	v_add_f32_e32 v17, -1.0, v18
	v_add_f32_e32 v19, 1.0, v15
	s_delay_alu instid0(VALU_DEP_2) | instskip(NEXT) | instid1(VALU_DEP_1)
	v_sub_f32_e32 v17, v14, v17
	v_dual_sub_f32 v14, v14, v19 :: v_dual_add_f32 v17, v13, v17
	s_delay_alu instid0(VALU_DEP_1) | instskip(NEXT) | instid1(VALU_DEP_2)
	v_add_f32_e32 v13, v13, v14
	v_add_f32_e32 v19, v18, v17
	s_delay_alu instid0(VALU_DEP_2) | instskip(NEXT) | instid1(VALU_DEP_2)
	v_add_f32_e32 v20, v15, v13
	v_rcp_f32_e32 v14, v19
	v_sub_f32_e32 v18, v18, v19
	s_delay_alu instid0(VALU_DEP_1) | instskip(NEXT) | instid1(TRANS32_DEP_1)
	v_add_f32_e32 v17, v17, v18
	v_mul_f32_e32 v21, v20, v14
	s_delay_alu instid0(VALU_DEP_1) | instskip(SKIP_1) | instid1(VALU_DEP_2)
	v_mul_f32_e32 v22, v19, v21
	v_sub_f32_e32 v15, v15, v20
	v_fma_f32 v18, v21, v19, -v22
	s_delay_alu instid0(VALU_DEP_2) | instskip(NEXT) | instid1(VALU_DEP_2)
	v_add_f32_e32 v13, v13, v15
	v_fmac_f32_e32 v18, v21, v17
	s_delay_alu instid0(VALU_DEP_1) | instskip(NEXT) | instid1(VALU_DEP_1)
	v_add_f32_e32 v23, v22, v18
	v_dual_sub_f32 v24, v20, v23 :: v_dual_sub_f32 v15, v23, v22
	s_delay_alu instid0(VALU_DEP_1) | instskip(NEXT) | instid1(VALU_DEP_1)
	v_dual_sub_f32 v20, v20, v24 :: v_dual_sub_f32 v15, v15, v18
	v_sub_f32_e32 v20, v20, v23
	s_delay_alu instid0(VALU_DEP_1) | instskip(NEXT) | instid1(VALU_DEP_1)
	v_add_f32_e32 v13, v13, v20
	v_add_f32_e32 v13, v15, v13
	s_delay_alu instid0(VALU_DEP_1) | instskip(NEXT) | instid1(VALU_DEP_1)
	v_add_f32_e32 v15, v24, v13
	v_mul_f32_e32 v18, v14, v15
	s_delay_alu instid0(VALU_DEP_1) | instskip(NEXT) | instid1(VALU_DEP_1)
	v_dual_sub_f32 v23, v24, v15 :: v_dual_mul_f32 v20, v19, v18
	v_add_f32_e32 v13, v13, v23
	s_delay_alu instid0(VALU_DEP_2) | instskip(NEXT) | instid1(VALU_DEP_1)
	v_fma_f32 v19, v18, v19, -v20
	v_fmac_f32_e32 v19, v18, v17
	s_delay_alu instid0(VALU_DEP_1) | instskip(NEXT) | instid1(VALU_DEP_1)
	v_add_f32_e32 v17, v20, v19
	v_sub_f32_e32 v22, v15, v17
	s_delay_alu instid0(VALU_DEP_1) | instskip(NEXT) | instid1(VALU_DEP_1)
	v_dual_sub_f32 v20, v17, v20 :: v_dual_sub_f32 v15, v15, v22
	v_sub_f32_e32 v15, v15, v17
	s_delay_alu instid0(VALU_DEP_2) | instskip(NEXT) | instid1(VALU_DEP_2)
	v_sub_f32_e32 v17, v20, v19
	v_add_f32_e32 v13, v13, v15
	v_add_f32_e32 v15, v21, v18
	s_delay_alu instid0(VALU_DEP_2) | instskip(NEXT) | instid1(VALU_DEP_2)
	v_add_f32_e32 v13, v17, v13
	v_sub_f32_e32 v17, v15, v21
	s_delay_alu instid0(VALU_DEP_2) | instskip(NEXT) | instid1(VALU_DEP_2)
	v_add_f32_e32 v13, v22, v13
	v_sub_f32_e32 v17, v18, v17
	s_delay_alu instid0(VALU_DEP_2) | instskip(NEXT) | instid1(VALU_DEP_1)
	v_mul_f32_e32 v13, v14, v13
	v_add_f32_e32 v13, v17, v13
	s_delay_alu instid0(VALU_DEP_1) | instskip(NEXT) | instid1(VALU_DEP_1)
	v_add_f32_e32 v14, v15, v13
	v_mul_f32_e32 v17, v14, v14
	s_wait_alu 0xfffe
	s_delay_alu instid0(VALU_DEP_1) | instskip(SKIP_2) | instid1(VALU_DEP_3)
	v_fmaak_f32 v18, s0, v17, 0x3ecc95a3
	v_mul_f32_e32 v19, v14, v17
	v_cmp_neq_f32_e64 s0, 0x7f800000, v3
	v_fmaak_f32 v17, v17, v18, 0x3f2aaada
	v_ldexp_f32 v18, v14, 1
	s_delay_alu instid0(VALU_DEP_2) | instskip(SKIP_1) | instid1(VALU_DEP_2)
	v_dual_sub_f32 v14, v14, v15 :: v_dual_mul_f32 v17, v19, v17
	v_mul_f32_e32 v19, 0x3f317218, v12
	v_sub_f32_e32 v13, v13, v14
	s_delay_alu instid0(VALU_DEP_3) | instskip(NEXT) | instid1(VALU_DEP_2)
	v_add_f32_e32 v15, v18, v17
	v_ldexp_f32 v13, v13, 1
	s_delay_alu instid0(VALU_DEP_2) | instskip(SKIP_1) | instid1(VALU_DEP_2)
	v_sub_f32_e32 v14, v15, v18
	v_fma_f32 v18, 0x3f317218, v12, -v19
	v_sub_f32_e32 v14, v17, v14
	s_delay_alu instid0(VALU_DEP_1) | instskip(NEXT) | instid1(VALU_DEP_1)
	v_dual_fmamk_f32 v12, v12, 0xb102e308, v18 :: v_dual_add_f32 v13, v13, v14
	v_add_f32_e32 v14, v19, v12
	s_delay_alu instid0(VALU_DEP_2) | instskip(NEXT) | instid1(VALU_DEP_2)
	v_add_f32_e32 v17, v15, v13
	v_sub_f32_e32 v19, v14, v19
	s_delay_alu instid0(VALU_DEP_2) | instskip(NEXT) | instid1(VALU_DEP_2)
	v_dual_add_f32 v18, v14, v17 :: v_dual_sub_f32 v15, v17, v15
	v_sub_f32_e32 v12, v12, v19
	s_delay_alu instid0(VALU_DEP_2) | instskip(NEXT) | instid1(VALU_DEP_1)
	v_dual_sub_f32 v20, v18, v14 :: v_dual_sub_f32 v13, v13, v15
	v_sub_f32_e32 v21, v18, v20
	v_sub_f32_e32 v15, v17, v20
	s_delay_alu instid0(VALU_DEP_3) | instskip(NEXT) | instid1(VALU_DEP_3)
	v_add_f32_e32 v17, v12, v13
	v_sub_f32_e32 v14, v14, v21
	s_delay_alu instid0(VALU_DEP_1) | instskip(NEXT) | instid1(VALU_DEP_1)
	v_dual_add_f32 v14, v15, v14 :: v_dual_sub_f32 v15, v17, v12
	v_add_f32_e32 v14, v17, v14
	s_delay_alu instid0(VALU_DEP_2) | instskip(SKIP_1) | instid1(VALU_DEP_2)
	v_sub_f32_e32 v17, v17, v15
	v_sub_f32_e32 v13, v13, v15
	v_dual_add_f32 v19, v18, v14 :: v_dual_sub_f32 v12, v12, v17
	s_delay_alu instid0(VALU_DEP_1) | instskip(NEXT) | instid1(VALU_DEP_1)
	v_dual_sub_f32 v15, v19, v18 :: v_dual_add_f32 v12, v13, v12
	v_sub_f32_e32 v13, v14, v15
	s_delay_alu instid0(VALU_DEP_1) | instskip(NEXT) | instid1(VALU_DEP_1)
	v_add_f32_e32 v12, v12, v13
	v_add_f32_e32 v12, v19, v12
	s_wait_alu 0xf1ff
	s_delay_alu instid0(VALU_DEP_1) | instskip(SKIP_2) | instid1(VALU_DEP_1)
	v_cndmask_b32_e64 v12, 0x7f800000, v12, s0
	v_cmp_gt_f32_e64 s0, 0x33800000, |v3|
	s_wait_alu 0xf1ff
	v_cndmask_b32_e64 v3, v12, v3, s0
	s_delay_alu instid0(VALU_DEP_1)
	v_add_f32_e32 v3, v8, v3
.LBB129_70:
	s_wait_alu 0xfffe
	s_or_b32 exec_lo, exec_lo, s1
	s_delay_alu instid0(VALU_DEP_1) | instskip(SKIP_1) | instid1(VALU_DEP_2)
	v_max_num_f32_e32 v8, v3, v3
	v_cmp_u_f32_e64 s0, v3, v3
	v_min_num_f32_e32 v12, v8, v9
	v_max_num_f32_e32 v8, v8, v9
	s_wait_alu 0xf1ff
	s_delay_alu instid0(VALU_DEP_2) | instskip(NEXT) | instid1(VALU_DEP_2)
	v_cndmask_b32_e64 v9, v12, v3, s0
	v_cndmask_b32_e64 v8, v8, v3, s0
	s_delay_alu instid0(VALU_DEP_2) | instskip(NEXT) | instid1(VALU_DEP_2)
	v_cndmask_b32_e64 v9, v9, v4, s9
	v_cndmask_b32_e64 v8, v8, v4, s9
	v_mov_b32_e32 v4, v3
	s_delay_alu instid0(VALU_DEP_3) | instskip(NEXT) | instid1(VALU_DEP_3)
	v_cmp_class_f32_e64 s1, v9, 0x1f8
	v_cmp_neq_f32_e64 s0, v9, v8
	s_or_b32 s0, s0, s1
	s_wait_alu 0xfffe
	s_and_saveexec_b32 s1, s0
	s_cbranch_execz .LBB129_72
; %bb.71:
	v_sub_f32_e32 v4, v9, v8
	s_delay_alu instid0(VALU_DEP_1) | instskip(SKIP_1) | instid1(VALU_DEP_2)
	v_mul_f32_e32 v9, 0x3fb8aa3b, v4
	v_cmp_ngt_f32_e64 s0, 0xc2ce8ed0, v4
	v_fma_f32 v12, 0x3fb8aa3b, v4, -v9
	v_rndne_f32_e32 v13, v9
	s_delay_alu instid0(VALU_DEP_1) | instskip(NEXT) | instid1(VALU_DEP_1)
	v_dual_fmamk_f32 v12, v4, 0x32a5705f, v12 :: v_dual_sub_f32 v9, v9, v13
	v_add_f32_e32 v9, v9, v12
	v_cvt_i32_f32_e32 v12, v13
	s_delay_alu instid0(VALU_DEP_2) | instskip(NEXT) | instid1(TRANS32_DEP_1)
	v_exp_f32_e32 v9, v9
	v_ldexp_f32 v9, v9, v12
	s_wait_alu 0xf1ff
	s_delay_alu instid0(VALU_DEP_1) | instskip(SKIP_2) | instid1(VALU_DEP_1)
	v_cndmask_b32_e64 v9, 0, v9, s0
	v_cmp_nlt_f32_e64 s0, 0x42b17218, v4
	s_wait_alu 0xf1ff
	v_cndmask_b32_e64 v4, 0x7f800000, v9, s0
	s_delay_alu instid0(VALU_DEP_1) | instskip(NEXT) | instid1(VALU_DEP_1)
	v_add_f32_e32 v9, 1.0, v4
	v_cvt_f64_f32_e32 v[12:13], v9
	s_delay_alu instid0(VALU_DEP_1) | instskip(SKIP_1) | instid1(VALU_DEP_1)
	v_frexp_exp_i32_f64_e32 v12, v[12:13]
	v_frexp_mant_f32_e32 v13, v9
	v_cmp_gt_f32_e64 s0, 0x3f2aaaab, v13
	v_add_f32_e32 v13, -1.0, v9
	s_delay_alu instid0(VALU_DEP_1)
	v_sub_f32_e32 v15, v13, v9
	v_sub_f32_e32 v13, v4, v13
	s_wait_alu 0xf1ff
	v_subrev_co_ci_u32_e64 v12, null, 0, v12, s0
	s_mov_b32 s0, 0x3e9b6dac
	v_sub_nc_u32_e32 v14, 0, v12
	v_cvt_f32_i32_e32 v12, v12
	s_delay_alu instid0(VALU_DEP_2) | instskip(SKIP_1) | instid1(VALU_DEP_2)
	v_ldexp_f32 v9, v9, v14
	v_add_f32_e32 v15, 1.0, v15
	v_add_f32_e32 v17, 1.0, v9
	s_delay_alu instid0(VALU_DEP_2) | instskip(NEXT) | instid1(VALU_DEP_2)
	v_add_f32_e32 v13, v13, v15
	v_add_f32_e32 v15, -1.0, v17
	s_delay_alu instid0(VALU_DEP_2) | instskip(NEXT) | instid1(VALU_DEP_2)
	v_ldexp_f32 v13, v13, v14
	v_dual_add_f32 v14, -1.0, v9 :: v_dual_sub_f32 v15, v9, v15
	s_wait_dscnt 0x0
	s_delay_alu instid0(VALU_DEP_1) | instskip(NEXT) | instid1(VALU_DEP_1)
	v_dual_add_f32 v18, 1.0, v14 :: v_dual_add_f32 v15, v13, v15
	v_sub_f32_e32 v9, v9, v18
	s_delay_alu instid0(VALU_DEP_2) | instskip(NEXT) | instid1(VALU_DEP_2)
	v_add_f32_e32 v18, v17, v15
	v_add_f32_e32 v9, v13, v9
	s_delay_alu instid0(VALU_DEP_2) | instskip(SKIP_1) | instid1(VALU_DEP_2)
	v_rcp_f32_e32 v13, v18
	v_sub_f32_e32 v17, v17, v18
	v_add_f32_e32 v19, v14, v9
	s_delay_alu instid0(VALU_DEP_1)
	v_dual_add_f32 v15, v15, v17 :: v_dual_sub_f32 v14, v14, v19
	s_delay_alu instid0(TRANS32_DEP_1) | instid1(VALU_DEP_1)
	v_dual_mul_f32 v20, v19, v13 :: v_dual_add_f32 v9, v9, v14
	s_delay_alu instid0(VALU_DEP_1) | instskip(NEXT) | instid1(VALU_DEP_1)
	v_mul_f32_e32 v21, v18, v20
	v_fma_f32 v17, v20, v18, -v21
	s_delay_alu instid0(VALU_DEP_1) | instskip(NEXT) | instid1(VALU_DEP_1)
	v_fmac_f32_e32 v17, v20, v15
	v_add_f32_e32 v22, v21, v17
	s_delay_alu instid0(VALU_DEP_1) | instskip(NEXT) | instid1(VALU_DEP_1)
	v_sub_f32_e32 v23, v19, v22
	v_dual_sub_f32 v19, v19, v23 :: v_dual_sub_f32 v14, v22, v21
	s_delay_alu instid0(VALU_DEP_1) | instskip(NEXT) | instid1(VALU_DEP_1)
	v_dual_sub_f32 v19, v19, v22 :: v_dual_sub_f32 v14, v14, v17
	v_add_f32_e32 v9, v9, v19
	s_delay_alu instid0(VALU_DEP_1) | instskip(NEXT) | instid1(VALU_DEP_1)
	v_add_f32_e32 v9, v14, v9
	v_add_f32_e32 v14, v23, v9
	s_delay_alu instid0(VALU_DEP_1) | instskip(NEXT) | instid1(VALU_DEP_1)
	v_mul_f32_e32 v17, v13, v14
	v_dual_sub_f32 v22, v23, v14 :: v_dual_mul_f32 v19, v18, v17
	s_delay_alu instid0(VALU_DEP_1) | instskip(NEXT) | instid1(VALU_DEP_2)
	v_add_f32_e32 v9, v9, v22
	v_fma_f32 v18, v17, v18, -v19
	s_delay_alu instid0(VALU_DEP_1) | instskip(NEXT) | instid1(VALU_DEP_1)
	v_fmac_f32_e32 v18, v17, v15
	v_add_f32_e32 v15, v19, v18
	s_delay_alu instid0(VALU_DEP_1) | instskip(NEXT) | instid1(VALU_DEP_1)
	v_sub_f32_e32 v21, v14, v15
	v_dual_sub_f32 v19, v15, v19 :: v_dual_sub_f32 v14, v14, v21
	s_delay_alu instid0(VALU_DEP_1) | instskip(NEXT) | instid1(VALU_DEP_1)
	v_dual_sub_f32 v14, v14, v15 :: v_dual_sub_f32 v15, v19, v18
	v_dual_add_f32 v9, v9, v14 :: v_dual_add_f32 v14, v20, v17
	s_delay_alu instid0(VALU_DEP_1) | instskip(NEXT) | instid1(VALU_DEP_2)
	v_add_f32_e32 v9, v15, v9
	v_sub_f32_e32 v15, v14, v20
	s_delay_alu instid0(VALU_DEP_2) | instskip(NEXT) | instid1(VALU_DEP_2)
	v_add_f32_e32 v9, v21, v9
	v_sub_f32_e32 v15, v17, v15
	s_delay_alu instid0(VALU_DEP_2) | instskip(NEXT) | instid1(VALU_DEP_1)
	v_mul_f32_e32 v9, v13, v9
	v_add_f32_e32 v9, v15, v9
	s_delay_alu instid0(VALU_DEP_1) | instskip(NEXT) | instid1(VALU_DEP_1)
	v_add_f32_e32 v13, v14, v9
	v_mul_f32_e32 v15, v13, v13
	s_wait_alu 0xfffe
	s_delay_alu instid0(VALU_DEP_1) | instskip(SKIP_2) | instid1(VALU_DEP_3)
	v_fmaak_f32 v17, s0, v15, 0x3ecc95a3
	v_mul_f32_e32 v18, v13, v15
	v_cmp_neq_f32_e64 s0, 0x7f800000, v4
	v_fmaak_f32 v15, v15, v17, 0x3f2aaada
	v_ldexp_f32 v17, v13, 1
	v_sub_f32_e32 v13, v13, v14
	s_delay_alu instid0(VALU_DEP_3) | instskip(NEXT) | instid1(VALU_DEP_2)
	v_dual_mul_f32 v15, v18, v15 :: v_dual_mul_f32 v18, 0x3f317218, v12
	v_sub_f32_e32 v9, v9, v13
	s_delay_alu instid0(VALU_DEP_2) | instskip(NEXT) | instid1(VALU_DEP_2)
	v_add_f32_e32 v14, v17, v15
	v_ldexp_f32 v9, v9, 1
	s_delay_alu instid0(VALU_DEP_2) | instskip(SKIP_1) | instid1(VALU_DEP_1)
	v_sub_f32_e32 v13, v14, v17
	v_fma_f32 v17, 0x3f317218, v12, -v18
	v_dual_sub_f32 v13, v15, v13 :: v_dual_fmamk_f32 v12, v12, 0xb102e308, v17
	s_delay_alu instid0(VALU_DEP_1) | instskip(NEXT) | instid1(VALU_DEP_2)
	v_add_f32_e32 v9, v9, v13
	v_add_f32_e32 v13, v18, v12
	s_delay_alu instid0(VALU_DEP_1) | instskip(NEXT) | instid1(VALU_DEP_1)
	v_dual_add_f32 v15, v14, v9 :: v_dual_sub_f32 v18, v13, v18
	v_dual_add_f32 v17, v13, v15 :: v_dual_sub_f32 v14, v15, v14
	s_delay_alu instid0(VALU_DEP_1) | instskip(NEXT) | instid1(VALU_DEP_2)
	v_dual_sub_f32 v12, v12, v18 :: v_dual_sub_f32 v19, v17, v13
	v_sub_f32_e32 v9, v9, v14
	s_delay_alu instid0(VALU_DEP_2) | instskip(NEXT) | instid1(VALU_DEP_2)
	v_sub_f32_e32 v20, v17, v19
	v_dual_sub_f32 v14, v15, v19 :: v_dual_add_f32 v15, v12, v9
	s_delay_alu instid0(VALU_DEP_2) | instskip(NEXT) | instid1(VALU_DEP_1)
	v_sub_f32_e32 v13, v13, v20
	v_dual_add_f32 v13, v14, v13 :: v_dual_sub_f32 v14, v15, v12
	s_delay_alu instid0(VALU_DEP_1) | instskip(NEXT) | instid1(VALU_DEP_2)
	v_add_f32_e32 v13, v15, v13
	v_sub_f32_e32 v15, v15, v14
	v_sub_f32_e32 v9, v9, v14
	s_delay_alu instid0(VALU_DEP_3) | instskip(NEXT) | instid1(VALU_DEP_3)
	v_add_f32_e32 v18, v17, v13
	v_sub_f32_e32 v12, v12, v15
	s_delay_alu instid0(VALU_DEP_1) | instskip(NEXT) | instid1(VALU_DEP_1)
	v_dual_sub_f32 v14, v18, v17 :: v_dual_add_f32 v9, v9, v12
	v_sub_f32_e32 v12, v13, v14
	s_delay_alu instid0(VALU_DEP_1) | instskip(NEXT) | instid1(VALU_DEP_1)
	v_add_f32_e32 v9, v9, v12
	v_add_f32_e32 v9, v18, v9
	s_wait_alu 0xf1ff
	s_delay_alu instid0(VALU_DEP_1) | instskip(SKIP_2) | instid1(VALU_DEP_1)
	v_cndmask_b32_e64 v9, 0x7f800000, v9, s0
	v_cmp_gt_f32_e64 s0, 0x33800000, |v4|
	s_wait_alu 0xf1ff
	v_cndmask_b32_e64 v4, v9, v4, s0
	s_delay_alu instid0(VALU_DEP_1)
	v_add_f32_e32 v4, v8, v4
.LBB129_72:
	s_wait_alu 0xfffe
	s_or_b32 exec_lo, exec_lo, s1
	s_delay_alu instid0(VALU_DEP_1) | instskip(SKIP_1) | instid1(VALU_DEP_2)
	v_max_num_f32_e32 v8, v4, v4
	v_cmp_u_f32_e64 s0, v4, v4
	v_min_num_f32_e32 v9, v8, v10
	v_max_num_f32_e32 v8, v8, v10
	s_wait_alu 0xf1ff
	s_delay_alu instid0(VALU_DEP_2) | instskip(NEXT) | instid1(VALU_DEP_2)
	v_cndmask_b32_e64 v9, v9, v4, s0
	v_cndmask_b32_e64 v8, v8, v4, s0
	s_delay_alu instid0(VALU_DEP_2) | instskip(NEXT) | instid1(VALU_DEP_2)
	v_cndmask_b32_e64 v9, v9, v5, s10
	v_cndmask_b32_e64 v8, v8, v5, s10
	v_mov_b32_e32 v5, v4
	s_delay_alu instid0(VALU_DEP_3) | instskip(NEXT) | instid1(VALU_DEP_3)
	v_cmp_class_f32_e64 s1, v9, 0x1f8
	v_cmp_neq_f32_e64 s0, v9, v8
	s_or_b32 s0, s0, s1
	s_wait_alu 0xfffe
	s_and_saveexec_b32 s1, s0
	s_cbranch_execz .LBB129_74
; %bb.73:
	v_sub_f32_e32 v5, v9, v8
	s_delay_alu instid0(VALU_DEP_1) | instskip(SKIP_1) | instid1(VALU_DEP_2)
	v_mul_f32_e32 v9, 0x3fb8aa3b, v5
	v_cmp_ngt_f32_e64 s0, 0xc2ce8ed0, v5
	v_fma_f32 v10, 0x3fb8aa3b, v5, -v9
	v_rndne_f32_e32 v12, v9
	s_delay_alu instid0(VALU_DEP_2) | instskip(NEXT) | instid1(VALU_DEP_2)
	v_fmamk_f32 v10, v5, 0x32a5705f, v10
	v_sub_f32_e32 v9, v9, v12
	s_delay_alu instid0(VALU_DEP_1) | instskip(SKIP_1) | instid1(VALU_DEP_2)
	v_add_f32_e32 v9, v9, v10
	v_cvt_i32_f32_e32 v10, v12
	v_exp_f32_e32 v9, v9
	s_delay_alu instid0(TRANS32_DEP_1) | instskip(SKIP_1) | instid1(VALU_DEP_1)
	v_ldexp_f32 v9, v9, v10
	s_wait_alu 0xf1ff
	v_cndmask_b32_e64 v9, 0, v9, s0
	v_cmp_nlt_f32_e64 s0, 0x42b17218, v5
	s_wait_alu 0xf1ff
	s_delay_alu instid0(VALU_DEP_1) | instskip(NEXT) | instid1(VALU_DEP_1)
	v_cndmask_b32_e64 v5, 0x7f800000, v9, s0
	v_add_f32_e32 v12, 1.0, v5
	s_delay_alu instid0(VALU_DEP_1) | instskip(NEXT) | instid1(VALU_DEP_1)
	v_cvt_f64_f32_e32 v[9:10], v12
	v_frexp_exp_i32_f64_e32 v9, v[9:10]
	v_frexp_mant_f32_e32 v10, v12
	s_delay_alu instid0(VALU_DEP_1) | instskip(SKIP_1) | instid1(VALU_DEP_1)
	v_cmp_gt_f32_e64 s0, 0x3f2aaaab, v10
	v_add_f32_e32 v10, -1.0, v12
	v_sub_f32_e32 v14, v10, v12
	s_delay_alu instid0(VALU_DEP_1)
	v_add_f32_e32 v14, 1.0, v14
	s_wait_alu 0xf1ff
	v_subrev_co_ci_u32_e64 v9, null, 0, v9, s0
	s_mov_b32 s0, 0x3e9b6dac
	v_sub_nc_u32_e32 v13, 0, v9
	v_cvt_f32_i32_e32 v9, v9
	s_delay_alu instid0(VALU_DEP_2) | instskip(NEXT) | instid1(VALU_DEP_1)
	v_ldexp_f32 v12, v12, v13
	v_dual_sub_f32 v10, v5, v10 :: v_dual_add_f32 v15, 1.0, v12
	s_delay_alu instid0(VALU_DEP_1) | instskip(NEXT) | instid1(VALU_DEP_2)
	v_add_f32_e32 v10, v10, v14
	v_add_f32_e32 v14, -1.0, v15
	s_delay_alu instid0(VALU_DEP_2) | instskip(NEXT) | instid1(VALU_DEP_2)
	v_ldexp_f32 v10, v10, v13
	v_dual_add_f32 v13, -1.0, v12 :: v_dual_sub_f32 v14, v12, v14
	s_delay_alu instid0(VALU_DEP_1) | instskip(NEXT) | instid1(VALU_DEP_1)
	v_dual_add_f32 v17, 1.0, v13 :: v_dual_add_f32 v14, v10, v14
	v_dual_sub_f32 v12, v12, v17 :: v_dual_add_f32 v17, v15, v14
	s_delay_alu instid0(VALU_DEP_1) | instskip(NEXT) | instid1(VALU_DEP_1)
	v_sub_f32_e32 v15, v15, v17
	v_add_f32_e32 v14, v14, v15
	s_delay_alu instid0(VALU_DEP_3) | instskip(SKIP_2) | instid1(VALU_DEP_1)
	v_add_f32_e32 v10, v10, v12
	v_rcp_f32_e32 v12, v17
	s_wait_dscnt 0x0
	v_add_f32_e32 v18, v13, v10
	s_delay_alu instid0(VALU_DEP_1) | instskip(NEXT) | instid1(TRANS32_DEP_1)
	v_sub_f32_e32 v13, v13, v18
	v_mul_f32_e32 v19, v18, v12
	s_delay_alu instid0(VALU_DEP_1) | instskip(NEXT) | instid1(VALU_DEP_1)
	v_mul_f32_e32 v20, v17, v19
	v_fma_f32 v15, v19, v17, -v20
	s_delay_alu instid0(VALU_DEP_1) | instskip(NEXT) | instid1(VALU_DEP_1)
	v_dual_fmac_f32 v15, v19, v14 :: v_dual_add_f32 v10, v10, v13
	v_add_f32_e32 v21, v20, v15
	s_delay_alu instid0(VALU_DEP_1) | instskip(NEXT) | instid1(VALU_DEP_1)
	v_dual_sub_f32 v22, v18, v21 :: v_dual_sub_f32 v13, v21, v20
	v_dual_sub_f32 v18, v18, v22 :: v_dual_sub_f32 v13, v13, v15
	s_delay_alu instid0(VALU_DEP_1) | instskip(NEXT) | instid1(VALU_DEP_1)
	v_sub_f32_e32 v18, v18, v21
	v_add_f32_e32 v10, v10, v18
	s_delay_alu instid0(VALU_DEP_1) | instskip(NEXT) | instid1(VALU_DEP_1)
	v_add_f32_e32 v10, v13, v10
	v_add_f32_e32 v13, v22, v10
	s_delay_alu instid0(VALU_DEP_1) | instskip(NEXT) | instid1(VALU_DEP_1)
	v_mul_f32_e32 v15, v12, v13
	v_dual_sub_f32 v21, v22, v13 :: v_dual_mul_f32 v18, v17, v15
	s_delay_alu instid0(VALU_DEP_1) | instskip(NEXT) | instid1(VALU_DEP_1)
	v_fma_f32 v17, v15, v17, -v18
	v_fmac_f32_e32 v17, v15, v14
	s_delay_alu instid0(VALU_DEP_1) | instskip(NEXT) | instid1(VALU_DEP_1)
	v_add_f32_e32 v14, v18, v17
	v_sub_f32_e32 v20, v13, v14
	s_delay_alu instid0(VALU_DEP_1) | instskip(NEXT) | instid1(VALU_DEP_1)
	v_dual_sub_f32 v18, v14, v18 :: v_dual_sub_f32 v13, v13, v20
	v_dual_add_f32 v10, v10, v21 :: v_dual_sub_f32 v13, v13, v14
	s_delay_alu instid0(VALU_DEP_2) | instskip(NEXT) | instid1(VALU_DEP_2)
	v_sub_f32_e32 v14, v18, v17
	v_dual_add_f32 v10, v10, v13 :: v_dual_add_f32 v13, v19, v15
	s_delay_alu instid0(VALU_DEP_1) | instskip(NEXT) | instid1(VALU_DEP_2)
	v_add_f32_e32 v10, v14, v10
	v_sub_f32_e32 v14, v13, v19
	s_delay_alu instid0(VALU_DEP_2) | instskip(NEXT) | instid1(VALU_DEP_2)
	v_add_f32_e32 v10, v20, v10
	v_sub_f32_e32 v14, v15, v14
	s_delay_alu instid0(VALU_DEP_2) | instskip(NEXT) | instid1(VALU_DEP_1)
	v_mul_f32_e32 v10, v12, v10
	v_add_f32_e32 v10, v14, v10
	s_delay_alu instid0(VALU_DEP_1) | instskip(NEXT) | instid1(VALU_DEP_1)
	v_add_f32_e32 v12, v13, v10
	v_mul_f32_e32 v14, v12, v12
	s_wait_alu 0xfffe
	s_delay_alu instid0(VALU_DEP_1) | instskip(SKIP_2) | instid1(VALU_DEP_3)
	v_fmaak_f32 v15, s0, v14, 0x3ecc95a3
	v_mul_f32_e32 v17, v12, v14
	v_cmp_neq_f32_e64 s0, 0x7f800000, v5
	v_fmaak_f32 v14, v14, v15, 0x3f2aaada
	v_ldexp_f32 v15, v12, 1
	s_delay_alu instid0(VALU_DEP_2) | instskip(SKIP_2) | instid1(VALU_DEP_2)
	v_mul_f32_e32 v14, v17, v14
	v_sub_f32_e32 v12, v12, v13
	v_mul_f32_e32 v17, 0x3f317218, v9
	v_dual_add_f32 v13, v15, v14 :: v_dual_sub_f32 v10, v10, v12
	s_delay_alu instid0(VALU_DEP_1) | instskip(NEXT) | instid1(VALU_DEP_3)
	v_sub_f32_e32 v12, v13, v15
	v_fma_f32 v15, 0x3f317218, v9, -v17
	s_delay_alu instid0(VALU_DEP_3) | instskip(NEXT) | instid1(VALU_DEP_2)
	v_ldexp_f32 v10, v10, 1
	v_dual_sub_f32 v12, v14, v12 :: v_dual_fmamk_f32 v9, v9, 0xb102e308, v15
	s_delay_alu instid0(VALU_DEP_1) | instskip(NEXT) | instid1(VALU_DEP_2)
	v_add_f32_e32 v10, v10, v12
	v_add_f32_e32 v12, v17, v9
	s_delay_alu instid0(VALU_DEP_1) | instskip(NEXT) | instid1(VALU_DEP_1)
	v_dual_add_f32 v14, v13, v10 :: v_dual_sub_f32 v17, v12, v17
	v_add_f32_e32 v15, v12, v14
	v_sub_f32_e32 v13, v14, v13
	s_delay_alu instid0(VALU_DEP_2) | instskip(NEXT) | instid1(VALU_DEP_1)
	v_dual_sub_f32 v9, v9, v17 :: v_dual_sub_f32 v18, v15, v12
	v_dual_sub_f32 v10, v10, v13 :: v_dual_sub_f32 v19, v15, v18
	v_sub_f32_e32 v13, v14, v18
	s_delay_alu instid0(VALU_DEP_2) | instskip(NEXT) | instid1(VALU_DEP_3)
	v_add_f32_e32 v14, v9, v10
	v_sub_f32_e32 v12, v12, v19
	s_delay_alu instid0(VALU_DEP_1) | instskip(NEXT) | instid1(VALU_DEP_1)
	v_dual_add_f32 v12, v13, v12 :: v_dual_sub_f32 v13, v14, v9
	v_add_f32_e32 v12, v14, v12
	s_delay_alu instid0(VALU_DEP_2) | instskip(NEXT) | instid1(VALU_DEP_2)
	v_sub_f32_e32 v14, v14, v13
	v_dual_sub_f32 v10, v10, v13 :: v_dual_add_f32 v17, v15, v12
	s_delay_alu instid0(VALU_DEP_2) | instskip(NEXT) | instid1(VALU_DEP_2)
	v_sub_f32_e32 v9, v9, v14
	v_sub_f32_e32 v13, v17, v15
	s_delay_alu instid0(VALU_DEP_2) | instskip(NEXT) | instid1(VALU_DEP_2)
	v_add_f32_e32 v9, v10, v9
	v_sub_f32_e32 v10, v12, v13
	s_delay_alu instid0(VALU_DEP_1) | instskip(NEXT) | instid1(VALU_DEP_1)
	v_add_f32_e32 v9, v9, v10
	v_add_f32_e32 v9, v17, v9
	s_wait_alu 0xf1ff
	s_delay_alu instid0(VALU_DEP_1) | instskip(SKIP_2) | instid1(VALU_DEP_1)
	v_cndmask_b32_e64 v9, 0x7f800000, v9, s0
	v_cmp_gt_f32_e64 s0, 0x33800000, |v5|
	s_wait_alu 0xf1ff
	v_cndmask_b32_e64 v5, v9, v5, s0
	s_delay_alu instid0(VALU_DEP_1)
	v_add_f32_e32 v5, v8, v5
.LBB129_74:
	s_wait_alu 0xfffe
	s_or_b32 exec_lo, exec_lo, s1
	s_delay_alu instid0(VALU_DEP_1) | instskip(SKIP_1) | instid1(VALU_DEP_2)
	v_max_num_f32_e32 v8, v5, v5
	v_cmp_u_f32_e64 s0, v5, v5
	v_min_num_f32_e32 v9, v8, v11
	v_max_num_f32_e32 v8, v8, v11
	s_wait_alu 0xf1ff
	s_delay_alu instid0(VALU_DEP_2) | instskip(NEXT) | instid1(VALU_DEP_2)
	v_cndmask_b32_e64 v9, v9, v5, s0
	v_cndmask_b32_e64 v8, v8, v5, s0
	s_delay_alu instid0(VALU_DEP_2) | instskip(NEXT) | instid1(VALU_DEP_2)
	v_cndmask_b32_e64 v9, v9, v6, s11
	v_cndmask_b32_e64 v8, v8, v6, s11
	v_mov_b32_e32 v6, v5
	s_delay_alu instid0(VALU_DEP_3) | instskip(NEXT) | instid1(VALU_DEP_3)
	v_cmp_class_f32_e64 s1, v9, 0x1f8
	v_cmp_neq_f32_e64 s0, v9, v8
	s_or_b32 s0, s0, s1
	s_wait_alu 0xfffe
	s_and_saveexec_b32 s1, s0
	s_cbranch_execz .LBB129_76
; %bb.75:
	v_sub_f32_e32 v6, v9, v8
	s_delay_alu instid0(VALU_DEP_1) | instskip(SKIP_1) | instid1(VALU_DEP_2)
	v_mul_f32_e32 v9, 0x3fb8aa3b, v6
	v_cmp_ngt_f32_e64 s0, 0xc2ce8ed0, v6
	v_fma_f32 v10, 0x3fb8aa3b, v6, -v9
	v_rndne_f32_e32 v11, v9
	s_delay_alu instid0(VALU_DEP_1) | instskip(NEXT) | instid1(VALU_DEP_1)
	v_dual_fmamk_f32 v10, v6, 0x32a5705f, v10 :: v_dual_sub_f32 v9, v9, v11
	v_add_f32_e32 v9, v9, v10
	v_cvt_i32_f32_e32 v10, v11
	s_delay_alu instid0(VALU_DEP_2) | instskip(NEXT) | instid1(TRANS32_DEP_1)
	v_exp_f32_e32 v9, v9
	v_ldexp_f32 v9, v9, v10
	s_wait_alu 0xf1ff
	s_delay_alu instid0(VALU_DEP_1) | instskip(SKIP_2) | instid1(VALU_DEP_1)
	v_cndmask_b32_e64 v9, 0, v9, s0
	v_cmp_nlt_f32_e64 s0, 0x42b17218, v6
	s_wait_alu 0xf1ff
	v_cndmask_b32_e64 v6, 0x7f800000, v9, s0
	s_delay_alu instid0(VALU_DEP_1) | instskip(NEXT) | instid1(VALU_DEP_1)
	v_add_f32_e32 v11, 1.0, v6
	v_cvt_f64_f32_e32 v[9:10], v11
	s_delay_alu instid0(VALU_DEP_1) | instskip(SKIP_1) | instid1(VALU_DEP_1)
	v_frexp_exp_i32_f64_e32 v9, v[9:10]
	v_frexp_mant_f32_e32 v10, v11
	v_cmp_gt_f32_e64 s0, 0x3f2aaaab, v10
	v_add_f32_e32 v10, -1.0, v11
	s_delay_alu instid0(VALU_DEP_1) | instskip(NEXT) | instid1(VALU_DEP_1)
	v_sub_f32_e32 v13, v10, v11
	v_dual_sub_f32 v10, v6, v10 :: v_dual_add_f32 v13, 1.0, v13
	s_delay_alu instid0(VALU_DEP_1)
	v_add_f32_e32 v10, v10, v13
	s_wait_alu 0xf1ff
	v_subrev_co_ci_u32_e64 v9, null, 0, v9, s0
	s_mov_b32 s0, 0x3e9b6dac
	v_sub_nc_u32_e32 v12, 0, v9
	v_cvt_f32_i32_e32 v9, v9
	s_delay_alu instid0(VALU_DEP_2) | instskip(SKIP_1) | instid1(VALU_DEP_2)
	v_ldexp_f32 v11, v11, v12
	v_ldexp_f32 v10, v10, v12
	v_add_f32_e32 v14, 1.0, v11
	s_delay_alu instid0(VALU_DEP_1) | instskip(NEXT) | instid1(VALU_DEP_1)
	v_dual_add_f32 v12, -1.0, v11 :: v_dual_add_f32 v13, -1.0, v14
	v_add_f32_e32 v15, 1.0, v12
	s_delay_alu instid0(VALU_DEP_2) | instskip(NEXT) | instid1(VALU_DEP_2)
	v_sub_f32_e32 v13, v11, v13
	v_sub_f32_e32 v11, v11, v15
	s_delay_alu instid0(VALU_DEP_2) | instskip(NEXT) | instid1(VALU_DEP_2)
	v_add_f32_e32 v13, v10, v13
	v_add_f32_e32 v10, v10, v11
	s_delay_alu instid0(VALU_DEP_2) | instskip(NEXT) | instid1(VALU_DEP_1)
	v_add_f32_e32 v15, v14, v13
	v_dual_add_f32 v17, v12, v10 :: v_dual_sub_f32 v14, v14, v15
	v_rcp_f32_e32 v11, v15
	s_delay_alu instid0(VALU_DEP_1) | instskip(NEXT) | instid1(VALU_DEP_1)
	v_dual_sub_f32 v12, v12, v17 :: v_dual_add_f32 v13, v13, v14
	v_add_f32_e32 v10, v10, v12
	s_wait_dscnt 0x0
	s_delay_alu instid0(TRANS32_DEP_1) | instskip(NEXT) | instid1(VALU_DEP_1)
	v_mul_f32_e32 v18, v17, v11
	v_mul_f32_e32 v19, v15, v18
	s_delay_alu instid0(VALU_DEP_1) | instskip(NEXT) | instid1(VALU_DEP_1)
	v_fma_f32 v14, v18, v15, -v19
	v_fmac_f32_e32 v14, v18, v13
	s_delay_alu instid0(VALU_DEP_1) | instskip(NEXT) | instid1(VALU_DEP_1)
	v_add_f32_e32 v20, v19, v14
	v_dual_sub_f32 v12, v20, v19 :: v_dual_sub_f32 v21, v17, v20
	s_delay_alu instid0(VALU_DEP_1) | instskip(NEXT) | instid1(VALU_DEP_1)
	v_dual_sub_f32 v12, v12, v14 :: v_dual_sub_f32 v17, v17, v21
	v_sub_f32_e32 v17, v17, v20
	s_delay_alu instid0(VALU_DEP_1) | instskip(NEXT) | instid1(VALU_DEP_1)
	v_add_f32_e32 v10, v10, v17
	v_add_f32_e32 v10, v12, v10
	s_delay_alu instid0(VALU_DEP_1) | instskip(NEXT) | instid1(VALU_DEP_1)
	v_add_f32_e32 v12, v21, v10
	v_mul_f32_e32 v14, v11, v12
	s_delay_alu instid0(VALU_DEP_1) | instskip(NEXT) | instid1(VALU_DEP_1)
	v_mul_f32_e32 v17, v15, v14
	v_fma_f32 v15, v14, v15, -v17
	s_delay_alu instid0(VALU_DEP_1) | instskip(NEXT) | instid1(VALU_DEP_1)
	v_dual_fmac_f32 v15, v14, v13 :: v_dual_sub_f32 v20, v21, v12
	v_dual_add_f32 v13, v17, v15 :: v_dual_add_f32 v10, v10, v20
	s_delay_alu instid0(VALU_DEP_1) | instskip(SKIP_1) | instid1(VALU_DEP_1)
	v_sub_f32_e32 v17, v13, v17
	v_sub_f32_e32 v19, v12, v13
	;; [unrolled: 1-line block ×3, first 2 shown]
	s_delay_alu instid0(VALU_DEP_1) | instskip(NEXT) | instid1(VALU_DEP_1)
	v_dual_sub_f32 v12, v12, v13 :: v_dual_sub_f32 v13, v17, v15
	v_add_f32_e32 v10, v10, v12
	v_add_f32_e32 v12, v18, v14
	s_delay_alu instid0(VALU_DEP_2) | instskip(NEXT) | instid1(VALU_DEP_2)
	v_add_f32_e32 v10, v13, v10
	v_sub_f32_e32 v13, v12, v18
	s_delay_alu instid0(VALU_DEP_1) | instskip(NEXT) | instid1(VALU_DEP_1)
	v_dual_sub_f32 v13, v14, v13 :: v_dual_add_f32 v10, v19, v10
	v_mul_f32_e32 v10, v11, v10
	s_delay_alu instid0(VALU_DEP_1) | instskip(NEXT) | instid1(VALU_DEP_1)
	v_add_f32_e32 v10, v13, v10
	v_add_f32_e32 v11, v12, v10
	s_delay_alu instid0(VALU_DEP_1) | instskip(SKIP_1) | instid1(VALU_DEP_1)
	v_mul_f32_e32 v13, v11, v11
	s_wait_alu 0xfffe
	v_fmaak_f32 v14, s0, v13, 0x3ecc95a3
	v_mul_f32_e32 v15, v11, v13
	v_cmp_neq_f32_e64 s0, 0x7f800000, v6
	s_delay_alu instid0(VALU_DEP_3) | instskip(SKIP_2) | instid1(VALU_DEP_1)
	v_fmaak_f32 v13, v13, v14, 0x3f2aaada
	v_ldexp_f32 v14, v11, 1
	v_sub_f32_e32 v11, v11, v12
	v_sub_f32_e32 v10, v10, v11
	s_delay_alu instid0(VALU_DEP_1) | instskip(SKIP_2) | instid1(VALU_DEP_2)
	v_ldexp_f32 v10, v10, 1
	v_mul_f32_e32 v13, v15, v13
	v_mul_f32_e32 v15, 0x3f317218, v9
	v_add_f32_e32 v12, v14, v13
	s_delay_alu instid0(VALU_DEP_1) | instskip(NEXT) | instid1(VALU_DEP_3)
	v_sub_f32_e32 v11, v12, v14
	v_fma_f32 v14, 0x3f317218, v9, -v15
	s_delay_alu instid0(VALU_DEP_2) | instskip(NEXT) | instid1(VALU_DEP_1)
	v_sub_f32_e32 v11, v13, v11
	v_add_f32_e32 v10, v10, v11
	s_delay_alu instid0(VALU_DEP_1) | instskip(NEXT) | instid1(VALU_DEP_4)
	v_add_f32_e32 v13, v12, v10
	v_fmamk_f32 v9, v9, 0xb102e308, v14
	s_delay_alu instid0(VALU_DEP_1) | instskip(NEXT) | instid1(VALU_DEP_1)
	v_dual_sub_f32 v12, v13, v12 :: v_dual_add_f32 v11, v15, v9
	v_sub_f32_e32 v10, v10, v12
	s_delay_alu instid0(VALU_DEP_2) | instskip(SKIP_1) | instid1(VALU_DEP_1)
	v_add_f32_e32 v14, v11, v13
	v_sub_f32_e32 v15, v11, v15
	v_sub_f32_e32 v9, v9, v15
	s_delay_alu instid0(VALU_DEP_3) | instskip(NEXT) | instid1(VALU_DEP_1)
	v_sub_f32_e32 v17, v14, v11
	v_sub_f32_e32 v18, v14, v17
	;; [unrolled: 1-line block ×3, first 2 shown]
	s_delay_alu instid0(VALU_DEP_4) | instskip(NEXT) | instid1(VALU_DEP_3)
	v_add_f32_e32 v13, v9, v10
	v_sub_f32_e32 v11, v11, v18
	s_delay_alu instid0(VALU_DEP_1) | instskip(NEXT) | instid1(VALU_DEP_1)
	v_dual_add_f32 v11, v12, v11 :: v_dual_sub_f32 v12, v13, v9
	v_add_f32_e32 v11, v13, v11
	s_delay_alu instid0(VALU_DEP_2) | instskip(SKIP_1) | instid1(VALU_DEP_3)
	v_sub_f32_e32 v13, v13, v12
	v_sub_f32_e32 v10, v10, v12
	v_add_f32_e32 v15, v14, v11
	s_delay_alu instid0(VALU_DEP_1) | instskip(NEXT) | instid1(VALU_DEP_1)
	v_dual_sub_f32 v9, v9, v13 :: v_dual_sub_f32 v12, v15, v14
	v_dual_add_f32 v9, v10, v9 :: v_dual_sub_f32 v10, v11, v12
	s_delay_alu instid0(VALU_DEP_1) | instskip(NEXT) | instid1(VALU_DEP_1)
	v_add_f32_e32 v9, v9, v10
	v_add_f32_e32 v9, v15, v9
	s_wait_alu 0xf1ff
	s_delay_alu instid0(VALU_DEP_1) | instskip(SKIP_2) | instid1(VALU_DEP_1)
	v_cndmask_b32_e64 v9, 0x7f800000, v9, s0
	v_cmp_gt_f32_e64 s0, 0x33800000, |v6|
	s_wait_alu 0xf1ff
	v_cndmask_b32_e64 v6, v9, v6, s0
	s_delay_alu instid0(VALU_DEP_1)
	v_add_f32_e32 v6, v8, v6
.LBB129_76:
	s_wait_alu 0xfffe
	s_or_b32 exec_lo, exec_lo, s1
	v_add_nc_u32_e32 v8, v7, v16
	s_wait_loadcnt_dscnt 0x0
	s_barrier_signal -1
	s_barrier_wait -1
	global_inv scope:SCOPE_SE
	ds_store_2addr_b64 v8, v[1:2], v[3:4] offset1:1
	ds_store_b64 v8, v[5:6] offset:16
	s_wait_loadcnt_dscnt 0x0
	s_barrier_signal -1
	s_barrier_wait -1
	global_inv scope:SCOPE_SE
	ds_load_2addr_stride64_b32 v[4:5], v7 offset0:4 offset1:8
	ds_load_2addr_stride64_b32 v[2:3], v7 offset0:12 offset1:16
	ds_load_b32 v6, v7 offset:5120
	v_lshlrev_b32_e32 v0, 2, v0
	s_wait_kmcnt 0x0
	s_delay_alu instid0(VALU_DEP_1)
	v_add_co_u32 v0, s0, s14, v0
	s_wait_alu 0xf1ff
	v_add_co_ci_u32_e64 v1, null, s15, 0, s0
	s_and_saveexec_b32 s0, vcc_lo
	s_cbranch_execnz .LBB129_83
; %bb.77:
	s_wait_alu 0xfffe
	s_or_b32 exec_lo, exec_lo, s0
	s_and_saveexec_b32 s0, s2
	s_cbranch_execnz .LBB129_84
.LBB129_78:
	s_wait_alu 0xfffe
	s_or_b32 exec_lo, exec_lo, s0
	s_and_saveexec_b32 s0, s3
	s_cbranch_execnz .LBB129_85
.LBB129_79:
	s_wait_alu 0xfffe
	s_or_b32 exec_lo, exec_lo, s0
	s_and_saveexec_b32 s0, s4
	s_cbranch_execnz .LBB129_86
.LBB129_80:
	s_wait_alu 0xfffe
	s_or_b32 exec_lo, exec_lo, s0
	s_and_saveexec_b32 s0, s5
	s_cbranch_execnz .LBB129_87
.LBB129_81:
	s_wait_alu 0xfffe
	s_or_b32 exec_lo, exec_lo, s0
	s_and_saveexec_b32 s0, s6
	s_cbranch_execnz .LBB129_88
.LBB129_82:
	s_endpgm
.LBB129_83:
	ds_load_b32 v7, v7
	s_wait_dscnt 0x0
	global_store_b32 v[0:1], v7, off
	s_wait_alu 0xfffe
	s_or_b32 exec_lo, exec_lo, s0
	s_and_saveexec_b32 s0, s2
	s_cbranch_execz .LBB129_78
.LBB129_84:
	s_wait_dscnt 0x2
	global_store_b32 v[0:1], v4, off offset:1024
	s_wait_alu 0xfffe
	s_or_b32 exec_lo, exec_lo, s0
	s_and_saveexec_b32 s0, s3
	s_cbranch_execz .LBB129_79
.LBB129_85:
	s_wait_dscnt 0x2
	global_store_b32 v[0:1], v5, off offset:2048
	s_wait_alu 0xfffe
	s_or_b32 exec_lo, exec_lo, s0
	s_and_saveexec_b32 s0, s4
	s_cbranch_execz .LBB129_80
.LBB129_86:
	s_wait_dscnt 0x1
	global_store_b32 v[0:1], v2, off offset:3072
	s_wait_alu 0xfffe
	s_or_b32 exec_lo, exec_lo, s0
	s_and_saveexec_b32 s0, s5
	s_cbranch_execz .LBB129_81
.LBB129_87:
	s_wait_dscnt 0x1
	global_store_b32 v[0:1], v3, off offset:4096
	s_wait_alu 0xfffe
	s_or_b32 exec_lo, exec_lo, s0
	s_and_saveexec_b32 s0, s6
	s_cbranch_execz .LBB129_82
.LBB129_88:
	s_wait_dscnt 0x0
	global_store_b32 v[0:1], v6, off offset:5120
	s_endpgm
	.section	.rodata,"a",@progbits
	.p2align	6, 0x0
	.amdhsa_kernel _ZN7rocprim17ROCPRIM_400000_NS6detail17trampoline_kernelINS0_14default_configENS1_20scan_config_selectorIfEEZZNS1_9scan_implILNS1_25lookback_scan_determinismE0ELb0ELb0ES3_PKfPffZZZN2at6native31launch_logcumsumexp_cuda_kernelERKNSB_10TensorBaseESF_lENKUlvE_clEvENKUlvE0_clEvEUlffE_fEEDaPvRmT3_T4_T5_mT6_P12ihipStream_tbENKUlT_T0_E_clISt17integral_constantIbLb1EESW_EEDaSR_SS_EUlSR_E0_NS1_11comp_targetILNS1_3genE10ELNS1_11target_archE1201ELNS1_3gpuE5ELNS1_3repE0EEENS1_30default_config_static_selectorELNS0_4arch9wavefront6targetE0EEEvT1_
		.amdhsa_group_segment_fixed_size 6144
		.amdhsa_private_segment_fixed_size 0
		.amdhsa_kernarg_size 32
		.amdhsa_user_sgpr_count 2
		.amdhsa_user_sgpr_dispatch_ptr 0
		.amdhsa_user_sgpr_queue_ptr 0
		.amdhsa_user_sgpr_kernarg_segment_ptr 1
		.amdhsa_user_sgpr_dispatch_id 0
		.amdhsa_user_sgpr_private_segment_size 0
		.amdhsa_wavefront_size32 1
		.amdhsa_uses_dynamic_stack 0
		.amdhsa_enable_private_segment 0
		.amdhsa_system_sgpr_workgroup_id_x 1
		.amdhsa_system_sgpr_workgroup_id_y 0
		.amdhsa_system_sgpr_workgroup_id_z 0
		.amdhsa_system_sgpr_workgroup_info 0
		.amdhsa_system_vgpr_workitem_id 0
		.amdhsa_next_free_vgpr 35
		.amdhsa_next_free_sgpr 17
		.amdhsa_reserve_vcc 1
		.amdhsa_float_round_mode_32 0
		.amdhsa_float_round_mode_16_64 0
		.amdhsa_float_denorm_mode_32 3
		.amdhsa_float_denorm_mode_16_64 3
		.amdhsa_fp16_overflow 0
		.amdhsa_workgroup_processor_mode 1
		.amdhsa_memory_ordered 1
		.amdhsa_forward_progress 1
		.amdhsa_inst_pref_size 163
		.amdhsa_round_robin_scheduling 0
		.amdhsa_exception_fp_ieee_invalid_op 0
		.amdhsa_exception_fp_denorm_src 0
		.amdhsa_exception_fp_ieee_div_zero 0
		.amdhsa_exception_fp_ieee_overflow 0
		.amdhsa_exception_fp_ieee_underflow 0
		.amdhsa_exception_fp_ieee_inexact 0
		.amdhsa_exception_int_div_zero 0
	.end_amdhsa_kernel
	.section	.text._ZN7rocprim17ROCPRIM_400000_NS6detail17trampoline_kernelINS0_14default_configENS1_20scan_config_selectorIfEEZZNS1_9scan_implILNS1_25lookback_scan_determinismE0ELb0ELb0ES3_PKfPffZZZN2at6native31launch_logcumsumexp_cuda_kernelERKNSB_10TensorBaseESF_lENKUlvE_clEvENKUlvE0_clEvEUlffE_fEEDaPvRmT3_T4_T5_mT6_P12ihipStream_tbENKUlT_T0_E_clISt17integral_constantIbLb1EESW_EEDaSR_SS_EUlSR_E0_NS1_11comp_targetILNS1_3genE10ELNS1_11target_archE1201ELNS1_3gpuE5ELNS1_3repE0EEENS1_30default_config_static_selectorELNS0_4arch9wavefront6targetE0EEEvT1_,"axG",@progbits,_ZN7rocprim17ROCPRIM_400000_NS6detail17trampoline_kernelINS0_14default_configENS1_20scan_config_selectorIfEEZZNS1_9scan_implILNS1_25lookback_scan_determinismE0ELb0ELb0ES3_PKfPffZZZN2at6native31launch_logcumsumexp_cuda_kernelERKNSB_10TensorBaseESF_lENKUlvE_clEvENKUlvE0_clEvEUlffE_fEEDaPvRmT3_T4_T5_mT6_P12ihipStream_tbENKUlT_T0_E_clISt17integral_constantIbLb1EESW_EEDaSR_SS_EUlSR_E0_NS1_11comp_targetILNS1_3genE10ELNS1_11target_archE1201ELNS1_3gpuE5ELNS1_3repE0EEENS1_30default_config_static_selectorELNS0_4arch9wavefront6targetE0EEEvT1_,comdat
.Lfunc_end129:
	.size	_ZN7rocprim17ROCPRIM_400000_NS6detail17trampoline_kernelINS0_14default_configENS1_20scan_config_selectorIfEEZZNS1_9scan_implILNS1_25lookback_scan_determinismE0ELb0ELb0ES3_PKfPffZZZN2at6native31launch_logcumsumexp_cuda_kernelERKNSB_10TensorBaseESF_lENKUlvE_clEvENKUlvE0_clEvEUlffE_fEEDaPvRmT3_T4_T5_mT6_P12ihipStream_tbENKUlT_T0_E_clISt17integral_constantIbLb1EESW_EEDaSR_SS_EUlSR_E0_NS1_11comp_targetILNS1_3genE10ELNS1_11target_archE1201ELNS1_3gpuE5ELNS1_3repE0EEENS1_30default_config_static_selectorELNS0_4arch9wavefront6targetE0EEEvT1_, .Lfunc_end129-_ZN7rocprim17ROCPRIM_400000_NS6detail17trampoline_kernelINS0_14default_configENS1_20scan_config_selectorIfEEZZNS1_9scan_implILNS1_25lookback_scan_determinismE0ELb0ELb0ES3_PKfPffZZZN2at6native31launch_logcumsumexp_cuda_kernelERKNSB_10TensorBaseESF_lENKUlvE_clEvENKUlvE0_clEvEUlffE_fEEDaPvRmT3_T4_T5_mT6_P12ihipStream_tbENKUlT_T0_E_clISt17integral_constantIbLb1EESW_EEDaSR_SS_EUlSR_E0_NS1_11comp_targetILNS1_3genE10ELNS1_11target_archE1201ELNS1_3gpuE5ELNS1_3repE0EEENS1_30default_config_static_selectorELNS0_4arch9wavefront6targetE0EEEvT1_
                                        ; -- End function
	.set _ZN7rocprim17ROCPRIM_400000_NS6detail17trampoline_kernelINS0_14default_configENS1_20scan_config_selectorIfEEZZNS1_9scan_implILNS1_25lookback_scan_determinismE0ELb0ELb0ES3_PKfPffZZZN2at6native31launch_logcumsumexp_cuda_kernelERKNSB_10TensorBaseESF_lENKUlvE_clEvENKUlvE0_clEvEUlffE_fEEDaPvRmT3_T4_T5_mT6_P12ihipStream_tbENKUlT_T0_E_clISt17integral_constantIbLb1EESW_EEDaSR_SS_EUlSR_E0_NS1_11comp_targetILNS1_3genE10ELNS1_11target_archE1201ELNS1_3gpuE5ELNS1_3repE0EEENS1_30default_config_static_selectorELNS0_4arch9wavefront6targetE0EEEvT1_.num_vgpr, 35
	.set _ZN7rocprim17ROCPRIM_400000_NS6detail17trampoline_kernelINS0_14default_configENS1_20scan_config_selectorIfEEZZNS1_9scan_implILNS1_25lookback_scan_determinismE0ELb0ELb0ES3_PKfPffZZZN2at6native31launch_logcumsumexp_cuda_kernelERKNSB_10TensorBaseESF_lENKUlvE_clEvENKUlvE0_clEvEUlffE_fEEDaPvRmT3_T4_T5_mT6_P12ihipStream_tbENKUlT_T0_E_clISt17integral_constantIbLb1EESW_EEDaSR_SS_EUlSR_E0_NS1_11comp_targetILNS1_3genE10ELNS1_11target_archE1201ELNS1_3gpuE5ELNS1_3repE0EEENS1_30default_config_static_selectorELNS0_4arch9wavefront6targetE0EEEvT1_.num_agpr, 0
	.set _ZN7rocprim17ROCPRIM_400000_NS6detail17trampoline_kernelINS0_14default_configENS1_20scan_config_selectorIfEEZZNS1_9scan_implILNS1_25lookback_scan_determinismE0ELb0ELb0ES3_PKfPffZZZN2at6native31launch_logcumsumexp_cuda_kernelERKNSB_10TensorBaseESF_lENKUlvE_clEvENKUlvE0_clEvEUlffE_fEEDaPvRmT3_T4_T5_mT6_P12ihipStream_tbENKUlT_T0_E_clISt17integral_constantIbLb1EESW_EEDaSR_SS_EUlSR_E0_NS1_11comp_targetILNS1_3genE10ELNS1_11target_archE1201ELNS1_3gpuE5ELNS1_3repE0EEENS1_30default_config_static_selectorELNS0_4arch9wavefront6targetE0EEEvT1_.numbered_sgpr, 17
	.set _ZN7rocprim17ROCPRIM_400000_NS6detail17trampoline_kernelINS0_14default_configENS1_20scan_config_selectorIfEEZZNS1_9scan_implILNS1_25lookback_scan_determinismE0ELb0ELb0ES3_PKfPffZZZN2at6native31launch_logcumsumexp_cuda_kernelERKNSB_10TensorBaseESF_lENKUlvE_clEvENKUlvE0_clEvEUlffE_fEEDaPvRmT3_T4_T5_mT6_P12ihipStream_tbENKUlT_T0_E_clISt17integral_constantIbLb1EESW_EEDaSR_SS_EUlSR_E0_NS1_11comp_targetILNS1_3genE10ELNS1_11target_archE1201ELNS1_3gpuE5ELNS1_3repE0EEENS1_30default_config_static_selectorELNS0_4arch9wavefront6targetE0EEEvT1_.num_named_barrier, 0
	.set _ZN7rocprim17ROCPRIM_400000_NS6detail17trampoline_kernelINS0_14default_configENS1_20scan_config_selectorIfEEZZNS1_9scan_implILNS1_25lookback_scan_determinismE0ELb0ELb0ES3_PKfPffZZZN2at6native31launch_logcumsumexp_cuda_kernelERKNSB_10TensorBaseESF_lENKUlvE_clEvENKUlvE0_clEvEUlffE_fEEDaPvRmT3_T4_T5_mT6_P12ihipStream_tbENKUlT_T0_E_clISt17integral_constantIbLb1EESW_EEDaSR_SS_EUlSR_E0_NS1_11comp_targetILNS1_3genE10ELNS1_11target_archE1201ELNS1_3gpuE5ELNS1_3repE0EEENS1_30default_config_static_selectorELNS0_4arch9wavefront6targetE0EEEvT1_.private_seg_size, 0
	.set _ZN7rocprim17ROCPRIM_400000_NS6detail17trampoline_kernelINS0_14default_configENS1_20scan_config_selectorIfEEZZNS1_9scan_implILNS1_25lookback_scan_determinismE0ELb0ELb0ES3_PKfPffZZZN2at6native31launch_logcumsumexp_cuda_kernelERKNSB_10TensorBaseESF_lENKUlvE_clEvENKUlvE0_clEvEUlffE_fEEDaPvRmT3_T4_T5_mT6_P12ihipStream_tbENKUlT_T0_E_clISt17integral_constantIbLb1EESW_EEDaSR_SS_EUlSR_E0_NS1_11comp_targetILNS1_3genE10ELNS1_11target_archE1201ELNS1_3gpuE5ELNS1_3repE0EEENS1_30default_config_static_selectorELNS0_4arch9wavefront6targetE0EEEvT1_.uses_vcc, 1
	.set _ZN7rocprim17ROCPRIM_400000_NS6detail17trampoline_kernelINS0_14default_configENS1_20scan_config_selectorIfEEZZNS1_9scan_implILNS1_25lookback_scan_determinismE0ELb0ELb0ES3_PKfPffZZZN2at6native31launch_logcumsumexp_cuda_kernelERKNSB_10TensorBaseESF_lENKUlvE_clEvENKUlvE0_clEvEUlffE_fEEDaPvRmT3_T4_T5_mT6_P12ihipStream_tbENKUlT_T0_E_clISt17integral_constantIbLb1EESW_EEDaSR_SS_EUlSR_E0_NS1_11comp_targetILNS1_3genE10ELNS1_11target_archE1201ELNS1_3gpuE5ELNS1_3repE0EEENS1_30default_config_static_selectorELNS0_4arch9wavefront6targetE0EEEvT1_.uses_flat_scratch, 0
	.set _ZN7rocprim17ROCPRIM_400000_NS6detail17trampoline_kernelINS0_14default_configENS1_20scan_config_selectorIfEEZZNS1_9scan_implILNS1_25lookback_scan_determinismE0ELb0ELb0ES3_PKfPffZZZN2at6native31launch_logcumsumexp_cuda_kernelERKNSB_10TensorBaseESF_lENKUlvE_clEvENKUlvE0_clEvEUlffE_fEEDaPvRmT3_T4_T5_mT6_P12ihipStream_tbENKUlT_T0_E_clISt17integral_constantIbLb1EESW_EEDaSR_SS_EUlSR_E0_NS1_11comp_targetILNS1_3genE10ELNS1_11target_archE1201ELNS1_3gpuE5ELNS1_3repE0EEENS1_30default_config_static_selectorELNS0_4arch9wavefront6targetE0EEEvT1_.has_dyn_sized_stack, 0
	.set _ZN7rocprim17ROCPRIM_400000_NS6detail17trampoline_kernelINS0_14default_configENS1_20scan_config_selectorIfEEZZNS1_9scan_implILNS1_25lookback_scan_determinismE0ELb0ELb0ES3_PKfPffZZZN2at6native31launch_logcumsumexp_cuda_kernelERKNSB_10TensorBaseESF_lENKUlvE_clEvENKUlvE0_clEvEUlffE_fEEDaPvRmT3_T4_T5_mT6_P12ihipStream_tbENKUlT_T0_E_clISt17integral_constantIbLb1EESW_EEDaSR_SS_EUlSR_E0_NS1_11comp_targetILNS1_3genE10ELNS1_11target_archE1201ELNS1_3gpuE5ELNS1_3repE0EEENS1_30default_config_static_selectorELNS0_4arch9wavefront6targetE0EEEvT1_.has_recursion, 0
	.set _ZN7rocprim17ROCPRIM_400000_NS6detail17trampoline_kernelINS0_14default_configENS1_20scan_config_selectorIfEEZZNS1_9scan_implILNS1_25lookback_scan_determinismE0ELb0ELb0ES3_PKfPffZZZN2at6native31launch_logcumsumexp_cuda_kernelERKNSB_10TensorBaseESF_lENKUlvE_clEvENKUlvE0_clEvEUlffE_fEEDaPvRmT3_T4_T5_mT6_P12ihipStream_tbENKUlT_T0_E_clISt17integral_constantIbLb1EESW_EEDaSR_SS_EUlSR_E0_NS1_11comp_targetILNS1_3genE10ELNS1_11target_archE1201ELNS1_3gpuE5ELNS1_3repE0EEENS1_30default_config_static_selectorELNS0_4arch9wavefront6targetE0EEEvT1_.has_indirect_call, 0
	.section	.AMDGPU.csdata,"",@progbits
; Kernel info:
; codeLenInByte = 20840
; TotalNumSgprs: 19
; NumVgprs: 35
; ScratchSize: 0
; MemoryBound: 0
; FloatMode: 240
; IeeeMode: 1
; LDSByteSize: 6144 bytes/workgroup (compile time only)
; SGPRBlocks: 0
; VGPRBlocks: 4
; NumSGPRsForWavesPerEU: 19
; NumVGPRsForWavesPerEU: 35
; Occupancy: 16
; WaveLimiterHint : 0
; COMPUTE_PGM_RSRC2:SCRATCH_EN: 0
; COMPUTE_PGM_RSRC2:USER_SGPR: 2
; COMPUTE_PGM_RSRC2:TRAP_HANDLER: 0
; COMPUTE_PGM_RSRC2:TGID_X_EN: 1
; COMPUTE_PGM_RSRC2:TGID_Y_EN: 0
; COMPUTE_PGM_RSRC2:TGID_Z_EN: 0
; COMPUTE_PGM_RSRC2:TIDIG_COMP_CNT: 0
	.section	.text._ZN7rocprim17ROCPRIM_400000_NS6detail17trampoline_kernelINS0_14default_configENS1_20scan_config_selectorIfEEZZNS1_9scan_implILNS1_25lookback_scan_determinismE0ELb0ELb0ES3_PKfPffZZZN2at6native31launch_logcumsumexp_cuda_kernelERKNSB_10TensorBaseESF_lENKUlvE_clEvENKUlvE0_clEvEUlffE_fEEDaPvRmT3_T4_T5_mT6_P12ihipStream_tbENKUlT_T0_E_clISt17integral_constantIbLb1EESW_EEDaSR_SS_EUlSR_E0_NS1_11comp_targetILNS1_3genE10ELNS1_11target_archE1200ELNS1_3gpuE4ELNS1_3repE0EEENS1_30default_config_static_selectorELNS0_4arch9wavefront6targetE0EEEvT1_,"axG",@progbits,_ZN7rocprim17ROCPRIM_400000_NS6detail17trampoline_kernelINS0_14default_configENS1_20scan_config_selectorIfEEZZNS1_9scan_implILNS1_25lookback_scan_determinismE0ELb0ELb0ES3_PKfPffZZZN2at6native31launch_logcumsumexp_cuda_kernelERKNSB_10TensorBaseESF_lENKUlvE_clEvENKUlvE0_clEvEUlffE_fEEDaPvRmT3_T4_T5_mT6_P12ihipStream_tbENKUlT_T0_E_clISt17integral_constantIbLb1EESW_EEDaSR_SS_EUlSR_E0_NS1_11comp_targetILNS1_3genE10ELNS1_11target_archE1200ELNS1_3gpuE4ELNS1_3repE0EEENS1_30default_config_static_selectorELNS0_4arch9wavefront6targetE0EEEvT1_,comdat
	.globl	_ZN7rocprim17ROCPRIM_400000_NS6detail17trampoline_kernelINS0_14default_configENS1_20scan_config_selectorIfEEZZNS1_9scan_implILNS1_25lookback_scan_determinismE0ELb0ELb0ES3_PKfPffZZZN2at6native31launch_logcumsumexp_cuda_kernelERKNSB_10TensorBaseESF_lENKUlvE_clEvENKUlvE0_clEvEUlffE_fEEDaPvRmT3_T4_T5_mT6_P12ihipStream_tbENKUlT_T0_E_clISt17integral_constantIbLb1EESW_EEDaSR_SS_EUlSR_E0_NS1_11comp_targetILNS1_3genE10ELNS1_11target_archE1200ELNS1_3gpuE4ELNS1_3repE0EEENS1_30default_config_static_selectorELNS0_4arch9wavefront6targetE0EEEvT1_ ; -- Begin function _ZN7rocprim17ROCPRIM_400000_NS6detail17trampoline_kernelINS0_14default_configENS1_20scan_config_selectorIfEEZZNS1_9scan_implILNS1_25lookback_scan_determinismE0ELb0ELb0ES3_PKfPffZZZN2at6native31launch_logcumsumexp_cuda_kernelERKNSB_10TensorBaseESF_lENKUlvE_clEvENKUlvE0_clEvEUlffE_fEEDaPvRmT3_T4_T5_mT6_P12ihipStream_tbENKUlT_T0_E_clISt17integral_constantIbLb1EESW_EEDaSR_SS_EUlSR_E0_NS1_11comp_targetILNS1_3genE10ELNS1_11target_archE1200ELNS1_3gpuE4ELNS1_3repE0EEENS1_30default_config_static_selectorELNS0_4arch9wavefront6targetE0EEEvT1_
	.p2align	8
	.type	_ZN7rocprim17ROCPRIM_400000_NS6detail17trampoline_kernelINS0_14default_configENS1_20scan_config_selectorIfEEZZNS1_9scan_implILNS1_25lookback_scan_determinismE0ELb0ELb0ES3_PKfPffZZZN2at6native31launch_logcumsumexp_cuda_kernelERKNSB_10TensorBaseESF_lENKUlvE_clEvENKUlvE0_clEvEUlffE_fEEDaPvRmT3_T4_T5_mT6_P12ihipStream_tbENKUlT_T0_E_clISt17integral_constantIbLb1EESW_EEDaSR_SS_EUlSR_E0_NS1_11comp_targetILNS1_3genE10ELNS1_11target_archE1200ELNS1_3gpuE4ELNS1_3repE0EEENS1_30default_config_static_selectorELNS0_4arch9wavefront6targetE0EEEvT1_,@function
_ZN7rocprim17ROCPRIM_400000_NS6detail17trampoline_kernelINS0_14default_configENS1_20scan_config_selectorIfEEZZNS1_9scan_implILNS1_25lookback_scan_determinismE0ELb0ELb0ES3_PKfPffZZZN2at6native31launch_logcumsumexp_cuda_kernelERKNSB_10TensorBaseESF_lENKUlvE_clEvENKUlvE0_clEvEUlffE_fEEDaPvRmT3_T4_T5_mT6_P12ihipStream_tbENKUlT_T0_E_clISt17integral_constantIbLb1EESW_EEDaSR_SS_EUlSR_E0_NS1_11comp_targetILNS1_3genE10ELNS1_11target_archE1200ELNS1_3gpuE4ELNS1_3repE0EEENS1_30default_config_static_selectorELNS0_4arch9wavefront6targetE0EEEvT1_: ; @_ZN7rocprim17ROCPRIM_400000_NS6detail17trampoline_kernelINS0_14default_configENS1_20scan_config_selectorIfEEZZNS1_9scan_implILNS1_25lookback_scan_determinismE0ELb0ELb0ES3_PKfPffZZZN2at6native31launch_logcumsumexp_cuda_kernelERKNSB_10TensorBaseESF_lENKUlvE_clEvENKUlvE0_clEvEUlffE_fEEDaPvRmT3_T4_T5_mT6_P12ihipStream_tbENKUlT_T0_E_clISt17integral_constantIbLb1EESW_EEDaSR_SS_EUlSR_E0_NS1_11comp_targetILNS1_3genE10ELNS1_11target_archE1200ELNS1_3gpuE4ELNS1_3repE0EEENS1_30default_config_static_selectorELNS0_4arch9wavefront6targetE0EEEvT1_
; %bb.0:
	.section	.rodata,"a",@progbits
	.p2align	6, 0x0
	.amdhsa_kernel _ZN7rocprim17ROCPRIM_400000_NS6detail17trampoline_kernelINS0_14default_configENS1_20scan_config_selectorIfEEZZNS1_9scan_implILNS1_25lookback_scan_determinismE0ELb0ELb0ES3_PKfPffZZZN2at6native31launch_logcumsumexp_cuda_kernelERKNSB_10TensorBaseESF_lENKUlvE_clEvENKUlvE0_clEvEUlffE_fEEDaPvRmT3_T4_T5_mT6_P12ihipStream_tbENKUlT_T0_E_clISt17integral_constantIbLb1EESW_EEDaSR_SS_EUlSR_E0_NS1_11comp_targetILNS1_3genE10ELNS1_11target_archE1200ELNS1_3gpuE4ELNS1_3repE0EEENS1_30default_config_static_selectorELNS0_4arch9wavefront6targetE0EEEvT1_
		.amdhsa_group_segment_fixed_size 0
		.amdhsa_private_segment_fixed_size 0
		.amdhsa_kernarg_size 32
		.amdhsa_user_sgpr_count 2
		.amdhsa_user_sgpr_dispatch_ptr 0
		.amdhsa_user_sgpr_queue_ptr 0
		.amdhsa_user_sgpr_kernarg_segment_ptr 1
		.amdhsa_user_sgpr_dispatch_id 0
		.amdhsa_user_sgpr_private_segment_size 0
		.amdhsa_wavefront_size32 1
		.amdhsa_uses_dynamic_stack 0
		.amdhsa_enable_private_segment 0
		.amdhsa_system_sgpr_workgroup_id_x 1
		.amdhsa_system_sgpr_workgroup_id_y 0
		.amdhsa_system_sgpr_workgroup_id_z 0
		.amdhsa_system_sgpr_workgroup_info 0
		.amdhsa_system_vgpr_workitem_id 0
		.amdhsa_next_free_vgpr 1
		.amdhsa_next_free_sgpr 1
		.amdhsa_reserve_vcc 0
		.amdhsa_float_round_mode_32 0
		.amdhsa_float_round_mode_16_64 0
		.amdhsa_float_denorm_mode_32 3
		.amdhsa_float_denorm_mode_16_64 3
		.amdhsa_fp16_overflow 0
		.amdhsa_workgroup_processor_mode 1
		.amdhsa_memory_ordered 1
		.amdhsa_forward_progress 1
		.amdhsa_inst_pref_size 0
		.amdhsa_round_robin_scheduling 0
		.amdhsa_exception_fp_ieee_invalid_op 0
		.amdhsa_exception_fp_denorm_src 0
		.amdhsa_exception_fp_ieee_div_zero 0
		.amdhsa_exception_fp_ieee_overflow 0
		.amdhsa_exception_fp_ieee_underflow 0
		.amdhsa_exception_fp_ieee_inexact 0
		.amdhsa_exception_int_div_zero 0
	.end_amdhsa_kernel
	.section	.text._ZN7rocprim17ROCPRIM_400000_NS6detail17trampoline_kernelINS0_14default_configENS1_20scan_config_selectorIfEEZZNS1_9scan_implILNS1_25lookback_scan_determinismE0ELb0ELb0ES3_PKfPffZZZN2at6native31launch_logcumsumexp_cuda_kernelERKNSB_10TensorBaseESF_lENKUlvE_clEvENKUlvE0_clEvEUlffE_fEEDaPvRmT3_T4_T5_mT6_P12ihipStream_tbENKUlT_T0_E_clISt17integral_constantIbLb1EESW_EEDaSR_SS_EUlSR_E0_NS1_11comp_targetILNS1_3genE10ELNS1_11target_archE1200ELNS1_3gpuE4ELNS1_3repE0EEENS1_30default_config_static_selectorELNS0_4arch9wavefront6targetE0EEEvT1_,"axG",@progbits,_ZN7rocprim17ROCPRIM_400000_NS6detail17trampoline_kernelINS0_14default_configENS1_20scan_config_selectorIfEEZZNS1_9scan_implILNS1_25lookback_scan_determinismE0ELb0ELb0ES3_PKfPffZZZN2at6native31launch_logcumsumexp_cuda_kernelERKNSB_10TensorBaseESF_lENKUlvE_clEvENKUlvE0_clEvEUlffE_fEEDaPvRmT3_T4_T5_mT6_P12ihipStream_tbENKUlT_T0_E_clISt17integral_constantIbLb1EESW_EEDaSR_SS_EUlSR_E0_NS1_11comp_targetILNS1_3genE10ELNS1_11target_archE1200ELNS1_3gpuE4ELNS1_3repE0EEENS1_30default_config_static_selectorELNS0_4arch9wavefront6targetE0EEEvT1_,comdat
.Lfunc_end130:
	.size	_ZN7rocprim17ROCPRIM_400000_NS6detail17trampoline_kernelINS0_14default_configENS1_20scan_config_selectorIfEEZZNS1_9scan_implILNS1_25lookback_scan_determinismE0ELb0ELb0ES3_PKfPffZZZN2at6native31launch_logcumsumexp_cuda_kernelERKNSB_10TensorBaseESF_lENKUlvE_clEvENKUlvE0_clEvEUlffE_fEEDaPvRmT3_T4_T5_mT6_P12ihipStream_tbENKUlT_T0_E_clISt17integral_constantIbLb1EESW_EEDaSR_SS_EUlSR_E0_NS1_11comp_targetILNS1_3genE10ELNS1_11target_archE1200ELNS1_3gpuE4ELNS1_3repE0EEENS1_30default_config_static_selectorELNS0_4arch9wavefront6targetE0EEEvT1_, .Lfunc_end130-_ZN7rocprim17ROCPRIM_400000_NS6detail17trampoline_kernelINS0_14default_configENS1_20scan_config_selectorIfEEZZNS1_9scan_implILNS1_25lookback_scan_determinismE0ELb0ELb0ES3_PKfPffZZZN2at6native31launch_logcumsumexp_cuda_kernelERKNSB_10TensorBaseESF_lENKUlvE_clEvENKUlvE0_clEvEUlffE_fEEDaPvRmT3_T4_T5_mT6_P12ihipStream_tbENKUlT_T0_E_clISt17integral_constantIbLb1EESW_EEDaSR_SS_EUlSR_E0_NS1_11comp_targetILNS1_3genE10ELNS1_11target_archE1200ELNS1_3gpuE4ELNS1_3repE0EEENS1_30default_config_static_selectorELNS0_4arch9wavefront6targetE0EEEvT1_
                                        ; -- End function
	.set _ZN7rocprim17ROCPRIM_400000_NS6detail17trampoline_kernelINS0_14default_configENS1_20scan_config_selectorIfEEZZNS1_9scan_implILNS1_25lookback_scan_determinismE0ELb0ELb0ES3_PKfPffZZZN2at6native31launch_logcumsumexp_cuda_kernelERKNSB_10TensorBaseESF_lENKUlvE_clEvENKUlvE0_clEvEUlffE_fEEDaPvRmT3_T4_T5_mT6_P12ihipStream_tbENKUlT_T0_E_clISt17integral_constantIbLb1EESW_EEDaSR_SS_EUlSR_E0_NS1_11comp_targetILNS1_3genE10ELNS1_11target_archE1200ELNS1_3gpuE4ELNS1_3repE0EEENS1_30default_config_static_selectorELNS0_4arch9wavefront6targetE0EEEvT1_.num_vgpr, 0
	.set _ZN7rocprim17ROCPRIM_400000_NS6detail17trampoline_kernelINS0_14default_configENS1_20scan_config_selectorIfEEZZNS1_9scan_implILNS1_25lookback_scan_determinismE0ELb0ELb0ES3_PKfPffZZZN2at6native31launch_logcumsumexp_cuda_kernelERKNSB_10TensorBaseESF_lENKUlvE_clEvENKUlvE0_clEvEUlffE_fEEDaPvRmT3_T4_T5_mT6_P12ihipStream_tbENKUlT_T0_E_clISt17integral_constantIbLb1EESW_EEDaSR_SS_EUlSR_E0_NS1_11comp_targetILNS1_3genE10ELNS1_11target_archE1200ELNS1_3gpuE4ELNS1_3repE0EEENS1_30default_config_static_selectorELNS0_4arch9wavefront6targetE0EEEvT1_.num_agpr, 0
	.set _ZN7rocprim17ROCPRIM_400000_NS6detail17trampoline_kernelINS0_14default_configENS1_20scan_config_selectorIfEEZZNS1_9scan_implILNS1_25lookback_scan_determinismE0ELb0ELb0ES3_PKfPffZZZN2at6native31launch_logcumsumexp_cuda_kernelERKNSB_10TensorBaseESF_lENKUlvE_clEvENKUlvE0_clEvEUlffE_fEEDaPvRmT3_T4_T5_mT6_P12ihipStream_tbENKUlT_T0_E_clISt17integral_constantIbLb1EESW_EEDaSR_SS_EUlSR_E0_NS1_11comp_targetILNS1_3genE10ELNS1_11target_archE1200ELNS1_3gpuE4ELNS1_3repE0EEENS1_30default_config_static_selectorELNS0_4arch9wavefront6targetE0EEEvT1_.numbered_sgpr, 0
	.set _ZN7rocprim17ROCPRIM_400000_NS6detail17trampoline_kernelINS0_14default_configENS1_20scan_config_selectorIfEEZZNS1_9scan_implILNS1_25lookback_scan_determinismE0ELb0ELb0ES3_PKfPffZZZN2at6native31launch_logcumsumexp_cuda_kernelERKNSB_10TensorBaseESF_lENKUlvE_clEvENKUlvE0_clEvEUlffE_fEEDaPvRmT3_T4_T5_mT6_P12ihipStream_tbENKUlT_T0_E_clISt17integral_constantIbLb1EESW_EEDaSR_SS_EUlSR_E0_NS1_11comp_targetILNS1_3genE10ELNS1_11target_archE1200ELNS1_3gpuE4ELNS1_3repE0EEENS1_30default_config_static_selectorELNS0_4arch9wavefront6targetE0EEEvT1_.num_named_barrier, 0
	.set _ZN7rocprim17ROCPRIM_400000_NS6detail17trampoline_kernelINS0_14default_configENS1_20scan_config_selectorIfEEZZNS1_9scan_implILNS1_25lookback_scan_determinismE0ELb0ELb0ES3_PKfPffZZZN2at6native31launch_logcumsumexp_cuda_kernelERKNSB_10TensorBaseESF_lENKUlvE_clEvENKUlvE0_clEvEUlffE_fEEDaPvRmT3_T4_T5_mT6_P12ihipStream_tbENKUlT_T0_E_clISt17integral_constantIbLb1EESW_EEDaSR_SS_EUlSR_E0_NS1_11comp_targetILNS1_3genE10ELNS1_11target_archE1200ELNS1_3gpuE4ELNS1_3repE0EEENS1_30default_config_static_selectorELNS0_4arch9wavefront6targetE0EEEvT1_.private_seg_size, 0
	.set _ZN7rocprim17ROCPRIM_400000_NS6detail17trampoline_kernelINS0_14default_configENS1_20scan_config_selectorIfEEZZNS1_9scan_implILNS1_25lookback_scan_determinismE0ELb0ELb0ES3_PKfPffZZZN2at6native31launch_logcumsumexp_cuda_kernelERKNSB_10TensorBaseESF_lENKUlvE_clEvENKUlvE0_clEvEUlffE_fEEDaPvRmT3_T4_T5_mT6_P12ihipStream_tbENKUlT_T0_E_clISt17integral_constantIbLb1EESW_EEDaSR_SS_EUlSR_E0_NS1_11comp_targetILNS1_3genE10ELNS1_11target_archE1200ELNS1_3gpuE4ELNS1_3repE0EEENS1_30default_config_static_selectorELNS0_4arch9wavefront6targetE0EEEvT1_.uses_vcc, 0
	.set _ZN7rocprim17ROCPRIM_400000_NS6detail17trampoline_kernelINS0_14default_configENS1_20scan_config_selectorIfEEZZNS1_9scan_implILNS1_25lookback_scan_determinismE0ELb0ELb0ES3_PKfPffZZZN2at6native31launch_logcumsumexp_cuda_kernelERKNSB_10TensorBaseESF_lENKUlvE_clEvENKUlvE0_clEvEUlffE_fEEDaPvRmT3_T4_T5_mT6_P12ihipStream_tbENKUlT_T0_E_clISt17integral_constantIbLb1EESW_EEDaSR_SS_EUlSR_E0_NS1_11comp_targetILNS1_3genE10ELNS1_11target_archE1200ELNS1_3gpuE4ELNS1_3repE0EEENS1_30default_config_static_selectorELNS0_4arch9wavefront6targetE0EEEvT1_.uses_flat_scratch, 0
	.set _ZN7rocprim17ROCPRIM_400000_NS6detail17trampoline_kernelINS0_14default_configENS1_20scan_config_selectorIfEEZZNS1_9scan_implILNS1_25lookback_scan_determinismE0ELb0ELb0ES3_PKfPffZZZN2at6native31launch_logcumsumexp_cuda_kernelERKNSB_10TensorBaseESF_lENKUlvE_clEvENKUlvE0_clEvEUlffE_fEEDaPvRmT3_T4_T5_mT6_P12ihipStream_tbENKUlT_T0_E_clISt17integral_constantIbLb1EESW_EEDaSR_SS_EUlSR_E0_NS1_11comp_targetILNS1_3genE10ELNS1_11target_archE1200ELNS1_3gpuE4ELNS1_3repE0EEENS1_30default_config_static_selectorELNS0_4arch9wavefront6targetE0EEEvT1_.has_dyn_sized_stack, 0
	.set _ZN7rocprim17ROCPRIM_400000_NS6detail17trampoline_kernelINS0_14default_configENS1_20scan_config_selectorIfEEZZNS1_9scan_implILNS1_25lookback_scan_determinismE0ELb0ELb0ES3_PKfPffZZZN2at6native31launch_logcumsumexp_cuda_kernelERKNSB_10TensorBaseESF_lENKUlvE_clEvENKUlvE0_clEvEUlffE_fEEDaPvRmT3_T4_T5_mT6_P12ihipStream_tbENKUlT_T0_E_clISt17integral_constantIbLb1EESW_EEDaSR_SS_EUlSR_E0_NS1_11comp_targetILNS1_3genE10ELNS1_11target_archE1200ELNS1_3gpuE4ELNS1_3repE0EEENS1_30default_config_static_selectorELNS0_4arch9wavefront6targetE0EEEvT1_.has_recursion, 0
	.set _ZN7rocprim17ROCPRIM_400000_NS6detail17trampoline_kernelINS0_14default_configENS1_20scan_config_selectorIfEEZZNS1_9scan_implILNS1_25lookback_scan_determinismE0ELb0ELb0ES3_PKfPffZZZN2at6native31launch_logcumsumexp_cuda_kernelERKNSB_10TensorBaseESF_lENKUlvE_clEvENKUlvE0_clEvEUlffE_fEEDaPvRmT3_T4_T5_mT6_P12ihipStream_tbENKUlT_T0_E_clISt17integral_constantIbLb1EESW_EEDaSR_SS_EUlSR_E0_NS1_11comp_targetILNS1_3genE10ELNS1_11target_archE1200ELNS1_3gpuE4ELNS1_3repE0EEENS1_30default_config_static_selectorELNS0_4arch9wavefront6targetE0EEEvT1_.has_indirect_call, 0
	.section	.AMDGPU.csdata,"",@progbits
; Kernel info:
; codeLenInByte = 0
; TotalNumSgprs: 0
; NumVgprs: 0
; ScratchSize: 0
; MemoryBound: 0
; FloatMode: 240
; IeeeMode: 1
; LDSByteSize: 0 bytes/workgroup (compile time only)
; SGPRBlocks: 0
; VGPRBlocks: 0
; NumSGPRsForWavesPerEU: 1
; NumVGPRsForWavesPerEU: 1
; Occupancy: 16
; WaveLimiterHint : 0
; COMPUTE_PGM_RSRC2:SCRATCH_EN: 0
; COMPUTE_PGM_RSRC2:USER_SGPR: 2
; COMPUTE_PGM_RSRC2:TRAP_HANDLER: 0
; COMPUTE_PGM_RSRC2:TGID_X_EN: 1
; COMPUTE_PGM_RSRC2:TGID_Y_EN: 0
; COMPUTE_PGM_RSRC2:TGID_Z_EN: 0
; COMPUTE_PGM_RSRC2:TIDIG_COMP_CNT: 0
	.section	.text._ZN7rocprim17ROCPRIM_400000_NS6detail17trampoline_kernelINS0_14default_configENS1_20scan_config_selectorIfEEZZNS1_9scan_implILNS1_25lookback_scan_determinismE0ELb0ELb0ES3_PKfPffZZZN2at6native31launch_logcumsumexp_cuda_kernelERKNSB_10TensorBaseESF_lENKUlvE_clEvENKUlvE0_clEvEUlffE_fEEDaPvRmT3_T4_T5_mT6_P12ihipStream_tbENKUlT_T0_E_clISt17integral_constantIbLb1EESW_EEDaSR_SS_EUlSR_E0_NS1_11comp_targetILNS1_3genE9ELNS1_11target_archE1100ELNS1_3gpuE3ELNS1_3repE0EEENS1_30default_config_static_selectorELNS0_4arch9wavefront6targetE0EEEvT1_,"axG",@progbits,_ZN7rocprim17ROCPRIM_400000_NS6detail17trampoline_kernelINS0_14default_configENS1_20scan_config_selectorIfEEZZNS1_9scan_implILNS1_25lookback_scan_determinismE0ELb0ELb0ES3_PKfPffZZZN2at6native31launch_logcumsumexp_cuda_kernelERKNSB_10TensorBaseESF_lENKUlvE_clEvENKUlvE0_clEvEUlffE_fEEDaPvRmT3_T4_T5_mT6_P12ihipStream_tbENKUlT_T0_E_clISt17integral_constantIbLb1EESW_EEDaSR_SS_EUlSR_E0_NS1_11comp_targetILNS1_3genE9ELNS1_11target_archE1100ELNS1_3gpuE3ELNS1_3repE0EEENS1_30default_config_static_selectorELNS0_4arch9wavefront6targetE0EEEvT1_,comdat
	.globl	_ZN7rocprim17ROCPRIM_400000_NS6detail17trampoline_kernelINS0_14default_configENS1_20scan_config_selectorIfEEZZNS1_9scan_implILNS1_25lookback_scan_determinismE0ELb0ELb0ES3_PKfPffZZZN2at6native31launch_logcumsumexp_cuda_kernelERKNSB_10TensorBaseESF_lENKUlvE_clEvENKUlvE0_clEvEUlffE_fEEDaPvRmT3_T4_T5_mT6_P12ihipStream_tbENKUlT_T0_E_clISt17integral_constantIbLb1EESW_EEDaSR_SS_EUlSR_E0_NS1_11comp_targetILNS1_3genE9ELNS1_11target_archE1100ELNS1_3gpuE3ELNS1_3repE0EEENS1_30default_config_static_selectorELNS0_4arch9wavefront6targetE0EEEvT1_ ; -- Begin function _ZN7rocprim17ROCPRIM_400000_NS6detail17trampoline_kernelINS0_14default_configENS1_20scan_config_selectorIfEEZZNS1_9scan_implILNS1_25lookback_scan_determinismE0ELb0ELb0ES3_PKfPffZZZN2at6native31launch_logcumsumexp_cuda_kernelERKNSB_10TensorBaseESF_lENKUlvE_clEvENKUlvE0_clEvEUlffE_fEEDaPvRmT3_T4_T5_mT6_P12ihipStream_tbENKUlT_T0_E_clISt17integral_constantIbLb1EESW_EEDaSR_SS_EUlSR_E0_NS1_11comp_targetILNS1_3genE9ELNS1_11target_archE1100ELNS1_3gpuE3ELNS1_3repE0EEENS1_30default_config_static_selectorELNS0_4arch9wavefront6targetE0EEEvT1_
	.p2align	8
	.type	_ZN7rocprim17ROCPRIM_400000_NS6detail17trampoline_kernelINS0_14default_configENS1_20scan_config_selectorIfEEZZNS1_9scan_implILNS1_25lookback_scan_determinismE0ELb0ELb0ES3_PKfPffZZZN2at6native31launch_logcumsumexp_cuda_kernelERKNSB_10TensorBaseESF_lENKUlvE_clEvENKUlvE0_clEvEUlffE_fEEDaPvRmT3_T4_T5_mT6_P12ihipStream_tbENKUlT_T0_E_clISt17integral_constantIbLb1EESW_EEDaSR_SS_EUlSR_E0_NS1_11comp_targetILNS1_3genE9ELNS1_11target_archE1100ELNS1_3gpuE3ELNS1_3repE0EEENS1_30default_config_static_selectorELNS0_4arch9wavefront6targetE0EEEvT1_,@function
_ZN7rocprim17ROCPRIM_400000_NS6detail17trampoline_kernelINS0_14default_configENS1_20scan_config_selectorIfEEZZNS1_9scan_implILNS1_25lookback_scan_determinismE0ELb0ELb0ES3_PKfPffZZZN2at6native31launch_logcumsumexp_cuda_kernelERKNSB_10TensorBaseESF_lENKUlvE_clEvENKUlvE0_clEvEUlffE_fEEDaPvRmT3_T4_T5_mT6_P12ihipStream_tbENKUlT_T0_E_clISt17integral_constantIbLb1EESW_EEDaSR_SS_EUlSR_E0_NS1_11comp_targetILNS1_3genE9ELNS1_11target_archE1100ELNS1_3gpuE3ELNS1_3repE0EEENS1_30default_config_static_selectorELNS0_4arch9wavefront6targetE0EEEvT1_: ; @_ZN7rocprim17ROCPRIM_400000_NS6detail17trampoline_kernelINS0_14default_configENS1_20scan_config_selectorIfEEZZNS1_9scan_implILNS1_25lookback_scan_determinismE0ELb0ELb0ES3_PKfPffZZZN2at6native31launch_logcumsumexp_cuda_kernelERKNSB_10TensorBaseESF_lENKUlvE_clEvENKUlvE0_clEvEUlffE_fEEDaPvRmT3_T4_T5_mT6_P12ihipStream_tbENKUlT_T0_E_clISt17integral_constantIbLb1EESW_EEDaSR_SS_EUlSR_E0_NS1_11comp_targetILNS1_3genE9ELNS1_11target_archE1100ELNS1_3gpuE3ELNS1_3repE0EEENS1_30default_config_static_selectorELNS0_4arch9wavefront6targetE0EEEvT1_
; %bb.0:
	.section	.rodata,"a",@progbits
	.p2align	6, 0x0
	.amdhsa_kernel _ZN7rocprim17ROCPRIM_400000_NS6detail17trampoline_kernelINS0_14default_configENS1_20scan_config_selectorIfEEZZNS1_9scan_implILNS1_25lookback_scan_determinismE0ELb0ELb0ES3_PKfPffZZZN2at6native31launch_logcumsumexp_cuda_kernelERKNSB_10TensorBaseESF_lENKUlvE_clEvENKUlvE0_clEvEUlffE_fEEDaPvRmT3_T4_T5_mT6_P12ihipStream_tbENKUlT_T0_E_clISt17integral_constantIbLb1EESW_EEDaSR_SS_EUlSR_E0_NS1_11comp_targetILNS1_3genE9ELNS1_11target_archE1100ELNS1_3gpuE3ELNS1_3repE0EEENS1_30default_config_static_selectorELNS0_4arch9wavefront6targetE0EEEvT1_
		.amdhsa_group_segment_fixed_size 0
		.amdhsa_private_segment_fixed_size 0
		.amdhsa_kernarg_size 32
		.amdhsa_user_sgpr_count 2
		.amdhsa_user_sgpr_dispatch_ptr 0
		.amdhsa_user_sgpr_queue_ptr 0
		.amdhsa_user_sgpr_kernarg_segment_ptr 1
		.amdhsa_user_sgpr_dispatch_id 0
		.amdhsa_user_sgpr_private_segment_size 0
		.amdhsa_wavefront_size32 1
		.amdhsa_uses_dynamic_stack 0
		.amdhsa_enable_private_segment 0
		.amdhsa_system_sgpr_workgroup_id_x 1
		.amdhsa_system_sgpr_workgroup_id_y 0
		.amdhsa_system_sgpr_workgroup_id_z 0
		.amdhsa_system_sgpr_workgroup_info 0
		.amdhsa_system_vgpr_workitem_id 0
		.amdhsa_next_free_vgpr 1
		.amdhsa_next_free_sgpr 1
		.amdhsa_reserve_vcc 0
		.amdhsa_float_round_mode_32 0
		.amdhsa_float_round_mode_16_64 0
		.amdhsa_float_denorm_mode_32 3
		.amdhsa_float_denorm_mode_16_64 3
		.amdhsa_fp16_overflow 0
		.amdhsa_workgroup_processor_mode 1
		.amdhsa_memory_ordered 1
		.amdhsa_forward_progress 1
		.amdhsa_inst_pref_size 0
		.amdhsa_round_robin_scheduling 0
		.amdhsa_exception_fp_ieee_invalid_op 0
		.amdhsa_exception_fp_denorm_src 0
		.amdhsa_exception_fp_ieee_div_zero 0
		.amdhsa_exception_fp_ieee_overflow 0
		.amdhsa_exception_fp_ieee_underflow 0
		.amdhsa_exception_fp_ieee_inexact 0
		.amdhsa_exception_int_div_zero 0
	.end_amdhsa_kernel
	.section	.text._ZN7rocprim17ROCPRIM_400000_NS6detail17trampoline_kernelINS0_14default_configENS1_20scan_config_selectorIfEEZZNS1_9scan_implILNS1_25lookback_scan_determinismE0ELb0ELb0ES3_PKfPffZZZN2at6native31launch_logcumsumexp_cuda_kernelERKNSB_10TensorBaseESF_lENKUlvE_clEvENKUlvE0_clEvEUlffE_fEEDaPvRmT3_T4_T5_mT6_P12ihipStream_tbENKUlT_T0_E_clISt17integral_constantIbLb1EESW_EEDaSR_SS_EUlSR_E0_NS1_11comp_targetILNS1_3genE9ELNS1_11target_archE1100ELNS1_3gpuE3ELNS1_3repE0EEENS1_30default_config_static_selectorELNS0_4arch9wavefront6targetE0EEEvT1_,"axG",@progbits,_ZN7rocprim17ROCPRIM_400000_NS6detail17trampoline_kernelINS0_14default_configENS1_20scan_config_selectorIfEEZZNS1_9scan_implILNS1_25lookback_scan_determinismE0ELb0ELb0ES3_PKfPffZZZN2at6native31launch_logcumsumexp_cuda_kernelERKNSB_10TensorBaseESF_lENKUlvE_clEvENKUlvE0_clEvEUlffE_fEEDaPvRmT3_T4_T5_mT6_P12ihipStream_tbENKUlT_T0_E_clISt17integral_constantIbLb1EESW_EEDaSR_SS_EUlSR_E0_NS1_11comp_targetILNS1_3genE9ELNS1_11target_archE1100ELNS1_3gpuE3ELNS1_3repE0EEENS1_30default_config_static_selectorELNS0_4arch9wavefront6targetE0EEEvT1_,comdat
.Lfunc_end131:
	.size	_ZN7rocprim17ROCPRIM_400000_NS6detail17trampoline_kernelINS0_14default_configENS1_20scan_config_selectorIfEEZZNS1_9scan_implILNS1_25lookback_scan_determinismE0ELb0ELb0ES3_PKfPffZZZN2at6native31launch_logcumsumexp_cuda_kernelERKNSB_10TensorBaseESF_lENKUlvE_clEvENKUlvE0_clEvEUlffE_fEEDaPvRmT3_T4_T5_mT6_P12ihipStream_tbENKUlT_T0_E_clISt17integral_constantIbLb1EESW_EEDaSR_SS_EUlSR_E0_NS1_11comp_targetILNS1_3genE9ELNS1_11target_archE1100ELNS1_3gpuE3ELNS1_3repE0EEENS1_30default_config_static_selectorELNS0_4arch9wavefront6targetE0EEEvT1_, .Lfunc_end131-_ZN7rocprim17ROCPRIM_400000_NS6detail17trampoline_kernelINS0_14default_configENS1_20scan_config_selectorIfEEZZNS1_9scan_implILNS1_25lookback_scan_determinismE0ELb0ELb0ES3_PKfPffZZZN2at6native31launch_logcumsumexp_cuda_kernelERKNSB_10TensorBaseESF_lENKUlvE_clEvENKUlvE0_clEvEUlffE_fEEDaPvRmT3_T4_T5_mT6_P12ihipStream_tbENKUlT_T0_E_clISt17integral_constantIbLb1EESW_EEDaSR_SS_EUlSR_E0_NS1_11comp_targetILNS1_3genE9ELNS1_11target_archE1100ELNS1_3gpuE3ELNS1_3repE0EEENS1_30default_config_static_selectorELNS0_4arch9wavefront6targetE0EEEvT1_
                                        ; -- End function
	.set _ZN7rocprim17ROCPRIM_400000_NS6detail17trampoline_kernelINS0_14default_configENS1_20scan_config_selectorIfEEZZNS1_9scan_implILNS1_25lookback_scan_determinismE0ELb0ELb0ES3_PKfPffZZZN2at6native31launch_logcumsumexp_cuda_kernelERKNSB_10TensorBaseESF_lENKUlvE_clEvENKUlvE0_clEvEUlffE_fEEDaPvRmT3_T4_T5_mT6_P12ihipStream_tbENKUlT_T0_E_clISt17integral_constantIbLb1EESW_EEDaSR_SS_EUlSR_E0_NS1_11comp_targetILNS1_3genE9ELNS1_11target_archE1100ELNS1_3gpuE3ELNS1_3repE0EEENS1_30default_config_static_selectorELNS0_4arch9wavefront6targetE0EEEvT1_.num_vgpr, 0
	.set _ZN7rocprim17ROCPRIM_400000_NS6detail17trampoline_kernelINS0_14default_configENS1_20scan_config_selectorIfEEZZNS1_9scan_implILNS1_25lookback_scan_determinismE0ELb0ELb0ES3_PKfPffZZZN2at6native31launch_logcumsumexp_cuda_kernelERKNSB_10TensorBaseESF_lENKUlvE_clEvENKUlvE0_clEvEUlffE_fEEDaPvRmT3_T4_T5_mT6_P12ihipStream_tbENKUlT_T0_E_clISt17integral_constantIbLb1EESW_EEDaSR_SS_EUlSR_E0_NS1_11comp_targetILNS1_3genE9ELNS1_11target_archE1100ELNS1_3gpuE3ELNS1_3repE0EEENS1_30default_config_static_selectorELNS0_4arch9wavefront6targetE0EEEvT1_.num_agpr, 0
	.set _ZN7rocprim17ROCPRIM_400000_NS6detail17trampoline_kernelINS0_14default_configENS1_20scan_config_selectorIfEEZZNS1_9scan_implILNS1_25lookback_scan_determinismE0ELb0ELb0ES3_PKfPffZZZN2at6native31launch_logcumsumexp_cuda_kernelERKNSB_10TensorBaseESF_lENKUlvE_clEvENKUlvE0_clEvEUlffE_fEEDaPvRmT3_T4_T5_mT6_P12ihipStream_tbENKUlT_T0_E_clISt17integral_constantIbLb1EESW_EEDaSR_SS_EUlSR_E0_NS1_11comp_targetILNS1_3genE9ELNS1_11target_archE1100ELNS1_3gpuE3ELNS1_3repE0EEENS1_30default_config_static_selectorELNS0_4arch9wavefront6targetE0EEEvT1_.numbered_sgpr, 0
	.set _ZN7rocprim17ROCPRIM_400000_NS6detail17trampoline_kernelINS0_14default_configENS1_20scan_config_selectorIfEEZZNS1_9scan_implILNS1_25lookback_scan_determinismE0ELb0ELb0ES3_PKfPffZZZN2at6native31launch_logcumsumexp_cuda_kernelERKNSB_10TensorBaseESF_lENKUlvE_clEvENKUlvE0_clEvEUlffE_fEEDaPvRmT3_T4_T5_mT6_P12ihipStream_tbENKUlT_T0_E_clISt17integral_constantIbLb1EESW_EEDaSR_SS_EUlSR_E0_NS1_11comp_targetILNS1_3genE9ELNS1_11target_archE1100ELNS1_3gpuE3ELNS1_3repE0EEENS1_30default_config_static_selectorELNS0_4arch9wavefront6targetE0EEEvT1_.num_named_barrier, 0
	.set _ZN7rocprim17ROCPRIM_400000_NS6detail17trampoline_kernelINS0_14default_configENS1_20scan_config_selectorIfEEZZNS1_9scan_implILNS1_25lookback_scan_determinismE0ELb0ELb0ES3_PKfPffZZZN2at6native31launch_logcumsumexp_cuda_kernelERKNSB_10TensorBaseESF_lENKUlvE_clEvENKUlvE0_clEvEUlffE_fEEDaPvRmT3_T4_T5_mT6_P12ihipStream_tbENKUlT_T0_E_clISt17integral_constantIbLb1EESW_EEDaSR_SS_EUlSR_E0_NS1_11comp_targetILNS1_3genE9ELNS1_11target_archE1100ELNS1_3gpuE3ELNS1_3repE0EEENS1_30default_config_static_selectorELNS0_4arch9wavefront6targetE0EEEvT1_.private_seg_size, 0
	.set _ZN7rocprim17ROCPRIM_400000_NS6detail17trampoline_kernelINS0_14default_configENS1_20scan_config_selectorIfEEZZNS1_9scan_implILNS1_25lookback_scan_determinismE0ELb0ELb0ES3_PKfPffZZZN2at6native31launch_logcumsumexp_cuda_kernelERKNSB_10TensorBaseESF_lENKUlvE_clEvENKUlvE0_clEvEUlffE_fEEDaPvRmT3_T4_T5_mT6_P12ihipStream_tbENKUlT_T0_E_clISt17integral_constantIbLb1EESW_EEDaSR_SS_EUlSR_E0_NS1_11comp_targetILNS1_3genE9ELNS1_11target_archE1100ELNS1_3gpuE3ELNS1_3repE0EEENS1_30default_config_static_selectorELNS0_4arch9wavefront6targetE0EEEvT1_.uses_vcc, 0
	.set _ZN7rocprim17ROCPRIM_400000_NS6detail17trampoline_kernelINS0_14default_configENS1_20scan_config_selectorIfEEZZNS1_9scan_implILNS1_25lookback_scan_determinismE0ELb0ELb0ES3_PKfPffZZZN2at6native31launch_logcumsumexp_cuda_kernelERKNSB_10TensorBaseESF_lENKUlvE_clEvENKUlvE0_clEvEUlffE_fEEDaPvRmT3_T4_T5_mT6_P12ihipStream_tbENKUlT_T0_E_clISt17integral_constantIbLb1EESW_EEDaSR_SS_EUlSR_E0_NS1_11comp_targetILNS1_3genE9ELNS1_11target_archE1100ELNS1_3gpuE3ELNS1_3repE0EEENS1_30default_config_static_selectorELNS0_4arch9wavefront6targetE0EEEvT1_.uses_flat_scratch, 0
	.set _ZN7rocprim17ROCPRIM_400000_NS6detail17trampoline_kernelINS0_14default_configENS1_20scan_config_selectorIfEEZZNS1_9scan_implILNS1_25lookback_scan_determinismE0ELb0ELb0ES3_PKfPffZZZN2at6native31launch_logcumsumexp_cuda_kernelERKNSB_10TensorBaseESF_lENKUlvE_clEvENKUlvE0_clEvEUlffE_fEEDaPvRmT3_T4_T5_mT6_P12ihipStream_tbENKUlT_T0_E_clISt17integral_constantIbLb1EESW_EEDaSR_SS_EUlSR_E0_NS1_11comp_targetILNS1_3genE9ELNS1_11target_archE1100ELNS1_3gpuE3ELNS1_3repE0EEENS1_30default_config_static_selectorELNS0_4arch9wavefront6targetE0EEEvT1_.has_dyn_sized_stack, 0
	.set _ZN7rocprim17ROCPRIM_400000_NS6detail17trampoline_kernelINS0_14default_configENS1_20scan_config_selectorIfEEZZNS1_9scan_implILNS1_25lookback_scan_determinismE0ELb0ELb0ES3_PKfPffZZZN2at6native31launch_logcumsumexp_cuda_kernelERKNSB_10TensorBaseESF_lENKUlvE_clEvENKUlvE0_clEvEUlffE_fEEDaPvRmT3_T4_T5_mT6_P12ihipStream_tbENKUlT_T0_E_clISt17integral_constantIbLb1EESW_EEDaSR_SS_EUlSR_E0_NS1_11comp_targetILNS1_3genE9ELNS1_11target_archE1100ELNS1_3gpuE3ELNS1_3repE0EEENS1_30default_config_static_selectorELNS0_4arch9wavefront6targetE0EEEvT1_.has_recursion, 0
	.set _ZN7rocprim17ROCPRIM_400000_NS6detail17trampoline_kernelINS0_14default_configENS1_20scan_config_selectorIfEEZZNS1_9scan_implILNS1_25lookback_scan_determinismE0ELb0ELb0ES3_PKfPffZZZN2at6native31launch_logcumsumexp_cuda_kernelERKNSB_10TensorBaseESF_lENKUlvE_clEvENKUlvE0_clEvEUlffE_fEEDaPvRmT3_T4_T5_mT6_P12ihipStream_tbENKUlT_T0_E_clISt17integral_constantIbLb1EESW_EEDaSR_SS_EUlSR_E0_NS1_11comp_targetILNS1_3genE9ELNS1_11target_archE1100ELNS1_3gpuE3ELNS1_3repE0EEENS1_30default_config_static_selectorELNS0_4arch9wavefront6targetE0EEEvT1_.has_indirect_call, 0
	.section	.AMDGPU.csdata,"",@progbits
; Kernel info:
; codeLenInByte = 0
; TotalNumSgprs: 0
; NumVgprs: 0
; ScratchSize: 0
; MemoryBound: 0
; FloatMode: 240
; IeeeMode: 1
; LDSByteSize: 0 bytes/workgroup (compile time only)
; SGPRBlocks: 0
; VGPRBlocks: 0
; NumSGPRsForWavesPerEU: 1
; NumVGPRsForWavesPerEU: 1
; Occupancy: 16
; WaveLimiterHint : 0
; COMPUTE_PGM_RSRC2:SCRATCH_EN: 0
; COMPUTE_PGM_RSRC2:USER_SGPR: 2
; COMPUTE_PGM_RSRC2:TRAP_HANDLER: 0
; COMPUTE_PGM_RSRC2:TGID_X_EN: 1
; COMPUTE_PGM_RSRC2:TGID_Y_EN: 0
; COMPUTE_PGM_RSRC2:TGID_Z_EN: 0
; COMPUTE_PGM_RSRC2:TIDIG_COMP_CNT: 0
	.section	.text._ZN7rocprim17ROCPRIM_400000_NS6detail17trampoline_kernelINS0_14default_configENS1_20scan_config_selectorIfEEZZNS1_9scan_implILNS1_25lookback_scan_determinismE0ELb0ELb0ES3_PKfPffZZZN2at6native31launch_logcumsumexp_cuda_kernelERKNSB_10TensorBaseESF_lENKUlvE_clEvENKUlvE0_clEvEUlffE_fEEDaPvRmT3_T4_T5_mT6_P12ihipStream_tbENKUlT_T0_E_clISt17integral_constantIbLb1EESW_EEDaSR_SS_EUlSR_E0_NS1_11comp_targetILNS1_3genE8ELNS1_11target_archE1030ELNS1_3gpuE2ELNS1_3repE0EEENS1_30default_config_static_selectorELNS0_4arch9wavefront6targetE0EEEvT1_,"axG",@progbits,_ZN7rocprim17ROCPRIM_400000_NS6detail17trampoline_kernelINS0_14default_configENS1_20scan_config_selectorIfEEZZNS1_9scan_implILNS1_25lookback_scan_determinismE0ELb0ELb0ES3_PKfPffZZZN2at6native31launch_logcumsumexp_cuda_kernelERKNSB_10TensorBaseESF_lENKUlvE_clEvENKUlvE0_clEvEUlffE_fEEDaPvRmT3_T4_T5_mT6_P12ihipStream_tbENKUlT_T0_E_clISt17integral_constantIbLb1EESW_EEDaSR_SS_EUlSR_E0_NS1_11comp_targetILNS1_3genE8ELNS1_11target_archE1030ELNS1_3gpuE2ELNS1_3repE0EEENS1_30default_config_static_selectorELNS0_4arch9wavefront6targetE0EEEvT1_,comdat
	.globl	_ZN7rocprim17ROCPRIM_400000_NS6detail17trampoline_kernelINS0_14default_configENS1_20scan_config_selectorIfEEZZNS1_9scan_implILNS1_25lookback_scan_determinismE0ELb0ELb0ES3_PKfPffZZZN2at6native31launch_logcumsumexp_cuda_kernelERKNSB_10TensorBaseESF_lENKUlvE_clEvENKUlvE0_clEvEUlffE_fEEDaPvRmT3_T4_T5_mT6_P12ihipStream_tbENKUlT_T0_E_clISt17integral_constantIbLb1EESW_EEDaSR_SS_EUlSR_E0_NS1_11comp_targetILNS1_3genE8ELNS1_11target_archE1030ELNS1_3gpuE2ELNS1_3repE0EEENS1_30default_config_static_selectorELNS0_4arch9wavefront6targetE0EEEvT1_ ; -- Begin function _ZN7rocprim17ROCPRIM_400000_NS6detail17trampoline_kernelINS0_14default_configENS1_20scan_config_selectorIfEEZZNS1_9scan_implILNS1_25lookback_scan_determinismE0ELb0ELb0ES3_PKfPffZZZN2at6native31launch_logcumsumexp_cuda_kernelERKNSB_10TensorBaseESF_lENKUlvE_clEvENKUlvE0_clEvEUlffE_fEEDaPvRmT3_T4_T5_mT6_P12ihipStream_tbENKUlT_T0_E_clISt17integral_constantIbLb1EESW_EEDaSR_SS_EUlSR_E0_NS1_11comp_targetILNS1_3genE8ELNS1_11target_archE1030ELNS1_3gpuE2ELNS1_3repE0EEENS1_30default_config_static_selectorELNS0_4arch9wavefront6targetE0EEEvT1_
	.p2align	8
	.type	_ZN7rocprim17ROCPRIM_400000_NS6detail17trampoline_kernelINS0_14default_configENS1_20scan_config_selectorIfEEZZNS1_9scan_implILNS1_25lookback_scan_determinismE0ELb0ELb0ES3_PKfPffZZZN2at6native31launch_logcumsumexp_cuda_kernelERKNSB_10TensorBaseESF_lENKUlvE_clEvENKUlvE0_clEvEUlffE_fEEDaPvRmT3_T4_T5_mT6_P12ihipStream_tbENKUlT_T0_E_clISt17integral_constantIbLb1EESW_EEDaSR_SS_EUlSR_E0_NS1_11comp_targetILNS1_3genE8ELNS1_11target_archE1030ELNS1_3gpuE2ELNS1_3repE0EEENS1_30default_config_static_selectorELNS0_4arch9wavefront6targetE0EEEvT1_,@function
_ZN7rocprim17ROCPRIM_400000_NS6detail17trampoline_kernelINS0_14default_configENS1_20scan_config_selectorIfEEZZNS1_9scan_implILNS1_25lookback_scan_determinismE0ELb0ELb0ES3_PKfPffZZZN2at6native31launch_logcumsumexp_cuda_kernelERKNSB_10TensorBaseESF_lENKUlvE_clEvENKUlvE0_clEvEUlffE_fEEDaPvRmT3_T4_T5_mT6_P12ihipStream_tbENKUlT_T0_E_clISt17integral_constantIbLb1EESW_EEDaSR_SS_EUlSR_E0_NS1_11comp_targetILNS1_3genE8ELNS1_11target_archE1030ELNS1_3gpuE2ELNS1_3repE0EEENS1_30default_config_static_selectorELNS0_4arch9wavefront6targetE0EEEvT1_: ; @_ZN7rocprim17ROCPRIM_400000_NS6detail17trampoline_kernelINS0_14default_configENS1_20scan_config_selectorIfEEZZNS1_9scan_implILNS1_25lookback_scan_determinismE0ELb0ELb0ES3_PKfPffZZZN2at6native31launch_logcumsumexp_cuda_kernelERKNSB_10TensorBaseESF_lENKUlvE_clEvENKUlvE0_clEvEUlffE_fEEDaPvRmT3_T4_T5_mT6_P12ihipStream_tbENKUlT_T0_E_clISt17integral_constantIbLb1EESW_EEDaSR_SS_EUlSR_E0_NS1_11comp_targetILNS1_3genE8ELNS1_11target_archE1030ELNS1_3gpuE2ELNS1_3repE0EEENS1_30default_config_static_selectorELNS0_4arch9wavefront6targetE0EEEvT1_
; %bb.0:
	.section	.rodata,"a",@progbits
	.p2align	6, 0x0
	.amdhsa_kernel _ZN7rocprim17ROCPRIM_400000_NS6detail17trampoline_kernelINS0_14default_configENS1_20scan_config_selectorIfEEZZNS1_9scan_implILNS1_25lookback_scan_determinismE0ELb0ELb0ES3_PKfPffZZZN2at6native31launch_logcumsumexp_cuda_kernelERKNSB_10TensorBaseESF_lENKUlvE_clEvENKUlvE0_clEvEUlffE_fEEDaPvRmT3_T4_T5_mT6_P12ihipStream_tbENKUlT_T0_E_clISt17integral_constantIbLb1EESW_EEDaSR_SS_EUlSR_E0_NS1_11comp_targetILNS1_3genE8ELNS1_11target_archE1030ELNS1_3gpuE2ELNS1_3repE0EEENS1_30default_config_static_selectorELNS0_4arch9wavefront6targetE0EEEvT1_
		.amdhsa_group_segment_fixed_size 0
		.amdhsa_private_segment_fixed_size 0
		.amdhsa_kernarg_size 32
		.amdhsa_user_sgpr_count 2
		.amdhsa_user_sgpr_dispatch_ptr 0
		.amdhsa_user_sgpr_queue_ptr 0
		.amdhsa_user_sgpr_kernarg_segment_ptr 1
		.amdhsa_user_sgpr_dispatch_id 0
		.amdhsa_user_sgpr_private_segment_size 0
		.amdhsa_wavefront_size32 1
		.amdhsa_uses_dynamic_stack 0
		.amdhsa_enable_private_segment 0
		.amdhsa_system_sgpr_workgroup_id_x 1
		.amdhsa_system_sgpr_workgroup_id_y 0
		.amdhsa_system_sgpr_workgroup_id_z 0
		.amdhsa_system_sgpr_workgroup_info 0
		.amdhsa_system_vgpr_workitem_id 0
		.amdhsa_next_free_vgpr 1
		.amdhsa_next_free_sgpr 1
		.amdhsa_reserve_vcc 0
		.amdhsa_float_round_mode_32 0
		.amdhsa_float_round_mode_16_64 0
		.amdhsa_float_denorm_mode_32 3
		.amdhsa_float_denorm_mode_16_64 3
		.amdhsa_fp16_overflow 0
		.amdhsa_workgroup_processor_mode 1
		.amdhsa_memory_ordered 1
		.amdhsa_forward_progress 1
		.amdhsa_inst_pref_size 0
		.amdhsa_round_robin_scheduling 0
		.amdhsa_exception_fp_ieee_invalid_op 0
		.amdhsa_exception_fp_denorm_src 0
		.amdhsa_exception_fp_ieee_div_zero 0
		.amdhsa_exception_fp_ieee_overflow 0
		.amdhsa_exception_fp_ieee_underflow 0
		.amdhsa_exception_fp_ieee_inexact 0
		.amdhsa_exception_int_div_zero 0
	.end_amdhsa_kernel
	.section	.text._ZN7rocprim17ROCPRIM_400000_NS6detail17trampoline_kernelINS0_14default_configENS1_20scan_config_selectorIfEEZZNS1_9scan_implILNS1_25lookback_scan_determinismE0ELb0ELb0ES3_PKfPffZZZN2at6native31launch_logcumsumexp_cuda_kernelERKNSB_10TensorBaseESF_lENKUlvE_clEvENKUlvE0_clEvEUlffE_fEEDaPvRmT3_T4_T5_mT6_P12ihipStream_tbENKUlT_T0_E_clISt17integral_constantIbLb1EESW_EEDaSR_SS_EUlSR_E0_NS1_11comp_targetILNS1_3genE8ELNS1_11target_archE1030ELNS1_3gpuE2ELNS1_3repE0EEENS1_30default_config_static_selectorELNS0_4arch9wavefront6targetE0EEEvT1_,"axG",@progbits,_ZN7rocprim17ROCPRIM_400000_NS6detail17trampoline_kernelINS0_14default_configENS1_20scan_config_selectorIfEEZZNS1_9scan_implILNS1_25lookback_scan_determinismE0ELb0ELb0ES3_PKfPffZZZN2at6native31launch_logcumsumexp_cuda_kernelERKNSB_10TensorBaseESF_lENKUlvE_clEvENKUlvE0_clEvEUlffE_fEEDaPvRmT3_T4_T5_mT6_P12ihipStream_tbENKUlT_T0_E_clISt17integral_constantIbLb1EESW_EEDaSR_SS_EUlSR_E0_NS1_11comp_targetILNS1_3genE8ELNS1_11target_archE1030ELNS1_3gpuE2ELNS1_3repE0EEENS1_30default_config_static_selectorELNS0_4arch9wavefront6targetE0EEEvT1_,comdat
.Lfunc_end132:
	.size	_ZN7rocprim17ROCPRIM_400000_NS6detail17trampoline_kernelINS0_14default_configENS1_20scan_config_selectorIfEEZZNS1_9scan_implILNS1_25lookback_scan_determinismE0ELb0ELb0ES3_PKfPffZZZN2at6native31launch_logcumsumexp_cuda_kernelERKNSB_10TensorBaseESF_lENKUlvE_clEvENKUlvE0_clEvEUlffE_fEEDaPvRmT3_T4_T5_mT6_P12ihipStream_tbENKUlT_T0_E_clISt17integral_constantIbLb1EESW_EEDaSR_SS_EUlSR_E0_NS1_11comp_targetILNS1_3genE8ELNS1_11target_archE1030ELNS1_3gpuE2ELNS1_3repE0EEENS1_30default_config_static_selectorELNS0_4arch9wavefront6targetE0EEEvT1_, .Lfunc_end132-_ZN7rocprim17ROCPRIM_400000_NS6detail17trampoline_kernelINS0_14default_configENS1_20scan_config_selectorIfEEZZNS1_9scan_implILNS1_25lookback_scan_determinismE0ELb0ELb0ES3_PKfPffZZZN2at6native31launch_logcumsumexp_cuda_kernelERKNSB_10TensorBaseESF_lENKUlvE_clEvENKUlvE0_clEvEUlffE_fEEDaPvRmT3_T4_T5_mT6_P12ihipStream_tbENKUlT_T0_E_clISt17integral_constantIbLb1EESW_EEDaSR_SS_EUlSR_E0_NS1_11comp_targetILNS1_3genE8ELNS1_11target_archE1030ELNS1_3gpuE2ELNS1_3repE0EEENS1_30default_config_static_selectorELNS0_4arch9wavefront6targetE0EEEvT1_
                                        ; -- End function
	.set _ZN7rocprim17ROCPRIM_400000_NS6detail17trampoline_kernelINS0_14default_configENS1_20scan_config_selectorIfEEZZNS1_9scan_implILNS1_25lookback_scan_determinismE0ELb0ELb0ES3_PKfPffZZZN2at6native31launch_logcumsumexp_cuda_kernelERKNSB_10TensorBaseESF_lENKUlvE_clEvENKUlvE0_clEvEUlffE_fEEDaPvRmT3_T4_T5_mT6_P12ihipStream_tbENKUlT_T0_E_clISt17integral_constantIbLb1EESW_EEDaSR_SS_EUlSR_E0_NS1_11comp_targetILNS1_3genE8ELNS1_11target_archE1030ELNS1_3gpuE2ELNS1_3repE0EEENS1_30default_config_static_selectorELNS0_4arch9wavefront6targetE0EEEvT1_.num_vgpr, 0
	.set _ZN7rocprim17ROCPRIM_400000_NS6detail17trampoline_kernelINS0_14default_configENS1_20scan_config_selectorIfEEZZNS1_9scan_implILNS1_25lookback_scan_determinismE0ELb0ELb0ES3_PKfPffZZZN2at6native31launch_logcumsumexp_cuda_kernelERKNSB_10TensorBaseESF_lENKUlvE_clEvENKUlvE0_clEvEUlffE_fEEDaPvRmT3_T4_T5_mT6_P12ihipStream_tbENKUlT_T0_E_clISt17integral_constantIbLb1EESW_EEDaSR_SS_EUlSR_E0_NS1_11comp_targetILNS1_3genE8ELNS1_11target_archE1030ELNS1_3gpuE2ELNS1_3repE0EEENS1_30default_config_static_selectorELNS0_4arch9wavefront6targetE0EEEvT1_.num_agpr, 0
	.set _ZN7rocprim17ROCPRIM_400000_NS6detail17trampoline_kernelINS0_14default_configENS1_20scan_config_selectorIfEEZZNS1_9scan_implILNS1_25lookback_scan_determinismE0ELb0ELb0ES3_PKfPffZZZN2at6native31launch_logcumsumexp_cuda_kernelERKNSB_10TensorBaseESF_lENKUlvE_clEvENKUlvE0_clEvEUlffE_fEEDaPvRmT3_T4_T5_mT6_P12ihipStream_tbENKUlT_T0_E_clISt17integral_constantIbLb1EESW_EEDaSR_SS_EUlSR_E0_NS1_11comp_targetILNS1_3genE8ELNS1_11target_archE1030ELNS1_3gpuE2ELNS1_3repE0EEENS1_30default_config_static_selectorELNS0_4arch9wavefront6targetE0EEEvT1_.numbered_sgpr, 0
	.set _ZN7rocprim17ROCPRIM_400000_NS6detail17trampoline_kernelINS0_14default_configENS1_20scan_config_selectorIfEEZZNS1_9scan_implILNS1_25lookback_scan_determinismE0ELb0ELb0ES3_PKfPffZZZN2at6native31launch_logcumsumexp_cuda_kernelERKNSB_10TensorBaseESF_lENKUlvE_clEvENKUlvE0_clEvEUlffE_fEEDaPvRmT3_T4_T5_mT6_P12ihipStream_tbENKUlT_T0_E_clISt17integral_constantIbLb1EESW_EEDaSR_SS_EUlSR_E0_NS1_11comp_targetILNS1_3genE8ELNS1_11target_archE1030ELNS1_3gpuE2ELNS1_3repE0EEENS1_30default_config_static_selectorELNS0_4arch9wavefront6targetE0EEEvT1_.num_named_barrier, 0
	.set _ZN7rocprim17ROCPRIM_400000_NS6detail17trampoline_kernelINS0_14default_configENS1_20scan_config_selectorIfEEZZNS1_9scan_implILNS1_25lookback_scan_determinismE0ELb0ELb0ES3_PKfPffZZZN2at6native31launch_logcumsumexp_cuda_kernelERKNSB_10TensorBaseESF_lENKUlvE_clEvENKUlvE0_clEvEUlffE_fEEDaPvRmT3_T4_T5_mT6_P12ihipStream_tbENKUlT_T0_E_clISt17integral_constantIbLb1EESW_EEDaSR_SS_EUlSR_E0_NS1_11comp_targetILNS1_3genE8ELNS1_11target_archE1030ELNS1_3gpuE2ELNS1_3repE0EEENS1_30default_config_static_selectorELNS0_4arch9wavefront6targetE0EEEvT1_.private_seg_size, 0
	.set _ZN7rocprim17ROCPRIM_400000_NS6detail17trampoline_kernelINS0_14default_configENS1_20scan_config_selectorIfEEZZNS1_9scan_implILNS1_25lookback_scan_determinismE0ELb0ELb0ES3_PKfPffZZZN2at6native31launch_logcumsumexp_cuda_kernelERKNSB_10TensorBaseESF_lENKUlvE_clEvENKUlvE0_clEvEUlffE_fEEDaPvRmT3_T4_T5_mT6_P12ihipStream_tbENKUlT_T0_E_clISt17integral_constantIbLb1EESW_EEDaSR_SS_EUlSR_E0_NS1_11comp_targetILNS1_3genE8ELNS1_11target_archE1030ELNS1_3gpuE2ELNS1_3repE0EEENS1_30default_config_static_selectorELNS0_4arch9wavefront6targetE0EEEvT1_.uses_vcc, 0
	.set _ZN7rocprim17ROCPRIM_400000_NS6detail17trampoline_kernelINS0_14default_configENS1_20scan_config_selectorIfEEZZNS1_9scan_implILNS1_25lookback_scan_determinismE0ELb0ELb0ES3_PKfPffZZZN2at6native31launch_logcumsumexp_cuda_kernelERKNSB_10TensorBaseESF_lENKUlvE_clEvENKUlvE0_clEvEUlffE_fEEDaPvRmT3_T4_T5_mT6_P12ihipStream_tbENKUlT_T0_E_clISt17integral_constantIbLb1EESW_EEDaSR_SS_EUlSR_E0_NS1_11comp_targetILNS1_3genE8ELNS1_11target_archE1030ELNS1_3gpuE2ELNS1_3repE0EEENS1_30default_config_static_selectorELNS0_4arch9wavefront6targetE0EEEvT1_.uses_flat_scratch, 0
	.set _ZN7rocprim17ROCPRIM_400000_NS6detail17trampoline_kernelINS0_14default_configENS1_20scan_config_selectorIfEEZZNS1_9scan_implILNS1_25lookback_scan_determinismE0ELb0ELb0ES3_PKfPffZZZN2at6native31launch_logcumsumexp_cuda_kernelERKNSB_10TensorBaseESF_lENKUlvE_clEvENKUlvE0_clEvEUlffE_fEEDaPvRmT3_T4_T5_mT6_P12ihipStream_tbENKUlT_T0_E_clISt17integral_constantIbLb1EESW_EEDaSR_SS_EUlSR_E0_NS1_11comp_targetILNS1_3genE8ELNS1_11target_archE1030ELNS1_3gpuE2ELNS1_3repE0EEENS1_30default_config_static_selectorELNS0_4arch9wavefront6targetE0EEEvT1_.has_dyn_sized_stack, 0
	.set _ZN7rocprim17ROCPRIM_400000_NS6detail17trampoline_kernelINS0_14default_configENS1_20scan_config_selectorIfEEZZNS1_9scan_implILNS1_25lookback_scan_determinismE0ELb0ELb0ES3_PKfPffZZZN2at6native31launch_logcumsumexp_cuda_kernelERKNSB_10TensorBaseESF_lENKUlvE_clEvENKUlvE0_clEvEUlffE_fEEDaPvRmT3_T4_T5_mT6_P12ihipStream_tbENKUlT_T0_E_clISt17integral_constantIbLb1EESW_EEDaSR_SS_EUlSR_E0_NS1_11comp_targetILNS1_3genE8ELNS1_11target_archE1030ELNS1_3gpuE2ELNS1_3repE0EEENS1_30default_config_static_selectorELNS0_4arch9wavefront6targetE0EEEvT1_.has_recursion, 0
	.set _ZN7rocprim17ROCPRIM_400000_NS6detail17trampoline_kernelINS0_14default_configENS1_20scan_config_selectorIfEEZZNS1_9scan_implILNS1_25lookback_scan_determinismE0ELb0ELb0ES3_PKfPffZZZN2at6native31launch_logcumsumexp_cuda_kernelERKNSB_10TensorBaseESF_lENKUlvE_clEvENKUlvE0_clEvEUlffE_fEEDaPvRmT3_T4_T5_mT6_P12ihipStream_tbENKUlT_T0_E_clISt17integral_constantIbLb1EESW_EEDaSR_SS_EUlSR_E0_NS1_11comp_targetILNS1_3genE8ELNS1_11target_archE1030ELNS1_3gpuE2ELNS1_3repE0EEENS1_30default_config_static_selectorELNS0_4arch9wavefront6targetE0EEEvT1_.has_indirect_call, 0
	.section	.AMDGPU.csdata,"",@progbits
; Kernel info:
; codeLenInByte = 0
; TotalNumSgprs: 0
; NumVgprs: 0
; ScratchSize: 0
; MemoryBound: 0
; FloatMode: 240
; IeeeMode: 1
; LDSByteSize: 0 bytes/workgroup (compile time only)
; SGPRBlocks: 0
; VGPRBlocks: 0
; NumSGPRsForWavesPerEU: 1
; NumVGPRsForWavesPerEU: 1
; Occupancy: 16
; WaveLimiterHint : 0
; COMPUTE_PGM_RSRC2:SCRATCH_EN: 0
; COMPUTE_PGM_RSRC2:USER_SGPR: 2
; COMPUTE_PGM_RSRC2:TRAP_HANDLER: 0
; COMPUTE_PGM_RSRC2:TGID_X_EN: 1
; COMPUTE_PGM_RSRC2:TGID_Y_EN: 0
; COMPUTE_PGM_RSRC2:TGID_Z_EN: 0
; COMPUTE_PGM_RSRC2:TIDIG_COMP_CNT: 0
	.section	.text._ZN7rocprim17ROCPRIM_400000_NS6detail31init_lookback_scan_state_kernelINS1_19lookback_scan_stateIfLb1ELb1EEENS1_16block_id_wrapperIjLb0EEEEEvT_jT0_jPNS7_10value_typeE,"axG",@progbits,_ZN7rocprim17ROCPRIM_400000_NS6detail31init_lookback_scan_state_kernelINS1_19lookback_scan_stateIfLb1ELb1EEENS1_16block_id_wrapperIjLb0EEEEEvT_jT0_jPNS7_10value_typeE,comdat
	.protected	_ZN7rocprim17ROCPRIM_400000_NS6detail31init_lookback_scan_state_kernelINS1_19lookback_scan_stateIfLb1ELb1EEENS1_16block_id_wrapperIjLb0EEEEEvT_jT0_jPNS7_10value_typeE ; -- Begin function _ZN7rocprim17ROCPRIM_400000_NS6detail31init_lookback_scan_state_kernelINS1_19lookback_scan_stateIfLb1ELb1EEENS1_16block_id_wrapperIjLb0EEEEEvT_jT0_jPNS7_10value_typeE
	.globl	_ZN7rocprim17ROCPRIM_400000_NS6detail31init_lookback_scan_state_kernelINS1_19lookback_scan_stateIfLb1ELb1EEENS1_16block_id_wrapperIjLb0EEEEEvT_jT0_jPNS7_10value_typeE
	.p2align	8
	.type	_ZN7rocprim17ROCPRIM_400000_NS6detail31init_lookback_scan_state_kernelINS1_19lookback_scan_stateIfLb1ELb1EEENS1_16block_id_wrapperIjLb0EEEEEvT_jT0_jPNS7_10value_typeE,@function
_ZN7rocprim17ROCPRIM_400000_NS6detail31init_lookback_scan_state_kernelINS1_19lookback_scan_stateIfLb1ELb1EEENS1_16block_id_wrapperIjLb0EEEEEvT_jT0_jPNS7_10value_typeE: ; @_ZN7rocprim17ROCPRIM_400000_NS6detail31init_lookback_scan_state_kernelINS1_19lookback_scan_stateIfLb1ELb1EEENS1_16block_id_wrapperIjLb0EEEEEvT_jT0_jPNS7_10value_typeE
; %bb.0:
	s_clause 0x2
	s_load_b32 s7, s[0:1], 0x2c
	s_load_b64 s[2:3], s[0:1], 0x18
	s_load_b96 s[4:6], s[0:1], 0x0
	s_wait_kmcnt 0x0
	s_and_b32 s7, s7, 0xffff
	s_cmp_eq_u64 s[2:3], 0
	v_mad_co_u64_u32 v[0:1], null, ttmp9, s7, v[0:1]
	s_cbranch_scc1 .LBB133_9
; %bb.1:
	s_load_b32 s0, s[0:1], 0x10
	s_wait_kmcnt 0x0
	s_cmp_lt_u32 s0, s6
	s_cselect_b32 s1, s0, 0
	s_wait_alu 0xfffe
	v_cmp_eq_u32_e32 vcc_lo, s1, v0
	s_mov_b32 s1, 0
	s_and_saveexec_b32 s7, vcc_lo
	s_cbranch_execz .LBB133_8
; %bb.2:
	s_add_co_i32 s0, s0, 32
	v_mov_b32_e32 v1, 0
	s_wait_alu 0xfffe
	s_lshl_b64 s[0:1], s[0:1], 3
	s_wait_alu 0xfffe
	s_add_nc_u64 s[0:1], s[4:5], s[0:1]
	global_load_b64 v[3:4], v1, s[0:1] scope:SCOPE_DEV
	s_wait_loadcnt 0x0
	v_and_b32_e32 v2, 0xff, v4
	s_delay_alu instid0(VALU_DEP_1)
	v_cmp_ne_u64_e32 vcc_lo, 0, v[1:2]
	s_cbranch_vccnz .LBB133_7
; %bb.3:
	s_mov_b32 s8, 1
.LBB133_4:                              ; =>This Loop Header: Depth=1
                                        ;     Child Loop BB133_5 Depth 2
	s_delay_alu instid0(SALU_CYCLE_1)
	s_mov_b32 s9, s8
.LBB133_5:                              ;   Parent Loop BB133_4 Depth=1
                                        ; =>  This Inner Loop Header: Depth=2
	s_delay_alu instid0(SALU_CYCLE_1)
	s_add_co_i32 s9, s9, -1
	s_sleep 1
	s_cmp_eq_u32 s9, 0
	s_cbranch_scc0 .LBB133_5
; %bb.6:                                ;   in Loop: Header=BB133_4 Depth=1
	global_load_b64 v[3:4], v1, s[0:1] scope:SCOPE_DEV
	s_cmp_lt_u32 s8, 32
	s_cselect_b32 s9, -1, 0
	s_delay_alu instid0(SALU_CYCLE_1) | instskip(SKIP_3) | instid1(VALU_DEP_1)
	s_cmp_lg_u32 s9, 0
	s_add_co_ci_u32 s8, s8, 0
	s_wait_loadcnt 0x0
	v_and_b32_e32 v2, 0xff, v4
	v_cmp_ne_u64_e32 vcc_lo, 0, v[1:2]
	s_cbranch_vccz .LBB133_4
.LBB133_7:
	v_mov_b32_e32 v1, 0
	global_store_b32 v1, v3, s[2:3]
.LBB133_8:
	s_wait_alu 0xfffe
	s_or_b32 exec_lo, exec_lo, s7
.LBB133_9:
	s_delay_alu instid0(SALU_CYCLE_1)
	s_mov_b32 s0, exec_lo
	v_cmpx_gt_u32_e64 s6, v0
	s_cbranch_execz .LBB133_11
; %bb.10:
	v_dual_mov_b32 v2, 0 :: v_dual_add_nc_u32 v1, 32, v0
	s_delay_alu instid0(VALU_DEP_1) | instskip(SKIP_1) | instid1(VALU_DEP_2)
	v_lshlrev_b64_e32 v[3:4], 3, v[1:2]
	v_mov_b32_e32 v1, v2
	v_add_co_u32 v3, vcc_lo, s4, v3
	s_delay_alu instid0(VALU_DEP_1)
	v_add_co_ci_u32_e64 v4, null, s5, v4, vcc_lo
	global_store_b64 v[3:4], v[1:2], off
.LBB133_11:
	s_wait_alu 0xfffe
	s_or_b32 exec_lo, exec_lo, s0
	s_delay_alu instid0(SALU_CYCLE_1)
	s_mov_b32 s0, exec_lo
	v_cmpx_gt_u32_e32 32, v0
	s_cbranch_execz .LBB133_13
; %bb.12:
	v_dual_mov_b32 v1, 0 :: v_dual_mov_b32 v4, 0xff
	s_delay_alu instid0(VALU_DEP_1) | instskip(NEXT) | instid1(VALU_DEP_1)
	v_lshlrev_b64_e32 v[2:3], 3, v[0:1]
	v_add_co_u32 v5, vcc_lo, s4, v2
	s_wait_alu 0xfffd
	s_delay_alu instid0(VALU_DEP_2)
	v_add_co_ci_u32_e64 v6, null, s5, v3, vcc_lo
	v_mov_b32_e32 v3, v1
	global_store_b64 v[5:6], v[3:4], off
.LBB133_13:
	s_endpgm
	.section	.rodata,"a",@progbits
	.p2align	6, 0x0
	.amdhsa_kernel _ZN7rocprim17ROCPRIM_400000_NS6detail31init_lookback_scan_state_kernelINS1_19lookback_scan_stateIfLb1ELb1EEENS1_16block_id_wrapperIjLb0EEEEEvT_jT0_jPNS7_10value_typeE
		.amdhsa_group_segment_fixed_size 0
		.amdhsa_private_segment_fixed_size 0
		.amdhsa_kernarg_size 288
		.amdhsa_user_sgpr_count 2
		.amdhsa_user_sgpr_dispatch_ptr 0
		.amdhsa_user_sgpr_queue_ptr 0
		.amdhsa_user_sgpr_kernarg_segment_ptr 1
		.amdhsa_user_sgpr_dispatch_id 0
		.amdhsa_user_sgpr_private_segment_size 0
		.amdhsa_wavefront_size32 1
		.amdhsa_uses_dynamic_stack 0
		.amdhsa_enable_private_segment 0
		.amdhsa_system_sgpr_workgroup_id_x 1
		.amdhsa_system_sgpr_workgroup_id_y 0
		.amdhsa_system_sgpr_workgroup_id_z 0
		.amdhsa_system_sgpr_workgroup_info 0
		.amdhsa_system_vgpr_workitem_id 0
		.amdhsa_next_free_vgpr 7
		.amdhsa_next_free_sgpr 10
		.amdhsa_reserve_vcc 1
		.amdhsa_float_round_mode_32 0
		.amdhsa_float_round_mode_16_64 0
		.amdhsa_float_denorm_mode_32 3
		.amdhsa_float_denorm_mode_16_64 3
		.amdhsa_fp16_overflow 0
		.amdhsa_workgroup_processor_mode 1
		.amdhsa_memory_ordered 1
		.amdhsa_forward_progress 1
		.amdhsa_inst_pref_size 4
		.amdhsa_round_robin_scheduling 0
		.amdhsa_exception_fp_ieee_invalid_op 0
		.amdhsa_exception_fp_denorm_src 0
		.amdhsa_exception_fp_ieee_div_zero 0
		.amdhsa_exception_fp_ieee_overflow 0
		.amdhsa_exception_fp_ieee_underflow 0
		.amdhsa_exception_fp_ieee_inexact 0
		.amdhsa_exception_int_div_zero 0
	.end_amdhsa_kernel
	.section	.text._ZN7rocprim17ROCPRIM_400000_NS6detail31init_lookback_scan_state_kernelINS1_19lookback_scan_stateIfLb1ELb1EEENS1_16block_id_wrapperIjLb0EEEEEvT_jT0_jPNS7_10value_typeE,"axG",@progbits,_ZN7rocprim17ROCPRIM_400000_NS6detail31init_lookback_scan_state_kernelINS1_19lookback_scan_stateIfLb1ELb1EEENS1_16block_id_wrapperIjLb0EEEEEvT_jT0_jPNS7_10value_typeE,comdat
.Lfunc_end133:
	.size	_ZN7rocprim17ROCPRIM_400000_NS6detail31init_lookback_scan_state_kernelINS1_19lookback_scan_stateIfLb1ELb1EEENS1_16block_id_wrapperIjLb0EEEEEvT_jT0_jPNS7_10value_typeE, .Lfunc_end133-_ZN7rocprim17ROCPRIM_400000_NS6detail31init_lookback_scan_state_kernelINS1_19lookback_scan_stateIfLb1ELb1EEENS1_16block_id_wrapperIjLb0EEEEEvT_jT0_jPNS7_10value_typeE
                                        ; -- End function
	.set _ZN7rocprim17ROCPRIM_400000_NS6detail31init_lookback_scan_state_kernelINS1_19lookback_scan_stateIfLb1ELb1EEENS1_16block_id_wrapperIjLb0EEEEEvT_jT0_jPNS7_10value_typeE.num_vgpr, 7
	.set _ZN7rocprim17ROCPRIM_400000_NS6detail31init_lookback_scan_state_kernelINS1_19lookback_scan_stateIfLb1ELb1EEENS1_16block_id_wrapperIjLb0EEEEEvT_jT0_jPNS7_10value_typeE.num_agpr, 0
	.set _ZN7rocprim17ROCPRIM_400000_NS6detail31init_lookback_scan_state_kernelINS1_19lookback_scan_stateIfLb1ELb1EEENS1_16block_id_wrapperIjLb0EEEEEvT_jT0_jPNS7_10value_typeE.numbered_sgpr, 10
	.set _ZN7rocprim17ROCPRIM_400000_NS6detail31init_lookback_scan_state_kernelINS1_19lookback_scan_stateIfLb1ELb1EEENS1_16block_id_wrapperIjLb0EEEEEvT_jT0_jPNS7_10value_typeE.num_named_barrier, 0
	.set _ZN7rocprim17ROCPRIM_400000_NS6detail31init_lookback_scan_state_kernelINS1_19lookback_scan_stateIfLb1ELb1EEENS1_16block_id_wrapperIjLb0EEEEEvT_jT0_jPNS7_10value_typeE.private_seg_size, 0
	.set _ZN7rocprim17ROCPRIM_400000_NS6detail31init_lookback_scan_state_kernelINS1_19lookback_scan_stateIfLb1ELb1EEENS1_16block_id_wrapperIjLb0EEEEEvT_jT0_jPNS7_10value_typeE.uses_vcc, 1
	.set _ZN7rocprim17ROCPRIM_400000_NS6detail31init_lookback_scan_state_kernelINS1_19lookback_scan_stateIfLb1ELb1EEENS1_16block_id_wrapperIjLb0EEEEEvT_jT0_jPNS7_10value_typeE.uses_flat_scratch, 0
	.set _ZN7rocprim17ROCPRIM_400000_NS6detail31init_lookback_scan_state_kernelINS1_19lookback_scan_stateIfLb1ELb1EEENS1_16block_id_wrapperIjLb0EEEEEvT_jT0_jPNS7_10value_typeE.has_dyn_sized_stack, 0
	.set _ZN7rocprim17ROCPRIM_400000_NS6detail31init_lookback_scan_state_kernelINS1_19lookback_scan_stateIfLb1ELb1EEENS1_16block_id_wrapperIjLb0EEEEEvT_jT0_jPNS7_10value_typeE.has_recursion, 0
	.set _ZN7rocprim17ROCPRIM_400000_NS6detail31init_lookback_scan_state_kernelINS1_19lookback_scan_stateIfLb1ELb1EEENS1_16block_id_wrapperIjLb0EEEEEvT_jT0_jPNS7_10value_typeE.has_indirect_call, 0
	.section	.AMDGPU.csdata,"",@progbits
; Kernel info:
; codeLenInByte = 424
; TotalNumSgprs: 12
; NumVgprs: 7
; ScratchSize: 0
; MemoryBound: 0
; FloatMode: 240
; IeeeMode: 1
; LDSByteSize: 0 bytes/workgroup (compile time only)
; SGPRBlocks: 0
; VGPRBlocks: 0
; NumSGPRsForWavesPerEU: 12
; NumVGPRsForWavesPerEU: 7
; Occupancy: 16
; WaveLimiterHint : 0
; COMPUTE_PGM_RSRC2:SCRATCH_EN: 0
; COMPUTE_PGM_RSRC2:USER_SGPR: 2
; COMPUTE_PGM_RSRC2:TRAP_HANDLER: 0
; COMPUTE_PGM_RSRC2:TGID_X_EN: 1
; COMPUTE_PGM_RSRC2:TGID_Y_EN: 0
; COMPUTE_PGM_RSRC2:TGID_Z_EN: 0
; COMPUTE_PGM_RSRC2:TIDIG_COMP_CNT: 0
	.section	.text._ZN7rocprim17ROCPRIM_400000_NS6detail17trampoline_kernelINS0_14default_configENS1_20scan_config_selectorIfEEZZNS1_9scan_implILNS1_25lookback_scan_determinismE0ELb0ELb0ES3_PKfPffZZZN2at6native31launch_logcumsumexp_cuda_kernelERKNSB_10TensorBaseESF_lENKUlvE_clEvENKUlvE0_clEvEUlffE_fEEDaPvRmT3_T4_T5_mT6_P12ihipStream_tbENKUlT_T0_E_clISt17integral_constantIbLb1EESV_IbLb0EEEEDaSR_SS_EUlSR_E_NS1_11comp_targetILNS1_3genE0ELNS1_11target_archE4294967295ELNS1_3gpuE0ELNS1_3repE0EEENS1_30default_config_static_selectorELNS0_4arch9wavefront6targetE0EEEvT1_,"axG",@progbits,_ZN7rocprim17ROCPRIM_400000_NS6detail17trampoline_kernelINS0_14default_configENS1_20scan_config_selectorIfEEZZNS1_9scan_implILNS1_25lookback_scan_determinismE0ELb0ELb0ES3_PKfPffZZZN2at6native31launch_logcumsumexp_cuda_kernelERKNSB_10TensorBaseESF_lENKUlvE_clEvENKUlvE0_clEvEUlffE_fEEDaPvRmT3_T4_T5_mT6_P12ihipStream_tbENKUlT_T0_E_clISt17integral_constantIbLb1EESV_IbLb0EEEEDaSR_SS_EUlSR_E_NS1_11comp_targetILNS1_3genE0ELNS1_11target_archE4294967295ELNS1_3gpuE0ELNS1_3repE0EEENS1_30default_config_static_selectorELNS0_4arch9wavefront6targetE0EEEvT1_,comdat
	.globl	_ZN7rocprim17ROCPRIM_400000_NS6detail17trampoline_kernelINS0_14default_configENS1_20scan_config_selectorIfEEZZNS1_9scan_implILNS1_25lookback_scan_determinismE0ELb0ELb0ES3_PKfPffZZZN2at6native31launch_logcumsumexp_cuda_kernelERKNSB_10TensorBaseESF_lENKUlvE_clEvENKUlvE0_clEvEUlffE_fEEDaPvRmT3_T4_T5_mT6_P12ihipStream_tbENKUlT_T0_E_clISt17integral_constantIbLb1EESV_IbLb0EEEEDaSR_SS_EUlSR_E_NS1_11comp_targetILNS1_3genE0ELNS1_11target_archE4294967295ELNS1_3gpuE0ELNS1_3repE0EEENS1_30default_config_static_selectorELNS0_4arch9wavefront6targetE0EEEvT1_ ; -- Begin function _ZN7rocprim17ROCPRIM_400000_NS6detail17trampoline_kernelINS0_14default_configENS1_20scan_config_selectorIfEEZZNS1_9scan_implILNS1_25lookback_scan_determinismE0ELb0ELb0ES3_PKfPffZZZN2at6native31launch_logcumsumexp_cuda_kernelERKNSB_10TensorBaseESF_lENKUlvE_clEvENKUlvE0_clEvEUlffE_fEEDaPvRmT3_T4_T5_mT6_P12ihipStream_tbENKUlT_T0_E_clISt17integral_constantIbLb1EESV_IbLb0EEEEDaSR_SS_EUlSR_E_NS1_11comp_targetILNS1_3genE0ELNS1_11target_archE4294967295ELNS1_3gpuE0ELNS1_3repE0EEENS1_30default_config_static_selectorELNS0_4arch9wavefront6targetE0EEEvT1_
	.p2align	8
	.type	_ZN7rocprim17ROCPRIM_400000_NS6detail17trampoline_kernelINS0_14default_configENS1_20scan_config_selectorIfEEZZNS1_9scan_implILNS1_25lookback_scan_determinismE0ELb0ELb0ES3_PKfPffZZZN2at6native31launch_logcumsumexp_cuda_kernelERKNSB_10TensorBaseESF_lENKUlvE_clEvENKUlvE0_clEvEUlffE_fEEDaPvRmT3_T4_T5_mT6_P12ihipStream_tbENKUlT_T0_E_clISt17integral_constantIbLb1EESV_IbLb0EEEEDaSR_SS_EUlSR_E_NS1_11comp_targetILNS1_3genE0ELNS1_11target_archE4294967295ELNS1_3gpuE0ELNS1_3repE0EEENS1_30default_config_static_selectorELNS0_4arch9wavefront6targetE0EEEvT1_,@function
_ZN7rocprim17ROCPRIM_400000_NS6detail17trampoline_kernelINS0_14default_configENS1_20scan_config_selectorIfEEZZNS1_9scan_implILNS1_25lookback_scan_determinismE0ELb0ELb0ES3_PKfPffZZZN2at6native31launch_logcumsumexp_cuda_kernelERKNSB_10TensorBaseESF_lENKUlvE_clEvENKUlvE0_clEvEUlffE_fEEDaPvRmT3_T4_T5_mT6_P12ihipStream_tbENKUlT_T0_E_clISt17integral_constantIbLb1EESV_IbLb0EEEEDaSR_SS_EUlSR_E_NS1_11comp_targetILNS1_3genE0ELNS1_11target_archE4294967295ELNS1_3gpuE0ELNS1_3repE0EEENS1_30default_config_static_selectorELNS0_4arch9wavefront6targetE0EEEvT1_: ; @_ZN7rocprim17ROCPRIM_400000_NS6detail17trampoline_kernelINS0_14default_configENS1_20scan_config_selectorIfEEZZNS1_9scan_implILNS1_25lookback_scan_determinismE0ELb0ELb0ES3_PKfPffZZZN2at6native31launch_logcumsumexp_cuda_kernelERKNSB_10TensorBaseESF_lENKUlvE_clEvENKUlvE0_clEvEUlffE_fEEDaPvRmT3_T4_T5_mT6_P12ihipStream_tbENKUlT_T0_E_clISt17integral_constantIbLb1EESV_IbLb0EEEEDaSR_SS_EUlSR_E_NS1_11comp_targetILNS1_3genE0ELNS1_11target_archE4294967295ELNS1_3gpuE0ELNS1_3repE0EEENS1_30default_config_static_selectorELNS0_4arch9wavefront6targetE0EEEvT1_
; %bb.0:
	.section	.rodata,"a",@progbits
	.p2align	6, 0x0
	.amdhsa_kernel _ZN7rocprim17ROCPRIM_400000_NS6detail17trampoline_kernelINS0_14default_configENS1_20scan_config_selectorIfEEZZNS1_9scan_implILNS1_25lookback_scan_determinismE0ELb0ELb0ES3_PKfPffZZZN2at6native31launch_logcumsumexp_cuda_kernelERKNSB_10TensorBaseESF_lENKUlvE_clEvENKUlvE0_clEvEUlffE_fEEDaPvRmT3_T4_T5_mT6_P12ihipStream_tbENKUlT_T0_E_clISt17integral_constantIbLb1EESV_IbLb0EEEEDaSR_SS_EUlSR_E_NS1_11comp_targetILNS1_3genE0ELNS1_11target_archE4294967295ELNS1_3gpuE0ELNS1_3repE0EEENS1_30default_config_static_selectorELNS0_4arch9wavefront6targetE0EEEvT1_
		.amdhsa_group_segment_fixed_size 0
		.amdhsa_private_segment_fixed_size 0
		.amdhsa_kernarg_size 96
		.amdhsa_user_sgpr_count 2
		.amdhsa_user_sgpr_dispatch_ptr 0
		.amdhsa_user_sgpr_queue_ptr 0
		.amdhsa_user_sgpr_kernarg_segment_ptr 1
		.amdhsa_user_sgpr_dispatch_id 0
		.amdhsa_user_sgpr_private_segment_size 0
		.amdhsa_wavefront_size32 1
		.amdhsa_uses_dynamic_stack 0
		.amdhsa_enable_private_segment 0
		.amdhsa_system_sgpr_workgroup_id_x 1
		.amdhsa_system_sgpr_workgroup_id_y 0
		.amdhsa_system_sgpr_workgroup_id_z 0
		.amdhsa_system_sgpr_workgroup_info 0
		.amdhsa_system_vgpr_workitem_id 0
		.amdhsa_next_free_vgpr 1
		.amdhsa_next_free_sgpr 1
		.amdhsa_reserve_vcc 0
		.amdhsa_float_round_mode_32 0
		.amdhsa_float_round_mode_16_64 0
		.amdhsa_float_denorm_mode_32 3
		.amdhsa_float_denorm_mode_16_64 3
		.amdhsa_fp16_overflow 0
		.amdhsa_workgroup_processor_mode 1
		.amdhsa_memory_ordered 1
		.amdhsa_forward_progress 1
		.amdhsa_inst_pref_size 0
		.amdhsa_round_robin_scheduling 0
		.amdhsa_exception_fp_ieee_invalid_op 0
		.amdhsa_exception_fp_denorm_src 0
		.amdhsa_exception_fp_ieee_div_zero 0
		.amdhsa_exception_fp_ieee_overflow 0
		.amdhsa_exception_fp_ieee_underflow 0
		.amdhsa_exception_fp_ieee_inexact 0
		.amdhsa_exception_int_div_zero 0
	.end_amdhsa_kernel
	.section	.text._ZN7rocprim17ROCPRIM_400000_NS6detail17trampoline_kernelINS0_14default_configENS1_20scan_config_selectorIfEEZZNS1_9scan_implILNS1_25lookback_scan_determinismE0ELb0ELb0ES3_PKfPffZZZN2at6native31launch_logcumsumexp_cuda_kernelERKNSB_10TensorBaseESF_lENKUlvE_clEvENKUlvE0_clEvEUlffE_fEEDaPvRmT3_T4_T5_mT6_P12ihipStream_tbENKUlT_T0_E_clISt17integral_constantIbLb1EESV_IbLb0EEEEDaSR_SS_EUlSR_E_NS1_11comp_targetILNS1_3genE0ELNS1_11target_archE4294967295ELNS1_3gpuE0ELNS1_3repE0EEENS1_30default_config_static_selectorELNS0_4arch9wavefront6targetE0EEEvT1_,"axG",@progbits,_ZN7rocprim17ROCPRIM_400000_NS6detail17trampoline_kernelINS0_14default_configENS1_20scan_config_selectorIfEEZZNS1_9scan_implILNS1_25lookback_scan_determinismE0ELb0ELb0ES3_PKfPffZZZN2at6native31launch_logcumsumexp_cuda_kernelERKNSB_10TensorBaseESF_lENKUlvE_clEvENKUlvE0_clEvEUlffE_fEEDaPvRmT3_T4_T5_mT6_P12ihipStream_tbENKUlT_T0_E_clISt17integral_constantIbLb1EESV_IbLb0EEEEDaSR_SS_EUlSR_E_NS1_11comp_targetILNS1_3genE0ELNS1_11target_archE4294967295ELNS1_3gpuE0ELNS1_3repE0EEENS1_30default_config_static_selectorELNS0_4arch9wavefront6targetE0EEEvT1_,comdat
.Lfunc_end134:
	.size	_ZN7rocprim17ROCPRIM_400000_NS6detail17trampoline_kernelINS0_14default_configENS1_20scan_config_selectorIfEEZZNS1_9scan_implILNS1_25lookback_scan_determinismE0ELb0ELb0ES3_PKfPffZZZN2at6native31launch_logcumsumexp_cuda_kernelERKNSB_10TensorBaseESF_lENKUlvE_clEvENKUlvE0_clEvEUlffE_fEEDaPvRmT3_T4_T5_mT6_P12ihipStream_tbENKUlT_T0_E_clISt17integral_constantIbLb1EESV_IbLb0EEEEDaSR_SS_EUlSR_E_NS1_11comp_targetILNS1_3genE0ELNS1_11target_archE4294967295ELNS1_3gpuE0ELNS1_3repE0EEENS1_30default_config_static_selectorELNS0_4arch9wavefront6targetE0EEEvT1_, .Lfunc_end134-_ZN7rocprim17ROCPRIM_400000_NS6detail17trampoline_kernelINS0_14default_configENS1_20scan_config_selectorIfEEZZNS1_9scan_implILNS1_25lookback_scan_determinismE0ELb0ELb0ES3_PKfPffZZZN2at6native31launch_logcumsumexp_cuda_kernelERKNSB_10TensorBaseESF_lENKUlvE_clEvENKUlvE0_clEvEUlffE_fEEDaPvRmT3_T4_T5_mT6_P12ihipStream_tbENKUlT_T0_E_clISt17integral_constantIbLb1EESV_IbLb0EEEEDaSR_SS_EUlSR_E_NS1_11comp_targetILNS1_3genE0ELNS1_11target_archE4294967295ELNS1_3gpuE0ELNS1_3repE0EEENS1_30default_config_static_selectorELNS0_4arch9wavefront6targetE0EEEvT1_
                                        ; -- End function
	.set _ZN7rocprim17ROCPRIM_400000_NS6detail17trampoline_kernelINS0_14default_configENS1_20scan_config_selectorIfEEZZNS1_9scan_implILNS1_25lookback_scan_determinismE0ELb0ELb0ES3_PKfPffZZZN2at6native31launch_logcumsumexp_cuda_kernelERKNSB_10TensorBaseESF_lENKUlvE_clEvENKUlvE0_clEvEUlffE_fEEDaPvRmT3_T4_T5_mT6_P12ihipStream_tbENKUlT_T0_E_clISt17integral_constantIbLb1EESV_IbLb0EEEEDaSR_SS_EUlSR_E_NS1_11comp_targetILNS1_3genE0ELNS1_11target_archE4294967295ELNS1_3gpuE0ELNS1_3repE0EEENS1_30default_config_static_selectorELNS0_4arch9wavefront6targetE0EEEvT1_.num_vgpr, 0
	.set _ZN7rocprim17ROCPRIM_400000_NS6detail17trampoline_kernelINS0_14default_configENS1_20scan_config_selectorIfEEZZNS1_9scan_implILNS1_25lookback_scan_determinismE0ELb0ELb0ES3_PKfPffZZZN2at6native31launch_logcumsumexp_cuda_kernelERKNSB_10TensorBaseESF_lENKUlvE_clEvENKUlvE0_clEvEUlffE_fEEDaPvRmT3_T4_T5_mT6_P12ihipStream_tbENKUlT_T0_E_clISt17integral_constantIbLb1EESV_IbLb0EEEEDaSR_SS_EUlSR_E_NS1_11comp_targetILNS1_3genE0ELNS1_11target_archE4294967295ELNS1_3gpuE0ELNS1_3repE0EEENS1_30default_config_static_selectorELNS0_4arch9wavefront6targetE0EEEvT1_.num_agpr, 0
	.set _ZN7rocprim17ROCPRIM_400000_NS6detail17trampoline_kernelINS0_14default_configENS1_20scan_config_selectorIfEEZZNS1_9scan_implILNS1_25lookback_scan_determinismE0ELb0ELb0ES3_PKfPffZZZN2at6native31launch_logcumsumexp_cuda_kernelERKNSB_10TensorBaseESF_lENKUlvE_clEvENKUlvE0_clEvEUlffE_fEEDaPvRmT3_T4_T5_mT6_P12ihipStream_tbENKUlT_T0_E_clISt17integral_constantIbLb1EESV_IbLb0EEEEDaSR_SS_EUlSR_E_NS1_11comp_targetILNS1_3genE0ELNS1_11target_archE4294967295ELNS1_3gpuE0ELNS1_3repE0EEENS1_30default_config_static_selectorELNS0_4arch9wavefront6targetE0EEEvT1_.numbered_sgpr, 0
	.set _ZN7rocprim17ROCPRIM_400000_NS6detail17trampoline_kernelINS0_14default_configENS1_20scan_config_selectorIfEEZZNS1_9scan_implILNS1_25lookback_scan_determinismE0ELb0ELb0ES3_PKfPffZZZN2at6native31launch_logcumsumexp_cuda_kernelERKNSB_10TensorBaseESF_lENKUlvE_clEvENKUlvE0_clEvEUlffE_fEEDaPvRmT3_T4_T5_mT6_P12ihipStream_tbENKUlT_T0_E_clISt17integral_constantIbLb1EESV_IbLb0EEEEDaSR_SS_EUlSR_E_NS1_11comp_targetILNS1_3genE0ELNS1_11target_archE4294967295ELNS1_3gpuE0ELNS1_3repE0EEENS1_30default_config_static_selectorELNS0_4arch9wavefront6targetE0EEEvT1_.num_named_barrier, 0
	.set _ZN7rocprim17ROCPRIM_400000_NS6detail17trampoline_kernelINS0_14default_configENS1_20scan_config_selectorIfEEZZNS1_9scan_implILNS1_25lookback_scan_determinismE0ELb0ELb0ES3_PKfPffZZZN2at6native31launch_logcumsumexp_cuda_kernelERKNSB_10TensorBaseESF_lENKUlvE_clEvENKUlvE0_clEvEUlffE_fEEDaPvRmT3_T4_T5_mT6_P12ihipStream_tbENKUlT_T0_E_clISt17integral_constantIbLb1EESV_IbLb0EEEEDaSR_SS_EUlSR_E_NS1_11comp_targetILNS1_3genE0ELNS1_11target_archE4294967295ELNS1_3gpuE0ELNS1_3repE0EEENS1_30default_config_static_selectorELNS0_4arch9wavefront6targetE0EEEvT1_.private_seg_size, 0
	.set _ZN7rocprim17ROCPRIM_400000_NS6detail17trampoline_kernelINS0_14default_configENS1_20scan_config_selectorIfEEZZNS1_9scan_implILNS1_25lookback_scan_determinismE0ELb0ELb0ES3_PKfPffZZZN2at6native31launch_logcumsumexp_cuda_kernelERKNSB_10TensorBaseESF_lENKUlvE_clEvENKUlvE0_clEvEUlffE_fEEDaPvRmT3_T4_T5_mT6_P12ihipStream_tbENKUlT_T0_E_clISt17integral_constantIbLb1EESV_IbLb0EEEEDaSR_SS_EUlSR_E_NS1_11comp_targetILNS1_3genE0ELNS1_11target_archE4294967295ELNS1_3gpuE0ELNS1_3repE0EEENS1_30default_config_static_selectorELNS0_4arch9wavefront6targetE0EEEvT1_.uses_vcc, 0
	.set _ZN7rocprim17ROCPRIM_400000_NS6detail17trampoline_kernelINS0_14default_configENS1_20scan_config_selectorIfEEZZNS1_9scan_implILNS1_25lookback_scan_determinismE0ELb0ELb0ES3_PKfPffZZZN2at6native31launch_logcumsumexp_cuda_kernelERKNSB_10TensorBaseESF_lENKUlvE_clEvENKUlvE0_clEvEUlffE_fEEDaPvRmT3_T4_T5_mT6_P12ihipStream_tbENKUlT_T0_E_clISt17integral_constantIbLb1EESV_IbLb0EEEEDaSR_SS_EUlSR_E_NS1_11comp_targetILNS1_3genE0ELNS1_11target_archE4294967295ELNS1_3gpuE0ELNS1_3repE0EEENS1_30default_config_static_selectorELNS0_4arch9wavefront6targetE0EEEvT1_.uses_flat_scratch, 0
	.set _ZN7rocprim17ROCPRIM_400000_NS6detail17trampoline_kernelINS0_14default_configENS1_20scan_config_selectorIfEEZZNS1_9scan_implILNS1_25lookback_scan_determinismE0ELb0ELb0ES3_PKfPffZZZN2at6native31launch_logcumsumexp_cuda_kernelERKNSB_10TensorBaseESF_lENKUlvE_clEvENKUlvE0_clEvEUlffE_fEEDaPvRmT3_T4_T5_mT6_P12ihipStream_tbENKUlT_T0_E_clISt17integral_constantIbLb1EESV_IbLb0EEEEDaSR_SS_EUlSR_E_NS1_11comp_targetILNS1_3genE0ELNS1_11target_archE4294967295ELNS1_3gpuE0ELNS1_3repE0EEENS1_30default_config_static_selectorELNS0_4arch9wavefront6targetE0EEEvT1_.has_dyn_sized_stack, 0
	.set _ZN7rocprim17ROCPRIM_400000_NS6detail17trampoline_kernelINS0_14default_configENS1_20scan_config_selectorIfEEZZNS1_9scan_implILNS1_25lookback_scan_determinismE0ELb0ELb0ES3_PKfPffZZZN2at6native31launch_logcumsumexp_cuda_kernelERKNSB_10TensorBaseESF_lENKUlvE_clEvENKUlvE0_clEvEUlffE_fEEDaPvRmT3_T4_T5_mT6_P12ihipStream_tbENKUlT_T0_E_clISt17integral_constantIbLb1EESV_IbLb0EEEEDaSR_SS_EUlSR_E_NS1_11comp_targetILNS1_3genE0ELNS1_11target_archE4294967295ELNS1_3gpuE0ELNS1_3repE0EEENS1_30default_config_static_selectorELNS0_4arch9wavefront6targetE0EEEvT1_.has_recursion, 0
	.set _ZN7rocprim17ROCPRIM_400000_NS6detail17trampoline_kernelINS0_14default_configENS1_20scan_config_selectorIfEEZZNS1_9scan_implILNS1_25lookback_scan_determinismE0ELb0ELb0ES3_PKfPffZZZN2at6native31launch_logcumsumexp_cuda_kernelERKNSB_10TensorBaseESF_lENKUlvE_clEvENKUlvE0_clEvEUlffE_fEEDaPvRmT3_T4_T5_mT6_P12ihipStream_tbENKUlT_T0_E_clISt17integral_constantIbLb1EESV_IbLb0EEEEDaSR_SS_EUlSR_E_NS1_11comp_targetILNS1_3genE0ELNS1_11target_archE4294967295ELNS1_3gpuE0ELNS1_3repE0EEENS1_30default_config_static_selectorELNS0_4arch9wavefront6targetE0EEEvT1_.has_indirect_call, 0
	.section	.AMDGPU.csdata,"",@progbits
; Kernel info:
; codeLenInByte = 0
; TotalNumSgprs: 0
; NumVgprs: 0
; ScratchSize: 0
; MemoryBound: 0
; FloatMode: 240
; IeeeMode: 1
; LDSByteSize: 0 bytes/workgroup (compile time only)
; SGPRBlocks: 0
; VGPRBlocks: 0
; NumSGPRsForWavesPerEU: 1
; NumVGPRsForWavesPerEU: 1
; Occupancy: 16
; WaveLimiterHint : 0
; COMPUTE_PGM_RSRC2:SCRATCH_EN: 0
; COMPUTE_PGM_RSRC2:USER_SGPR: 2
; COMPUTE_PGM_RSRC2:TRAP_HANDLER: 0
; COMPUTE_PGM_RSRC2:TGID_X_EN: 1
; COMPUTE_PGM_RSRC2:TGID_Y_EN: 0
; COMPUTE_PGM_RSRC2:TGID_Z_EN: 0
; COMPUTE_PGM_RSRC2:TIDIG_COMP_CNT: 0
	.section	.text._ZN7rocprim17ROCPRIM_400000_NS6detail17trampoline_kernelINS0_14default_configENS1_20scan_config_selectorIfEEZZNS1_9scan_implILNS1_25lookback_scan_determinismE0ELb0ELb0ES3_PKfPffZZZN2at6native31launch_logcumsumexp_cuda_kernelERKNSB_10TensorBaseESF_lENKUlvE_clEvENKUlvE0_clEvEUlffE_fEEDaPvRmT3_T4_T5_mT6_P12ihipStream_tbENKUlT_T0_E_clISt17integral_constantIbLb1EESV_IbLb0EEEEDaSR_SS_EUlSR_E_NS1_11comp_targetILNS1_3genE5ELNS1_11target_archE942ELNS1_3gpuE9ELNS1_3repE0EEENS1_30default_config_static_selectorELNS0_4arch9wavefront6targetE0EEEvT1_,"axG",@progbits,_ZN7rocprim17ROCPRIM_400000_NS6detail17trampoline_kernelINS0_14default_configENS1_20scan_config_selectorIfEEZZNS1_9scan_implILNS1_25lookback_scan_determinismE0ELb0ELb0ES3_PKfPffZZZN2at6native31launch_logcumsumexp_cuda_kernelERKNSB_10TensorBaseESF_lENKUlvE_clEvENKUlvE0_clEvEUlffE_fEEDaPvRmT3_T4_T5_mT6_P12ihipStream_tbENKUlT_T0_E_clISt17integral_constantIbLb1EESV_IbLb0EEEEDaSR_SS_EUlSR_E_NS1_11comp_targetILNS1_3genE5ELNS1_11target_archE942ELNS1_3gpuE9ELNS1_3repE0EEENS1_30default_config_static_selectorELNS0_4arch9wavefront6targetE0EEEvT1_,comdat
	.globl	_ZN7rocprim17ROCPRIM_400000_NS6detail17trampoline_kernelINS0_14default_configENS1_20scan_config_selectorIfEEZZNS1_9scan_implILNS1_25lookback_scan_determinismE0ELb0ELb0ES3_PKfPffZZZN2at6native31launch_logcumsumexp_cuda_kernelERKNSB_10TensorBaseESF_lENKUlvE_clEvENKUlvE0_clEvEUlffE_fEEDaPvRmT3_T4_T5_mT6_P12ihipStream_tbENKUlT_T0_E_clISt17integral_constantIbLb1EESV_IbLb0EEEEDaSR_SS_EUlSR_E_NS1_11comp_targetILNS1_3genE5ELNS1_11target_archE942ELNS1_3gpuE9ELNS1_3repE0EEENS1_30default_config_static_selectorELNS0_4arch9wavefront6targetE0EEEvT1_ ; -- Begin function _ZN7rocprim17ROCPRIM_400000_NS6detail17trampoline_kernelINS0_14default_configENS1_20scan_config_selectorIfEEZZNS1_9scan_implILNS1_25lookback_scan_determinismE0ELb0ELb0ES3_PKfPffZZZN2at6native31launch_logcumsumexp_cuda_kernelERKNSB_10TensorBaseESF_lENKUlvE_clEvENKUlvE0_clEvEUlffE_fEEDaPvRmT3_T4_T5_mT6_P12ihipStream_tbENKUlT_T0_E_clISt17integral_constantIbLb1EESV_IbLb0EEEEDaSR_SS_EUlSR_E_NS1_11comp_targetILNS1_3genE5ELNS1_11target_archE942ELNS1_3gpuE9ELNS1_3repE0EEENS1_30default_config_static_selectorELNS0_4arch9wavefront6targetE0EEEvT1_
	.p2align	8
	.type	_ZN7rocprim17ROCPRIM_400000_NS6detail17trampoline_kernelINS0_14default_configENS1_20scan_config_selectorIfEEZZNS1_9scan_implILNS1_25lookback_scan_determinismE0ELb0ELb0ES3_PKfPffZZZN2at6native31launch_logcumsumexp_cuda_kernelERKNSB_10TensorBaseESF_lENKUlvE_clEvENKUlvE0_clEvEUlffE_fEEDaPvRmT3_T4_T5_mT6_P12ihipStream_tbENKUlT_T0_E_clISt17integral_constantIbLb1EESV_IbLb0EEEEDaSR_SS_EUlSR_E_NS1_11comp_targetILNS1_3genE5ELNS1_11target_archE942ELNS1_3gpuE9ELNS1_3repE0EEENS1_30default_config_static_selectorELNS0_4arch9wavefront6targetE0EEEvT1_,@function
_ZN7rocprim17ROCPRIM_400000_NS6detail17trampoline_kernelINS0_14default_configENS1_20scan_config_selectorIfEEZZNS1_9scan_implILNS1_25lookback_scan_determinismE0ELb0ELb0ES3_PKfPffZZZN2at6native31launch_logcumsumexp_cuda_kernelERKNSB_10TensorBaseESF_lENKUlvE_clEvENKUlvE0_clEvEUlffE_fEEDaPvRmT3_T4_T5_mT6_P12ihipStream_tbENKUlT_T0_E_clISt17integral_constantIbLb1EESV_IbLb0EEEEDaSR_SS_EUlSR_E_NS1_11comp_targetILNS1_3genE5ELNS1_11target_archE942ELNS1_3gpuE9ELNS1_3repE0EEENS1_30default_config_static_selectorELNS0_4arch9wavefront6targetE0EEEvT1_: ; @_ZN7rocprim17ROCPRIM_400000_NS6detail17trampoline_kernelINS0_14default_configENS1_20scan_config_selectorIfEEZZNS1_9scan_implILNS1_25lookback_scan_determinismE0ELb0ELb0ES3_PKfPffZZZN2at6native31launch_logcumsumexp_cuda_kernelERKNSB_10TensorBaseESF_lENKUlvE_clEvENKUlvE0_clEvEUlffE_fEEDaPvRmT3_T4_T5_mT6_P12ihipStream_tbENKUlT_T0_E_clISt17integral_constantIbLb1EESV_IbLb0EEEEDaSR_SS_EUlSR_E_NS1_11comp_targetILNS1_3genE5ELNS1_11target_archE942ELNS1_3gpuE9ELNS1_3repE0EEENS1_30default_config_static_selectorELNS0_4arch9wavefront6targetE0EEEvT1_
; %bb.0:
	.section	.rodata,"a",@progbits
	.p2align	6, 0x0
	.amdhsa_kernel _ZN7rocprim17ROCPRIM_400000_NS6detail17trampoline_kernelINS0_14default_configENS1_20scan_config_selectorIfEEZZNS1_9scan_implILNS1_25lookback_scan_determinismE0ELb0ELb0ES3_PKfPffZZZN2at6native31launch_logcumsumexp_cuda_kernelERKNSB_10TensorBaseESF_lENKUlvE_clEvENKUlvE0_clEvEUlffE_fEEDaPvRmT3_T4_T5_mT6_P12ihipStream_tbENKUlT_T0_E_clISt17integral_constantIbLb1EESV_IbLb0EEEEDaSR_SS_EUlSR_E_NS1_11comp_targetILNS1_3genE5ELNS1_11target_archE942ELNS1_3gpuE9ELNS1_3repE0EEENS1_30default_config_static_selectorELNS0_4arch9wavefront6targetE0EEEvT1_
		.amdhsa_group_segment_fixed_size 0
		.amdhsa_private_segment_fixed_size 0
		.amdhsa_kernarg_size 96
		.amdhsa_user_sgpr_count 2
		.amdhsa_user_sgpr_dispatch_ptr 0
		.amdhsa_user_sgpr_queue_ptr 0
		.amdhsa_user_sgpr_kernarg_segment_ptr 1
		.amdhsa_user_sgpr_dispatch_id 0
		.amdhsa_user_sgpr_private_segment_size 0
		.amdhsa_wavefront_size32 1
		.amdhsa_uses_dynamic_stack 0
		.amdhsa_enable_private_segment 0
		.amdhsa_system_sgpr_workgroup_id_x 1
		.amdhsa_system_sgpr_workgroup_id_y 0
		.amdhsa_system_sgpr_workgroup_id_z 0
		.amdhsa_system_sgpr_workgroup_info 0
		.amdhsa_system_vgpr_workitem_id 0
		.amdhsa_next_free_vgpr 1
		.amdhsa_next_free_sgpr 1
		.amdhsa_reserve_vcc 0
		.amdhsa_float_round_mode_32 0
		.amdhsa_float_round_mode_16_64 0
		.amdhsa_float_denorm_mode_32 3
		.amdhsa_float_denorm_mode_16_64 3
		.amdhsa_fp16_overflow 0
		.amdhsa_workgroup_processor_mode 1
		.amdhsa_memory_ordered 1
		.amdhsa_forward_progress 1
		.amdhsa_inst_pref_size 0
		.amdhsa_round_robin_scheduling 0
		.amdhsa_exception_fp_ieee_invalid_op 0
		.amdhsa_exception_fp_denorm_src 0
		.amdhsa_exception_fp_ieee_div_zero 0
		.amdhsa_exception_fp_ieee_overflow 0
		.amdhsa_exception_fp_ieee_underflow 0
		.amdhsa_exception_fp_ieee_inexact 0
		.amdhsa_exception_int_div_zero 0
	.end_amdhsa_kernel
	.section	.text._ZN7rocprim17ROCPRIM_400000_NS6detail17trampoline_kernelINS0_14default_configENS1_20scan_config_selectorIfEEZZNS1_9scan_implILNS1_25lookback_scan_determinismE0ELb0ELb0ES3_PKfPffZZZN2at6native31launch_logcumsumexp_cuda_kernelERKNSB_10TensorBaseESF_lENKUlvE_clEvENKUlvE0_clEvEUlffE_fEEDaPvRmT3_T4_T5_mT6_P12ihipStream_tbENKUlT_T0_E_clISt17integral_constantIbLb1EESV_IbLb0EEEEDaSR_SS_EUlSR_E_NS1_11comp_targetILNS1_3genE5ELNS1_11target_archE942ELNS1_3gpuE9ELNS1_3repE0EEENS1_30default_config_static_selectorELNS0_4arch9wavefront6targetE0EEEvT1_,"axG",@progbits,_ZN7rocprim17ROCPRIM_400000_NS6detail17trampoline_kernelINS0_14default_configENS1_20scan_config_selectorIfEEZZNS1_9scan_implILNS1_25lookback_scan_determinismE0ELb0ELb0ES3_PKfPffZZZN2at6native31launch_logcumsumexp_cuda_kernelERKNSB_10TensorBaseESF_lENKUlvE_clEvENKUlvE0_clEvEUlffE_fEEDaPvRmT3_T4_T5_mT6_P12ihipStream_tbENKUlT_T0_E_clISt17integral_constantIbLb1EESV_IbLb0EEEEDaSR_SS_EUlSR_E_NS1_11comp_targetILNS1_3genE5ELNS1_11target_archE942ELNS1_3gpuE9ELNS1_3repE0EEENS1_30default_config_static_selectorELNS0_4arch9wavefront6targetE0EEEvT1_,comdat
.Lfunc_end135:
	.size	_ZN7rocprim17ROCPRIM_400000_NS6detail17trampoline_kernelINS0_14default_configENS1_20scan_config_selectorIfEEZZNS1_9scan_implILNS1_25lookback_scan_determinismE0ELb0ELb0ES3_PKfPffZZZN2at6native31launch_logcumsumexp_cuda_kernelERKNSB_10TensorBaseESF_lENKUlvE_clEvENKUlvE0_clEvEUlffE_fEEDaPvRmT3_T4_T5_mT6_P12ihipStream_tbENKUlT_T0_E_clISt17integral_constantIbLb1EESV_IbLb0EEEEDaSR_SS_EUlSR_E_NS1_11comp_targetILNS1_3genE5ELNS1_11target_archE942ELNS1_3gpuE9ELNS1_3repE0EEENS1_30default_config_static_selectorELNS0_4arch9wavefront6targetE0EEEvT1_, .Lfunc_end135-_ZN7rocprim17ROCPRIM_400000_NS6detail17trampoline_kernelINS0_14default_configENS1_20scan_config_selectorIfEEZZNS1_9scan_implILNS1_25lookback_scan_determinismE0ELb0ELb0ES3_PKfPffZZZN2at6native31launch_logcumsumexp_cuda_kernelERKNSB_10TensorBaseESF_lENKUlvE_clEvENKUlvE0_clEvEUlffE_fEEDaPvRmT3_T4_T5_mT6_P12ihipStream_tbENKUlT_T0_E_clISt17integral_constantIbLb1EESV_IbLb0EEEEDaSR_SS_EUlSR_E_NS1_11comp_targetILNS1_3genE5ELNS1_11target_archE942ELNS1_3gpuE9ELNS1_3repE0EEENS1_30default_config_static_selectorELNS0_4arch9wavefront6targetE0EEEvT1_
                                        ; -- End function
	.set _ZN7rocprim17ROCPRIM_400000_NS6detail17trampoline_kernelINS0_14default_configENS1_20scan_config_selectorIfEEZZNS1_9scan_implILNS1_25lookback_scan_determinismE0ELb0ELb0ES3_PKfPffZZZN2at6native31launch_logcumsumexp_cuda_kernelERKNSB_10TensorBaseESF_lENKUlvE_clEvENKUlvE0_clEvEUlffE_fEEDaPvRmT3_T4_T5_mT6_P12ihipStream_tbENKUlT_T0_E_clISt17integral_constantIbLb1EESV_IbLb0EEEEDaSR_SS_EUlSR_E_NS1_11comp_targetILNS1_3genE5ELNS1_11target_archE942ELNS1_3gpuE9ELNS1_3repE0EEENS1_30default_config_static_selectorELNS0_4arch9wavefront6targetE0EEEvT1_.num_vgpr, 0
	.set _ZN7rocprim17ROCPRIM_400000_NS6detail17trampoline_kernelINS0_14default_configENS1_20scan_config_selectorIfEEZZNS1_9scan_implILNS1_25lookback_scan_determinismE0ELb0ELb0ES3_PKfPffZZZN2at6native31launch_logcumsumexp_cuda_kernelERKNSB_10TensorBaseESF_lENKUlvE_clEvENKUlvE0_clEvEUlffE_fEEDaPvRmT3_T4_T5_mT6_P12ihipStream_tbENKUlT_T0_E_clISt17integral_constantIbLb1EESV_IbLb0EEEEDaSR_SS_EUlSR_E_NS1_11comp_targetILNS1_3genE5ELNS1_11target_archE942ELNS1_3gpuE9ELNS1_3repE0EEENS1_30default_config_static_selectorELNS0_4arch9wavefront6targetE0EEEvT1_.num_agpr, 0
	.set _ZN7rocprim17ROCPRIM_400000_NS6detail17trampoline_kernelINS0_14default_configENS1_20scan_config_selectorIfEEZZNS1_9scan_implILNS1_25lookback_scan_determinismE0ELb0ELb0ES3_PKfPffZZZN2at6native31launch_logcumsumexp_cuda_kernelERKNSB_10TensorBaseESF_lENKUlvE_clEvENKUlvE0_clEvEUlffE_fEEDaPvRmT3_T4_T5_mT6_P12ihipStream_tbENKUlT_T0_E_clISt17integral_constantIbLb1EESV_IbLb0EEEEDaSR_SS_EUlSR_E_NS1_11comp_targetILNS1_3genE5ELNS1_11target_archE942ELNS1_3gpuE9ELNS1_3repE0EEENS1_30default_config_static_selectorELNS0_4arch9wavefront6targetE0EEEvT1_.numbered_sgpr, 0
	.set _ZN7rocprim17ROCPRIM_400000_NS6detail17trampoline_kernelINS0_14default_configENS1_20scan_config_selectorIfEEZZNS1_9scan_implILNS1_25lookback_scan_determinismE0ELb0ELb0ES3_PKfPffZZZN2at6native31launch_logcumsumexp_cuda_kernelERKNSB_10TensorBaseESF_lENKUlvE_clEvENKUlvE0_clEvEUlffE_fEEDaPvRmT3_T4_T5_mT6_P12ihipStream_tbENKUlT_T0_E_clISt17integral_constantIbLb1EESV_IbLb0EEEEDaSR_SS_EUlSR_E_NS1_11comp_targetILNS1_3genE5ELNS1_11target_archE942ELNS1_3gpuE9ELNS1_3repE0EEENS1_30default_config_static_selectorELNS0_4arch9wavefront6targetE0EEEvT1_.num_named_barrier, 0
	.set _ZN7rocprim17ROCPRIM_400000_NS6detail17trampoline_kernelINS0_14default_configENS1_20scan_config_selectorIfEEZZNS1_9scan_implILNS1_25lookback_scan_determinismE0ELb0ELb0ES3_PKfPffZZZN2at6native31launch_logcumsumexp_cuda_kernelERKNSB_10TensorBaseESF_lENKUlvE_clEvENKUlvE0_clEvEUlffE_fEEDaPvRmT3_T4_T5_mT6_P12ihipStream_tbENKUlT_T0_E_clISt17integral_constantIbLb1EESV_IbLb0EEEEDaSR_SS_EUlSR_E_NS1_11comp_targetILNS1_3genE5ELNS1_11target_archE942ELNS1_3gpuE9ELNS1_3repE0EEENS1_30default_config_static_selectorELNS0_4arch9wavefront6targetE0EEEvT1_.private_seg_size, 0
	.set _ZN7rocprim17ROCPRIM_400000_NS6detail17trampoline_kernelINS0_14default_configENS1_20scan_config_selectorIfEEZZNS1_9scan_implILNS1_25lookback_scan_determinismE0ELb0ELb0ES3_PKfPffZZZN2at6native31launch_logcumsumexp_cuda_kernelERKNSB_10TensorBaseESF_lENKUlvE_clEvENKUlvE0_clEvEUlffE_fEEDaPvRmT3_T4_T5_mT6_P12ihipStream_tbENKUlT_T0_E_clISt17integral_constantIbLb1EESV_IbLb0EEEEDaSR_SS_EUlSR_E_NS1_11comp_targetILNS1_3genE5ELNS1_11target_archE942ELNS1_3gpuE9ELNS1_3repE0EEENS1_30default_config_static_selectorELNS0_4arch9wavefront6targetE0EEEvT1_.uses_vcc, 0
	.set _ZN7rocprim17ROCPRIM_400000_NS6detail17trampoline_kernelINS0_14default_configENS1_20scan_config_selectorIfEEZZNS1_9scan_implILNS1_25lookback_scan_determinismE0ELb0ELb0ES3_PKfPffZZZN2at6native31launch_logcumsumexp_cuda_kernelERKNSB_10TensorBaseESF_lENKUlvE_clEvENKUlvE0_clEvEUlffE_fEEDaPvRmT3_T4_T5_mT6_P12ihipStream_tbENKUlT_T0_E_clISt17integral_constantIbLb1EESV_IbLb0EEEEDaSR_SS_EUlSR_E_NS1_11comp_targetILNS1_3genE5ELNS1_11target_archE942ELNS1_3gpuE9ELNS1_3repE0EEENS1_30default_config_static_selectorELNS0_4arch9wavefront6targetE0EEEvT1_.uses_flat_scratch, 0
	.set _ZN7rocprim17ROCPRIM_400000_NS6detail17trampoline_kernelINS0_14default_configENS1_20scan_config_selectorIfEEZZNS1_9scan_implILNS1_25lookback_scan_determinismE0ELb0ELb0ES3_PKfPffZZZN2at6native31launch_logcumsumexp_cuda_kernelERKNSB_10TensorBaseESF_lENKUlvE_clEvENKUlvE0_clEvEUlffE_fEEDaPvRmT3_T4_T5_mT6_P12ihipStream_tbENKUlT_T0_E_clISt17integral_constantIbLb1EESV_IbLb0EEEEDaSR_SS_EUlSR_E_NS1_11comp_targetILNS1_3genE5ELNS1_11target_archE942ELNS1_3gpuE9ELNS1_3repE0EEENS1_30default_config_static_selectorELNS0_4arch9wavefront6targetE0EEEvT1_.has_dyn_sized_stack, 0
	.set _ZN7rocprim17ROCPRIM_400000_NS6detail17trampoline_kernelINS0_14default_configENS1_20scan_config_selectorIfEEZZNS1_9scan_implILNS1_25lookback_scan_determinismE0ELb0ELb0ES3_PKfPffZZZN2at6native31launch_logcumsumexp_cuda_kernelERKNSB_10TensorBaseESF_lENKUlvE_clEvENKUlvE0_clEvEUlffE_fEEDaPvRmT3_T4_T5_mT6_P12ihipStream_tbENKUlT_T0_E_clISt17integral_constantIbLb1EESV_IbLb0EEEEDaSR_SS_EUlSR_E_NS1_11comp_targetILNS1_3genE5ELNS1_11target_archE942ELNS1_3gpuE9ELNS1_3repE0EEENS1_30default_config_static_selectorELNS0_4arch9wavefront6targetE0EEEvT1_.has_recursion, 0
	.set _ZN7rocprim17ROCPRIM_400000_NS6detail17trampoline_kernelINS0_14default_configENS1_20scan_config_selectorIfEEZZNS1_9scan_implILNS1_25lookback_scan_determinismE0ELb0ELb0ES3_PKfPffZZZN2at6native31launch_logcumsumexp_cuda_kernelERKNSB_10TensorBaseESF_lENKUlvE_clEvENKUlvE0_clEvEUlffE_fEEDaPvRmT3_T4_T5_mT6_P12ihipStream_tbENKUlT_T0_E_clISt17integral_constantIbLb1EESV_IbLb0EEEEDaSR_SS_EUlSR_E_NS1_11comp_targetILNS1_3genE5ELNS1_11target_archE942ELNS1_3gpuE9ELNS1_3repE0EEENS1_30default_config_static_selectorELNS0_4arch9wavefront6targetE0EEEvT1_.has_indirect_call, 0
	.section	.AMDGPU.csdata,"",@progbits
; Kernel info:
; codeLenInByte = 0
; TotalNumSgprs: 0
; NumVgprs: 0
; ScratchSize: 0
; MemoryBound: 0
; FloatMode: 240
; IeeeMode: 1
; LDSByteSize: 0 bytes/workgroup (compile time only)
; SGPRBlocks: 0
; VGPRBlocks: 0
; NumSGPRsForWavesPerEU: 1
; NumVGPRsForWavesPerEU: 1
; Occupancy: 16
; WaveLimiterHint : 0
; COMPUTE_PGM_RSRC2:SCRATCH_EN: 0
; COMPUTE_PGM_RSRC2:USER_SGPR: 2
; COMPUTE_PGM_RSRC2:TRAP_HANDLER: 0
; COMPUTE_PGM_RSRC2:TGID_X_EN: 1
; COMPUTE_PGM_RSRC2:TGID_Y_EN: 0
; COMPUTE_PGM_RSRC2:TGID_Z_EN: 0
; COMPUTE_PGM_RSRC2:TIDIG_COMP_CNT: 0
	.section	.text._ZN7rocprim17ROCPRIM_400000_NS6detail17trampoline_kernelINS0_14default_configENS1_20scan_config_selectorIfEEZZNS1_9scan_implILNS1_25lookback_scan_determinismE0ELb0ELb0ES3_PKfPffZZZN2at6native31launch_logcumsumexp_cuda_kernelERKNSB_10TensorBaseESF_lENKUlvE_clEvENKUlvE0_clEvEUlffE_fEEDaPvRmT3_T4_T5_mT6_P12ihipStream_tbENKUlT_T0_E_clISt17integral_constantIbLb1EESV_IbLb0EEEEDaSR_SS_EUlSR_E_NS1_11comp_targetILNS1_3genE4ELNS1_11target_archE910ELNS1_3gpuE8ELNS1_3repE0EEENS1_30default_config_static_selectorELNS0_4arch9wavefront6targetE0EEEvT1_,"axG",@progbits,_ZN7rocprim17ROCPRIM_400000_NS6detail17trampoline_kernelINS0_14default_configENS1_20scan_config_selectorIfEEZZNS1_9scan_implILNS1_25lookback_scan_determinismE0ELb0ELb0ES3_PKfPffZZZN2at6native31launch_logcumsumexp_cuda_kernelERKNSB_10TensorBaseESF_lENKUlvE_clEvENKUlvE0_clEvEUlffE_fEEDaPvRmT3_T4_T5_mT6_P12ihipStream_tbENKUlT_T0_E_clISt17integral_constantIbLb1EESV_IbLb0EEEEDaSR_SS_EUlSR_E_NS1_11comp_targetILNS1_3genE4ELNS1_11target_archE910ELNS1_3gpuE8ELNS1_3repE0EEENS1_30default_config_static_selectorELNS0_4arch9wavefront6targetE0EEEvT1_,comdat
	.globl	_ZN7rocprim17ROCPRIM_400000_NS6detail17trampoline_kernelINS0_14default_configENS1_20scan_config_selectorIfEEZZNS1_9scan_implILNS1_25lookback_scan_determinismE0ELb0ELb0ES3_PKfPffZZZN2at6native31launch_logcumsumexp_cuda_kernelERKNSB_10TensorBaseESF_lENKUlvE_clEvENKUlvE0_clEvEUlffE_fEEDaPvRmT3_T4_T5_mT6_P12ihipStream_tbENKUlT_T0_E_clISt17integral_constantIbLb1EESV_IbLb0EEEEDaSR_SS_EUlSR_E_NS1_11comp_targetILNS1_3genE4ELNS1_11target_archE910ELNS1_3gpuE8ELNS1_3repE0EEENS1_30default_config_static_selectorELNS0_4arch9wavefront6targetE0EEEvT1_ ; -- Begin function _ZN7rocprim17ROCPRIM_400000_NS6detail17trampoline_kernelINS0_14default_configENS1_20scan_config_selectorIfEEZZNS1_9scan_implILNS1_25lookback_scan_determinismE0ELb0ELb0ES3_PKfPffZZZN2at6native31launch_logcumsumexp_cuda_kernelERKNSB_10TensorBaseESF_lENKUlvE_clEvENKUlvE0_clEvEUlffE_fEEDaPvRmT3_T4_T5_mT6_P12ihipStream_tbENKUlT_T0_E_clISt17integral_constantIbLb1EESV_IbLb0EEEEDaSR_SS_EUlSR_E_NS1_11comp_targetILNS1_3genE4ELNS1_11target_archE910ELNS1_3gpuE8ELNS1_3repE0EEENS1_30default_config_static_selectorELNS0_4arch9wavefront6targetE0EEEvT1_
	.p2align	8
	.type	_ZN7rocprim17ROCPRIM_400000_NS6detail17trampoline_kernelINS0_14default_configENS1_20scan_config_selectorIfEEZZNS1_9scan_implILNS1_25lookback_scan_determinismE0ELb0ELb0ES3_PKfPffZZZN2at6native31launch_logcumsumexp_cuda_kernelERKNSB_10TensorBaseESF_lENKUlvE_clEvENKUlvE0_clEvEUlffE_fEEDaPvRmT3_T4_T5_mT6_P12ihipStream_tbENKUlT_T0_E_clISt17integral_constantIbLb1EESV_IbLb0EEEEDaSR_SS_EUlSR_E_NS1_11comp_targetILNS1_3genE4ELNS1_11target_archE910ELNS1_3gpuE8ELNS1_3repE0EEENS1_30default_config_static_selectorELNS0_4arch9wavefront6targetE0EEEvT1_,@function
_ZN7rocprim17ROCPRIM_400000_NS6detail17trampoline_kernelINS0_14default_configENS1_20scan_config_selectorIfEEZZNS1_9scan_implILNS1_25lookback_scan_determinismE0ELb0ELb0ES3_PKfPffZZZN2at6native31launch_logcumsumexp_cuda_kernelERKNSB_10TensorBaseESF_lENKUlvE_clEvENKUlvE0_clEvEUlffE_fEEDaPvRmT3_T4_T5_mT6_P12ihipStream_tbENKUlT_T0_E_clISt17integral_constantIbLb1EESV_IbLb0EEEEDaSR_SS_EUlSR_E_NS1_11comp_targetILNS1_3genE4ELNS1_11target_archE910ELNS1_3gpuE8ELNS1_3repE0EEENS1_30default_config_static_selectorELNS0_4arch9wavefront6targetE0EEEvT1_: ; @_ZN7rocprim17ROCPRIM_400000_NS6detail17trampoline_kernelINS0_14default_configENS1_20scan_config_selectorIfEEZZNS1_9scan_implILNS1_25lookback_scan_determinismE0ELb0ELb0ES3_PKfPffZZZN2at6native31launch_logcumsumexp_cuda_kernelERKNSB_10TensorBaseESF_lENKUlvE_clEvENKUlvE0_clEvEUlffE_fEEDaPvRmT3_T4_T5_mT6_P12ihipStream_tbENKUlT_T0_E_clISt17integral_constantIbLb1EESV_IbLb0EEEEDaSR_SS_EUlSR_E_NS1_11comp_targetILNS1_3genE4ELNS1_11target_archE910ELNS1_3gpuE8ELNS1_3repE0EEENS1_30default_config_static_selectorELNS0_4arch9wavefront6targetE0EEEvT1_
; %bb.0:
	.section	.rodata,"a",@progbits
	.p2align	6, 0x0
	.amdhsa_kernel _ZN7rocprim17ROCPRIM_400000_NS6detail17trampoline_kernelINS0_14default_configENS1_20scan_config_selectorIfEEZZNS1_9scan_implILNS1_25lookback_scan_determinismE0ELb0ELb0ES3_PKfPffZZZN2at6native31launch_logcumsumexp_cuda_kernelERKNSB_10TensorBaseESF_lENKUlvE_clEvENKUlvE0_clEvEUlffE_fEEDaPvRmT3_T4_T5_mT6_P12ihipStream_tbENKUlT_T0_E_clISt17integral_constantIbLb1EESV_IbLb0EEEEDaSR_SS_EUlSR_E_NS1_11comp_targetILNS1_3genE4ELNS1_11target_archE910ELNS1_3gpuE8ELNS1_3repE0EEENS1_30default_config_static_selectorELNS0_4arch9wavefront6targetE0EEEvT1_
		.amdhsa_group_segment_fixed_size 0
		.amdhsa_private_segment_fixed_size 0
		.amdhsa_kernarg_size 96
		.amdhsa_user_sgpr_count 2
		.amdhsa_user_sgpr_dispatch_ptr 0
		.amdhsa_user_sgpr_queue_ptr 0
		.amdhsa_user_sgpr_kernarg_segment_ptr 1
		.amdhsa_user_sgpr_dispatch_id 0
		.amdhsa_user_sgpr_private_segment_size 0
		.amdhsa_wavefront_size32 1
		.amdhsa_uses_dynamic_stack 0
		.amdhsa_enable_private_segment 0
		.amdhsa_system_sgpr_workgroup_id_x 1
		.amdhsa_system_sgpr_workgroup_id_y 0
		.amdhsa_system_sgpr_workgroup_id_z 0
		.amdhsa_system_sgpr_workgroup_info 0
		.amdhsa_system_vgpr_workitem_id 0
		.amdhsa_next_free_vgpr 1
		.amdhsa_next_free_sgpr 1
		.amdhsa_reserve_vcc 0
		.amdhsa_float_round_mode_32 0
		.amdhsa_float_round_mode_16_64 0
		.amdhsa_float_denorm_mode_32 3
		.amdhsa_float_denorm_mode_16_64 3
		.amdhsa_fp16_overflow 0
		.amdhsa_workgroup_processor_mode 1
		.amdhsa_memory_ordered 1
		.amdhsa_forward_progress 1
		.amdhsa_inst_pref_size 0
		.amdhsa_round_robin_scheduling 0
		.amdhsa_exception_fp_ieee_invalid_op 0
		.amdhsa_exception_fp_denorm_src 0
		.amdhsa_exception_fp_ieee_div_zero 0
		.amdhsa_exception_fp_ieee_overflow 0
		.amdhsa_exception_fp_ieee_underflow 0
		.amdhsa_exception_fp_ieee_inexact 0
		.amdhsa_exception_int_div_zero 0
	.end_amdhsa_kernel
	.section	.text._ZN7rocprim17ROCPRIM_400000_NS6detail17trampoline_kernelINS0_14default_configENS1_20scan_config_selectorIfEEZZNS1_9scan_implILNS1_25lookback_scan_determinismE0ELb0ELb0ES3_PKfPffZZZN2at6native31launch_logcumsumexp_cuda_kernelERKNSB_10TensorBaseESF_lENKUlvE_clEvENKUlvE0_clEvEUlffE_fEEDaPvRmT3_T4_T5_mT6_P12ihipStream_tbENKUlT_T0_E_clISt17integral_constantIbLb1EESV_IbLb0EEEEDaSR_SS_EUlSR_E_NS1_11comp_targetILNS1_3genE4ELNS1_11target_archE910ELNS1_3gpuE8ELNS1_3repE0EEENS1_30default_config_static_selectorELNS0_4arch9wavefront6targetE0EEEvT1_,"axG",@progbits,_ZN7rocprim17ROCPRIM_400000_NS6detail17trampoline_kernelINS0_14default_configENS1_20scan_config_selectorIfEEZZNS1_9scan_implILNS1_25lookback_scan_determinismE0ELb0ELb0ES3_PKfPffZZZN2at6native31launch_logcumsumexp_cuda_kernelERKNSB_10TensorBaseESF_lENKUlvE_clEvENKUlvE0_clEvEUlffE_fEEDaPvRmT3_T4_T5_mT6_P12ihipStream_tbENKUlT_T0_E_clISt17integral_constantIbLb1EESV_IbLb0EEEEDaSR_SS_EUlSR_E_NS1_11comp_targetILNS1_3genE4ELNS1_11target_archE910ELNS1_3gpuE8ELNS1_3repE0EEENS1_30default_config_static_selectorELNS0_4arch9wavefront6targetE0EEEvT1_,comdat
.Lfunc_end136:
	.size	_ZN7rocprim17ROCPRIM_400000_NS6detail17trampoline_kernelINS0_14default_configENS1_20scan_config_selectorIfEEZZNS1_9scan_implILNS1_25lookback_scan_determinismE0ELb0ELb0ES3_PKfPffZZZN2at6native31launch_logcumsumexp_cuda_kernelERKNSB_10TensorBaseESF_lENKUlvE_clEvENKUlvE0_clEvEUlffE_fEEDaPvRmT3_T4_T5_mT6_P12ihipStream_tbENKUlT_T0_E_clISt17integral_constantIbLb1EESV_IbLb0EEEEDaSR_SS_EUlSR_E_NS1_11comp_targetILNS1_3genE4ELNS1_11target_archE910ELNS1_3gpuE8ELNS1_3repE0EEENS1_30default_config_static_selectorELNS0_4arch9wavefront6targetE0EEEvT1_, .Lfunc_end136-_ZN7rocprim17ROCPRIM_400000_NS6detail17trampoline_kernelINS0_14default_configENS1_20scan_config_selectorIfEEZZNS1_9scan_implILNS1_25lookback_scan_determinismE0ELb0ELb0ES3_PKfPffZZZN2at6native31launch_logcumsumexp_cuda_kernelERKNSB_10TensorBaseESF_lENKUlvE_clEvENKUlvE0_clEvEUlffE_fEEDaPvRmT3_T4_T5_mT6_P12ihipStream_tbENKUlT_T0_E_clISt17integral_constantIbLb1EESV_IbLb0EEEEDaSR_SS_EUlSR_E_NS1_11comp_targetILNS1_3genE4ELNS1_11target_archE910ELNS1_3gpuE8ELNS1_3repE0EEENS1_30default_config_static_selectorELNS0_4arch9wavefront6targetE0EEEvT1_
                                        ; -- End function
	.set _ZN7rocprim17ROCPRIM_400000_NS6detail17trampoline_kernelINS0_14default_configENS1_20scan_config_selectorIfEEZZNS1_9scan_implILNS1_25lookback_scan_determinismE0ELb0ELb0ES3_PKfPffZZZN2at6native31launch_logcumsumexp_cuda_kernelERKNSB_10TensorBaseESF_lENKUlvE_clEvENKUlvE0_clEvEUlffE_fEEDaPvRmT3_T4_T5_mT6_P12ihipStream_tbENKUlT_T0_E_clISt17integral_constantIbLb1EESV_IbLb0EEEEDaSR_SS_EUlSR_E_NS1_11comp_targetILNS1_3genE4ELNS1_11target_archE910ELNS1_3gpuE8ELNS1_3repE0EEENS1_30default_config_static_selectorELNS0_4arch9wavefront6targetE0EEEvT1_.num_vgpr, 0
	.set _ZN7rocprim17ROCPRIM_400000_NS6detail17trampoline_kernelINS0_14default_configENS1_20scan_config_selectorIfEEZZNS1_9scan_implILNS1_25lookback_scan_determinismE0ELb0ELb0ES3_PKfPffZZZN2at6native31launch_logcumsumexp_cuda_kernelERKNSB_10TensorBaseESF_lENKUlvE_clEvENKUlvE0_clEvEUlffE_fEEDaPvRmT3_T4_T5_mT6_P12ihipStream_tbENKUlT_T0_E_clISt17integral_constantIbLb1EESV_IbLb0EEEEDaSR_SS_EUlSR_E_NS1_11comp_targetILNS1_3genE4ELNS1_11target_archE910ELNS1_3gpuE8ELNS1_3repE0EEENS1_30default_config_static_selectorELNS0_4arch9wavefront6targetE0EEEvT1_.num_agpr, 0
	.set _ZN7rocprim17ROCPRIM_400000_NS6detail17trampoline_kernelINS0_14default_configENS1_20scan_config_selectorIfEEZZNS1_9scan_implILNS1_25lookback_scan_determinismE0ELb0ELb0ES3_PKfPffZZZN2at6native31launch_logcumsumexp_cuda_kernelERKNSB_10TensorBaseESF_lENKUlvE_clEvENKUlvE0_clEvEUlffE_fEEDaPvRmT3_T4_T5_mT6_P12ihipStream_tbENKUlT_T0_E_clISt17integral_constantIbLb1EESV_IbLb0EEEEDaSR_SS_EUlSR_E_NS1_11comp_targetILNS1_3genE4ELNS1_11target_archE910ELNS1_3gpuE8ELNS1_3repE0EEENS1_30default_config_static_selectorELNS0_4arch9wavefront6targetE0EEEvT1_.numbered_sgpr, 0
	.set _ZN7rocprim17ROCPRIM_400000_NS6detail17trampoline_kernelINS0_14default_configENS1_20scan_config_selectorIfEEZZNS1_9scan_implILNS1_25lookback_scan_determinismE0ELb0ELb0ES3_PKfPffZZZN2at6native31launch_logcumsumexp_cuda_kernelERKNSB_10TensorBaseESF_lENKUlvE_clEvENKUlvE0_clEvEUlffE_fEEDaPvRmT3_T4_T5_mT6_P12ihipStream_tbENKUlT_T0_E_clISt17integral_constantIbLb1EESV_IbLb0EEEEDaSR_SS_EUlSR_E_NS1_11comp_targetILNS1_3genE4ELNS1_11target_archE910ELNS1_3gpuE8ELNS1_3repE0EEENS1_30default_config_static_selectorELNS0_4arch9wavefront6targetE0EEEvT1_.num_named_barrier, 0
	.set _ZN7rocprim17ROCPRIM_400000_NS6detail17trampoline_kernelINS0_14default_configENS1_20scan_config_selectorIfEEZZNS1_9scan_implILNS1_25lookback_scan_determinismE0ELb0ELb0ES3_PKfPffZZZN2at6native31launch_logcumsumexp_cuda_kernelERKNSB_10TensorBaseESF_lENKUlvE_clEvENKUlvE0_clEvEUlffE_fEEDaPvRmT3_T4_T5_mT6_P12ihipStream_tbENKUlT_T0_E_clISt17integral_constantIbLb1EESV_IbLb0EEEEDaSR_SS_EUlSR_E_NS1_11comp_targetILNS1_3genE4ELNS1_11target_archE910ELNS1_3gpuE8ELNS1_3repE0EEENS1_30default_config_static_selectorELNS0_4arch9wavefront6targetE0EEEvT1_.private_seg_size, 0
	.set _ZN7rocprim17ROCPRIM_400000_NS6detail17trampoline_kernelINS0_14default_configENS1_20scan_config_selectorIfEEZZNS1_9scan_implILNS1_25lookback_scan_determinismE0ELb0ELb0ES3_PKfPffZZZN2at6native31launch_logcumsumexp_cuda_kernelERKNSB_10TensorBaseESF_lENKUlvE_clEvENKUlvE0_clEvEUlffE_fEEDaPvRmT3_T4_T5_mT6_P12ihipStream_tbENKUlT_T0_E_clISt17integral_constantIbLb1EESV_IbLb0EEEEDaSR_SS_EUlSR_E_NS1_11comp_targetILNS1_3genE4ELNS1_11target_archE910ELNS1_3gpuE8ELNS1_3repE0EEENS1_30default_config_static_selectorELNS0_4arch9wavefront6targetE0EEEvT1_.uses_vcc, 0
	.set _ZN7rocprim17ROCPRIM_400000_NS6detail17trampoline_kernelINS0_14default_configENS1_20scan_config_selectorIfEEZZNS1_9scan_implILNS1_25lookback_scan_determinismE0ELb0ELb0ES3_PKfPffZZZN2at6native31launch_logcumsumexp_cuda_kernelERKNSB_10TensorBaseESF_lENKUlvE_clEvENKUlvE0_clEvEUlffE_fEEDaPvRmT3_T4_T5_mT6_P12ihipStream_tbENKUlT_T0_E_clISt17integral_constantIbLb1EESV_IbLb0EEEEDaSR_SS_EUlSR_E_NS1_11comp_targetILNS1_3genE4ELNS1_11target_archE910ELNS1_3gpuE8ELNS1_3repE0EEENS1_30default_config_static_selectorELNS0_4arch9wavefront6targetE0EEEvT1_.uses_flat_scratch, 0
	.set _ZN7rocprim17ROCPRIM_400000_NS6detail17trampoline_kernelINS0_14default_configENS1_20scan_config_selectorIfEEZZNS1_9scan_implILNS1_25lookback_scan_determinismE0ELb0ELb0ES3_PKfPffZZZN2at6native31launch_logcumsumexp_cuda_kernelERKNSB_10TensorBaseESF_lENKUlvE_clEvENKUlvE0_clEvEUlffE_fEEDaPvRmT3_T4_T5_mT6_P12ihipStream_tbENKUlT_T0_E_clISt17integral_constantIbLb1EESV_IbLb0EEEEDaSR_SS_EUlSR_E_NS1_11comp_targetILNS1_3genE4ELNS1_11target_archE910ELNS1_3gpuE8ELNS1_3repE0EEENS1_30default_config_static_selectorELNS0_4arch9wavefront6targetE0EEEvT1_.has_dyn_sized_stack, 0
	.set _ZN7rocprim17ROCPRIM_400000_NS6detail17trampoline_kernelINS0_14default_configENS1_20scan_config_selectorIfEEZZNS1_9scan_implILNS1_25lookback_scan_determinismE0ELb0ELb0ES3_PKfPffZZZN2at6native31launch_logcumsumexp_cuda_kernelERKNSB_10TensorBaseESF_lENKUlvE_clEvENKUlvE0_clEvEUlffE_fEEDaPvRmT3_T4_T5_mT6_P12ihipStream_tbENKUlT_T0_E_clISt17integral_constantIbLb1EESV_IbLb0EEEEDaSR_SS_EUlSR_E_NS1_11comp_targetILNS1_3genE4ELNS1_11target_archE910ELNS1_3gpuE8ELNS1_3repE0EEENS1_30default_config_static_selectorELNS0_4arch9wavefront6targetE0EEEvT1_.has_recursion, 0
	.set _ZN7rocprim17ROCPRIM_400000_NS6detail17trampoline_kernelINS0_14default_configENS1_20scan_config_selectorIfEEZZNS1_9scan_implILNS1_25lookback_scan_determinismE0ELb0ELb0ES3_PKfPffZZZN2at6native31launch_logcumsumexp_cuda_kernelERKNSB_10TensorBaseESF_lENKUlvE_clEvENKUlvE0_clEvEUlffE_fEEDaPvRmT3_T4_T5_mT6_P12ihipStream_tbENKUlT_T0_E_clISt17integral_constantIbLb1EESV_IbLb0EEEEDaSR_SS_EUlSR_E_NS1_11comp_targetILNS1_3genE4ELNS1_11target_archE910ELNS1_3gpuE8ELNS1_3repE0EEENS1_30default_config_static_selectorELNS0_4arch9wavefront6targetE0EEEvT1_.has_indirect_call, 0
	.section	.AMDGPU.csdata,"",@progbits
; Kernel info:
; codeLenInByte = 0
; TotalNumSgprs: 0
; NumVgprs: 0
; ScratchSize: 0
; MemoryBound: 0
; FloatMode: 240
; IeeeMode: 1
; LDSByteSize: 0 bytes/workgroup (compile time only)
; SGPRBlocks: 0
; VGPRBlocks: 0
; NumSGPRsForWavesPerEU: 1
; NumVGPRsForWavesPerEU: 1
; Occupancy: 16
; WaveLimiterHint : 0
; COMPUTE_PGM_RSRC2:SCRATCH_EN: 0
; COMPUTE_PGM_RSRC2:USER_SGPR: 2
; COMPUTE_PGM_RSRC2:TRAP_HANDLER: 0
; COMPUTE_PGM_RSRC2:TGID_X_EN: 1
; COMPUTE_PGM_RSRC2:TGID_Y_EN: 0
; COMPUTE_PGM_RSRC2:TGID_Z_EN: 0
; COMPUTE_PGM_RSRC2:TIDIG_COMP_CNT: 0
	.section	.text._ZN7rocprim17ROCPRIM_400000_NS6detail17trampoline_kernelINS0_14default_configENS1_20scan_config_selectorIfEEZZNS1_9scan_implILNS1_25lookback_scan_determinismE0ELb0ELb0ES3_PKfPffZZZN2at6native31launch_logcumsumexp_cuda_kernelERKNSB_10TensorBaseESF_lENKUlvE_clEvENKUlvE0_clEvEUlffE_fEEDaPvRmT3_T4_T5_mT6_P12ihipStream_tbENKUlT_T0_E_clISt17integral_constantIbLb1EESV_IbLb0EEEEDaSR_SS_EUlSR_E_NS1_11comp_targetILNS1_3genE3ELNS1_11target_archE908ELNS1_3gpuE7ELNS1_3repE0EEENS1_30default_config_static_selectorELNS0_4arch9wavefront6targetE0EEEvT1_,"axG",@progbits,_ZN7rocprim17ROCPRIM_400000_NS6detail17trampoline_kernelINS0_14default_configENS1_20scan_config_selectorIfEEZZNS1_9scan_implILNS1_25lookback_scan_determinismE0ELb0ELb0ES3_PKfPffZZZN2at6native31launch_logcumsumexp_cuda_kernelERKNSB_10TensorBaseESF_lENKUlvE_clEvENKUlvE0_clEvEUlffE_fEEDaPvRmT3_T4_T5_mT6_P12ihipStream_tbENKUlT_T0_E_clISt17integral_constantIbLb1EESV_IbLb0EEEEDaSR_SS_EUlSR_E_NS1_11comp_targetILNS1_3genE3ELNS1_11target_archE908ELNS1_3gpuE7ELNS1_3repE0EEENS1_30default_config_static_selectorELNS0_4arch9wavefront6targetE0EEEvT1_,comdat
	.globl	_ZN7rocprim17ROCPRIM_400000_NS6detail17trampoline_kernelINS0_14default_configENS1_20scan_config_selectorIfEEZZNS1_9scan_implILNS1_25lookback_scan_determinismE0ELb0ELb0ES3_PKfPffZZZN2at6native31launch_logcumsumexp_cuda_kernelERKNSB_10TensorBaseESF_lENKUlvE_clEvENKUlvE0_clEvEUlffE_fEEDaPvRmT3_T4_T5_mT6_P12ihipStream_tbENKUlT_T0_E_clISt17integral_constantIbLb1EESV_IbLb0EEEEDaSR_SS_EUlSR_E_NS1_11comp_targetILNS1_3genE3ELNS1_11target_archE908ELNS1_3gpuE7ELNS1_3repE0EEENS1_30default_config_static_selectorELNS0_4arch9wavefront6targetE0EEEvT1_ ; -- Begin function _ZN7rocprim17ROCPRIM_400000_NS6detail17trampoline_kernelINS0_14default_configENS1_20scan_config_selectorIfEEZZNS1_9scan_implILNS1_25lookback_scan_determinismE0ELb0ELb0ES3_PKfPffZZZN2at6native31launch_logcumsumexp_cuda_kernelERKNSB_10TensorBaseESF_lENKUlvE_clEvENKUlvE0_clEvEUlffE_fEEDaPvRmT3_T4_T5_mT6_P12ihipStream_tbENKUlT_T0_E_clISt17integral_constantIbLb1EESV_IbLb0EEEEDaSR_SS_EUlSR_E_NS1_11comp_targetILNS1_3genE3ELNS1_11target_archE908ELNS1_3gpuE7ELNS1_3repE0EEENS1_30default_config_static_selectorELNS0_4arch9wavefront6targetE0EEEvT1_
	.p2align	8
	.type	_ZN7rocprim17ROCPRIM_400000_NS6detail17trampoline_kernelINS0_14default_configENS1_20scan_config_selectorIfEEZZNS1_9scan_implILNS1_25lookback_scan_determinismE0ELb0ELb0ES3_PKfPffZZZN2at6native31launch_logcumsumexp_cuda_kernelERKNSB_10TensorBaseESF_lENKUlvE_clEvENKUlvE0_clEvEUlffE_fEEDaPvRmT3_T4_T5_mT6_P12ihipStream_tbENKUlT_T0_E_clISt17integral_constantIbLb1EESV_IbLb0EEEEDaSR_SS_EUlSR_E_NS1_11comp_targetILNS1_3genE3ELNS1_11target_archE908ELNS1_3gpuE7ELNS1_3repE0EEENS1_30default_config_static_selectorELNS0_4arch9wavefront6targetE0EEEvT1_,@function
_ZN7rocprim17ROCPRIM_400000_NS6detail17trampoline_kernelINS0_14default_configENS1_20scan_config_selectorIfEEZZNS1_9scan_implILNS1_25lookback_scan_determinismE0ELb0ELb0ES3_PKfPffZZZN2at6native31launch_logcumsumexp_cuda_kernelERKNSB_10TensorBaseESF_lENKUlvE_clEvENKUlvE0_clEvEUlffE_fEEDaPvRmT3_T4_T5_mT6_P12ihipStream_tbENKUlT_T0_E_clISt17integral_constantIbLb1EESV_IbLb0EEEEDaSR_SS_EUlSR_E_NS1_11comp_targetILNS1_3genE3ELNS1_11target_archE908ELNS1_3gpuE7ELNS1_3repE0EEENS1_30default_config_static_selectorELNS0_4arch9wavefront6targetE0EEEvT1_: ; @_ZN7rocprim17ROCPRIM_400000_NS6detail17trampoline_kernelINS0_14default_configENS1_20scan_config_selectorIfEEZZNS1_9scan_implILNS1_25lookback_scan_determinismE0ELb0ELb0ES3_PKfPffZZZN2at6native31launch_logcumsumexp_cuda_kernelERKNSB_10TensorBaseESF_lENKUlvE_clEvENKUlvE0_clEvEUlffE_fEEDaPvRmT3_T4_T5_mT6_P12ihipStream_tbENKUlT_T0_E_clISt17integral_constantIbLb1EESV_IbLb0EEEEDaSR_SS_EUlSR_E_NS1_11comp_targetILNS1_3genE3ELNS1_11target_archE908ELNS1_3gpuE7ELNS1_3repE0EEENS1_30default_config_static_selectorELNS0_4arch9wavefront6targetE0EEEvT1_
; %bb.0:
	.section	.rodata,"a",@progbits
	.p2align	6, 0x0
	.amdhsa_kernel _ZN7rocprim17ROCPRIM_400000_NS6detail17trampoline_kernelINS0_14default_configENS1_20scan_config_selectorIfEEZZNS1_9scan_implILNS1_25lookback_scan_determinismE0ELb0ELb0ES3_PKfPffZZZN2at6native31launch_logcumsumexp_cuda_kernelERKNSB_10TensorBaseESF_lENKUlvE_clEvENKUlvE0_clEvEUlffE_fEEDaPvRmT3_T4_T5_mT6_P12ihipStream_tbENKUlT_T0_E_clISt17integral_constantIbLb1EESV_IbLb0EEEEDaSR_SS_EUlSR_E_NS1_11comp_targetILNS1_3genE3ELNS1_11target_archE908ELNS1_3gpuE7ELNS1_3repE0EEENS1_30default_config_static_selectorELNS0_4arch9wavefront6targetE0EEEvT1_
		.amdhsa_group_segment_fixed_size 0
		.amdhsa_private_segment_fixed_size 0
		.amdhsa_kernarg_size 96
		.amdhsa_user_sgpr_count 2
		.amdhsa_user_sgpr_dispatch_ptr 0
		.amdhsa_user_sgpr_queue_ptr 0
		.amdhsa_user_sgpr_kernarg_segment_ptr 1
		.amdhsa_user_sgpr_dispatch_id 0
		.amdhsa_user_sgpr_private_segment_size 0
		.amdhsa_wavefront_size32 1
		.amdhsa_uses_dynamic_stack 0
		.amdhsa_enable_private_segment 0
		.amdhsa_system_sgpr_workgroup_id_x 1
		.amdhsa_system_sgpr_workgroup_id_y 0
		.amdhsa_system_sgpr_workgroup_id_z 0
		.amdhsa_system_sgpr_workgroup_info 0
		.amdhsa_system_vgpr_workitem_id 0
		.amdhsa_next_free_vgpr 1
		.amdhsa_next_free_sgpr 1
		.amdhsa_reserve_vcc 0
		.amdhsa_float_round_mode_32 0
		.amdhsa_float_round_mode_16_64 0
		.amdhsa_float_denorm_mode_32 3
		.amdhsa_float_denorm_mode_16_64 3
		.amdhsa_fp16_overflow 0
		.amdhsa_workgroup_processor_mode 1
		.amdhsa_memory_ordered 1
		.amdhsa_forward_progress 1
		.amdhsa_inst_pref_size 0
		.amdhsa_round_robin_scheduling 0
		.amdhsa_exception_fp_ieee_invalid_op 0
		.amdhsa_exception_fp_denorm_src 0
		.amdhsa_exception_fp_ieee_div_zero 0
		.amdhsa_exception_fp_ieee_overflow 0
		.amdhsa_exception_fp_ieee_underflow 0
		.amdhsa_exception_fp_ieee_inexact 0
		.amdhsa_exception_int_div_zero 0
	.end_amdhsa_kernel
	.section	.text._ZN7rocprim17ROCPRIM_400000_NS6detail17trampoline_kernelINS0_14default_configENS1_20scan_config_selectorIfEEZZNS1_9scan_implILNS1_25lookback_scan_determinismE0ELb0ELb0ES3_PKfPffZZZN2at6native31launch_logcumsumexp_cuda_kernelERKNSB_10TensorBaseESF_lENKUlvE_clEvENKUlvE0_clEvEUlffE_fEEDaPvRmT3_T4_T5_mT6_P12ihipStream_tbENKUlT_T0_E_clISt17integral_constantIbLb1EESV_IbLb0EEEEDaSR_SS_EUlSR_E_NS1_11comp_targetILNS1_3genE3ELNS1_11target_archE908ELNS1_3gpuE7ELNS1_3repE0EEENS1_30default_config_static_selectorELNS0_4arch9wavefront6targetE0EEEvT1_,"axG",@progbits,_ZN7rocprim17ROCPRIM_400000_NS6detail17trampoline_kernelINS0_14default_configENS1_20scan_config_selectorIfEEZZNS1_9scan_implILNS1_25lookback_scan_determinismE0ELb0ELb0ES3_PKfPffZZZN2at6native31launch_logcumsumexp_cuda_kernelERKNSB_10TensorBaseESF_lENKUlvE_clEvENKUlvE0_clEvEUlffE_fEEDaPvRmT3_T4_T5_mT6_P12ihipStream_tbENKUlT_T0_E_clISt17integral_constantIbLb1EESV_IbLb0EEEEDaSR_SS_EUlSR_E_NS1_11comp_targetILNS1_3genE3ELNS1_11target_archE908ELNS1_3gpuE7ELNS1_3repE0EEENS1_30default_config_static_selectorELNS0_4arch9wavefront6targetE0EEEvT1_,comdat
.Lfunc_end137:
	.size	_ZN7rocprim17ROCPRIM_400000_NS6detail17trampoline_kernelINS0_14default_configENS1_20scan_config_selectorIfEEZZNS1_9scan_implILNS1_25lookback_scan_determinismE0ELb0ELb0ES3_PKfPffZZZN2at6native31launch_logcumsumexp_cuda_kernelERKNSB_10TensorBaseESF_lENKUlvE_clEvENKUlvE0_clEvEUlffE_fEEDaPvRmT3_T4_T5_mT6_P12ihipStream_tbENKUlT_T0_E_clISt17integral_constantIbLb1EESV_IbLb0EEEEDaSR_SS_EUlSR_E_NS1_11comp_targetILNS1_3genE3ELNS1_11target_archE908ELNS1_3gpuE7ELNS1_3repE0EEENS1_30default_config_static_selectorELNS0_4arch9wavefront6targetE0EEEvT1_, .Lfunc_end137-_ZN7rocprim17ROCPRIM_400000_NS6detail17trampoline_kernelINS0_14default_configENS1_20scan_config_selectorIfEEZZNS1_9scan_implILNS1_25lookback_scan_determinismE0ELb0ELb0ES3_PKfPffZZZN2at6native31launch_logcumsumexp_cuda_kernelERKNSB_10TensorBaseESF_lENKUlvE_clEvENKUlvE0_clEvEUlffE_fEEDaPvRmT3_T4_T5_mT6_P12ihipStream_tbENKUlT_T0_E_clISt17integral_constantIbLb1EESV_IbLb0EEEEDaSR_SS_EUlSR_E_NS1_11comp_targetILNS1_3genE3ELNS1_11target_archE908ELNS1_3gpuE7ELNS1_3repE0EEENS1_30default_config_static_selectorELNS0_4arch9wavefront6targetE0EEEvT1_
                                        ; -- End function
	.set _ZN7rocprim17ROCPRIM_400000_NS6detail17trampoline_kernelINS0_14default_configENS1_20scan_config_selectorIfEEZZNS1_9scan_implILNS1_25lookback_scan_determinismE0ELb0ELb0ES3_PKfPffZZZN2at6native31launch_logcumsumexp_cuda_kernelERKNSB_10TensorBaseESF_lENKUlvE_clEvENKUlvE0_clEvEUlffE_fEEDaPvRmT3_T4_T5_mT6_P12ihipStream_tbENKUlT_T0_E_clISt17integral_constantIbLb1EESV_IbLb0EEEEDaSR_SS_EUlSR_E_NS1_11comp_targetILNS1_3genE3ELNS1_11target_archE908ELNS1_3gpuE7ELNS1_3repE0EEENS1_30default_config_static_selectorELNS0_4arch9wavefront6targetE0EEEvT1_.num_vgpr, 0
	.set _ZN7rocprim17ROCPRIM_400000_NS6detail17trampoline_kernelINS0_14default_configENS1_20scan_config_selectorIfEEZZNS1_9scan_implILNS1_25lookback_scan_determinismE0ELb0ELb0ES3_PKfPffZZZN2at6native31launch_logcumsumexp_cuda_kernelERKNSB_10TensorBaseESF_lENKUlvE_clEvENKUlvE0_clEvEUlffE_fEEDaPvRmT3_T4_T5_mT6_P12ihipStream_tbENKUlT_T0_E_clISt17integral_constantIbLb1EESV_IbLb0EEEEDaSR_SS_EUlSR_E_NS1_11comp_targetILNS1_3genE3ELNS1_11target_archE908ELNS1_3gpuE7ELNS1_3repE0EEENS1_30default_config_static_selectorELNS0_4arch9wavefront6targetE0EEEvT1_.num_agpr, 0
	.set _ZN7rocprim17ROCPRIM_400000_NS6detail17trampoline_kernelINS0_14default_configENS1_20scan_config_selectorIfEEZZNS1_9scan_implILNS1_25lookback_scan_determinismE0ELb0ELb0ES3_PKfPffZZZN2at6native31launch_logcumsumexp_cuda_kernelERKNSB_10TensorBaseESF_lENKUlvE_clEvENKUlvE0_clEvEUlffE_fEEDaPvRmT3_T4_T5_mT6_P12ihipStream_tbENKUlT_T0_E_clISt17integral_constantIbLb1EESV_IbLb0EEEEDaSR_SS_EUlSR_E_NS1_11comp_targetILNS1_3genE3ELNS1_11target_archE908ELNS1_3gpuE7ELNS1_3repE0EEENS1_30default_config_static_selectorELNS0_4arch9wavefront6targetE0EEEvT1_.numbered_sgpr, 0
	.set _ZN7rocprim17ROCPRIM_400000_NS6detail17trampoline_kernelINS0_14default_configENS1_20scan_config_selectorIfEEZZNS1_9scan_implILNS1_25lookback_scan_determinismE0ELb0ELb0ES3_PKfPffZZZN2at6native31launch_logcumsumexp_cuda_kernelERKNSB_10TensorBaseESF_lENKUlvE_clEvENKUlvE0_clEvEUlffE_fEEDaPvRmT3_T4_T5_mT6_P12ihipStream_tbENKUlT_T0_E_clISt17integral_constantIbLb1EESV_IbLb0EEEEDaSR_SS_EUlSR_E_NS1_11comp_targetILNS1_3genE3ELNS1_11target_archE908ELNS1_3gpuE7ELNS1_3repE0EEENS1_30default_config_static_selectorELNS0_4arch9wavefront6targetE0EEEvT1_.num_named_barrier, 0
	.set _ZN7rocprim17ROCPRIM_400000_NS6detail17trampoline_kernelINS0_14default_configENS1_20scan_config_selectorIfEEZZNS1_9scan_implILNS1_25lookback_scan_determinismE0ELb0ELb0ES3_PKfPffZZZN2at6native31launch_logcumsumexp_cuda_kernelERKNSB_10TensorBaseESF_lENKUlvE_clEvENKUlvE0_clEvEUlffE_fEEDaPvRmT3_T4_T5_mT6_P12ihipStream_tbENKUlT_T0_E_clISt17integral_constantIbLb1EESV_IbLb0EEEEDaSR_SS_EUlSR_E_NS1_11comp_targetILNS1_3genE3ELNS1_11target_archE908ELNS1_3gpuE7ELNS1_3repE0EEENS1_30default_config_static_selectorELNS0_4arch9wavefront6targetE0EEEvT1_.private_seg_size, 0
	.set _ZN7rocprim17ROCPRIM_400000_NS6detail17trampoline_kernelINS0_14default_configENS1_20scan_config_selectorIfEEZZNS1_9scan_implILNS1_25lookback_scan_determinismE0ELb0ELb0ES3_PKfPffZZZN2at6native31launch_logcumsumexp_cuda_kernelERKNSB_10TensorBaseESF_lENKUlvE_clEvENKUlvE0_clEvEUlffE_fEEDaPvRmT3_T4_T5_mT6_P12ihipStream_tbENKUlT_T0_E_clISt17integral_constantIbLb1EESV_IbLb0EEEEDaSR_SS_EUlSR_E_NS1_11comp_targetILNS1_3genE3ELNS1_11target_archE908ELNS1_3gpuE7ELNS1_3repE0EEENS1_30default_config_static_selectorELNS0_4arch9wavefront6targetE0EEEvT1_.uses_vcc, 0
	.set _ZN7rocprim17ROCPRIM_400000_NS6detail17trampoline_kernelINS0_14default_configENS1_20scan_config_selectorIfEEZZNS1_9scan_implILNS1_25lookback_scan_determinismE0ELb0ELb0ES3_PKfPffZZZN2at6native31launch_logcumsumexp_cuda_kernelERKNSB_10TensorBaseESF_lENKUlvE_clEvENKUlvE0_clEvEUlffE_fEEDaPvRmT3_T4_T5_mT6_P12ihipStream_tbENKUlT_T0_E_clISt17integral_constantIbLb1EESV_IbLb0EEEEDaSR_SS_EUlSR_E_NS1_11comp_targetILNS1_3genE3ELNS1_11target_archE908ELNS1_3gpuE7ELNS1_3repE0EEENS1_30default_config_static_selectorELNS0_4arch9wavefront6targetE0EEEvT1_.uses_flat_scratch, 0
	.set _ZN7rocprim17ROCPRIM_400000_NS6detail17trampoline_kernelINS0_14default_configENS1_20scan_config_selectorIfEEZZNS1_9scan_implILNS1_25lookback_scan_determinismE0ELb0ELb0ES3_PKfPffZZZN2at6native31launch_logcumsumexp_cuda_kernelERKNSB_10TensorBaseESF_lENKUlvE_clEvENKUlvE0_clEvEUlffE_fEEDaPvRmT3_T4_T5_mT6_P12ihipStream_tbENKUlT_T0_E_clISt17integral_constantIbLb1EESV_IbLb0EEEEDaSR_SS_EUlSR_E_NS1_11comp_targetILNS1_3genE3ELNS1_11target_archE908ELNS1_3gpuE7ELNS1_3repE0EEENS1_30default_config_static_selectorELNS0_4arch9wavefront6targetE0EEEvT1_.has_dyn_sized_stack, 0
	.set _ZN7rocprim17ROCPRIM_400000_NS6detail17trampoline_kernelINS0_14default_configENS1_20scan_config_selectorIfEEZZNS1_9scan_implILNS1_25lookback_scan_determinismE0ELb0ELb0ES3_PKfPffZZZN2at6native31launch_logcumsumexp_cuda_kernelERKNSB_10TensorBaseESF_lENKUlvE_clEvENKUlvE0_clEvEUlffE_fEEDaPvRmT3_T4_T5_mT6_P12ihipStream_tbENKUlT_T0_E_clISt17integral_constantIbLb1EESV_IbLb0EEEEDaSR_SS_EUlSR_E_NS1_11comp_targetILNS1_3genE3ELNS1_11target_archE908ELNS1_3gpuE7ELNS1_3repE0EEENS1_30default_config_static_selectorELNS0_4arch9wavefront6targetE0EEEvT1_.has_recursion, 0
	.set _ZN7rocprim17ROCPRIM_400000_NS6detail17trampoline_kernelINS0_14default_configENS1_20scan_config_selectorIfEEZZNS1_9scan_implILNS1_25lookback_scan_determinismE0ELb0ELb0ES3_PKfPffZZZN2at6native31launch_logcumsumexp_cuda_kernelERKNSB_10TensorBaseESF_lENKUlvE_clEvENKUlvE0_clEvEUlffE_fEEDaPvRmT3_T4_T5_mT6_P12ihipStream_tbENKUlT_T0_E_clISt17integral_constantIbLb1EESV_IbLb0EEEEDaSR_SS_EUlSR_E_NS1_11comp_targetILNS1_3genE3ELNS1_11target_archE908ELNS1_3gpuE7ELNS1_3repE0EEENS1_30default_config_static_selectorELNS0_4arch9wavefront6targetE0EEEvT1_.has_indirect_call, 0
	.section	.AMDGPU.csdata,"",@progbits
; Kernel info:
; codeLenInByte = 0
; TotalNumSgprs: 0
; NumVgprs: 0
; ScratchSize: 0
; MemoryBound: 0
; FloatMode: 240
; IeeeMode: 1
; LDSByteSize: 0 bytes/workgroup (compile time only)
; SGPRBlocks: 0
; VGPRBlocks: 0
; NumSGPRsForWavesPerEU: 1
; NumVGPRsForWavesPerEU: 1
; Occupancy: 16
; WaveLimiterHint : 0
; COMPUTE_PGM_RSRC2:SCRATCH_EN: 0
; COMPUTE_PGM_RSRC2:USER_SGPR: 2
; COMPUTE_PGM_RSRC2:TRAP_HANDLER: 0
; COMPUTE_PGM_RSRC2:TGID_X_EN: 1
; COMPUTE_PGM_RSRC2:TGID_Y_EN: 0
; COMPUTE_PGM_RSRC2:TGID_Z_EN: 0
; COMPUTE_PGM_RSRC2:TIDIG_COMP_CNT: 0
	.section	.text._ZN7rocprim17ROCPRIM_400000_NS6detail17trampoline_kernelINS0_14default_configENS1_20scan_config_selectorIfEEZZNS1_9scan_implILNS1_25lookback_scan_determinismE0ELb0ELb0ES3_PKfPffZZZN2at6native31launch_logcumsumexp_cuda_kernelERKNSB_10TensorBaseESF_lENKUlvE_clEvENKUlvE0_clEvEUlffE_fEEDaPvRmT3_T4_T5_mT6_P12ihipStream_tbENKUlT_T0_E_clISt17integral_constantIbLb1EESV_IbLb0EEEEDaSR_SS_EUlSR_E_NS1_11comp_targetILNS1_3genE2ELNS1_11target_archE906ELNS1_3gpuE6ELNS1_3repE0EEENS1_30default_config_static_selectorELNS0_4arch9wavefront6targetE0EEEvT1_,"axG",@progbits,_ZN7rocprim17ROCPRIM_400000_NS6detail17trampoline_kernelINS0_14default_configENS1_20scan_config_selectorIfEEZZNS1_9scan_implILNS1_25lookback_scan_determinismE0ELb0ELb0ES3_PKfPffZZZN2at6native31launch_logcumsumexp_cuda_kernelERKNSB_10TensorBaseESF_lENKUlvE_clEvENKUlvE0_clEvEUlffE_fEEDaPvRmT3_T4_T5_mT6_P12ihipStream_tbENKUlT_T0_E_clISt17integral_constantIbLb1EESV_IbLb0EEEEDaSR_SS_EUlSR_E_NS1_11comp_targetILNS1_3genE2ELNS1_11target_archE906ELNS1_3gpuE6ELNS1_3repE0EEENS1_30default_config_static_selectorELNS0_4arch9wavefront6targetE0EEEvT1_,comdat
	.globl	_ZN7rocprim17ROCPRIM_400000_NS6detail17trampoline_kernelINS0_14default_configENS1_20scan_config_selectorIfEEZZNS1_9scan_implILNS1_25lookback_scan_determinismE0ELb0ELb0ES3_PKfPffZZZN2at6native31launch_logcumsumexp_cuda_kernelERKNSB_10TensorBaseESF_lENKUlvE_clEvENKUlvE0_clEvEUlffE_fEEDaPvRmT3_T4_T5_mT6_P12ihipStream_tbENKUlT_T0_E_clISt17integral_constantIbLb1EESV_IbLb0EEEEDaSR_SS_EUlSR_E_NS1_11comp_targetILNS1_3genE2ELNS1_11target_archE906ELNS1_3gpuE6ELNS1_3repE0EEENS1_30default_config_static_selectorELNS0_4arch9wavefront6targetE0EEEvT1_ ; -- Begin function _ZN7rocprim17ROCPRIM_400000_NS6detail17trampoline_kernelINS0_14default_configENS1_20scan_config_selectorIfEEZZNS1_9scan_implILNS1_25lookback_scan_determinismE0ELb0ELb0ES3_PKfPffZZZN2at6native31launch_logcumsumexp_cuda_kernelERKNSB_10TensorBaseESF_lENKUlvE_clEvENKUlvE0_clEvEUlffE_fEEDaPvRmT3_T4_T5_mT6_P12ihipStream_tbENKUlT_T0_E_clISt17integral_constantIbLb1EESV_IbLb0EEEEDaSR_SS_EUlSR_E_NS1_11comp_targetILNS1_3genE2ELNS1_11target_archE906ELNS1_3gpuE6ELNS1_3repE0EEENS1_30default_config_static_selectorELNS0_4arch9wavefront6targetE0EEEvT1_
	.p2align	8
	.type	_ZN7rocprim17ROCPRIM_400000_NS6detail17trampoline_kernelINS0_14default_configENS1_20scan_config_selectorIfEEZZNS1_9scan_implILNS1_25lookback_scan_determinismE0ELb0ELb0ES3_PKfPffZZZN2at6native31launch_logcumsumexp_cuda_kernelERKNSB_10TensorBaseESF_lENKUlvE_clEvENKUlvE0_clEvEUlffE_fEEDaPvRmT3_T4_T5_mT6_P12ihipStream_tbENKUlT_T0_E_clISt17integral_constantIbLb1EESV_IbLb0EEEEDaSR_SS_EUlSR_E_NS1_11comp_targetILNS1_3genE2ELNS1_11target_archE906ELNS1_3gpuE6ELNS1_3repE0EEENS1_30default_config_static_selectorELNS0_4arch9wavefront6targetE0EEEvT1_,@function
_ZN7rocprim17ROCPRIM_400000_NS6detail17trampoline_kernelINS0_14default_configENS1_20scan_config_selectorIfEEZZNS1_9scan_implILNS1_25lookback_scan_determinismE0ELb0ELb0ES3_PKfPffZZZN2at6native31launch_logcumsumexp_cuda_kernelERKNSB_10TensorBaseESF_lENKUlvE_clEvENKUlvE0_clEvEUlffE_fEEDaPvRmT3_T4_T5_mT6_P12ihipStream_tbENKUlT_T0_E_clISt17integral_constantIbLb1EESV_IbLb0EEEEDaSR_SS_EUlSR_E_NS1_11comp_targetILNS1_3genE2ELNS1_11target_archE906ELNS1_3gpuE6ELNS1_3repE0EEENS1_30default_config_static_selectorELNS0_4arch9wavefront6targetE0EEEvT1_: ; @_ZN7rocprim17ROCPRIM_400000_NS6detail17trampoline_kernelINS0_14default_configENS1_20scan_config_selectorIfEEZZNS1_9scan_implILNS1_25lookback_scan_determinismE0ELb0ELb0ES3_PKfPffZZZN2at6native31launch_logcumsumexp_cuda_kernelERKNSB_10TensorBaseESF_lENKUlvE_clEvENKUlvE0_clEvEUlffE_fEEDaPvRmT3_T4_T5_mT6_P12ihipStream_tbENKUlT_T0_E_clISt17integral_constantIbLb1EESV_IbLb0EEEEDaSR_SS_EUlSR_E_NS1_11comp_targetILNS1_3genE2ELNS1_11target_archE906ELNS1_3gpuE6ELNS1_3repE0EEENS1_30default_config_static_selectorELNS0_4arch9wavefront6targetE0EEEvT1_
; %bb.0:
	.section	.rodata,"a",@progbits
	.p2align	6, 0x0
	.amdhsa_kernel _ZN7rocprim17ROCPRIM_400000_NS6detail17trampoline_kernelINS0_14default_configENS1_20scan_config_selectorIfEEZZNS1_9scan_implILNS1_25lookback_scan_determinismE0ELb0ELb0ES3_PKfPffZZZN2at6native31launch_logcumsumexp_cuda_kernelERKNSB_10TensorBaseESF_lENKUlvE_clEvENKUlvE0_clEvEUlffE_fEEDaPvRmT3_T4_T5_mT6_P12ihipStream_tbENKUlT_T0_E_clISt17integral_constantIbLb1EESV_IbLb0EEEEDaSR_SS_EUlSR_E_NS1_11comp_targetILNS1_3genE2ELNS1_11target_archE906ELNS1_3gpuE6ELNS1_3repE0EEENS1_30default_config_static_selectorELNS0_4arch9wavefront6targetE0EEEvT1_
		.amdhsa_group_segment_fixed_size 0
		.amdhsa_private_segment_fixed_size 0
		.amdhsa_kernarg_size 96
		.amdhsa_user_sgpr_count 2
		.amdhsa_user_sgpr_dispatch_ptr 0
		.amdhsa_user_sgpr_queue_ptr 0
		.amdhsa_user_sgpr_kernarg_segment_ptr 1
		.amdhsa_user_sgpr_dispatch_id 0
		.amdhsa_user_sgpr_private_segment_size 0
		.amdhsa_wavefront_size32 1
		.amdhsa_uses_dynamic_stack 0
		.amdhsa_enable_private_segment 0
		.amdhsa_system_sgpr_workgroup_id_x 1
		.amdhsa_system_sgpr_workgroup_id_y 0
		.amdhsa_system_sgpr_workgroup_id_z 0
		.amdhsa_system_sgpr_workgroup_info 0
		.amdhsa_system_vgpr_workitem_id 0
		.amdhsa_next_free_vgpr 1
		.amdhsa_next_free_sgpr 1
		.amdhsa_reserve_vcc 0
		.amdhsa_float_round_mode_32 0
		.amdhsa_float_round_mode_16_64 0
		.amdhsa_float_denorm_mode_32 3
		.amdhsa_float_denorm_mode_16_64 3
		.amdhsa_fp16_overflow 0
		.amdhsa_workgroup_processor_mode 1
		.amdhsa_memory_ordered 1
		.amdhsa_forward_progress 1
		.amdhsa_inst_pref_size 0
		.amdhsa_round_robin_scheduling 0
		.amdhsa_exception_fp_ieee_invalid_op 0
		.amdhsa_exception_fp_denorm_src 0
		.amdhsa_exception_fp_ieee_div_zero 0
		.amdhsa_exception_fp_ieee_overflow 0
		.amdhsa_exception_fp_ieee_underflow 0
		.amdhsa_exception_fp_ieee_inexact 0
		.amdhsa_exception_int_div_zero 0
	.end_amdhsa_kernel
	.section	.text._ZN7rocprim17ROCPRIM_400000_NS6detail17trampoline_kernelINS0_14default_configENS1_20scan_config_selectorIfEEZZNS1_9scan_implILNS1_25lookback_scan_determinismE0ELb0ELb0ES3_PKfPffZZZN2at6native31launch_logcumsumexp_cuda_kernelERKNSB_10TensorBaseESF_lENKUlvE_clEvENKUlvE0_clEvEUlffE_fEEDaPvRmT3_T4_T5_mT6_P12ihipStream_tbENKUlT_T0_E_clISt17integral_constantIbLb1EESV_IbLb0EEEEDaSR_SS_EUlSR_E_NS1_11comp_targetILNS1_3genE2ELNS1_11target_archE906ELNS1_3gpuE6ELNS1_3repE0EEENS1_30default_config_static_selectorELNS0_4arch9wavefront6targetE0EEEvT1_,"axG",@progbits,_ZN7rocprim17ROCPRIM_400000_NS6detail17trampoline_kernelINS0_14default_configENS1_20scan_config_selectorIfEEZZNS1_9scan_implILNS1_25lookback_scan_determinismE0ELb0ELb0ES3_PKfPffZZZN2at6native31launch_logcumsumexp_cuda_kernelERKNSB_10TensorBaseESF_lENKUlvE_clEvENKUlvE0_clEvEUlffE_fEEDaPvRmT3_T4_T5_mT6_P12ihipStream_tbENKUlT_T0_E_clISt17integral_constantIbLb1EESV_IbLb0EEEEDaSR_SS_EUlSR_E_NS1_11comp_targetILNS1_3genE2ELNS1_11target_archE906ELNS1_3gpuE6ELNS1_3repE0EEENS1_30default_config_static_selectorELNS0_4arch9wavefront6targetE0EEEvT1_,comdat
.Lfunc_end138:
	.size	_ZN7rocprim17ROCPRIM_400000_NS6detail17trampoline_kernelINS0_14default_configENS1_20scan_config_selectorIfEEZZNS1_9scan_implILNS1_25lookback_scan_determinismE0ELb0ELb0ES3_PKfPffZZZN2at6native31launch_logcumsumexp_cuda_kernelERKNSB_10TensorBaseESF_lENKUlvE_clEvENKUlvE0_clEvEUlffE_fEEDaPvRmT3_T4_T5_mT6_P12ihipStream_tbENKUlT_T0_E_clISt17integral_constantIbLb1EESV_IbLb0EEEEDaSR_SS_EUlSR_E_NS1_11comp_targetILNS1_3genE2ELNS1_11target_archE906ELNS1_3gpuE6ELNS1_3repE0EEENS1_30default_config_static_selectorELNS0_4arch9wavefront6targetE0EEEvT1_, .Lfunc_end138-_ZN7rocprim17ROCPRIM_400000_NS6detail17trampoline_kernelINS0_14default_configENS1_20scan_config_selectorIfEEZZNS1_9scan_implILNS1_25lookback_scan_determinismE0ELb0ELb0ES3_PKfPffZZZN2at6native31launch_logcumsumexp_cuda_kernelERKNSB_10TensorBaseESF_lENKUlvE_clEvENKUlvE0_clEvEUlffE_fEEDaPvRmT3_T4_T5_mT6_P12ihipStream_tbENKUlT_T0_E_clISt17integral_constantIbLb1EESV_IbLb0EEEEDaSR_SS_EUlSR_E_NS1_11comp_targetILNS1_3genE2ELNS1_11target_archE906ELNS1_3gpuE6ELNS1_3repE0EEENS1_30default_config_static_selectorELNS0_4arch9wavefront6targetE0EEEvT1_
                                        ; -- End function
	.set _ZN7rocprim17ROCPRIM_400000_NS6detail17trampoline_kernelINS0_14default_configENS1_20scan_config_selectorIfEEZZNS1_9scan_implILNS1_25lookback_scan_determinismE0ELb0ELb0ES3_PKfPffZZZN2at6native31launch_logcumsumexp_cuda_kernelERKNSB_10TensorBaseESF_lENKUlvE_clEvENKUlvE0_clEvEUlffE_fEEDaPvRmT3_T4_T5_mT6_P12ihipStream_tbENKUlT_T0_E_clISt17integral_constantIbLb1EESV_IbLb0EEEEDaSR_SS_EUlSR_E_NS1_11comp_targetILNS1_3genE2ELNS1_11target_archE906ELNS1_3gpuE6ELNS1_3repE0EEENS1_30default_config_static_selectorELNS0_4arch9wavefront6targetE0EEEvT1_.num_vgpr, 0
	.set _ZN7rocprim17ROCPRIM_400000_NS6detail17trampoline_kernelINS0_14default_configENS1_20scan_config_selectorIfEEZZNS1_9scan_implILNS1_25lookback_scan_determinismE0ELb0ELb0ES3_PKfPffZZZN2at6native31launch_logcumsumexp_cuda_kernelERKNSB_10TensorBaseESF_lENKUlvE_clEvENKUlvE0_clEvEUlffE_fEEDaPvRmT3_T4_T5_mT6_P12ihipStream_tbENKUlT_T0_E_clISt17integral_constantIbLb1EESV_IbLb0EEEEDaSR_SS_EUlSR_E_NS1_11comp_targetILNS1_3genE2ELNS1_11target_archE906ELNS1_3gpuE6ELNS1_3repE0EEENS1_30default_config_static_selectorELNS0_4arch9wavefront6targetE0EEEvT1_.num_agpr, 0
	.set _ZN7rocprim17ROCPRIM_400000_NS6detail17trampoline_kernelINS0_14default_configENS1_20scan_config_selectorIfEEZZNS1_9scan_implILNS1_25lookback_scan_determinismE0ELb0ELb0ES3_PKfPffZZZN2at6native31launch_logcumsumexp_cuda_kernelERKNSB_10TensorBaseESF_lENKUlvE_clEvENKUlvE0_clEvEUlffE_fEEDaPvRmT3_T4_T5_mT6_P12ihipStream_tbENKUlT_T0_E_clISt17integral_constantIbLb1EESV_IbLb0EEEEDaSR_SS_EUlSR_E_NS1_11comp_targetILNS1_3genE2ELNS1_11target_archE906ELNS1_3gpuE6ELNS1_3repE0EEENS1_30default_config_static_selectorELNS0_4arch9wavefront6targetE0EEEvT1_.numbered_sgpr, 0
	.set _ZN7rocprim17ROCPRIM_400000_NS6detail17trampoline_kernelINS0_14default_configENS1_20scan_config_selectorIfEEZZNS1_9scan_implILNS1_25lookback_scan_determinismE0ELb0ELb0ES3_PKfPffZZZN2at6native31launch_logcumsumexp_cuda_kernelERKNSB_10TensorBaseESF_lENKUlvE_clEvENKUlvE0_clEvEUlffE_fEEDaPvRmT3_T4_T5_mT6_P12ihipStream_tbENKUlT_T0_E_clISt17integral_constantIbLb1EESV_IbLb0EEEEDaSR_SS_EUlSR_E_NS1_11comp_targetILNS1_3genE2ELNS1_11target_archE906ELNS1_3gpuE6ELNS1_3repE0EEENS1_30default_config_static_selectorELNS0_4arch9wavefront6targetE0EEEvT1_.num_named_barrier, 0
	.set _ZN7rocprim17ROCPRIM_400000_NS6detail17trampoline_kernelINS0_14default_configENS1_20scan_config_selectorIfEEZZNS1_9scan_implILNS1_25lookback_scan_determinismE0ELb0ELb0ES3_PKfPffZZZN2at6native31launch_logcumsumexp_cuda_kernelERKNSB_10TensorBaseESF_lENKUlvE_clEvENKUlvE0_clEvEUlffE_fEEDaPvRmT3_T4_T5_mT6_P12ihipStream_tbENKUlT_T0_E_clISt17integral_constantIbLb1EESV_IbLb0EEEEDaSR_SS_EUlSR_E_NS1_11comp_targetILNS1_3genE2ELNS1_11target_archE906ELNS1_3gpuE6ELNS1_3repE0EEENS1_30default_config_static_selectorELNS0_4arch9wavefront6targetE0EEEvT1_.private_seg_size, 0
	.set _ZN7rocprim17ROCPRIM_400000_NS6detail17trampoline_kernelINS0_14default_configENS1_20scan_config_selectorIfEEZZNS1_9scan_implILNS1_25lookback_scan_determinismE0ELb0ELb0ES3_PKfPffZZZN2at6native31launch_logcumsumexp_cuda_kernelERKNSB_10TensorBaseESF_lENKUlvE_clEvENKUlvE0_clEvEUlffE_fEEDaPvRmT3_T4_T5_mT6_P12ihipStream_tbENKUlT_T0_E_clISt17integral_constantIbLb1EESV_IbLb0EEEEDaSR_SS_EUlSR_E_NS1_11comp_targetILNS1_3genE2ELNS1_11target_archE906ELNS1_3gpuE6ELNS1_3repE0EEENS1_30default_config_static_selectorELNS0_4arch9wavefront6targetE0EEEvT1_.uses_vcc, 0
	.set _ZN7rocprim17ROCPRIM_400000_NS6detail17trampoline_kernelINS0_14default_configENS1_20scan_config_selectorIfEEZZNS1_9scan_implILNS1_25lookback_scan_determinismE0ELb0ELb0ES3_PKfPffZZZN2at6native31launch_logcumsumexp_cuda_kernelERKNSB_10TensorBaseESF_lENKUlvE_clEvENKUlvE0_clEvEUlffE_fEEDaPvRmT3_T4_T5_mT6_P12ihipStream_tbENKUlT_T0_E_clISt17integral_constantIbLb1EESV_IbLb0EEEEDaSR_SS_EUlSR_E_NS1_11comp_targetILNS1_3genE2ELNS1_11target_archE906ELNS1_3gpuE6ELNS1_3repE0EEENS1_30default_config_static_selectorELNS0_4arch9wavefront6targetE0EEEvT1_.uses_flat_scratch, 0
	.set _ZN7rocprim17ROCPRIM_400000_NS6detail17trampoline_kernelINS0_14default_configENS1_20scan_config_selectorIfEEZZNS1_9scan_implILNS1_25lookback_scan_determinismE0ELb0ELb0ES3_PKfPffZZZN2at6native31launch_logcumsumexp_cuda_kernelERKNSB_10TensorBaseESF_lENKUlvE_clEvENKUlvE0_clEvEUlffE_fEEDaPvRmT3_T4_T5_mT6_P12ihipStream_tbENKUlT_T0_E_clISt17integral_constantIbLb1EESV_IbLb0EEEEDaSR_SS_EUlSR_E_NS1_11comp_targetILNS1_3genE2ELNS1_11target_archE906ELNS1_3gpuE6ELNS1_3repE0EEENS1_30default_config_static_selectorELNS0_4arch9wavefront6targetE0EEEvT1_.has_dyn_sized_stack, 0
	.set _ZN7rocprim17ROCPRIM_400000_NS6detail17trampoline_kernelINS0_14default_configENS1_20scan_config_selectorIfEEZZNS1_9scan_implILNS1_25lookback_scan_determinismE0ELb0ELb0ES3_PKfPffZZZN2at6native31launch_logcumsumexp_cuda_kernelERKNSB_10TensorBaseESF_lENKUlvE_clEvENKUlvE0_clEvEUlffE_fEEDaPvRmT3_T4_T5_mT6_P12ihipStream_tbENKUlT_T0_E_clISt17integral_constantIbLb1EESV_IbLb0EEEEDaSR_SS_EUlSR_E_NS1_11comp_targetILNS1_3genE2ELNS1_11target_archE906ELNS1_3gpuE6ELNS1_3repE0EEENS1_30default_config_static_selectorELNS0_4arch9wavefront6targetE0EEEvT1_.has_recursion, 0
	.set _ZN7rocprim17ROCPRIM_400000_NS6detail17trampoline_kernelINS0_14default_configENS1_20scan_config_selectorIfEEZZNS1_9scan_implILNS1_25lookback_scan_determinismE0ELb0ELb0ES3_PKfPffZZZN2at6native31launch_logcumsumexp_cuda_kernelERKNSB_10TensorBaseESF_lENKUlvE_clEvENKUlvE0_clEvEUlffE_fEEDaPvRmT3_T4_T5_mT6_P12ihipStream_tbENKUlT_T0_E_clISt17integral_constantIbLb1EESV_IbLb0EEEEDaSR_SS_EUlSR_E_NS1_11comp_targetILNS1_3genE2ELNS1_11target_archE906ELNS1_3gpuE6ELNS1_3repE0EEENS1_30default_config_static_selectorELNS0_4arch9wavefront6targetE0EEEvT1_.has_indirect_call, 0
	.section	.AMDGPU.csdata,"",@progbits
; Kernel info:
; codeLenInByte = 0
; TotalNumSgprs: 0
; NumVgprs: 0
; ScratchSize: 0
; MemoryBound: 0
; FloatMode: 240
; IeeeMode: 1
; LDSByteSize: 0 bytes/workgroup (compile time only)
; SGPRBlocks: 0
; VGPRBlocks: 0
; NumSGPRsForWavesPerEU: 1
; NumVGPRsForWavesPerEU: 1
; Occupancy: 16
; WaveLimiterHint : 0
; COMPUTE_PGM_RSRC2:SCRATCH_EN: 0
; COMPUTE_PGM_RSRC2:USER_SGPR: 2
; COMPUTE_PGM_RSRC2:TRAP_HANDLER: 0
; COMPUTE_PGM_RSRC2:TGID_X_EN: 1
; COMPUTE_PGM_RSRC2:TGID_Y_EN: 0
; COMPUTE_PGM_RSRC2:TGID_Z_EN: 0
; COMPUTE_PGM_RSRC2:TIDIG_COMP_CNT: 0
	.section	.text._ZN7rocprim17ROCPRIM_400000_NS6detail17trampoline_kernelINS0_14default_configENS1_20scan_config_selectorIfEEZZNS1_9scan_implILNS1_25lookback_scan_determinismE0ELb0ELb0ES3_PKfPffZZZN2at6native31launch_logcumsumexp_cuda_kernelERKNSB_10TensorBaseESF_lENKUlvE_clEvENKUlvE0_clEvEUlffE_fEEDaPvRmT3_T4_T5_mT6_P12ihipStream_tbENKUlT_T0_E_clISt17integral_constantIbLb1EESV_IbLb0EEEEDaSR_SS_EUlSR_E_NS1_11comp_targetILNS1_3genE10ELNS1_11target_archE1201ELNS1_3gpuE5ELNS1_3repE0EEENS1_30default_config_static_selectorELNS0_4arch9wavefront6targetE0EEEvT1_,"axG",@progbits,_ZN7rocprim17ROCPRIM_400000_NS6detail17trampoline_kernelINS0_14default_configENS1_20scan_config_selectorIfEEZZNS1_9scan_implILNS1_25lookback_scan_determinismE0ELb0ELb0ES3_PKfPffZZZN2at6native31launch_logcumsumexp_cuda_kernelERKNSB_10TensorBaseESF_lENKUlvE_clEvENKUlvE0_clEvEUlffE_fEEDaPvRmT3_T4_T5_mT6_P12ihipStream_tbENKUlT_T0_E_clISt17integral_constantIbLb1EESV_IbLb0EEEEDaSR_SS_EUlSR_E_NS1_11comp_targetILNS1_3genE10ELNS1_11target_archE1201ELNS1_3gpuE5ELNS1_3repE0EEENS1_30default_config_static_selectorELNS0_4arch9wavefront6targetE0EEEvT1_,comdat
	.globl	_ZN7rocprim17ROCPRIM_400000_NS6detail17trampoline_kernelINS0_14default_configENS1_20scan_config_selectorIfEEZZNS1_9scan_implILNS1_25lookback_scan_determinismE0ELb0ELb0ES3_PKfPffZZZN2at6native31launch_logcumsumexp_cuda_kernelERKNSB_10TensorBaseESF_lENKUlvE_clEvENKUlvE0_clEvEUlffE_fEEDaPvRmT3_T4_T5_mT6_P12ihipStream_tbENKUlT_T0_E_clISt17integral_constantIbLb1EESV_IbLb0EEEEDaSR_SS_EUlSR_E_NS1_11comp_targetILNS1_3genE10ELNS1_11target_archE1201ELNS1_3gpuE5ELNS1_3repE0EEENS1_30default_config_static_selectorELNS0_4arch9wavefront6targetE0EEEvT1_ ; -- Begin function _ZN7rocprim17ROCPRIM_400000_NS6detail17trampoline_kernelINS0_14default_configENS1_20scan_config_selectorIfEEZZNS1_9scan_implILNS1_25lookback_scan_determinismE0ELb0ELb0ES3_PKfPffZZZN2at6native31launch_logcumsumexp_cuda_kernelERKNSB_10TensorBaseESF_lENKUlvE_clEvENKUlvE0_clEvEUlffE_fEEDaPvRmT3_T4_T5_mT6_P12ihipStream_tbENKUlT_T0_E_clISt17integral_constantIbLb1EESV_IbLb0EEEEDaSR_SS_EUlSR_E_NS1_11comp_targetILNS1_3genE10ELNS1_11target_archE1201ELNS1_3gpuE5ELNS1_3repE0EEENS1_30default_config_static_selectorELNS0_4arch9wavefront6targetE0EEEvT1_
	.p2align	8
	.type	_ZN7rocprim17ROCPRIM_400000_NS6detail17trampoline_kernelINS0_14default_configENS1_20scan_config_selectorIfEEZZNS1_9scan_implILNS1_25lookback_scan_determinismE0ELb0ELb0ES3_PKfPffZZZN2at6native31launch_logcumsumexp_cuda_kernelERKNSB_10TensorBaseESF_lENKUlvE_clEvENKUlvE0_clEvEUlffE_fEEDaPvRmT3_T4_T5_mT6_P12ihipStream_tbENKUlT_T0_E_clISt17integral_constantIbLb1EESV_IbLb0EEEEDaSR_SS_EUlSR_E_NS1_11comp_targetILNS1_3genE10ELNS1_11target_archE1201ELNS1_3gpuE5ELNS1_3repE0EEENS1_30default_config_static_selectorELNS0_4arch9wavefront6targetE0EEEvT1_,@function
_ZN7rocprim17ROCPRIM_400000_NS6detail17trampoline_kernelINS0_14default_configENS1_20scan_config_selectorIfEEZZNS1_9scan_implILNS1_25lookback_scan_determinismE0ELb0ELb0ES3_PKfPffZZZN2at6native31launch_logcumsumexp_cuda_kernelERKNSB_10TensorBaseESF_lENKUlvE_clEvENKUlvE0_clEvEUlffE_fEEDaPvRmT3_T4_T5_mT6_P12ihipStream_tbENKUlT_T0_E_clISt17integral_constantIbLb1EESV_IbLb0EEEEDaSR_SS_EUlSR_E_NS1_11comp_targetILNS1_3genE10ELNS1_11target_archE1201ELNS1_3gpuE5ELNS1_3repE0EEENS1_30default_config_static_selectorELNS0_4arch9wavefront6targetE0EEEvT1_: ; @_ZN7rocprim17ROCPRIM_400000_NS6detail17trampoline_kernelINS0_14default_configENS1_20scan_config_selectorIfEEZZNS1_9scan_implILNS1_25lookback_scan_determinismE0ELb0ELb0ES3_PKfPffZZZN2at6native31launch_logcumsumexp_cuda_kernelERKNSB_10TensorBaseESF_lENKUlvE_clEvENKUlvE0_clEvEUlffE_fEEDaPvRmT3_T4_T5_mT6_P12ihipStream_tbENKUlT_T0_E_clISt17integral_constantIbLb1EESV_IbLb0EEEEDaSR_SS_EUlSR_E_NS1_11comp_targetILNS1_3genE10ELNS1_11target_archE1201ELNS1_3gpuE5ELNS1_3repE0EEENS1_30default_config_static_selectorELNS0_4arch9wavefront6targetE0EEEvT1_
; %bb.0:
	s_endpgm
	.section	.rodata,"a",@progbits
	.p2align	6, 0x0
	.amdhsa_kernel _ZN7rocprim17ROCPRIM_400000_NS6detail17trampoline_kernelINS0_14default_configENS1_20scan_config_selectorIfEEZZNS1_9scan_implILNS1_25lookback_scan_determinismE0ELb0ELb0ES3_PKfPffZZZN2at6native31launch_logcumsumexp_cuda_kernelERKNSB_10TensorBaseESF_lENKUlvE_clEvENKUlvE0_clEvEUlffE_fEEDaPvRmT3_T4_T5_mT6_P12ihipStream_tbENKUlT_T0_E_clISt17integral_constantIbLb1EESV_IbLb0EEEEDaSR_SS_EUlSR_E_NS1_11comp_targetILNS1_3genE10ELNS1_11target_archE1201ELNS1_3gpuE5ELNS1_3repE0EEENS1_30default_config_static_selectorELNS0_4arch9wavefront6targetE0EEEvT1_
		.amdhsa_group_segment_fixed_size 0
		.amdhsa_private_segment_fixed_size 0
		.amdhsa_kernarg_size 96
		.amdhsa_user_sgpr_count 2
		.amdhsa_user_sgpr_dispatch_ptr 0
		.amdhsa_user_sgpr_queue_ptr 0
		.amdhsa_user_sgpr_kernarg_segment_ptr 1
		.amdhsa_user_sgpr_dispatch_id 0
		.amdhsa_user_sgpr_private_segment_size 0
		.amdhsa_wavefront_size32 1
		.amdhsa_uses_dynamic_stack 0
		.amdhsa_enable_private_segment 0
		.amdhsa_system_sgpr_workgroup_id_x 1
		.amdhsa_system_sgpr_workgroup_id_y 0
		.amdhsa_system_sgpr_workgroup_id_z 0
		.amdhsa_system_sgpr_workgroup_info 0
		.amdhsa_system_vgpr_workitem_id 0
		.amdhsa_next_free_vgpr 1
		.amdhsa_next_free_sgpr 1
		.amdhsa_reserve_vcc 0
		.amdhsa_float_round_mode_32 0
		.amdhsa_float_round_mode_16_64 0
		.amdhsa_float_denorm_mode_32 3
		.amdhsa_float_denorm_mode_16_64 3
		.amdhsa_fp16_overflow 0
		.amdhsa_workgroup_processor_mode 1
		.amdhsa_memory_ordered 1
		.amdhsa_forward_progress 1
		.amdhsa_inst_pref_size 1
		.amdhsa_round_robin_scheduling 0
		.amdhsa_exception_fp_ieee_invalid_op 0
		.amdhsa_exception_fp_denorm_src 0
		.amdhsa_exception_fp_ieee_div_zero 0
		.amdhsa_exception_fp_ieee_overflow 0
		.amdhsa_exception_fp_ieee_underflow 0
		.amdhsa_exception_fp_ieee_inexact 0
		.amdhsa_exception_int_div_zero 0
	.end_amdhsa_kernel
	.section	.text._ZN7rocprim17ROCPRIM_400000_NS6detail17trampoline_kernelINS0_14default_configENS1_20scan_config_selectorIfEEZZNS1_9scan_implILNS1_25lookback_scan_determinismE0ELb0ELb0ES3_PKfPffZZZN2at6native31launch_logcumsumexp_cuda_kernelERKNSB_10TensorBaseESF_lENKUlvE_clEvENKUlvE0_clEvEUlffE_fEEDaPvRmT3_T4_T5_mT6_P12ihipStream_tbENKUlT_T0_E_clISt17integral_constantIbLb1EESV_IbLb0EEEEDaSR_SS_EUlSR_E_NS1_11comp_targetILNS1_3genE10ELNS1_11target_archE1201ELNS1_3gpuE5ELNS1_3repE0EEENS1_30default_config_static_selectorELNS0_4arch9wavefront6targetE0EEEvT1_,"axG",@progbits,_ZN7rocprim17ROCPRIM_400000_NS6detail17trampoline_kernelINS0_14default_configENS1_20scan_config_selectorIfEEZZNS1_9scan_implILNS1_25lookback_scan_determinismE0ELb0ELb0ES3_PKfPffZZZN2at6native31launch_logcumsumexp_cuda_kernelERKNSB_10TensorBaseESF_lENKUlvE_clEvENKUlvE0_clEvEUlffE_fEEDaPvRmT3_T4_T5_mT6_P12ihipStream_tbENKUlT_T0_E_clISt17integral_constantIbLb1EESV_IbLb0EEEEDaSR_SS_EUlSR_E_NS1_11comp_targetILNS1_3genE10ELNS1_11target_archE1201ELNS1_3gpuE5ELNS1_3repE0EEENS1_30default_config_static_selectorELNS0_4arch9wavefront6targetE0EEEvT1_,comdat
.Lfunc_end139:
	.size	_ZN7rocprim17ROCPRIM_400000_NS6detail17trampoline_kernelINS0_14default_configENS1_20scan_config_selectorIfEEZZNS1_9scan_implILNS1_25lookback_scan_determinismE0ELb0ELb0ES3_PKfPffZZZN2at6native31launch_logcumsumexp_cuda_kernelERKNSB_10TensorBaseESF_lENKUlvE_clEvENKUlvE0_clEvEUlffE_fEEDaPvRmT3_T4_T5_mT6_P12ihipStream_tbENKUlT_T0_E_clISt17integral_constantIbLb1EESV_IbLb0EEEEDaSR_SS_EUlSR_E_NS1_11comp_targetILNS1_3genE10ELNS1_11target_archE1201ELNS1_3gpuE5ELNS1_3repE0EEENS1_30default_config_static_selectorELNS0_4arch9wavefront6targetE0EEEvT1_, .Lfunc_end139-_ZN7rocprim17ROCPRIM_400000_NS6detail17trampoline_kernelINS0_14default_configENS1_20scan_config_selectorIfEEZZNS1_9scan_implILNS1_25lookback_scan_determinismE0ELb0ELb0ES3_PKfPffZZZN2at6native31launch_logcumsumexp_cuda_kernelERKNSB_10TensorBaseESF_lENKUlvE_clEvENKUlvE0_clEvEUlffE_fEEDaPvRmT3_T4_T5_mT6_P12ihipStream_tbENKUlT_T0_E_clISt17integral_constantIbLb1EESV_IbLb0EEEEDaSR_SS_EUlSR_E_NS1_11comp_targetILNS1_3genE10ELNS1_11target_archE1201ELNS1_3gpuE5ELNS1_3repE0EEENS1_30default_config_static_selectorELNS0_4arch9wavefront6targetE0EEEvT1_
                                        ; -- End function
	.set _ZN7rocprim17ROCPRIM_400000_NS6detail17trampoline_kernelINS0_14default_configENS1_20scan_config_selectorIfEEZZNS1_9scan_implILNS1_25lookback_scan_determinismE0ELb0ELb0ES3_PKfPffZZZN2at6native31launch_logcumsumexp_cuda_kernelERKNSB_10TensorBaseESF_lENKUlvE_clEvENKUlvE0_clEvEUlffE_fEEDaPvRmT3_T4_T5_mT6_P12ihipStream_tbENKUlT_T0_E_clISt17integral_constantIbLb1EESV_IbLb0EEEEDaSR_SS_EUlSR_E_NS1_11comp_targetILNS1_3genE10ELNS1_11target_archE1201ELNS1_3gpuE5ELNS1_3repE0EEENS1_30default_config_static_selectorELNS0_4arch9wavefront6targetE0EEEvT1_.num_vgpr, 0
	.set _ZN7rocprim17ROCPRIM_400000_NS6detail17trampoline_kernelINS0_14default_configENS1_20scan_config_selectorIfEEZZNS1_9scan_implILNS1_25lookback_scan_determinismE0ELb0ELb0ES3_PKfPffZZZN2at6native31launch_logcumsumexp_cuda_kernelERKNSB_10TensorBaseESF_lENKUlvE_clEvENKUlvE0_clEvEUlffE_fEEDaPvRmT3_T4_T5_mT6_P12ihipStream_tbENKUlT_T0_E_clISt17integral_constantIbLb1EESV_IbLb0EEEEDaSR_SS_EUlSR_E_NS1_11comp_targetILNS1_3genE10ELNS1_11target_archE1201ELNS1_3gpuE5ELNS1_3repE0EEENS1_30default_config_static_selectorELNS0_4arch9wavefront6targetE0EEEvT1_.num_agpr, 0
	.set _ZN7rocprim17ROCPRIM_400000_NS6detail17trampoline_kernelINS0_14default_configENS1_20scan_config_selectorIfEEZZNS1_9scan_implILNS1_25lookback_scan_determinismE0ELb0ELb0ES3_PKfPffZZZN2at6native31launch_logcumsumexp_cuda_kernelERKNSB_10TensorBaseESF_lENKUlvE_clEvENKUlvE0_clEvEUlffE_fEEDaPvRmT3_T4_T5_mT6_P12ihipStream_tbENKUlT_T0_E_clISt17integral_constantIbLb1EESV_IbLb0EEEEDaSR_SS_EUlSR_E_NS1_11comp_targetILNS1_3genE10ELNS1_11target_archE1201ELNS1_3gpuE5ELNS1_3repE0EEENS1_30default_config_static_selectorELNS0_4arch9wavefront6targetE0EEEvT1_.numbered_sgpr, 0
	.set _ZN7rocprim17ROCPRIM_400000_NS6detail17trampoline_kernelINS0_14default_configENS1_20scan_config_selectorIfEEZZNS1_9scan_implILNS1_25lookback_scan_determinismE0ELb0ELb0ES3_PKfPffZZZN2at6native31launch_logcumsumexp_cuda_kernelERKNSB_10TensorBaseESF_lENKUlvE_clEvENKUlvE0_clEvEUlffE_fEEDaPvRmT3_T4_T5_mT6_P12ihipStream_tbENKUlT_T0_E_clISt17integral_constantIbLb1EESV_IbLb0EEEEDaSR_SS_EUlSR_E_NS1_11comp_targetILNS1_3genE10ELNS1_11target_archE1201ELNS1_3gpuE5ELNS1_3repE0EEENS1_30default_config_static_selectorELNS0_4arch9wavefront6targetE0EEEvT1_.num_named_barrier, 0
	.set _ZN7rocprim17ROCPRIM_400000_NS6detail17trampoline_kernelINS0_14default_configENS1_20scan_config_selectorIfEEZZNS1_9scan_implILNS1_25lookback_scan_determinismE0ELb0ELb0ES3_PKfPffZZZN2at6native31launch_logcumsumexp_cuda_kernelERKNSB_10TensorBaseESF_lENKUlvE_clEvENKUlvE0_clEvEUlffE_fEEDaPvRmT3_T4_T5_mT6_P12ihipStream_tbENKUlT_T0_E_clISt17integral_constantIbLb1EESV_IbLb0EEEEDaSR_SS_EUlSR_E_NS1_11comp_targetILNS1_3genE10ELNS1_11target_archE1201ELNS1_3gpuE5ELNS1_3repE0EEENS1_30default_config_static_selectorELNS0_4arch9wavefront6targetE0EEEvT1_.private_seg_size, 0
	.set _ZN7rocprim17ROCPRIM_400000_NS6detail17trampoline_kernelINS0_14default_configENS1_20scan_config_selectorIfEEZZNS1_9scan_implILNS1_25lookback_scan_determinismE0ELb0ELb0ES3_PKfPffZZZN2at6native31launch_logcumsumexp_cuda_kernelERKNSB_10TensorBaseESF_lENKUlvE_clEvENKUlvE0_clEvEUlffE_fEEDaPvRmT3_T4_T5_mT6_P12ihipStream_tbENKUlT_T0_E_clISt17integral_constantIbLb1EESV_IbLb0EEEEDaSR_SS_EUlSR_E_NS1_11comp_targetILNS1_3genE10ELNS1_11target_archE1201ELNS1_3gpuE5ELNS1_3repE0EEENS1_30default_config_static_selectorELNS0_4arch9wavefront6targetE0EEEvT1_.uses_vcc, 0
	.set _ZN7rocprim17ROCPRIM_400000_NS6detail17trampoline_kernelINS0_14default_configENS1_20scan_config_selectorIfEEZZNS1_9scan_implILNS1_25lookback_scan_determinismE0ELb0ELb0ES3_PKfPffZZZN2at6native31launch_logcumsumexp_cuda_kernelERKNSB_10TensorBaseESF_lENKUlvE_clEvENKUlvE0_clEvEUlffE_fEEDaPvRmT3_T4_T5_mT6_P12ihipStream_tbENKUlT_T0_E_clISt17integral_constantIbLb1EESV_IbLb0EEEEDaSR_SS_EUlSR_E_NS1_11comp_targetILNS1_3genE10ELNS1_11target_archE1201ELNS1_3gpuE5ELNS1_3repE0EEENS1_30default_config_static_selectorELNS0_4arch9wavefront6targetE0EEEvT1_.uses_flat_scratch, 0
	.set _ZN7rocprim17ROCPRIM_400000_NS6detail17trampoline_kernelINS0_14default_configENS1_20scan_config_selectorIfEEZZNS1_9scan_implILNS1_25lookback_scan_determinismE0ELb0ELb0ES3_PKfPffZZZN2at6native31launch_logcumsumexp_cuda_kernelERKNSB_10TensorBaseESF_lENKUlvE_clEvENKUlvE0_clEvEUlffE_fEEDaPvRmT3_T4_T5_mT6_P12ihipStream_tbENKUlT_T0_E_clISt17integral_constantIbLb1EESV_IbLb0EEEEDaSR_SS_EUlSR_E_NS1_11comp_targetILNS1_3genE10ELNS1_11target_archE1201ELNS1_3gpuE5ELNS1_3repE0EEENS1_30default_config_static_selectorELNS0_4arch9wavefront6targetE0EEEvT1_.has_dyn_sized_stack, 0
	.set _ZN7rocprim17ROCPRIM_400000_NS6detail17trampoline_kernelINS0_14default_configENS1_20scan_config_selectorIfEEZZNS1_9scan_implILNS1_25lookback_scan_determinismE0ELb0ELb0ES3_PKfPffZZZN2at6native31launch_logcumsumexp_cuda_kernelERKNSB_10TensorBaseESF_lENKUlvE_clEvENKUlvE0_clEvEUlffE_fEEDaPvRmT3_T4_T5_mT6_P12ihipStream_tbENKUlT_T0_E_clISt17integral_constantIbLb1EESV_IbLb0EEEEDaSR_SS_EUlSR_E_NS1_11comp_targetILNS1_3genE10ELNS1_11target_archE1201ELNS1_3gpuE5ELNS1_3repE0EEENS1_30default_config_static_selectorELNS0_4arch9wavefront6targetE0EEEvT1_.has_recursion, 0
	.set _ZN7rocprim17ROCPRIM_400000_NS6detail17trampoline_kernelINS0_14default_configENS1_20scan_config_selectorIfEEZZNS1_9scan_implILNS1_25lookback_scan_determinismE0ELb0ELb0ES3_PKfPffZZZN2at6native31launch_logcumsumexp_cuda_kernelERKNSB_10TensorBaseESF_lENKUlvE_clEvENKUlvE0_clEvEUlffE_fEEDaPvRmT3_T4_T5_mT6_P12ihipStream_tbENKUlT_T0_E_clISt17integral_constantIbLb1EESV_IbLb0EEEEDaSR_SS_EUlSR_E_NS1_11comp_targetILNS1_3genE10ELNS1_11target_archE1201ELNS1_3gpuE5ELNS1_3repE0EEENS1_30default_config_static_selectorELNS0_4arch9wavefront6targetE0EEEvT1_.has_indirect_call, 0
	.section	.AMDGPU.csdata,"",@progbits
; Kernel info:
; codeLenInByte = 4
; TotalNumSgprs: 0
; NumVgprs: 0
; ScratchSize: 0
; MemoryBound: 0
; FloatMode: 240
; IeeeMode: 1
; LDSByteSize: 0 bytes/workgroup (compile time only)
; SGPRBlocks: 0
; VGPRBlocks: 0
; NumSGPRsForWavesPerEU: 1
; NumVGPRsForWavesPerEU: 1
; Occupancy: 16
; WaveLimiterHint : 0
; COMPUTE_PGM_RSRC2:SCRATCH_EN: 0
; COMPUTE_PGM_RSRC2:USER_SGPR: 2
; COMPUTE_PGM_RSRC2:TRAP_HANDLER: 0
; COMPUTE_PGM_RSRC2:TGID_X_EN: 1
; COMPUTE_PGM_RSRC2:TGID_Y_EN: 0
; COMPUTE_PGM_RSRC2:TGID_Z_EN: 0
; COMPUTE_PGM_RSRC2:TIDIG_COMP_CNT: 0
	.section	.text._ZN7rocprim17ROCPRIM_400000_NS6detail17trampoline_kernelINS0_14default_configENS1_20scan_config_selectorIfEEZZNS1_9scan_implILNS1_25lookback_scan_determinismE0ELb0ELb0ES3_PKfPffZZZN2at6native31launch_logcumsumexp_cuda_kernelERKNSB_10TensorBaseESF_lENKUlvE_clEvENKUlvE0_clEvEUlffE_fEEDaPvRmT3_T4_T5_mT6_P12ihipStream_tbENKUlT_T0_E_clISt17integral_constantIbLb1EESV_IbLb0EEEEDaSR_SS_EUlSR_E_NS1_11comp_targetILNS1_3genE10ELNS1_11target_archE1200ELNS1_3gpuE4ELNS1_3repE0EEENS1_30default_config_static_selectorELNS0_4arch9wavefront6targetE0EEEvT1_,"axG",@progbits,_ZN7rocprim17ROCPRIM_400000_NS6detail17trampoline_kernelINS0_14default_configENS1_20scan_config_selectorIfEEZZNS1_9scan_implILNS1_25lookback_scan_determinismE0ELb0ELb0ES3_PKfPffZZZN2at6native31launch_logcumsumexp_cuda_kernelERKNSB_10TensorBaseESF_lENKUlvE_clEvENKUlvE0_clEvEUlffE_fEEDaPvRmT3_T4_T5_mT6_P12ihipStream_tbENKUlT_T0_E_clISt17integral_constantIbLb1EESV_IbLb0EEEEDaSR_SS_EUlSR_E_NS1_11comp_targetILNS1_3genE10ELNS1_11target_archE1200ELNS1_3gpuE4ELNS1_3repE0EEENS1_30default_config_static_selectorELNS0_4arch9wavefront6targetE0EEEvT1_,comdat
	.globl	_ZN7rocprim17ROCPRIM_400000_NS6detail17trampoline_kernelINS0_14default_configENS1_20scan_config_selectorIfEEZZNS1_9scan_implILNS1_25lookback_scan_determinismE0ELb0ELb0ES3_PKfPffZZZN2at6native31launch_logcumsumexp_cuda_kernelERKNSB_10TensorBaseESF_lENKUlvE_clEvENKUlvE0_clEvEUlffE_fEEDaPvRmT3_T4_T5_mT6_P12ihipStream_tbENKUlT_T0_E_clISt17integral_constantIbLb1EESV_IbLb0EEEEDaSR_SS_EUlSR_E_NS1_11comp_targetILNS1_3genE10ELNS1_11target_archE1200ELNS1_3gpuE4ELNS1_3repE0EEENS1_30default_config_static_selectorELNS0_4arch9wavefront6targetE0EEEvT1_ ; -- Begin function _ZN7rocprim17ROCPRIM_400000_NS6detail17trampoline_kernelINS0_14default_configENS1_20scan_config_selectorIfEEZZNS1_9scan_implILNS1_25lookback_scan_determinismE0ELb0ELb0ES3_PKfPffZZZN2at6native31launch_logcumsumexp_cuda_kernelERKNSB_10TensorBaseESF_lENKUlvE_clEvENKUlvE0_clEvEUlffE_fEEDaPvRmT3_T4_T5_mT6_P12ihipStream_tbENKUlT_T0_E_clISt17integral_constantIbLb1EESV_IbLb0EEEEDaSR_SS_EUlSR_E_NS1_11comp_targetILNS1_3genE10ELNS1_11target_archE1200ELNS1_3gpuE4ELNS1_3repE0EEENS1_30default_config_static_selectorELNS0_4arch9wavefront6targetE0EEEvT1_
	.p2align	8
	.type	_ZN7rocprim17ROCPRIM_400000_NS6detail17trampoline_kernelINS0_14default_configENS1_20scan_config_selectorIfEEZZNS1_9scan_implILNS1_25lookback_scan_determinismE0ELb0ELb0ES3_PKfPffZZZN2at6native31launch_logcumsumexp_cuda_kernelERKNSB_10TensorBaseESF_lENKUlvE_clEvENKUlvE0_clEvEUlffE_fEEDaPvRmT3_T4_T5_mT6_P12ihipStream_tbENKUlT_T0_E_clISt17integral_constantIbLb1EESV_IbLb0EEEEDaSR_SS_EUlSR_E_NS1_11comp_targetILNS1_3genE10ELNS1_11target_archE1200ELNS1_3gpuE4ELNS1_3repE0EEENS1_30default_config_static_selectorELNS0_4arch9wavefront6targetE0EEEvT1_,@function
_ZN7rocprim17ROCPRIM_400000_NS6detail17trampoline_kernelINS0_14default_configENS1_20scan_config_selectorIfEEZZNS1_9scan_implILNS1_25lookback_scan_determinismE0ELb0ELb0ES3_PKfPffZZZN2at6native31launch_logcumsumexp_cuda_kernelERKNSB_10TensorBaseESF_lENKUlvE_clEvENKUlvE0_clEvEUlffE_fEEDaPvRmT3_T4_T5_mT6_P12ihipStream_tbENKUlT_T0_E_clISt17integral_constantIbLb1EESV_IbLb0EEEEDaSR_SS_EUlSR_E_NS1_11comp_targetILNS1_3genE10ELNS1_11target_archE1200ELNS1_3gpuE4ELNS1_3repE0EEENS1_30default_config_static_selectorELNS0_4arch9wavefront6targetE0EEEvT1_: ; @_ZN7rocprim17ROCPRIM_400000_NS6detail17trampoline_kernelINS0_14default_configENS1_20scan_config_selectorIfEEZZNS1_9scan_implILNS1_25lookback_scan_determinismE0ELb0ELb0ES3_PKfPffZZZN2at6native31launch_logcumsumexp_cuda_kernelERKNSB_10TensorBaseESF_lENKUlvE_clEvENKUlvE0_clEvEUlffE_fEEDaPvRmT3_T4_T5_mT6_P12ihipStream_tbENKUlT_T0_E_clISt17integral_constantIbLb1EESV_IbLb0EEEEDaSR_SS_EUlSR_E_NS1_11comp_targetILNS1_3genE10ELNS1_11target_archE1200ELNS1_3gpuE4ELNS1_3repE0EEENS1_30default_config_static_selectorELNS0_4arch9wavefront6targetE0EEEvT1_
; %bb.0:
	.section	.rodata,"a",@progbits
	.p2align	6, 0x0
	.amdhsa_kernel _ZN7rocprim17ROCPRIM_400000_NS6detail17trampoline_kernelINS0_14default_configENS1_20scan_config_selectorIfEEZZNS1_9scan_implILNS1_25lookback_scan_determinismE0ELb0ELb0ES3_PKfPffZZZN2at6native31launch_logcumsumexp_cuda_kernelERKNSB_10TensorBaseESF_lENKUlvE_clEvENKUlvE0_clEvEUlffE_fEEDaPvRmT3_T4_T5_mT6_P12ihipStream_tbENKUlT_T0_E_clISt17integral_constantIbLb1EESV_IbLb0EEEEDaSR_SS_EUlSR_E_NS1_11comp_targetILNS1_3genE10ELNS1_11target_archE1200ELNS1_3gpuE4ELNS1_3repE0EEENS1_30default_config_static_selectorELNS0_4arch9wavefront6targetE0EEEvT1_
		.amdhsa_group_segment_fixed_size 0
		.amdhsa_private_segment_fixed_size 0
		.amdhsa_kernarg_size 96
		.amdhsa_user_sgpr_count 2
		.amdhsa_user_sgpr_dispatch_ptr 0
		.amdhsa_user_sgpr_queue_ptr 0
		.amdhsa_user_sgpr_kernarg_segment_ptr 1
		.amdhsa_user_sgpr_dispatch_id 0
		.amdhsa_user_sgpr_private_segment_size 0
		.amdhsa_wavefront_size32 1
		.amdhsa_uses_dynamic_stack 0
		.amdhsa_enable_private_segment 0
		.amdhsa_system_sgpr_workgroup_id_x 1
		.amdhsa_system_sgpr_workgroup_id_y 0
		.amdhsa_system_sgpr_workgroup_id_z 0
		.amdhsa_system_sgpr_workgroup_info 0
		.amdhsa_system_vgpr_workitem_id 0
		.amdhsa_next_free_vgpr 1
		.amdhsa_next_free_sgpr 1
		.amdhsa_reserve_vcc 0
		.amdhsa_float_round_mode_32 0
		.amdhsa_float_round_mode_16_64 0
		.amdhsa_float_denorm_mode_32 3
		.amdhsa_float_denorm_mode_16_64 3
		.amdhsa_fp16_overflow 0
		.amdhsa_workgroup_processor_mode 1
		.amdhsa_memory_ordered 1
		.amdhsa_forward_progress 1
		.amdhsa_inst_pref_size 0
		.amdhsa_round_robin_scheduling 0
		.amdhsa_exception_fp_ieee_invalid_op 0
		.amdhsa_exception_fp_denorm_src 0
		.amdhsa_exception_fp_ieee_div_zero 0
		.amdhsa_exception_fp_ieee_overflow 0
		.amdhsa_exception_fp_ieee_underflow 0
		.amdhsa_exception_fp_ieee_inexact 0
		.amdhsa_exception_int_div_zero 0
	.end_amdhsa_kernel
	.section	.text._ZN7rocprim17ROCPRIM_400000_NS6detail17trampoline_kernelINS0_14default_configENS1_20scan_config_selectorIfEEZZNS1_9scan_implILNS1_25lookback_scan_determinismE0ELb0ELb0ES3_PKfPffZZZN2at6native31launch_logcumsumexp_cuda_kernelERKNSB_10TensorBaseESF_lENKUlvE_clEvENKUlvE0_clEvEUlffE_fEEDaPvRmT3_T4_T5_mT6_P12ihipStream_tbENKUlT_T0_E_clISt17integral_constantIbLb1EESV_IbLb0EEEEDaSR_SS_EUlSR_E_NS1_11comp_targetILNS1_3genE10ELNS1_11target_archE1200ELNS1_3gpuE4ELNS1_3repE0EEENS1_30default_config_static_selectorELNS0_4arch9wavefront6targetE0EEEvT1_,"axG",@progbits,_ZN7rocprim17ROCPRIM_400000_NS6detail17trampoline_kernelINS0_14default_configENS1_20scan_config_selectorIfEEZZNS1_9scan_implILNS1_25lookback_scan_determinismE0ELb0ELb0ES3_PKfPffZZZN2at6native31launch_logcumsumexp_cuda_kernelERKNSB_10TensorBaseESF_lENKUlvE_clEvENKUlvE0_clEvEUlffE_fEEDaPvRmT3_T4_T5_mT6_P12ihipStream_tbENKUlT_T0_E_clISt17integral_constantIbLb1EESV_IbLb0EEEEDaSR_SS_EUlSR_E_NS1_11comp_targetILNS1_3genE10ELNS1_11target_archE1200ELNS1_3gpuE4ELNS1_3repE0EEENS1_30default_config_static_selectorELNS0_4arch9wavefront6targetE0EEEvT1_,comdat
.Lfunc_end140:
	.size	_ZN7rocprim17ROCPRIM_400000_NS6detail17trampoline_kernelINS0_14default_configENS1_20scan_config_selectorIfEEZZNS1_9scan_implILNS1_25lookback_scan_determinismE0ELb0ELb0ES3_PKfPffZZZN2at6native31launch_logcumsumexp_cuda_kernelERKNSB_10TensorBaseESF_lENKUlvE_clEvENKUlvE0_clEvEUlffE_fEEDaPvRmT3_T4_T5_mT6_P12ihipStream_tbENKUlT_T0_E_clISt17integral_constantIbLb1EESV_IbLb0EEEEDaSR_SS_EUlSR_E_NS1_11comp_targetILNS1_3genE10ELNS1_11target_archE1200ELNS1_3gpuE4ELNS1_3repE0EEENS1_30default_config_static_selectorELNS0_4arch9wavefront6targetE0EEEvT1_, .Lfunc_end140-_ZN7rocprim17ROCPRIM_400000_NS6detail17trampoline_kernelINS0_14default_configENS1_20scan_config_selectorIfEEZZNS1_9scan_implILNS1_25lookback_scan_determinismE0ELb0ELb0ES3_PKfPffZZZN2at6native31launch_logcumsumexp_cuda_kernelERKNSB_10TensorBaseESF_lENKUlvE_clEvENKUlvE0_clEvEUlffE_fEEDaPvRmT3_T4_T5_mT6_P12ihipStream_tbENKUlT_T0_E_clISt17integral_constantIbLb1EESV_IbLb0EEEEDaSR_SS_EUlSR_E_NS1_11comp_targetILNS1_3genE10ELNS1_11target_archE1200ELNS1_3gpuE4ELNS1_3repE0EEENS1_30default_config_static_selectorELNS0_4arch9wavefront6targetE0EEEvT1_
                                        ; -- End function
	.set _ZN7rocprim17ROCPRIM_400000_NS6detail17trampoline_kernelINS0_14default_configENS1_20scan_config_selectorIfEEZZNS1_9scan_implILNS1_25lookback_scan_determinismE0ELb0ELb0ES3_PKfPffZZZN2at6native31launch_logcumsumexp_cuda_kernelERKNSB_10TensorBaseESF_lENKUlvE_clEvENKUlvE0_clEvEUlffE_fEEDaPvRmT3_T4_T5_mT6_P12ihipStream_tbENKUlT_T0_E_clISt17integral_constantIbLb1EESV_IbLb0EEEEDaSR_SS_EUlSR_E_NS1_11comp_targetILNS1_3genE10ELNS1_11target_archE1200ELNS1_3gpuE4ELNS1_3repE0EEENS1_30default_config_static_selectorELNS0_4arch9wavefront6targetE0EEEvT1_.num_vgpr, 0
	.set _ZN7rocprim17ROCPRIM_400000_NS6detail17trampoline_kernelINS0_14default_configENS1_20scan_config_selectorIfEEZZNS1_9scan_implILNS1_25lookback_scan_determinismE0ELb0ELb0ES3_PKfPffZZZN2at6native31launch_logcumsumexp_cuda_kernelERKNSB_10TensorBaseESF_lENKUlvE_clEvENKUlvE0_clEvEUlffE_fEEDaPvRmT3_T4_T5_mT6_P12ihipStream_tbENKUlT_T0_E_clISt17integral_constantIbLb1EESV_IbLb0EEEEDaSR_SS_EUlSR_E_NS1_11comp_targetILNS1_3genE10ELNS1_11target_archE1200ELNS1_3gpuE4ELNS1_3repE0EEENS1_30default_config_static_selectorELNS0_4arch9wavefront6targetE0EEEvT1_.num_agpr, 0
	.set _ZN7rocprim17ROCPRIM_400000_NS6detail17trampoline_kernelINS0_14default_configENS1_20scan_config_selectorIfEEZZNS1_9scan_implILNS1_25lookback_scan_determinismE0ELb0ELb0ES3_PKfPffZZZN2at6native31launch_logcumsumexp_cuda_kernelERKNSB_10TensorBaseESF_lENKUlvE_clEvENKUlvE0_clEvEUlffE_fEEDaPvRmT3_T4_T5_mT6_P12ihipStream_tbENKUlT_T0_E_clISt17integral_constantIbLb1EESV_IbLb0EEEEDaSR_SS_EUlSR_E_NS1_11comp_targetILNS1_3genE10ELNS1_11target_archE1200ELNS1_3gpuE4ELNS1_3repE0EEENS1_30default_config_static_selectorELNS0_4arch9wavefront6targetE0EEEvT1_.numbered_sgpr, 0
	.set _ZN7rocprim17ROCPRIM_400000_NS6detail17trampoline_kernelINS0_14default_configENS1_20scan_config_selectorIfEEZZNS1_9scan_implILNS1_25lookback_scan_determinismE0ELb0ELb0ES3_PKfPffZZZN2at6native31launch_logcumsumexp_cuda_kernelERKNSB_10TensorBaseESF_lENKUlvE_clEvENKUlvE0_clEvEUlffE_fEEDaPvRmT3_T4_T5_mT6_P12ihipStream_tbENKUlT_T0_E_clISt17integral_constantIbLb1EESV_IbLb0EEEEDaSR_SS_EUlSR_E_NS1_11comp_targetILNS1_3genE10ELNS1_11target_archE1200ELNS1_3gpuE4ELNS1_3repE0EEENS1_30default_config_static_selectorELNS0_4arch9wavefront6targetE0EEEvT1_.num_named_barrier, 0
	.set _ZN7rocprim17ROCPRIM_400000_NS6detail17trampoline_kernelINS0_14default_configENS1_20scan_config_selectorIfEEZZNS1_9scan_implILNS1_25lookback_scan_determinismE0ELb0ELb0ES3_PKfPffZZZN2at6native31launch_logcumsumexp_cuda_kernelERKNSB_10TensorBaseESF_lENKUlvE_clEvENKUlvE0_clEvEUlffE_fEEDaPvRmT3_T4_T5_mT6_P12ihipStream_tbENKUlT_T0_E_clISt17integral_constantIbLb1EESV_IbLb0EEEEDaSR_SS_EUlSR_E_NS1_11comp_targetILNS1_3genE10ELNS1_11target_archE1200ELNS1_3gpuE4ELNS1_3repE0EEENS1_30default_config_static_selectorELNS0_4arch9wavefront6targetE0EEEvT1_.private_seg_size, 0
	.set _ZN7rocprim17ROCPRIM_400000_NS6detail17trampoline_kernelINS0_14default_configENS1_20scan_config_selectorIfEEZZNS1_9scan_implILNS1_25lookback_scan_determinismE0ELb0ELb0ES3_PKfPffZZZN2at6native31launch_logcumsumexp_cuda_kernelERKNSB_10TensorBaseESF_lENKUlvE_clEvENKUlvE0_clEvEUlffE_fEEDaPvRmT3_T4_T5_mT6_P12ihipStream_tbENKUlT_T0_E_clISt17integral_constantIbLb1EESV_IbLb0EEEEDaSR_SS_EUlSR_E_NS1_11comp_targetILNS1_3genE10ELNS1_11target_archE1200ELNS1_3gpuE4ELNS1_3repE0EEENS1_30default_config_static_selectorELNS0_4arch9wavefront6targetE0EEEvT1_.uses_vcc, 0
	.set _ZN7rocprim17ROCPRIM_400000_NS6detail17trampoline_kernelINS0_14default_configENS1_20scan_config_selectorIfEEZZNS1_9scan_implILNS1_25lookback_scan_determinismE0ELb0ELb0ES3_PKfPffZZZN2at6native31launch_logcumsumexp_cuda_kernelERKNSB_10TensorBaseESF_lENKUlvE_clEvENKUlvE0_clEvEUlffE_fEEDaPvRmT3_T4_T5_mT6_P12ihipStream_tbENKUlT_T0_E_clISt17integral_constantIbLb1EESV_IbLb0EEEEDaSR_SS_EUlSR_E_NS1_11comp_targetILNS1_3genE10ELNS1_11target_archE1200ELNS1_3gpuE4ELNS1_3repE0EEENS1_30default_config_static_selectorELNS0_4arch9wavefront6targetE0EEEvT1_.uses_flat_scratch, 0
	.set _ZN7rocprim17ROCPRIM_400000_NS6detail17trampoline_kernelINS0_14default_configENS1_20scan_config_selectorIfEEZZNS1_9scan_implILNS1_25lookback_scan_determinismE0ELb0ELb0ES3_PKfPffZZZN2at6native31launch_logcumsumexp_cuda_kernelERKNSB_10TensorBaseESF_lENKUlvE_clEvENKUlvE0_clEvEUlffE_fEEDaPvRmT3_T4_T5_mT6_P12ihipStream_tbENKUlT_T0_E_clISt17integral_constantIbLb1EESV_IbLb0EEEEDaSR_SS_EUlSR_E_NS1_11comp_targetILNS1_3genE10ELNS1_11target_archE1200ELNS1_3gpuE4ELNS1_3repE0EEENS1_30default_config_static_selectorELNS0_4arch9wavefront6targetE0EEEvT1_.has_dyn_sized_stack, 0
	.set _ZN7rocprim17ROCPRIM_400000_NS6detail17trampoline_kernelINS0_14default_configENS1_20scan_config_selectorIfEEZZNS1_9scan_implILNS1_25lookback_scan_determinismE0ELb0ELb0ES3_PKfPffZZZN2at6native31launch_logcumsumexp_cuda_kernelERKNSB_10TensorBaseESF_lENKUlvE_clEvENKUlvE0_clEvEUlffE_fEEDaPvRmT3_T4_T5_mT6_P12ihipStream_tbENKUlT_T0_E_clISt17integral_constantIbLb1EESV_IbLb0EEEEDaSR_SS_EUlSR_E_NS1_11comp_targetILNS1_3genE10ELNS1_11target_archE1200ELNS1_3gpuE4ELNS1_3repE0EEENS1_30default_config_static_selectorELNS0_4arch9wavefront6targetE0EEEvT1_.has_recursion, 0
	.set _ZN7rocprim17ROCPRIM_400000_NS6detail17trampoline_kernelINS0_14default_configENS1_20scan_config_selectorIfEEZZNS1_9scan_implILNS1_25lookback_scan_determinismE0ELb0ELb0ES3_PKfPffZZZN2at6native31launch_logcumsumexp_cuda_kernelERKNSB_10TensorBaseESF_lENKUlvE_clEvENKUlvE0_clEvEUlffE_fEEDaPvRmT3_T4_T5_mT6_P12ihipStream_tbENKUlT_T0_E_clISt17integral_constantIbLb1EESV_IbLb0EEEEDaSR_SS_EUlSR_E_NS1_11comp_targetILNS1_3genE10ELNS1_11target_archE1200ELNS1_3gpuE4ELNS1_3repE0EEENS1_30default_config_static_selectorELNS0_4arch9wavefront6targetE0EEEvT1_.has_indirect_call, 0
	.section	.AMDGPU.csdata,"",@progbits
; Kernel info:
; codeLenInByte = 0
; TotalNumSgprs: 0
; NumVgprs: 0
; ScratchSize: 0
; MemoryBound: 0
; FloatMode: 240
; IeeeMode: 1
; LDSByteSize: 0 bytes/workgroup (compile time only)
; SGPRBlocks: 0
; VGPRBlocks: 0
; NumSGPRsForWavesPerEU: 1
; NumVGPRsForWavesPerEU: 1
; Occupancy: 16
; WaveLimiterHint : 0
; COMPUTE_PGM_RSRC2:SCRATCH_EN: 0
; COMPUTE_PGM_RSRC2:USER_SGPR: 2
; COMPUTE_PGM_RSRC2:TRAP_HANDLER: 0
; COMPUTE_PGM_RSRC2:TGID_X_EN: 1
; COMPUTE_PGM_RSRC2:TGID_Y_EN: 0
; COMPUTE_PGM_RSRC2:TGID_Z_EN: 0
; COMPUTE_PGM_RSRC2:TIDIG_COMP_CNT: 0
	.section	.text._ZN7rocprim17ROCPRIM_400000_NS6detail17trampoline_kernelINS0_14default_configENS1_20scan_config_selectorIfEEZZNS1_9scan_implILNS1_25lookback_scan_determinismE0ELb0ELb0ES3_PKfPffZZZN2at6native31launch_logcumsumexp_cuda_kernelERKNSB_10TensorBaseESF_lENKUlvE_clEvENKUlvE0_clEvEUlffE_fEEDaPvRmT3_T4_T5_mT6_P12ihipStream_tbENKUlT_T0_E_clISt17integral_constantIbLb1EESV_IbLb0EEEEDaSR_SS_EUlSR_E_NS1_11comp_targetILNS1_3genE9ELNS1_11target_archE1100ELNS1_3gpuE3ELNS1_3repE0EEENS1_30default_config_static_selectorELNS0_4arch9wavefront6targetE0EEEvT1_,"axG",@progbits,_ZN7rocprim17ROCPRIM_400000_NS6detail17trampoline_kernelINS0_14default_configENS1_20scan_config_selectorIfEEZZNS1_9scan_implILNS1_25lookback_scan_determinismE0ELb0ELb0ES3_PKfPffZZZN2at6native31launch_logcumsumexp_cuda_kernelERKNSB_10TensorBaseESF_lENKUlvE_clEvENKUlvE0_clEvEUlffE_fEEDaPvRmT3_T4_T5_mT6_P12ihipStream_tbENKUlT_T0_E_clISt17integral_constantIbLb1EESV_IbLb0EEEEDaSR_SS_EUlSR_E_NS1_11comp_targetILNS1_3genE9ELNS1_11target_archE1100ELNS1_3gpuE3ELNS1_3repE0EEENS1_30default_config_static_selectorELNS0_4arch9wavefront6targetE0EEEvT1_,comdat
	.globl	_ZN7rocprim17ROCPRIM_400000_NS6detail17trampoline_kernelINS0_14default_configENS1_20scan_config_selectorIfEEZZNS1_9scan_implILNS1_25lookback_scan_determinismE0ELb0ELb0ES3_PKfPffZZZN2at6native31launch_logcumsumexp_cuda_kernelERKNSB_10TensorBaseESF_lENKUlvE_clEvENKUlvE0_clEvEUlffE_fEEDaPvRmT3_T4_T5_mT6_P12ihipStream_tbENKUlT_T0_E_clISt17integral_constantIbLb1EESV_IbLb0EEEEDaSR_SS_EUlSR_E_NS1_11comp_targetILNS1_3genE9ELNS1_11target_archE1100ELNS1_3gpuE3ELNS1_3repE0EEENS1_30default_config_static_selectorELNS0_4arch9wavefront6targetE0EEEvT1_ ; -- Begin function _ZN7rocprim17ROCPRIM_400000_NS6detail17trampoline_kernelINS0_14default_configENS1_20scan_config_selectorIfEEZZNS1_9scan_implILNS1_25lookback_scan_determinismE0ELb0ELb0ES3_PKfPffZZZN2at6native31launch_logcumsumexp_cuda_kernelERKNSB_10TensorBaseESF_lENKUlvE_clEvENKUlvE0_clEvEUlffE_fEEDaPvRmT3_T4_T5_mT6_P12ihipStream_tbENKUlT_T0_E_clISt17integral_constantIbLb1EESV_IbLb0EEEEDaSR_SS_EUlSR_E_NS1_11comp_targetILNS1_3genE9ELNS1_11target_archE1100ELNS1_3gpuE3ELNS1_3repE0EEENS1_30default_config_static_selectorELNS0_4arch9wavefront6targetE0EEEvT1_
	.p2align	8
	.type	_ZN7rocprim17ROCPRIM_400000_NS6detail17trampoline_kernelINS0_14default_configENS1_20scan_config_selectorIfEEZZNS1_9scan_implILNS1_25lookback_scan_determinismE0ELb0ELb0ES3_PKfPffZZZN2at6native31launch_logcumsumexp_cuda_kernelERKNSB_10TensorBaseESF_lENKUlvE_clEvENKUlvE0_clEvEUlffE_fEEDaPvRmT3_T4_T5_mT6_P12ihipStream_tbENKUlT_T0_E_clISt17integral_constantIbLb1EESV_IbLb0EEEEDaSR_SS_EUlSR_E_NS1_11comp_targetILNS1_3genE9ELNS1_11target_archE1100ELNS1_3gpuE3ELNS1_3repE0EEENS1_30default_config_static_selectorELNS0_4arch9wavefront6targetE0EEEvT1_,@function
_ZN7rocprim17ROCPRIM_400000_NS6detail17trampoline_kernelINS0_14default_configENS1_20scan_config_selectorIfEEZZNS1_9scan_implILNS1_25lookback_scan_determinismE0ELb0ELb0ES3_PKfPffZZZN2at6native31launch_logcumsumexp_cuda_kernelERKNSB_10TensorBaseESF_lENKUlvE_clEvENKUlvE0_clEvEUlffE_fEEDaPvRmT3_T4_T5_mT6_P12ihipStream_tbENKUlT_T0_E_clISt17integral_constantIbLb1EESV_IbLb0EEEEDaSR_SS_EUlSR_E_NS1_11comp_targetILNS1_3genE9ELNS1_11target_archE1100ELNS1_3gpuE3ELNS1_3repE0EEENS1_30default_config_static_selectorELNS0_4arch9wavefront6targetE0EEEvT1_: ; @_ZN7rocprim17ROCPRIM_400000_NS6detail17trampoline_kernelINS0_14default_configENS1_20scan_config_selectorIfEEZZNS1_9scan_implILNS1_25lookback_scan_determinismE0ELb0ELb0ES3_PKfPffZZZN2at6native31launch_logcumsumexp_cuda_kernelERKNSB_10TensorBaseESF_lENKUlvE_clEvENKUlvE0_clEvEUlffE_fEEDaPvRmT3_T4_T5_mT6_P12ihipStream_tbENKUlT_T0_E_clISt17integral_constantIbLb1EESV_IbLb0EEEEDaSR_SS_EUlSR_E_NS1_11comp_targetILNS1_3genE9ELNS1_11target_archE1100ELNS1_3gpuE3ELNS1_3repE0EEENS1_30default_config_static_selectorELNS0_4arch9wavefront6targetE0EEEvT1_
; %bb.0:
	.section	.rodata,"a",@progbits
	.p2align	6, 0x0
	.amdhsa_kernel _ZN7rocprim17ROCPRIM_400000_NS6detail17trampoline_kernelINS0_14default_configENS1_20scan_config_selectorIfEEZZNS1_9scan_implILNS1_25lookback_scan_determinismE0ELb0ELb0ES3_PKfPffZZZN2at6native31launch_logcumsumexp_cuda_kernelERKNSB_10TensorBaseESF_lENKUlvE_clEvENKUlvE0_clEvEUlffE_fEEDaPvRmT3_T4_T5_mT6_P12ihipStream_tbENKUlT_T0_E_clISt17integral_constantIbLb1EESV_IbLb0EEEEDaSR_SS_EUlSR_E_NS1_11comp_targetILNS1_3genE9ELNS1_11target_archE1100ELNS1_3gpuE3ELNS1_3repE0EEENS1_30default_config_static_selectorELNS0_4arch9wavefront6targetE0EEEvT1_
		.amdhsa_group_segment_fixed_size 0
		.amdhsa_private_segment_fixed_size 0
		.amdhsa_kernarg_size 96
		.amdhsa_user_sgpr_count 2
		.amdhsa_user_sgpr_dispatch_ptr 0
		.amdhsa_user_sgpr_queue_ptr 0
		.amdhsa_user_sgpr_kernarg_segment_ptr 1
		.amdhsa_user_sgpr_dispatch_id 0
		.amdhsa_user_sgpr_private_segment_size 0
		.amdhsa_wavefront_size32 1
		.amdhsa_uses_dynamic_stack 0
		.amdhsa_enable_private_segment 0
		.amdhsa_system_sgpr_workgroup_id_x 1
		.amdhsa_system_sgpr_workgroup_id_y 0
		.amdhsa_system_sgpr_workgroup_id_z 0
		.amdhsa_system_sgpr_workgroup_info 0
		.amdhsa_system_vgpr_workitem_id 0
		.amdhsa_next_free_vgpr 1
		.amdhsa_next_free_sgpr 1
		.amdhsa_reserve_vcc 0
		.amdhsa_float_round_mode_32 0
		.amdhsa_float_round_mode_16_64 0
		.amdhsa_float_denorm_mode_32 3
		.amdhsa_float_denorm_mode_16_64 3
		.amdhsa_fp16_overflow 0
		.amdhsa_workgroup_processor_mode 1
		.amdhsa_memory_ordered 1
		.amdhsa_forward_progress 1
		.amdhsa_inst_pref_size 0
		.amdhsa_round_robin_scheduling 0
		.amdhsa_exception_fp_ieee_invalid_op 0
		.amdhsa_exception_fp_denorm_src 0
		.amdhsa_exception_fp_ieee_div_zero 0
		.amdhsa_exception_fp_ieee_overflow 0
		.amdhsa_exception_fp_ieee_underflow 0
		.amdhsa_exception_fp_ieee_inexact 0
		.amdhsa_exception_int_div_zero 0
	.end_amdhsa_kernel
	.section	.text._ZN7rocprim17ROCPRIM_400000_NS6detail17trampoline_kernelINS0_14default_configENS1_20scan_config_selectorIfEEZZNS1_9scan_implILNS1_25lookback_scan_determinismE0ELb0ELb0ES3_PKfPffZZZN2at6native31launch_logcumsumexp_cuda_kernelERKNSB_10TensorBaseESF_lENKUlvE_clEvENKUlvE0_clEvEUlffE_fEEDaPvRmT3_T4_T5_mT6_P12ihipStream_tbENKUlT_T0_E_clISt17integral_constantIbLb1EESV_IbLb0EEEEDaSR_SS_EUlSR_E_NS1_11comp_targetILNS1_3genE9ELNS1_11target_archE1100ELNS1_3gpuE3ELNS1_3repE0EEENS1_30default_config_static_selectorELNS0_4arch9wavefront6targetE0EEEvT1_,"axG",@progbits,_ZN7rocprim17ROCPRIM_400000_NS6detail17trampoline_kernelINS0_14default_configENS1_20scan_config_selectorIfEEZZNS1_9scan_implILNS1_25lookback_scan_determinismE0ELb0ELb0ES3_PKfPffZZZN2at6native31launch_logcumsumexp_cuda_kernelERKNSB_10TensorBaseESF_lENKUlvE_clEvENKUlvE0_clEvEUlffE_fEEDaPvRmT3_T4_T5_mT6_P12ihipStream_tbENKUlT_T0_E_clISt17integral_constantIbLb1EESV_IbLb0EEEEDaSR_SS_EUlSR_E_NS1_11comp_targetILNS1_3genE9ELNS1_11target_archE1100ELNS1_3gpuE3ELNS1_3repE0EEENS1_30default_config_static_selectorELNS0_4arch9wavefront6targetE0EEEvT1_,comdat
.Lfunc_end141:
	.size	_ZN7rocprim17ROCPRIM_400000_NS6detail17trampoline_kernelINS0_14default_configENS1_20scan_config_selectorIfEEZZNS1_9scan_implILNS1_25lookback_scan_determinismE0ELb0ELb0ES3_PKfPffZZZN2at6native31launch_logcumsumexp_cuda_kernelERKNSB_10TensorBaseESF_lENKUlvE_clEvENKUlvE0_clEvEUlffE_fEEDaPvRmT3_T4_T5_mT6_P12ihipStream_tbENKUlT_T0_E_clISt17integral_constantIbLb1EESV_IbLb0EEEEDaSR_SS_EUlSR_E_NS1_11comp_targetILNS1_3genE9ELNS1_11target_archE1100ELNS1_3gpuE3ELNS1_3repE0EEENS1_30default_config_static_selectorELNS0_4arch9wavefront6targetE0EEEvT1_, .Lfunc_end141-_ZN7rocprim17ROCPRIM_400000_NS6detail17trampoline_kernelINS0_14default_configENS1_20scan_config_selectorIfEEZZNS1_9scan_implILNS1_25lookback_scan_determinismE0ELb0ELb0ES3_PKfPffZZZN2at6native31launch_logcumsumexp_cuda_kernelERKNSB_10TensorBaseESF_lENKUlvE_clEvENKUlvE0_clEvEUlffE_fEEDaPvRmT3_T4_T5_mT6_P12ihipStream_tbENKUlT_T0_E_clISt17integral_constantIbLb1EESV_IbLb0EEEEDaSR_SS_EUlSR_E_NS1_11comp_targetILNS1_3genE9ELNS1_11target_archE1100ELNS1_3gpuE3ELNS1_3repE0EEENS1_30default_config_static_selectorELNS0_4arch9wavefront6targetE0EEEvT1_
                                        ; -- End function
	.set _ZN7rocprim17ROCPRIM_400000_NS6detail17trampoline_kernelINS0_14default_configENS1_20scan_config_selectorIfEEZZNS1_9scan_implILNS1_25lookback_scan_determinismE0ELb0ELb0ES3_PKfPffZZZN2at6native31launch_logcumsumexp_cuda_kernelERKNSB_10TensorBaseESF_lENKUlvE_clEvENKUlvE0_clEvEUlffE_fEEDaPvRmT3_T4_T5_mT6_P12ihipStream_tbENKUlT_T0_E_clISt17integral_constantIbLb1EESV_IbLb0EEEEDaSR_SS_EUlSR_E_NS1_11comp_targetILNS1_3genE9ELNS1_11target_archE1100ELNS1_3gpuE3ELNS1_3repE0EEENS1_30default_config_static_selectorELNS0_4arch9wavefront6targetE0EEEvT1_.num_vgpr, 0
	.set _ZN7rocprim17ROCPRIM_400000_NS6detail17trampoline_kernelINS0_14default_configENS1_20scan_config_selectorIfEEZZNS1_9scan_implILNS1_25lookback_scan_determinismE0ELb0ELb0ES3_PKfPffZZZN2at6native31launch_logcumsumexp_cuda_kernelERKNSB_10TensorBaseESF_lENKUlvE_clEvENKUlvE0_clEvEUlffE_fEEDaPvRmT3_T4_T5_mT6_P12ihipStream_tbENKUlT_T0_E_clISt17integral_constantIbLb1EESV_IbLb0EEEEDaSR_SS_EUlSR_E_NS1_11comp_targetILNS1_3genE9ELNS1_11target_archE1100ELNS1_3gpuE3ELNS1_3repE0EEENS1_30default_config_static_selectorELNS0_4arch9wavefront6targetE0EEEvT1_.num_agpr, 0
	.set _ZN7rocprim17ROCPRIM_400000_NS6detail17trampoline_kernelINS0_14default_configENS1_20scan_config_selectorIfEEZZNS1_9scan_implILNS1_25lookback_scan_determinismE0ELb0ELb0ES3_PKfPffZZZN2at6native31launch_logcumsumexp_cuda_kernelERKNSB_10TensorBaseESF_lENKUlvE_clEvENKUlvE0_clEvEUlffE_fEEDaPvRmT3_T4_T5_mT6_P12ihipStream_tbENKUlT_T0_E_clISt17integral_constantIbLb1EESV_IbLb0EEEEDaSR_SS_EUlSR_E_NS1_11comp_targetILNS1_3genE9ELNS1_11target_archE1100ELNS1_3gpuE3ELNS1_3repE0EEENS1_30default_config_static_selectorELNS0_4arch9wavefront6targetE0EEEvT1_.numbered_sgpr, 0
	.set _ZN7rocprim17ROCPRIM_400000_NS6detail17trampoline_kernelINS0_14default_configENS1_20scan_config_selectorIfEEZZNS1_9scan_implILNS1_25lookback_scan_determinismE0ELb0ELb0ES3_PKfPffZZZN2at6native31launch_logcumsumexp_cuda_kernelERKNSB_10TensorBaseESF_lENKUlvE_clEvENKUlvE0_clEvEUlffE_fEEDaPvRmT3_T4_T5_mT6_P12ihipStream_tbENKUlT_T0_E_clISt17integral_constantIbLb1EESV_IbLb0EEEEDaSR_SS_EUlSR_E_NS1_11comp_targetILNS1_3genE9ELNS1_11target_archE1100ELNS1_3gpuE3ELNS1_3repE0EEENS1_30default_config_static_selectorELNS0_4arch9wavefront6targetE0EEEvT1_.num_named_barrier, 0
	.set _ZN7rocprim17ROCPRIM_400000_NS6detail17trampoline_kernelINS0_14default_configENS1_20scan_config_selectorIfEEZZNS1_9scan_implILNS1_25lookback_scan_determinismE0ELb0ELb0ES3_PKfPffZZZN2at6native31launch_logcumsumexp_cuda_kernelERKNSB_10TensorBaseESF_lENKUlvE_clEvENKUlvE0_clEvEUlffE_fEEDaPvRmT3_T4_T5_mT6_P12ihipStream_tbENKUlT_T0_E_clISt17integral_constantIbLb1EESV_IbLb0EEEEDaSR_SS_EUlSR_E_NS1_11comp_targetILNS1_3genE9ELNS1_11target_archE1100ELNS1_3gpuE3ELNS1_3repE0EEENS1_30default_config_static_selectorELNS0_4arch9wavefront6targetE0EEEvT1_.private_seg_size, 0
	.set _ZN7rocprim17ROCPRIM_400000_NS6detail17trampoline_kernelINS0_14default_configENS1_20scan_config_selectorIfEEZZNS1_9scan_implILNS1_25lookback_scan_determinismE0ELb0ELb0ES3_PKfPffZZZN2at6native31launch_logcumsumexp_cuda_kernelERKNSB_10TensorBaseESF_lENKUlvE_clEvENKUlvE0_clEvEUlffE_fEEDaPvRmT3_T4_T5_mT6_P12ihipStream_tbENKUlT_T0_E_clISt17integral_constantIbLb1EESV_IbLb0EEEEDaSR_SS_EUlSR_E_NS1_11comp_targetILNS1_3genE9ELNS1_11target_archE1100ELNS1_3gpuE3ELNS1_3repE0EEENS1_30default_config_static_selectorELNS0_4arch9wavefront6targetE0EEEvT1_.uses_vcc, 0
	.set _ZN7rocprim17ROCPRIM_400000_NS6detail17trampoline_kernelINS0_14default_configENS1_20scan_config_selectorIfEEZZNS1_9scan_implILNS1_25lookback_scan_determinismE0ELb0ELb0ES3_PKfPffZZZN2at6native31launch_logcumsumexp_cuda_kernelERKNSB_10TensorBaseESF_lENKUlvE_clEvENKUlvE0_clEvEUlffE_fEEDaPvRmT3_T4_T5_mT6_P12ihipStream_tbENKUlT_T0_E_clISt17integral_constantIbLb1EESV_IbLb0EEEEDaSR_SS_EUlSR_E_NS1_11comp_targetILNS1_3genE9ELNS1_11target_archE1100ELNS1_3gpuE3ELNS1_3repE0EEENS1_30default_config_static_selectorELNS0_4arch9wavefront6targetE0EEEvT1_.uses_flat_scratch, 0
	.set _ZN7rocprim17ROCPRIM_400000_NS6detail17trampoline_kernelINS0_14default_configENS1_20scan_config_selectorIfEEZZNS1_9scan_implILNS1_25lookback_scan_determinismE0ELb0ELb0ES3_PKfPffZZZN2at6native31launch_logcumsumexp_cuda_kernelERKNSB_10TensorBaseESF_lENKUlvE_clEvENKUlvE0_clEvEUlffE_fEEDaPvRmT3_T4_T5_mT6_P12ihipStream_tbENKUlT_T0_E_clISt17integral_constantIbLb1EESV_IbLb0EEEEDaSR_SS_EUlSR_E_NS1_11comp_targetILNS1_3genE9ELNS1_11target_archE1100ELNS1_3gpuE3ELNS1_3repE0EEENS1_30default_config_static_selectorELNS0_4arch9wavefront6targetE0EEEvT1_.has_dyn_sized_stack, 0
	.set _ZN7rocprim17ROCPRIM_400000_NS6detail17trampoline_kernelINS0_14default_configENS1_20scan_config_selectorIfEEZZNS1_9scan_implILNS1_25lookback_scan_determinismE0ELb0ELb0ES3_PKfPffZZZN2at6native31launch_logcumsumexp_cuda_kernelERKNSB_10TensorBaseESF_lENKUlvE_clEvENKUlvE0_clEvEUlffE_fEEDaPvRmT3_T4_T5_mT6_P12ihipStream_tbENKUlT_T0_E_clISt17integral_constantIbLb1EESV_IbLb0EEEEDaSR_SS_EUlSR_E_NS1_11comp_targetILNS1_3genE9ELNS1_11target_archE1100ELNS1_3gpuE3ELNS1_3repE0EEENS1_30default_config_static_selectorELNS0_4arch9wavefront6targetE0EEEvT1_.has_recursion, 0
	.set _ZN7rocprim17ROCPRIM_400000_NS6detail17trampoline_kernelINS0_14default_configENS1_20scan_config_selectorIfEEZZNS1_9scan_implILNS1_25lookback_scan_determinismE0ELb0ELb0ES3_PKfPffZZZN2at6native31launch_logcumsumexp_cuda_kernelERKNSB_10TensorBaseESF_lENKUlvE_clEvENKUlvE0_clEvEUlffE_fEEDaPvRmT3_T4_T5_mT6_P12ihipStream_tbENKUlT_T0_E_clISt17integral_constantIbLb1EESV_IbLb0EEEEDaSR_SS_EUlSR_E_NS1_11comp_targetILNS1_3genE9ELNS1_11target_archE1100ELNS1_3gpuE3ELNS1_3repE0EEENS1_30default_config_static_selectorELNS0_4arch9wavefront6targetE0EEEvT1_.has_indirect_call, 0
	.section	.AMDGPU.csdata,"",@progbits
; Kernel info:
; codeLenInByte = 0
; TotalNumSgprs: 0
; NumVgprs: 0
; ScratchSize: 0
; MemoryBound: 0
; FloatMode: 240
; IeeeMode: 1
; LDSByteSize: 0 bytes/workgroup (compile time only)
; SGPRBlocks: 0
; VGPRBlocks: 0
; NumSGPRsForWavesPerEU: 1
; NumVGPRsForWavesPerEU: 1
; Occupancy: 16
; WaveLimiterHint : 0
; COMPUTE_PGM_RSRC2:SCRATCH_EN: 0
; COMPUTE_PGM_RSRC2:USER_SGPR: 2
; COMPUTE_PGM_RSRC2:TRAP_HANDLER: 0
; COMPUTE_PGM_RSRC2:TGID_X_EN: 1
; COMPUTE_PGM_RSRC2:TGID_Y_EN: 0
; COMPUTE_PGM_RSRC2:TGID_Z_EN: 0
; COMPUTE_PGM_RSRC2:TIDIG_COMP_CNT: 0
	.section	.text._ZN7rocprim17ROCPRIM_400000_NS6detail17trampoline_kernelINS0_14default_configENS1_20scan_config_selectorIfEEZZNS1_9scan_implILNS1_25lookback_scan_determinismE0ELb0ELb0ES3_PKfPffZZZN2at6native31launch_logcumsumexp_cuda_kernelERKNSB_10TensorBaseESF_lENKUlvE_clEvENKUlvE0_clEvEUlffE_fEEDaPvRmT3_T4_T5_mT6_P12ihipStream_tbENKUlT_T0_E_clISt17integral_constantIbLb1EESV_IbLb0EEEEDaSR_SS_EUlSR_E_NS1_11comp_targetILNS1_3genE8ELNS1_11target_archE1030ELNS1_3gpuE2ELNS1_3repE0EEENS1_30default_config_static_selectorELNS0_4arch9wavefront6targetE0EEEvT1_,"axG",@progbits,_ZN7rocprim17ROCPRIM_400000_NS6detail17trampoline_kernelINS0_14default_configENS1_20scan_config_selectorIfEEZZNS1_9scan_implILNS1_25lookback_scan_determinismE0ELb0ELb0ES3_PKfPffZZZN2at6native31launch_logcumsumexp_cuda_kernelERKNSB_10TensorBaseESF_lENKUlvE_clEvENKUlvE0_clEvEUlffE_fEEDaPvRmT3_T4_T5_mT6_P12ihipStream_tbENKUlT_T0_E_clISt17integral_constantIbLb1EESV_IbLb0EEEEDaSR_SS_EUlSR_E_NS1_11comp_targetILNS1_3genE8ELNS1_11target_archE1030ELNS1_3gpuE2ELNS1_3repE0EEENS1_30default_config_static_selectorELNS0_4arch9wavefront6targetE0EEEvT1_,comdat
	.globl	_ZN7rocprim17ROCPRIM_400000_NS6detail17trampoline_kernelINS0_14default_configENS1_20scan_config_selectorIfEEZZNS1_9scan_implILNS1_25lookback_scan_determinismE0ELb0ELb0ES3_PKfPffZZZN2at6native31launch_logcumsumexp_cuda_kernelERKNSB_10TensorBaseESF_lENKUlvE_clEvENKUlvE0_clEvEUlffE_fEEDaPvRmT3_T4_T5_mT6_P12ihipStream_tbENKUlT_T0_E_clISt17integral_constantIbLb1EESV_IbLb0EEEEDaSR_SS_EUlSR_E_NS1_11comp_targetILNS1_3genE8ELNS1_11target_archE1030ELNS1_3gpuE2ELNS1_3repE0EEENS1_30default_config_static_selectorELNS0_4arch9wavefront6targetE0EEEvT1_ ; -- Begin function _ZN7rocprim17ROCPRIM_400000_NS6detail17trampoline_kernelINS0_14default_configENS1_20scan_config_selectorIfEEZZNS1_9scan_implILNS1_25lookback_scan_determinismE0ELb0ELb0ES3_PKfPffZZZN2at6native31launch_logcumsumexp_cuda_kernelERKNSB_10TensorBaseESF_lENKUlvE_clEvENKUlvE0_clEvEUlffE_fEEDaPvRmT3_T4_T5_mT6_P12ihipStream_tbENKUlT_T0_E_clISt17integral_constantIbLb1EESV_IbLb0EEEEDaSR_SS_EUlSR_E_NS1_11comp_targetILNS1_3genE8ELNS1_11target_archE1030ELNS1_3gpuE2ELNS1_3repE0EEENS1_30default_config_static_selectorELNS0_4arch9wavefront6targetE0EEEvT1_
	.p2align	8
	.type	_ZN7rocprim17ROCPRIM_400000_NS6detail17trampoline_kernelINS0_14default_configENS1_20scan_config_selectorIfEEZZNS1_9scan_implILNS1_25lookback_scan_determinismE0ELb0ELb0ES3_PKfPffZZZN2at6native31launch_logcumsumexp_cuda_kernelERKNSB_10TensorBaseESF_lENKUlvE_clEvENKUlvE0_clEvEUlffE_fEEDaPvRmT3_T4_T5_mT6_P12ihipStream_tbENKUlT_T0_E_clISt17integral_constantIbLb1EESV_IbLb0EEEEDaSR_SS_EUlSR_E_NS1_11comp_targetILNS1_3genE8ELNS1_11target_archE1030ELNS1_3gpuE2ELNS1_3repE0EEENS1_30default_config_static_selectorELNS0_4arch9wavefront6targetE0EEEvT1_,@function
_ZN7rocprim17ROCPRIM_400000_NS6detail17trampoline_kernelINS0_14default_configENS1_20scan_config_selectorIfEEZZNS1_9scan_implILNS1_25lookback_scan_determinismE0ELb0ELb0ES3_PKfPffZZZN2at6native31launch_logcumsumexp_cuda_kernelERKNSB_10TensorBaseESF_lENKUlvE_clEvENKUlvE0_clEvEUlffE_fEEDaPvRmT3_T4_T5_mT6_P12ihipStream_tbENKUlT_T0_E_clISt17integral_constantIbLb1EESV_IbLb0EEEEDaSR_SS_EUlSR_E_NS1_11comp_targetILNS1_3genE8ELNS1_11target_archE1030ELNS1_3gpuE2ELNS1_3repE0EEENS1_30default_config_static_selectorELNS0_4arch9wavefront6targetE0EEEvT1_: ; @_ZN7rocprim17ROCPRIM_400000_NS6detail17trampoline_kernelINS0_14default_configENS1_20scan_config_selectorIfEEZZNS1_9scan_implILNS1_25lookback_scan_determinismE0ELb0ELb0ES3_PKfPffZZZN2at6native31launch_logcumsumexp_cuda_kernelERKNSB_10TensorBaseESF_lENKUlvE_clEvENKUlvE0_clEvEUlffE_fEEDaPvRmT3_T4_T5_mT6_P12ihipStream_tbENKUlT_T0_E_clISt17integral_constantIbLb1EESV_IbLb0EEEEDaSR_SS_EUlSR_E_NS1_11comp_targetILNS1_3genE8ELNS1_11target_archE1030ELNS1_3gpuE2ELNS1_3repE0EEENS1_30default_config_static_selectorELNS0_4arch9wavefront6targetE0EEEvT1_
; %bb.0:
	.section	.rodata,"a",@progbits
	.p2align	6, 0x0
	.amdhsa_kernel _ZN7rocprim17ROCPRIM_400000_NS6detail17trampoline_kernelINS0_14default_configENS1_20scan_config_selectorIfEEZZNS1_9scan_implILNS1_25lookback_scan_determinismE0ELb0ELb0ES3_PKfPffZZZN2at6native31launch_logcumsumexp_cuda_kernelERKNSB_10TensorBaseESF_lENKUlvE_clEvENKUlvE0_clEvEUlffE_fEEDaPvRmT3_T4_T5_mT6_P12ihipStream_tbENKUlT_T0_E_clISt17integral_constantIbLb1EESV_IbLb0EEEEDaSR_SS_EUlSR_E_NS1_11comp_targetILNS1_3genE8ELNS1_11target_archE1030ELNS1_3gpuE2ELNS1_3repE0EEENS1_30default_config_static_selectorELNS0_4arch9wavefront6targetE0EEEvT1_
		.amdhsa_group_segment_fixed_size 0
		.amdhsa_private_segment_fixed_size 0
		.amdhsa_kernarg_size 96
		.amdhsa_user_sgpr_count 2
		.amdhsa_user_sgpr_dispatch_ptr 0
		.amdhsa_user_sgpr_queue_ptr 0
		.amdhsa_user_sgpr_kernarg_segment_ptr 1
		.amdhsa_user_sgpr_dispatch_id 0
		.amdhsa_user_sgpr_private_segment_size 0
		.amdhsa_wavefront_size32 1
		.amdhsa_uses_dynamic_stack 0
		.amdhsa_enable_private_segment 0
		.amdhsa_system_sgpr_workgroup_id_x 1
		.amdhsa_system_sgpr_workgroup_id_y 0
		.amdhsa_system_sgpr_workgroup_id_z 0
		.amdhsa_system_sgpr_workgroup_info 0
		.amdhsa_system_vgpr_workitem_id 0
		.amdhsa_next_free_vgpr 1
		.amdhsa_next_free_sgpr 1
		.amdhsa_reserve_vcc 0
		.amdhsa_float_round_mode_32 0
		.amdhsa_float_round_mode_16_64 0
		.amdhsa_float_denorm_mode_32 3
		.amdhsa_float_denorm_mode_16_64 3
		.amdhsa_fp16_overflow 0
		.amdhsa_workgroup_processor_mode 1
		.amdhsa_memory_ordered 1
		.amdhsa_forward_progress 1
		.amdhsa_inst_pref_size 0
		.amdhsa_round_robin_scheduling 0
		.amdhsa_exception_fp_ieee_invalid_op 0
		.amdhsa_exception_fp_denorm_src 0
		.amdhsa_exception_fp_ieee_div_zero 0
		.amdhsa_exception_fp_ieee_overflow 0
		.amdhsa_exception_fp_ieee_underflow 0
		.amdhsa_exception_fp_ieee_inexact 0
		.amdhsa_exception_int_div_zero 0
	.end_amdhsa_kernel
	.section	.text._ZN7rocprim17ROCPRIM_400000_NS6detail17trampoline_kernelINS0_14default_configENS1_20scan_config_selectorIfEEZZNS1_9scan_implILNS1_25lookback_scan_determinismE0ELb0ELb0ES3_PKfPffZZZN2at6native31launch_logcumsumexp_cuda_kernelERKNSB_10TensorBaseESF_lENKUlvE_clEvENKUlvE0_clEvEUlffE_fEEDaPvRmT3_T4_T5_mT6_P12ihipStream_tbENKUlT_T0_E_clISt17integral_constantIbLb1EESV_IbLb0EEEEDaSR_SS_EUlSR_E_NS1_11comp_targetILNS1_3genE8ELNS1_11target_archE1030ELNS1_3gpuE2ELNS1_3repE0EEENS1_30default_config_static_selectorELNS0_4arch9wavefront6targetE0EEEvT1_,"axG",@progbits,_ZN7rocprim17ROCPRIM_400000_NS6detail17trampoline_kernelINS0_14default_configENS1_20scan_config_selectorIfEEZZNS1_9scan_implILNS1_25lookback_scan_determinismE0ELb0ELb0ES3_PKfPffZZZN2at6native31launch_logcumsumexp_cuda_kernelERKNSB_10TensorBaseESF_lENKUlvE_clEvENKUlvE0_clEvEUlffE_fEEDaPvRmT3_T4_T5_mT6_P12ihipStream_tbENKUlT_T0_E_clISt17integral_constantIbLb1EESV_IbLb0EEEEDaSR_SS_EUlSR_E_NS1_11comp_targetILNS1_3genE8ELNS1_11target_archE1030ELNS1_3gpuE2ELNS1_3repE0EEENS1_30default_config_static_selectorELNS0_4arch9wavefront6targetE0EEEvT1_,comdat
.Lfunc_end142:
	.size	_ZN7rocprim17ROCPRIM_400000_NS6detail17trampoline_kernelINS0_14default_configENS1_20scan_config_selectorIfEEZZNS1_9scan_implILNS1_25lookback_scan_determinismE0ELb0ELb0ES3_PKfPffZZZN2at6native31launch_logcumsumexp_cuda_kernelERKNSB_10TensorBaseESF_lENKUlvE_clEvENKUlvE0_clEvEUlffE_fEEDaPvRmT3_T4_T5_mT6_P12ihipStream_tbENKUlT_T0_E_clISt17integral_constantIbLb1EESV_IbLb0EEEEDaSR_SS_EUlSR_E_NS1_11comp_targetILNS1_3genE8ELNS1_11target_archE1030ELNS1_3gpuE2ELNS1_3repE0EEENS1_30default_config_static_selectorELNS0_4arch9wavefront6targetE0EEEvT1_, .Lfunc_end142-_ZN7rocprim17ROCPRIM_400000_NS6detail17trampoline_kernelINS0_14default_configENS1_20scan_config_selectorIfEEZZNS1_9scan_implILNS1_25lookback_scan_determinismE0ELb0ELb0ES3_PKfPffZZZN2at6native31launch_logcumsumexp_cuda_kernelERKNSB_10TensorBaseESF_lENKUlvE_clEvENKUlvE0_clEvEUlffE_fEEDaPvRmT3_T4_T5_mT6_P12ihipStream_tbENKUlT_T0_E_clISt17integral_constantIbLb1EESV_IbLb0EEEEDaSR_SS_EUlSR_E_NS1_11comp_targetILNS1_3genE8ELNS1_11target_archE1030ELNS1_3gpuE2ELNS1_3repE0EEENS1_30default_config_static_selectorELNS0_4arch9wavefront6targetE0EEEvT1_
                                        ; -- End function
	.set _ZN7rocprim17ROCPRIM_400000_NS6detail17trampoline_kernelINS0_14default_configENS1_20scan_config_selectorIfEEZZNS1_9scan_implILNS1_25lookback_scan_determinismE0ELb0ELb0ES3_PKfPffZZZN2at6native31launch_logcumsumexp_cuda_kernelERKNSB_10TensorBaseESF_lENKUlvE_clEvENKUlvE0_clEvEUlffE_fEEDaPvRmT3_T4_T5_mT6_P12ihipStream_tbENKUlT_T0_E_clISt17integral_constantIbLb1EESV_IbLb0EEEEDaSR_SS_EUlSR_E_NS1_11comp_targetILNS1_3genE8ELNS1_11target_archE1030ELNS1_3gpuE2ELNS1_3repE0EEENS1_30default_config_static_selectorELNS0_4arch9wavefront6targetE0EEEvT1_.num_vgpr, 0
	.set _ZN7rocprim17ROCPRIM_400000_NS6detail17trampoline_kernelINS0_14default_configENS1_20scan_config_selectorIfEEZZNS1_9scan_implILNS1_25lookback_scan_determinismE0ELb0ELb0ES3_PKfPffZZZN2at6native31launch_logcumsumexp_cuda_kernelERKNSB_10TensorBaseESF_lENKUlvE_clEvENKUlvE0_clEvEUlffE_fEEDaPvRmT3_T4_T5_mT6_P12ihipStream_tbENKUlT_T0_E_clISt17integral_constantIbLb1EESV_IbLb0EEEEDaSR_SS_EUlSR_E_NS1_11comp_targetILNS1_3genE8ELNS1_11target_archE1030ELNS1_3gpuE2ELNS1_3repE0EEENS1_30default_config_static_selectorELNS0_4arch9wavefront6targetE0EEEvT1_.num_agpr, 0
	.set _ZN7rocprim17ROCPRIM_400000_NS6detail17trampoline_kernelINS0_14default_configENS1_20scan_config_selectorIfEEZZNS1_9scan_implILNS1_25lookback_scan_determinismE0ELb0ELb0ES3_PKfPffZZZN2at6native31launch_logcumsumexp_cuda_kernelERKNSB_10TensorBaseESF_lENKUlvE_clEvENKUlvE0_clEvEUlffE_fEEDaPvRmT3_T4_T5_mT6_P12ihipStream_tbENKUlT_T0_E_clISt17integral_constantIbLb1EESV_IbLb0EEEEDaSR_SS_EUlSR_E_NS1_11comp_targetILNS1_3genE8ELNS1_11target_archE1030ELNS1_3gpuE2ELNS1_3repE0EEENS1_30default_config_static_selectorELNS0_4arch9wavefront6targetE0EEEvT1_.numbered_sgpr, 0
	.set _ZN7rocprim17ROCPRIM_400000_NS6detail17trampoline_kernelINS0_14default_configENS1_20scan_config_selectorIfEEZZNS1_9scan_implILNS1_25lookback_scan_determinismE0ELb0ELb0ES3_PKfPffZZZN2at6native31launch_logcumsumexp_cuda_kernelERKNSB_10TensorBaseESF_lENKUlvE_clEvENKUlvE0_clEvEUlffE_fEEDaPvRmT3_T4_T5_mT6_P12ihipStream_tbENKUlT_T0_E_clISt17integral_constantIbLb1EESV_IbLb0EEEEDaSR_SS_EUlSR_E_NS1_11comp_targetILNS1_3genE8ELNS1_11target_archE1030ELNS1_3gpuE2ELNS1_3repE0EEENS1_30default_config_static_selectorELNS0_4arch9wavefront6targetE0EEEvT1_.num_named_barrier, 0
	.set _ZN7rocprim17ROCPRIM_400000_NS6detail17trampoline_kernelINS0_14default_configENS1_20scan_config_selectorIfEEZZNS1_9scan_implILNS1_25lookback_scan_determinismE0ELb0ELb0ES3_PKfPffZZZN2at6native31launch_logcumsumexp_cuda_kernelERKNSB_10TensorBaseESF_lENKUlvE_clEvENKUlvE0_clEvEUlffE_fEEDaPvRmT3_T4_T5_mT6_P12ihipStream_tbENKUlT_T0_E_clISt17integral_constantIbLb1EESV_IbLb0EEEEDaSR_SS_EUlSR_E_NS1_11comp_targetILNS1_3genE8ELNS1_11target_archE1030ELNS1_3gpuE2ELNS1_3repE0EEENS1_30default_config_static_selectorELNS0_4arch9wavefront6targetE0EEEvT1_.private_seg_size, 0
	.set _ZN7rocprim17ROCPRIM_400000_NS6detail17trampoline_kernelINS0_14default_configENS1_20scan_config_selectorIfEEZZNS1_9scan_implILNS1_25lookback_scan_determinismE0ELb0ELb0ES3_PKfPffZZZN2at6native31launch_logcumsumexp_cuda_kernelERKNSB_10TensorBaseESF_lENKUlvE_clEvENKUlvE0_clEvEUlffE_fEEDaPvRmT3_T4_T5_mT6_P12ihipStream_tbENKUlT_T0_E_clISt17integral_constantIbLb1EESV_IbLb0EEEEDaSR_SS_EUlSR_E_NS1_11comp_targetILNS1_3genE8ELNS1_11target_archE1030ELNS1_3gpuE2ELNS1_3repE0EEENS1_30default_config_static_selectorELNS0_4arch9wavefront6targetE0EEEvT1_.uses_vcc, 0
	.set _ZN7rocprim17ROCPRIM_400000_NS6detail17trampoline_kernelINS0_14default_configENS1_20scan_config_selectorIfEEZZNS1_9scan_implILNS1_25lookback_scan_determinismE0ELb0ELb0ES3_PKfPffZZZN2at6native31launch_logcumsumexp_cuda_kernelERKNSB_10TensorBaseESF_lENKUlvE_clEvENKUlvE0_clEvEUlffE_fEEDaPvRmT3_T4_T5_mT6_P12ihipStream_tbENKUlT_T0_E_clISt17integral_constantIbLb1EESV_IbLb0EEEEDaSR_SS_EUlSR_E_NS1_11comp_targetILNS1_3genE8ELNS1_11target_archE1030ELNS1_3gpuE2ELNS1_3repE0EEENS1_30default_config_static_selectorELNS0_4arch9wavefront6targetE0EEEvT1_.uses_flat_scratch, 0
	.set _ZN7rocprim17ROCPRIM_400000_NS6detail17trampoline_kernelINS0_14default_configENS1_20scan_config_selectorIfEEZZNS1_9scan_implILNS1_25lookback_scan_determinismE0ELb0ELb0ES3_PKfPffZZZN2at6native31launch_logcumsumexp_cuda_kernelERKNSB_10TensorBaseESF_lENKUlvE_clEvENKUlvE0_clEvEUlffE_fEEDaPvRmT3_T4_T5_mT6_P12ihipStream_tbENKUlT_T0_E_clISt17integral_constantIbLb1EESV_IbLb0EEEEDaSR_SS_EUlSR_E_NS1_11comp_targetILNS1_3genE8ELNS1_11target_archE1030ELNS1_3gpuE2ELNS1_3repE0EEENS1_30default_config_static_selectorELNS0_4arch9wavefront6targetE0EEEvT1_.has_dyn_sized_stack, 0
	.set _ZN7rocprim17ROCPRIM_400000_NS6detail17trampoline_kernelINS0_14default_configENS1_20scan_config_selectorIfEEZZNS1_9scan_implILNS1_25lookback_scan_determinismE0ELb0ELb0ES3_PKfPffZZZN2at6native31launch_logcumsumexp_cuda_kernelERKNSB_10TensorBaseESF_lENKUlvE_clEvENKUlvE0_clEvEUlffE_fEEDaPvRmT3_T4_T5_mT6_P12ihipStream_tbENKUlT_T0_E_clISt17integral_constantIbLb1EESV_IbLb0EEEEDaSR_SS_EUlSR_E_NS1_11comp_targetILNS1_3genE8ELNS1_11target_archE1030ELNS1_3gpuE2ELNS1_3repE0EEENS1_30default_config_static_selectorELNS0_4arch9wavefront6targetE0EEEvT1_.has_recursion, 0
	.set _ZN7rocprim17ROCPRIM_400000_NS6detail17trampoline_kernelINS0_14default_configENS1_20scan_config_selectorIfEEZZNS1_9scan_implILNS1_25lookback_scan_determinismE0ELb0ELb0ES3_PKfPffZZZN2at6native31launch_logcumsumexp_cuda_kernelERKNSB_10TensorBaseESF_lENKUlvE_clEvENKUlvE0_clEvEUlffE_fEEDaPvRmT3_T4_T5_mT6_P12ihipStream_tbENKUlT_T0_E_clISt17integral_constantIbLb1EESV_IbLb0EEEEDaSR_SS_EUlSR_E_NS1_11comp_targetILNS1_3genE8ELNS1_11target_archE1030ELNS1_3gpuE2ELNS1_3repE0EEENS1_30default_config_static_selectorELNS0_4arch9wavefront6targetE0EEEvT1_.has_indirect_call, 0
	.section	.AMDGPU.csdata,"",@progbits
; Kernel info:
; codeLenInByte = 0
; TotalNumSgprs: 0
; NumVgprs: 0
; ScratchSize: 0
; MemoryBound: 0
; FloatMode: 240
; IeeeMode: 1
; LDSByteSize: 0 bytes/workgroup (compile time only)
; SGPRBlocks: 0
; VGPRBlocks: 0
; NumSGPRsForWavesPerEU: 1
; NumVGPRsForWavesPerEU: 1
; Occupancy: 16
; WaveLimiterHint : 0
; COMPUTE_PGM_RSRC2:SCRATCH_EN: 0
; COMPUTE_PGM_RSRC2:USER_SGPR: 2
; COMPUTE_PGM_RSRC2:TRAP_HANDLER: 0
; COMPUTE_PGM_RSRC2:TGID_X_EN: 1
; COMPUTE_PGM_RSRC2:TGID_Y_EN: 0
; COMPUTE_PGM_RSRC2:TGID_Z_EN: 0
; COMPUTE_PGM_RSRC2:TIDIG_COMP_CNT: 0
	.section	.text._ZN7rocprim17ROCPRIM_400000_NS6detail17trampoline_kernelINS0_14default_configENS1_20scan_config_selectorIfEEZZNS1_9scan_implILNS1_25lookback_scan_determinismE0ELb0ELb0ES3_PKfPffZZZN2at6native31launch_logcumsumexp_cuda_kernelERKNSB_10TensorBaseESF_lENKUlvE_clEvENKUlvE0_clEvEUlffE_fEEDaPvRmT3_T4_T5_mT6_P12ihipStream_tbENKUlT_T0_E_clISt17integral_constantIbLb1EESV_IbLb0EEEEDaSR_SS_EUlSR_E0_NS1_11comp_targetILNS1_3genE0ELNS1_11target_archE4294967295ELNS1_3gpuE0ELNS1_3repE0EEENS1_30default_config_static_selectorELNS0_4arch9wavefront6targetE0EEEvT1_,"axG",@progbits,_ZN7rocprim17ROCPRIM_400000_NS6detail17trampoline_kernelINS0_14default_configENS1_20scan_config_selectorIfEEZZNS1_9scan_implILNS1_25lookback_scan_determinismE0ELb0ELb0ES3_PKfPffZZZN2at6native31launch_logcumsumexp_cuda_kernelERKNSB_10TensorBaseESF_lENKUlvE_clEvENKUlvE0_clEvEUlffE_fEEDaPvRmT3_T4_T5_mT6_P12ihipStream_tbENKUlT_T0_E_clISt17integral_constantIbLb1EESV_IbLb0EEEEDaSR_SS_EUlSR_E0_NS1_11comp_targetILNS1_3genE0ELNS1_11target_archE4294967295ELNS1_3gpuE0ELNS1_3repE0EEENS1_30default_config_static_selectorELNS0_4arch9wavefront6targetE0EEEvT1_,comdat
	.globl	_ZN7rocprim17ROCPRIM_400000_NS6detail17trampoline_kernelINS0_14default_configENS1_20scan_config_selectorIfEEZZNS1_9scan_implILNS1_25lookback_scan_determinismE0ELb0ELb0ES3_PKfPffZZZN2at6native31launch_logcumsumexp_cuda_kernelERKNSB_10TensorBaseESF_lENKUlvE_clEvENKUlvE0_clEvEUlffE_fEEDaPvRmT3_T4_T5_mT6_P12ihipStream_tbENKUlT_T0_E_clISt17integral_constantIbLb1EESV_IbLb0EEEEDaSR_SS_EUlSR_E0_NS1_11comp_targetILNS1_3genE0ELNS1_11target_archE4294967295ELNS1_3gpuE0ELNS1_3repE0EEENS1_30default_config_static_selectorELNS0_4arch9wavefront6targetE0EEEvT1_ ; -- Begin function _ZN7rocprim17ROCPRIM_400000_NS6detail17trampoline_kernelINS0_14default_configENS1_20scan_config_selectorIfEEZZNS1_9scan_implILNS1_25lookback_scan_determinismE0ELb0ELb0ES3_PKfPffZZZN2at6native31launch_logcumsumexp_cuda_kernelERKNSB_10TensorBaseESF_lENKUlvE_clEvENKUlvE0_clEvEUlffE_fEEDaPvRmT3_T4_T5_mT6_P12ihipStream_tbENKUlT_T0_E_clISt17integral_constantIbLb1EESV_IbLb0EEEEDaSR_SS_EUlSR_E0_NS1_11comp_targetILNS1_3genE0ELNS1_11target_archE4294967295ELNS1_3gpuE0ELNS1_3repE0EEENS1_30default_config_static_selectorELNS0_4arch9wavefront6targetE0EEEvT1_
	.p2align	8
	.type	_ZN7rocprim17ROCPRIM_400000_NS6detail17trampoline_kernelINS0_14default_configENS1_20scan_config_selectorIfEEZZNS1_9scan_implILNS1_25lookback_scan_determinismE0ELb0ELb0ES3_PKfPffZZZN2at6native31launch_logcumsumexp_cuda_kernelERKNSB_10TensorBaseESF_lENKUlvE_clEvENKUlvE0_clEvEUlffE_fEEDaPvRmT3_T4_T5_mT6_P12ihipStream_tbENKUlT_T0_E_clISt17integral_constantIbLb1EESV_IbLb0EEEEDaSR_SS_EUlSR_E0_NS1_11comp_targetILNS1_3genE0ELNS1_11target_archE4294967295ELNS1_3gpuE0ELNS1_3repE0EEENS1_30default_config_static_selectorELNS0_4arch9wavefront6targetE0EEEvT1_,@function
_ZN7rocprim17ROCPRIM_400000_NS6detail17trampoline_kernelINS0_14default_configENS1_20scan_config_selectorIfEEZZNS1_9scan_implILNS1_25lookback_scan_determinismE0ELb0ELb0ES3_PKfPffZZZN2at6native31launch_logcumsumexp_cuda_kernelERKNSB_10TensorBaseESF_lENKUlvE_clEvENKUlvE0_clEvEUlffE_fEEDaPvRmT3_T4_T5_mT6_P12ihipStream_tbENKUlT_T0_E_clISt17integral_constantIbLb1EESV_IbLb0EEEEDaSR_SS_EUlSR_E0_NS1_11comp_targetILNS1_3genE0ELNS1_11target_archE4294967295ELNS1_3gpuE0ELNS1_3repE0EEENS1_30default_config_static_selectorELNS0_4arch9wavefront6targetE0EEEvT1_: ; @_ZN7rocprim17ROCPRIM_400000_NS6detail17trampoline_kernelINS0_14default_configENS1_20scan_config_selectorIfEEZZNS1_9scan_implILNS1_25lookback_scan_determinismE0ELb0ELb0ES3_PKfPffZZZN2at6native31launch_logcumsumexp_cuda_kernelERKNSB_10TensorBaseESF_lENKUlvE_clEvENKUlvE0_clEvEUlffE_fEEDaPvRmT3_T4_T5_mT6_P12ihipStream_tbENKUlT_T0_E_clISt17integral_constantIbLb1EESV_IbLb0EEEEDaSR_SS_EUlSR_E0_NS1_11comp_targetILNS1_3genE0ELNS1_11target_archE4294967295ELNS1_3gpuE0ELNS1_3repE0EEENS1_30default_config_static_selectorELNS0_4arch9wavefront6targetE0EEEvT1_
; %bb.0:
	.section	.rodata,"a",@progbits
	.p2align	6, 0x0
	.amdhsa_kernel _ZN7rocprim17ROCPRIM_400000_NS6detail17trampoline_kernelINS0_14default_configENS1_20scan_config_selectorIfEEZZNS1_9scan_implILNS1_25lookback_scan_determinismE0ELb0ELb0ES3_PKfPffZZZN2at6native31launch_logcumsumexp_cuda_kernelERKNSB_10TensorBaseESF_lENKUlvE_clEvENKUlvE0_clEvEUlffE_fEEDaPvRmT3_T4_T5_mT6_P12ihipStream_tbENKUlT_T0_E_clISt17integral_constantIbLb1EESV_IbLb0EEEEDaSR_SS_EUlSR_E0_NS1_11comp_targetILNS1_3genE0ELNS1_11target_archE4294967295ELNS1_3gpuE0ELNS1_3repE0EEENS1_30default_config_static_selectorELNS0_4arch9wavefront6targetE0EEEvT1_
		.amdhsa_group_segment_fixed_size 0
		.amdhsa_private_segment_fixed_size 0
		.amdhsa_kernarg_size 32
		.amdhsa_user_sgpr_count 2
		.amdhsa_user_sgpr_dispatch_ptr 0
		.amdhsa_user_sgpr_queue_ptr 0
		.amdhsa_user_sgpr_kernarg_segment_ptr 1
		.amdhsa_user_sgpr_dispatch_id 0
		.amdhsa_user_sgpr_private_segment_size 0
		.amdhsa_wavefront_size32 1
		.amdhsa_uses_dynamic_stack 0
		.amdhsa_enable_private_segment 0
		.amdhsa_system_sgpr_workgroup_id_x 1
		.amdhsa_system_sgpr_workgroup_id_y 0
		.amdhsa_system_sgpr_workgroup_id_z 0
		.amdhsa_system_sgpr_workgroup_info 0
		.amdhsa_system_vgpr_workitem_id 0
		.amdhsa_next_free_vgpr 1
		.amdhsa_next_free_sgpr 1
		.amdhsa_reserve_vcc 0
		.amdhsa_float_round_mode_32 0
		.amdhsa_float_round_mode_16_64 0
		.amdhsa_float_denorm_mode_32 3
		.amdhsa_float_denorm_mode_16_64 3
		.amdhsa_fp16_overflow 0
		.amdhsa_workgroup_processor_mode 1
		.amdhsa_memory_ordered 1
		.amdhsa_forward_progress 1
		.amdhsa_inst_pref_size 0
		.amdhsa_round_robin_scheduling 0
		.amdhsa_exception_fp_ieee_invalid_op 0
		.amdhsa_exception_fp_denorm_src 0
		.amdhsa_exception_fp_ieee_div_zero 0
		.amdhsa_exception_fp_ieee_overflow 0
		.amdhsa_exception_fp_ieee_underflow 0
		.amdhsa_exception_fp_ieee_inexact 0
		.amdhsa_exception_int_div_zero 0
	.end_amdhsa_kernel
	.section	.text._ZN7rocprim17ROCPRIM_400000_NS6detail17trampoline_kernelINS0_14default_configENS1_20scan_config_selectorIfEEZZNS1_9scan_implILNS1_25lookback_scan_determinismE0ELb0ELb0ES3_PKfPffZZZN2at6native31launch_logcumsumexp_cuda_kernelERKNSB_10TensorBaseESF_lENKUlvE_clEvENKUlvE0_clEvEUlffE_fEEDaPvRmT3_T4_T5_mT6_P12ihipStream_tbENKUlT_T0_E_clISt17integral_constantIbLb1EESV_IbLb0EEEEDaSR_SS_EUlSR_E0_NS1_11comp_targetILNS1_3genE0ELNS1_11target_archE4294967295ELNS1_3gpuE0ELNS1_3repE0EEENS1_30default_config_static_selectorELNS0_4arch9wavefront6targetE0EEEvT1_,"axG",@progbits,_ZN7rocprim17ROCPRIM_400000_NS6detail17trampoline_kernelINS0_14default_configENS1_20scan_config_selectorIfEEZZNS1_9scan_implILNS1_25lookback_scan_determinismE0ELb0ELb0ES3_PKfPffZZZN2at6native31launch_logcumsumexp_cuda_kernelERKNSB_10TensorBaseESF_lENKUlvE_clEvENKUlvE0_clEvEUlffE_fEEDaPvRmT3_T4_T5_mT6_P12ihipStream_tbENKUlT_T0_E_clISt17integral_constantIbLb1EESV_IbLb0EEEEDaSR_SS_EUlSR_E0_NS1_11comp_targetILNS1_3genE0ELNS1_11target_archE4294967295ELNS1_3gpuE0ELNS1_3repE0EEENS1_30default_config_static_selectorELNS0_4arch9wavefront6targetE0EEEvT1_,comdat
.Lfunc_end143:
	.size	_ZN7rocprim17ROCPRIM_400000_NS6detail17trampoline_kernelINS0_14default_configENS1_20scan_config_selectorIfEEZZNS1_9scan_implILNS1_25lookback_scan_determinismE0ELb0ELb0ES3_PKfPffZZZN2at6native31launch_logcumsumexp_cuda_kernelERKNSB_10TensorBaseESF_lENKUlvE_clEvENKUlvE0_clEvEUlffE_fEEDaPvRmT3_T4_T5_mT6_P12ihipStream_tbENKUlT_T0_E_clISt17integral_constantIbLb1EESV_IbLb0EEEEDaSR_SS_EUlSR_E0_NS1_11comp_targetILNS1_3genE0ELNS1_11target_archE4294967295ELNS1_3gpuE0ELNS1_3repE0EEENS1_30default_config_static_selectorELNS0_4arch9wavefront6targetE0EEEvT1_, .Lfunc_end143-_ZN7rocprim17ROCPRIM_400000_NS6detail17trampoline_kernelINS0_14default_configENS1_20scan_config_selectorIfEEZZNS1_9scan_implILNS1_25lookback_scan_determinismE0ELb0ELb0ES3_PKfPffZZZN2at6native31launch_logcumsumexp_cuda_kernelERKNSB_10TensorBaseESF_lENKUlvE_clEvENKUlvE0_clEvEUlffE_fEEDaPvRmT3_T4_T5_mT6_P12ihipStream_tbENKUlT_T0_E_clISt17integral_constantIbLb1EESV_IbLb0EEEEDaSR_SS_EUlSR_E0_NS1_11comp_targetILNS1_3genE0ELNS1_11target_archE4294967295ELNS1_3gpuE0ELNS1_3repE0EEENS1_30default_config_static_selectorELNS0_4arch9wavefront6targetE0EEEvT1_
                                        ; -- End function
	.set _ZN7rocprim17ROCPRIM_400000_NS6detail17trampoline_kernelINS0_14default_configENS1_20scan_config_selectorIfEEZZNS1_9scan_implILNS1_25lookback_scan_determinismE0ELb0ELb0ES3_PKfPffZZZN2at6native31launch_logcumsumexp_cuda_kernelERKNSB_10TensorBaseESF_lENKUlvE_clEvENKUlvE0_clEvEUlffE_fEEDaPvRmT3_T4_T5_mT6_P12ihipStream_tbENKUlT_T0_E_clISt17integral_constantIbLb1EESV_IbLb0EEEEDaSR_SS_EUlSR_E0_NS1_11comp_targetILNS1_3genE0ELNS1_11target_archE4294967295ELNS1_3gpuE0ELNS1_3repE0EEENS1_30default_config_static_selectorELNS0_4arch9wavefront6targetE0EEEvT1_.num_vgpr, 0
	.set _ZN7rocprim17ROCPRIM_400000_NS6detail17trampoline_kernelINS0_14default_configENS1_20scan_config_selectorIfEEZZNS1_9scan_implILNS1_25lookback_scan_determinismE0ELb0ELb0ES3_PKfPffZZZN2at6native31launch_logcumsumexp_cuda_kernelERKNSB_10TensorBaseESF_lENKUlvE_clEvENKUlvE0_clEvEUlffE_fEEDaPvRmT3_T4_T5_mT6_P12ihipStream_tbENKUlT_T0_E_clISt17integral_constantIbLb1EESV_IbLb0EEEEDaSR_SS_EUlSR_E0_NS1_11comp_targetILNS1_3genE0ELNS1_11target_archE4294967295ELNS1_3gpuE0ELNS1_3repE0EEENS1_30default_config_static_selectorELNS0_4arch9wavefront6targetE0EEEvT1_.num_agpr, 0
	.set _ZN7rocprim17ROCPRIM_400000_NS6detail17trampoline_kernelINS0_14default_configENS1_20scan_config_selectorIfEEZZNS1_9scan_implILNS1_25lookback_scan_determinismE0ELb0ELb0ES3_PKfPffZZZN2at6native31launch_logcumsumexp_cuda_kernelERKNSB_10TensorBaseESF_lENKUlvE_clEvENKUlvE0_clEvEUlffE_fEEDaPvRmT3_T4_T5_mT6_P12ihipStream_tbENKUlT_T0_E_clISt17integral_constantIbLb1EESV_IbLb0EEEEDaSR_SS_EUlSR_E0_NS1_11comp_targetILNS1_3genE0ELNS1_11target_archE4294967295ELNS1_3gpuE0ELNS1_3repE0EEENS1_30default_config_static_selectorELNS0_4arch9wavefront6targetE0EEEvT1_.numbered_sgpr, 0
	.set _ZN7rocprim17ROCPRIM_400000_NS6detail17trampoline_kernelINS0_14default_configENS1_20scan_config_selectorIfEEZZNS1_9scan_implILNS1_25lookback_scan_determinismE0ELb0ELb0ES3_PKfPffZZZN2at6native31launch_logcumsumexp_cuda_kernelERKNSB_10TensorBaseESF_lENKUlvE_clEvENKUlvE0_clEvEUlffE_fEEDaPvRmT3_T4_T5_mT6_P12ihipStream_tbENKUlT_T0_E_clISt17integral_constantIbLb1EESV_IbLb0EEEEDaSR_SS_EUlSR_E0_NS1_11comp_targetILNS1_3genE0ELNS1_11target_archE4294967295ELNS1_3gpuE0ELNS1_3repE0EEENS1_30default_config_static_selectorELNS0_4arch9wavefront6targetE0EEEvT1_.num_named_barrier, 0
	.set _ZN7rocprim17ROCPRIM_400000_NS6detail17trampoline_kernelINS0_14default_configENS1_20scan_config_selectorIfEEZZNS1_9scan_implILNS1_25lookback_scan_determinismE0ELb0ELb0ES3_PKfPffZZZN2at6native31launch_logcumsumexp_cuda_kernelERKNSB_10TensorBaseESF_lENKUlvE_clEvENKUlvE0_clEvEUlffE_fEEDaPvRmT3_T4_T5_mT6_P12ihipStream_tbENKUlT_T0_E_clISt17integral_constantIbLb1EESV_IbLb0EEEEDaSR_SS_EUlSR_E0_NS1_11comp_targetILNS1_3genE0ELNS1_11target_archE4294967295ELNS1_3gpuE0ELNS1_3repE0EEENS1_30default_config_static_selectorELNS0_4arch9wavefront6targetE0EEEvT1_.private_seg_size, 0
	.set _ZN7rocprim17ROCPRIM_400000_NS6detail17trampoline_kernelINS0_14default_configENS1_20scan_config_selectorIfEEZZNS1_9scan_implILNS1_25lookback_scan_determinismE0ELb0ELb0ES3_PKfPffZZZN2at6native31launch_logcumsumexp_cuda_kernelERKNSB_10TensorBaseESF_lENKUlvE_clEvENKUlvE0_clEvEUlffE_fEEDaPvRmT3_T4_T5_mT6_P12ihipStream_tbENKUlT_T0_E_clISt17integral_constantIbLb1EESV_IbLb0EEEEDaSR_SS_EUlSR_E0_NS1_11comp_targetILNS1_3genE0ELNS1_11target_archE4294967295ELNS1_3gpuE0ELNS1_3repE0EEENS1_30default_config_static_selectorELNS0_4arch9wavefront6targetE0EEEvT1_.uses_vcc, 0
	.set _ZN7rocprim17ROCPRIM_400000_NS6detail17trampoline_kernelINS0_14default_configENS1_20scan_config_selectorIfEEZZNS1_9scan_implILNS1_25lookback_scan_determinismE0ELb0ELb0ES3_PKfPffZZZN2at6native31launch_logcumsumexp_cuda_kernelERKNSB_10TensorBaseESF_lENKUlvE_clEvENKUlvE0_clEvEUlffE_fEEDaPvRmT3_T4_T5_mT6_P12ihipStream_tbENKUlT_T0_E_clISt17integral_constantIbLb1EESV_IbLb0EEEEDaSR_SS_EUlSR_E0_NS1_11comp_targetILNS1_3genE0ELNS1_11target_archE4294967295ELNS1_3gpuE0ELNS1_3repE0EEENS1_30default_config_static_selectorELNS0_4arch9wavefront6targetE0EEEvT1_.uses_flat_scratch, 0
	.set _ZN7rocprim17ROCPRIM_400000_NS6detail17trampoline_kernelINS0_14default_configENS1_20scan_config_selectorIfEEZZNS1_9scan_implILNS1_25lookback_scan_determinismE0ELb0ELb0ES3_PKfPffZZZN2at6native31launch_logcumsumexp_cuda_kernelERKNSB_10TensorBaseESF_lENKUlvE_clEvENKUlvE0_clEvEUlffE_fEEDaPvRmT3_T4_T5_mT6_P12ihipStream_tbENKUlT_T0_E_clISt17integral_constantIbLb1EESV_IbLb0EEEEDaSR_SS_EUlSR_E0_NS1_11comp_targetILNS1_3genE0ELNS1_11target_archE4294967295ELNS1_3gpuE0ELNS1_3repE0EEENS1_30default_config_static_selectorELNS0_4arch9wavefront6targetE0EEEvT1_.has_dyn_sized_stack, 0
	.set _ZN7rocprim17ROCPRIM_400000_NS6detail17trampoline_kernelINS0_14default_configENS1_20scan_config_selectorIfEEZZNS1_9scan_implILNS1_25lookback_scan_determinismE0ELb0ELb0ES3_PKfPffZZZN2at6native31launch_logcumsumexp_cuda_kernelERKNSB_10TensorBaseESF_lENKUlvE_clEvENKUlvE0_clEvEUlffE_fEEDaPvRmT3_T4_T5_mT6_P12ihipStream_tbENKUlT_T0_E_clISt17integral_constantIbLb1EESV_IbLb0EEEEDaSR_SS_EUlSR_E0_NS1_11comp_targetILNS1_3genE0ELNS1_11target_archE4294967295ELNS1_3gpuE0ELNS1_3repE0EEENS1_30default_config_static_selectorELNS0_4arch9wavefront6targetE0EEEvT1_.has_recursion, 0
	.set _ZN7rocprim17ROCPRIM_400000_NS6detail17trampoline_kernelINS0_14default_configENS1_20scan_config_selectorIfEEZZNS1_9scan_implILNS1_25lookback_scan_determinismE0ELb0ELb0ES3_PKfPffZZZN2at6native31launch_logcumsumexp_cuda_kernelERKNSB_10TensorBaseESF_lENKUlvE_clEvENKUlvE0_clEvEUlffE_fEEDaPvRmT3_T4_T5_mT6_P12ihipStream_tbENKUlT_T0_E_clISt17integral_constantIbLb1EESV_IbLb0EEEEDaSR_SS_EUlSR_E0_NS1_11comp_targetILNS1_3genE0ELNS1_11target_archE4294967295ELNS1_3gpuE0ELNS1_3repE0EEENS1_30default_config_static_selectorELNS0_4arch9wavefront6targetE0EEEvT1_.has_indirect_call, 0
	.section	.AMDGPU.csdata,"",@progbits
; Kernel info:
; codeLenInByte = 0
; TotalNumSgprs: 0
; NumVgprs: 0
; ScratchSize: 0
; MemoryBound: 0
; FloatMode: 240
; IeeeMode: 1
; LDSByteSize: 0 bytes/workgroup (compile time only)
; SGPRBlocks: 0
; VGPRBlocks: 0
; NumSGPRsForWavesPerEU: 1
; NumVGPRsForWavesPerEU: 1
; Occupancy: 16
; WaveLimiterHint : 0
; COMPUTE_PGM_RSRC2:SCRATCH_EN: 0
; COMPUTE_PGM_RSRC2:USER_SGPR: 2
; COMPUTE_PGM_RSRC2:TRAP_HANDLER: 0
; COMPUTE_PGM_RSRC2:TGID_X_EN: 1
; COMPUTE_PGM_RSRC2:TGID_Y_EN: 0
; COMPUTE_PGM_RSRC2:TGID_Z_EN: 0
; COMPUTE_PGM_RSRC2:TIDIG_COMP_CNT: 0
	.section	.text._ZN7rocprim17ROCPRIM_400000_NS6detail17trampoline_kernelINS0_14default_configENS1_20scan_config_selectorIfEEZZNS1_9scan_implILNS1_25lookback_scan_determinismE0ELb0ELb0ES3_PKfPffZZZN2at6native31launch_logcumsumexp_cuda_kernelERKNSB_10TensorBaseESF_lENKUlvE_clEvENKUlvE0_clEvEUlffE_fEEDaPvRmT3_T4_T5_mT6_P12ihipStream_tbENKUlT_T0_E_clISt17integral_constantIbLb1EESV_IbLb0EEEEDaSR_SS_EUlSR_E0_NS1_11comp_targetILNS1_3genE5ELNS1_11target_archE942ELNS1_3gpuE9ELNS1_3repE0EEENS1_30default_config_static_selectorELNS0_4arch9wavefront6targetE0EEEvT1_,"axG",@progbits,_ZN7rocprim17ROCPRIM_400000_NS6detail17trampoline_kernelINS0_14default_configENS1_20scan_config_selectorIfEEZZNS1_9scan_implILNS1_25lookback_scan_determinismE0ELb0ELb0ES3_PKfPffZZZN2at6native31launch_logcumsumexp_cuda_kernelERKNSB_10TensorBaseESF_lENKUlvE_clEvENKUlvE0_clEvEUlffE_fEEDaPvRmT3_T4_T5_mT6_P12ihipStream_tbENKUlT_T0_E_clISt17integral_constantIbLb1EESV_IbLb0EEEEDaSR_SS_EUlSR_E0_NS1_11comp_targetILNS1_3genE5ELNS1_11target_archE942ELNS1_3gpuE9ELNS1_3repE0EEENS1_30default_config_static_selectorELNS0_4arch9wavefront6targetE0EEEvT1_,comdat
	.globl	_ZN7rocprim17ROCPRIM_400000_NS6detail17trampoline_kernelINS0_14default_configENS1_20scan_config_selectorIfEEZZNS1_9scan_implILNS1_25lookback_scan_determinismE0ELb0ELb0ES3_PKfPffZZZN2at6native31launch_logcumsumexp_cuda_kernelERKNSB_10TensorBaseESF_lENKUlvE_clEvENKUlvE0_clEvEUlffE_fEEDaPvRmT3_T4_T5_mT6_P12ihipStream_tbENKUlT_T0_E_clISt17integral_constantIbLb1EESV_IbLb0EEEEDaSR_SS_EUlSR_E0_NS1_11comp_targetILNS1_3genE5ELNS1_11target_archE942ELNS1_3gpuE9ELNS1_3repE0EEENS1_30default_config_static_selectorELNS0_4arch9wavefront6targetE0EEEvT1_ ; -- Begin function _ZN7rocprim17ROCPRIM_400000_NS6detail17trampoline_kernelINS0_14default_configENS1_20scan_config_selectorIfEEZZNS1_9scan_implILNS1_25lookback_scan_determinismE0ELb0ELb0ES3_PKfPffZZZN2at6native31launch_logcumsumexp_cuda_kernelERKNSB_10TensorBaseESF_lENKUlvE_clEvENKUlvE0_clEvEUlffE_fEEDaPvRmT3_T4_T5_mT6_P12ihipStream_tbENKUlT_T0_E_clISt17integral_constantIbLb1EESV_IbLb0EEEEDaSR_SS_EUlSR_E0_NS1_11comp_targetILNS1_3genE5ELNS1_11target_archE942ELNS1_3gpuE9ELNS1_3repE0EEENS1_30default_config_static_selectorELNS0_4arch9wavefront6targetE0EEEvT1_
	.p2align	8
	.type	_ZN7rocprim17ROCPRIM_400000_NS6detail17trampoline_kernelINS0_14default_configENS1_20scan_config_selectorIfEEZZNS1_9scan_implILNS1_25lookback_scan_determinismE0ELb0ELb0ES3_PKfPffZZZN2at6native31launch_logcumsumexp_cuda_kernelERKNSB_10TensorBaseESF_lENKUlvE_clEvENKUlvE0_clEvEUlffE_fEEDaPvRmT3_T4_T5_mT6_P12ihipStream_tbENKUlT_T0_E_clISt17integral_constantIbLb1EESV_IbLb0EEEEDaSR_SS_EUlSR_E0_NS1_11comp_targetILNS1_3genE5ELNS1_11target_archE942ELNS1_3gpuE9ELNS1_3repE0EEENS1_30default_config_static_selectorELNS0_4arch9wavefront6targetE0EEEvT1_,@function
_ZN7rocprim17ROCPRIM_400000_NS6detail17trampoline_kernelINS0_14default_configENS1_20scan_config_selectorIfEEZZNS1_9scan_implILNS1_25lookback_scan_determinismE0ELb0ELb0ES3_PKfPffZZZN2at6native31launch_logcumsumexp_cuda_kernelERKNSB_10TensorBaseESF_lENKUlvE_clEvENKUlvE0_clEvEUlffE_fEEDaPvRmT3_T4_T5_mT6_P12ihipStream_tbENKUlT_T0_E_clISt17integral_constantIbLb1EESV_IbLb0EEEEDaSR_SS_EUlSR_E0_NS1_11comp_targetILNS1_3genE5ELNS1_11target_archE942ELNS1_3gpuE9ELNS1_3repE0EEENS1_30default_config_static_selectorELNS0_4arch9wavefront6targetE0EEEvT1_: ; @_ZN7rocprim17ROCPRIM_400000_NS6detail17trampoline_kernelINS0_14default_configENS1_20scan_config_selectorIfEEZZNS1_9scan_implILNS1_25lookback_scan_determinismE0ELb0ELb0ES3_PKfPffZZZN2at6native31launch_logcumsumexp_cuda_kernelERKNSB_10TensorBaseESF_lENKUlvE_clEvENKUlvE0_clEvEUlffE_fEEDaPvRmT3_T4_T5_mT6_P12ihipStream_tbENKUlT_T0_E_clISt17integral_constantIbLb1EESV_IbLb0EEEEDaSR_SS_EUlSR_E0_NS1_11comp_targetILNS1_3genE5ELNS1_11target_archE942ELNS1_3gpuE9ELNS1_3repE0EEENS1_30default_config_static_selectorELNS0_4arch9wavefront6targetE0EEEvT1_
; %bb.0:
	.section	.rodata,"a",@progbits
	.p2align	6, 0x0
	.amdhsa_kernel _ZN7rocprim17ROCPRIM_400000_NS6detail17trampoline_kernelINS0_14default_configENS1_20scan_config_selectorIfEEZZNS1_9scan_implILNS1_25lookback_scan_determinismE0ELb0ELb0ES3_PKfPffZZZN2at6native31launch_logcumsumexp_cuda_kernelERKNSB_10TensorBaseESF_lENKUlvE_clEvENKUlvE0_clEvEUlffE_fEEDaPvRmT3_T4_T5_mT6_P12ihipStream_tbENKUlT_T0_E_clISt17integral_constantIbLb1EESV_IbLb0EEEEDaSR_SS_EUlSR_E0_NS1_11comp_targetILNS1_3genE5ELNS1_11target_archE942ELNS1_3gpuE9ELNS1_3repE0EEENS1_30default_config_static_selectorELNS0_4arch9wavefront6targetE0EEEvT1_
		.amdhsa_group_segment_fixed_size 0
		.amdhsa_private_segment_fixed_size 0
		.amdhsa_kernarg_size 32
		.amdhsa_user_sgpr_count 2
		.amdhsa_user_sgpr_dispatch_ptr 0
		.amdhsa_user_sgpr_queue_ptr 0
		.amdhsa_user_sgpr_kernarg_segment_ptr 1
		.amdhsa_user_sgpr_dispatch_id 0
		.amdhsa_user_sgpr_private_segment_size 0
		.amdhsa_wavefront_size32 1
		.amdhsa_uses_dynamic_stack 0
		.amdhsa_enable_private_segment 0
		.amdhsa_system_sgpr_workgroup_id_x 1
		.amdhsa_system_sgpr_workgroup_id_y 0
		.amdhsa_system_sgpr_workgroup_id_z 0
		.amdhsa_system_sgpr_workgroup_info 0
		.amdhsa_system_vgpr_workitem_id 0
		.amdhsa_next_free_vgpr 1
		.amdhsa_next_free_sgpr 1
		.amdhsa_reserve_vcc 0
		.amdhsa_float_round_mode_32 0
		.amdhsa_float_round_mode_16_64 0
		.amdhsa_float_denorm_mode_32 3
		.amdhsa_float_denorm_mode_16_64 3
		.amdhsa_fp16_overflow 0
		.amdhsa_workgroup_processor_mode 1
		.amdhsa_memory_ordered 1
		.amdhsa_forward_progress 1
		.amdhsa_inst_pref_size 0
		.amdhsa_round_robin_scheduling 0
		.amdhsa_exception_fp_ieee_invalid_op 0
		.amdhsa_exception_fp_denorm_src 0
		.amdhsa_exception_fp_ieee_div_zero 0
		.amdhsa_exception_fp_ieee_overflow 0
		.amdhsa_exception_fp_ieee_underflow 0
		.amdhsa_exception_fp_ieee_inexact 0
		.amdhsa_exception_int_div_zero 0
	.end_amdhsa_kernel
	.section	.text._ZN7rocprim17ROCPRIM_400000_NS6detail17trampoline_kernelINS0_14default_configENS1_20scan_config_selectorIfEEZZNS1_9scan_implILNS1_25lookback_scan_determinismE0ELb0ELb0ES3_PKfPffZZZN2at6native31launch_logcumsumexp_cuda_kernelERKNSB_10TensorBaseESF_lENKUlvE_clEvENKUlvE0_clEvEUlffE_fEEDaPvRmT3_T4_T5_mT6_P12ihipStream_tbENKUlT_T0_E_clISt17integral_constantIbLb1EESV_IbLb0EEEEDaSR_SS_EUlSR_E0_NS1_11comp_targetILNS1_3genE5ELNS1_11target_archE942ELNS1_3gpuE9ELNS1_3repE0EEENS1_30default_config_static_selectorELNS0_4arch9wavefront6targetE0EEEvT1_,"axG",@progbits,_ZN7rocprim17ROCPRIM_400000_NS6detail17trampoline_kernelINS0_14default_configENS1_20scan_config_selectorIfEEZZNS1_9scan_implILNS1_25lookback_scan_determinismE0ELb0ELb0ES3_PKfPffZZZN2at6native31launch_logcumsumexp_cuda_kernelERKNSB_10TensorBaseESF_lENKUlvE_clEvENKUlvE0_clEvEUlffE_fEEDaPvRmT3_T4_T5_mT6_P12ihipStream_tbENKUlT_T0_E_clISt17integral_constantIbLb1EESV_IbLb0EEEEDaSR_SS_EUlSR_E0_NS1_11comp_targetILNS1_3genE5ELNS1_11target_archE942ELNS1_3gpuE9ELNS1_3repE0EEENS1_30default_config_static_selectorELNS0_4arch9wavefront6targetE0EEEvT1_,comdat
.Lfunc_end144:
	.size	_ZN7rocprim17ROCPRIM_400000_NS6detail17trampoline_kernelINS0_14default_configENS1_20scan_config_selectorIfEEZZNS1_9scan_implILNS1_25lookback_scan_determinismE0ELb0ELb0ES3_PKfPffZZZN2at6native31launch_logcumsumexp_cuda_kernelERKNSB_10TensorBaseESF_lENKUlvE_clEvENKUlvE0_clEvEUlffE_fEEDaPvRmT3_T4_T5_mT6_P12ihipStream_tbENKUlT_T0_E_clISt17integral_constantIbLb1EESV_IbLb0EEEEDaSR_SS_EUlSR_E0_NS1_11comp_targetILNS1_3genE5ELNS1_11target_archE942ELNS1_3gpuE9ELNS1_3repE0EEENS1_30default_config_static_selectorELNS0_4arch9wavefront6targetE0EEEvT1_, .Lfunc_end144-_ZN7rocprim17ROCPRIM_400000_NS6detail17trampoline_kernelINS0_14default_configENS1_20scan_config_selectorIfEEZZNS1_9scan_implILNS1_25lookback_scan_determinismE0ELb0ELb0ES3_PKfPffZZZN2at6native31launch_logcumsumexp_cuda_kernelERKNSB_10TensorBaseESF_lENKUlvE_clEvENKUlvE0_clEvEUlffE_fEEDaPvRmT3_T4_T5_mT6_P12ihipStream_tbENKUlT_T0_E_clISt17integral_constantIbLb1EESV_IbLb0EEEEDaSR_SS_EUlSR_E0_NS1_11comp_targetILNS1_3genE5ELNS1_11target_archE942ELNS1_3gpuE9ELNS1_3repE0EEENS1_30default_config_static_selectorELNS0_4arch9wavefront6targetE0EEEvT1_
                                        ; -- End function
	.set _ZN7rocprim17ROCPRIM_400000_NS6detail17trampoline_kernelINS0_14default_configENS1_20scan_config_selectorIfEEZZNS1_9scan_implILNS1_25lookback_scan_determinismE0ELb0ELb0ES3_PKfPffZZZN2at6native31launch_logcumsumexp_cuda_kernelERKNSB_10TensorBaseESF_lENKUlvE_clEvENKUlvE0_clEvEUlffE_fEEDaPvRmT3_T4_T5_mT6_P12ihipStream_tbENKUlT_T0_E_clISt17integral_constantIbLb1EESV_IbLb0EEEEDaSR_SS_EUlSR_E0_NS1_11comp_targetILNS1_3genE5ELNS1_11target_archE942ELNS1_3gpuE9ELNS1_3repE0EEENS1_30default_config_static_selectorELNS0_4arch9wavefront6targetE0EEEvT1_.num_vgpr, 0
	.set _ZN7rocprim17ROCPRIM_400000_NS6detail17trampoline_kernelINS0_14default_configENS1_20scan_config_selectorIfEEZZNS1_9scan_implILNS1_25lookback_scan_determinismE0ELb0ELb0ES3_PKfPffZZZN2at6native31launch_logcumsumexp_cuda_kernelERKNSB_10TensorBaseESF_lENKUlvE_clEvENKUlvE0_clEvEUlffE_fEEDaPvRmT3_T4_T5_mT6_P12ihipStream_tbENKUlT_T0_E_clISt17integral_constantIbLb1EESV_IbLb0EEEEDaSR_SS_EUlSR_E0_NS1_11comp_targetILNS1_3genE5ELNS1_11target_archE942ELNS1_3gpuE9ELNS1_3repE0EEENS1_30default_config_static_selectorELNS0_4arch9wavefront6targetE0EEEvT1_.num_agpr, 0
	.set _ZN7rocprim17ROCPRIM_400000_NS6detail17trampoline_kernelINS0_14default_configENS1_20scan_config_selectorIfEEZZNS1_9scan_implILNS1_25lookback_scan_determinismE0ELb0ELb0ES3_PKfPffZZZN2at6native31launch_logcumsumexp_cuda_kernelERKNSB_10TensorBaseESF_lENKUlvE_clEvENKUlvE0_clEvEUlffE_fEEDaPvRmT3_T4_T5_mT6_P12ihipStream_tbENKUlT_T0_E_clISt17integral_constantIbLb1EESV_IbLb0EEEEDaSR_SS_EUlSR_E0_NS1_11comp_targetILNS1_3genE5ELNS1_11target_archE942ELNS1_3gpuE9ELNS1_3repE0EEENS1_30default_config_static_selectorELNS0_4arch9wavefront6targetE0EEEvT1_.numbered_sgpr, 0
	.set _ZN7rocprim17ROCPRIM_400000_NS6detail17trampoline_kernelINS0_14default_configENS1_20scan_config_selectorIfEEZZNS1_9scan_implILNS1_25lookback_scan_determinismE0ELb0ELb0ES3_PKfPffZZZN2at6native31launch_logcumsumexp_cuda_kernelERKNSB_10TensorBaseESF_lENKUlvE_clEvENKUlvE0_clEvEUlffE_fEEDaPvRmT3_T4_T5_mT6_P12ihipStream_tbENKUlT_T0_E_clISt17integral_constantIbLb1EESV_IbLb0EEEEDaSR_SS_EUlSR_E0_NS1_11comp_targetILNS1_3genE5ELNS1_11target_archE942ELNS1_3gpuE9ELNS1_3repE0EEENS1_30default_config_static_selectorELNS0_4arch9wavefront6targetE0EEEvT1_.num_named_barrier, 0
	.set _ZN7rocprim17ROCPRIM_400000_NS6detail17trampoline_kernelINS0_14default_configENS1_20scan_config_selectorIfEEZZNS1_9scan_implILNS1_25lookback_scan_determinismE0ELb0ELb0ES3_PKfPffZZZN2at6native31launch_logcumsumexp_cuda_kernelERKNSB_10TensorBaseESF_lENKUlvE_clEvENKUlvE0_clEvEUlffE_fEEDaPvRmT3_T4_T5_mT6_P12ihipStream_tbENKUlT_T0_E_clISt17integral_constantIbLb1EESV_IbLb0EEEEDaSR_SS_EUlSR_E0_NS1_11comp_targetILNS1_3genE5ELNS1_11target_archE942ELNS1_3gpuE9ELNS1_3repE0EEENS1_30default_config_static_selectorELNS0_4arch9wavefront6targetE0EEEvT1_.private_seg_size, 0
	.set _ZN7rocprim17ROCPRIM_400000_NS6detail17trampoline_kernelINS0_14default_configENS1_20scan_config_selectorIfEEZZNS1_9scan_implILNS1_25lookback_scan_determinismE0ELb0ELb0ES3_PKfPffZZZN2at6native31launch_logcumsumexp_cuda_kernelERKNSB_10TensorBaseESF_lENKUlvE_clEvENKUlvE0_clEvEUlffE_fEEDaPvRmT3_T4_T5_mT6_P12ihipStream_tbENKUlT_T0_E_clISt17integral_constantIbLb1EESV_IbLb0EEEEDaSR_SS_EUlSR_E0_NS1_11comp_targetILNS1_3genE5ELNS1_11target_archE942ELNS1_3gpuE9ELNS1_3repE0EEENS1_30default_config_static_selectorELNS0_4arch9wavefront6targetE0EEEvT1_.uses_vcc, 0
	.set _ZN7rocprim17ROCPRIM_400000_NS6detail17trampoline_kernelINS0_14default_configENS1_20scan_config_selectorIfEEZZNS1_9scan_implILNS1_25lookback_scan_determinismE0ELb0ELb0ES3_PKfPffZZZN2at6native31launch_logcumsumexp_cuda_kernelERKNSB_10TensorBaseESF_lENKUlvE_clEvENKUlvE0_clEvEUlffE_fEEDaPvRmT3_T4_T5_mT6_P12ihipStream_tbENKUlT_T0_E_clISt17integral_constantIbLb1EESV_IbLb0EEEEDaSR_SS_EUlSR_E0_NS1_11comp_targetILNS1_3genE5ELNS1_11target_archE942ELNS1_3gpuE9ELNS1_3repE0EEENS1_30default_config_static_selectorELNS0_4arch9wavefront6targetE0EEEvT1_.uses_flat_scratch, 0
	.set _ZN7rocprim17ROCPRIM_400000_NS6detail17trampoline_kernelINS0_14default_configENS1_20scan_config_selectorIfEEZZNS1_9scan_implILNS1_25lookback_scan_determinismE0ELb0ELb0ES3_PKfPffZZZN2at6native31launch_logcumsumexp_cuda_kernelERKNSB_10TensorBaseESF_lENKUlvE_clEvENKUlvE0_clEvEUlffE_fEEDaPvRmT3_T4_T5_mT6_P12ihipStream_tbENKUlT_T0_E_clISt17integral_constantIbLb1EESV_IbLb0EEEEDaSR_SS_EUlSR_E0_NS1_11comp_targetILNS1_3genE5ELNS1_11target_archE942ELNS1_3gpuE9ELNS1_3repE0EEENS1_30default_config_static_selectorELNS0_4arch9wavefront6targetE0EEEvT1_.has_dyn_sized_stack, 0
	.set _ZN7rocprim17ROCPRIM_400000_NS6detail17trampoline_kernelINS0_14default_configENS1_20scan_config_selectorIfEEZZNS1_9scan_implILNS1_25lookback_scan_determinismE0ELb0ELb0ES3_PKfPffZZZN2at6native31launch_logcumsumexp_cuda_kernelERKNSB_10TensorBaseESF_lENKUlvE_clEvENKUlvE0_clEvEUlffE_fEEDaPvRmT3_T4_T5_mT6_P12ihipStream_tbENKUlT_T0_E_clISt17integral_constantIbLb1EESV_IbLb0EEEEDaSR_SS_EUlSR_E0_NS1_11comp_targetILNS1_3genE5ELNS1_11target_archE942ELNS1_3gpuE9ELNS1_3repE0EEENS1_30default_config_static_selectorELNS0_4arch9wavefront6targetE0EEEvT1_.has_recursion, 0
	.set _ZN7rocprim17ROCPRIM_400000_NS6detail17trampoline_kernelINS0_14default_configENS1_20scan_config_selectorIfEEZZNS1_9scan_implILNS1_25lookback_scan_determinismE0ELb0ELb0ES3_PKfPffZZZN2at6native31launch_logcumsumexp_cuda_kernelERKNSB_10TensorBaseESF_lENKUlvE_clEvENKUlvE0_clEvEUlffE_fEEDaPvRmT3_T4_T5_mT6_P12ihipStream_tbENKUlT_T0_E_clISt17integral_constantIbLb1EESV_IbLb0EEEEDaSR_SS_EUlSR_E0_NS1_11comp_targetILNS1_3genE5ELNS1_11target_archE942ELNS1_3gpuE9ELNS1_3repE0EEENS1_30default_config_static_selectorELNS0_4arch9wavefront6targetE0EEEvT1_.has_indirect_call, 0
	.section	.AMDGPU.csdata,"",@progbits
; Kernel info:
; codeLenInByte = 0
; TotalNumSgprs: 0
; NumVgprs: 0
; ScratchSize: 0
; MemoryBound: 0
; FloatMode: 240
; IeeeMode: 1
; LDSByteSize: 0 bytes/workgroup (compile time only)
; SGPRBlocks: 0
; VGPRBlocks: 0
; NumSGPRsForWavesPerEU: 1
; NumVGPRsForWavesPerEU: 1
; Occupancy: 16
; WaveLimiterHint : 0
; COMPUTE_PGM_RSRC2:SCRATCH_EN: 0
; COMPUTE_PGM_RSRC2:USER_SGPR: 2
; COMPUTE_PGM_RSRC2:TRAP_HANDLER: 0
; COMPUTE_PGM_RSRC2:TGID_X_EN: 1
; COMPUTE_PGM_RSRC2:TGID_Y_EN: 0
; COMPUTE_PGM_RSRC2:TGID_Z_EN: 0
; COMPUTE_PGM_RSRC2:TIDIG_COMP_CNT: 0
	.section	.text._ZN7rocprim17ROCPRIM_400000_NS6detail17trampoline_kernelINS0_14default_configENS1_20scan_config_selectorIfEEZZNS1_9scan_implILNS1_25lookback_scan_determinismE0ELb0ELb0ES3_PKfPffZZZN2at6native31launch_logcumsumexp_cuda_kernelERKNSB_10TensorBaseESF_lENKUlvE_clEvENKUlvE0_clEvEUlffE_fEEDaPvRmT3_T4_T5_mT6_P12ihipStream_tbENKUlT_T0_E_clISt17integral_constantIbLb1EESV_IbLb0EEEEDaSR_SS_EUlSR_E0_NS1_11comp_targetILNS1_3genE4ELNS1_11target_archE910ELNS1_3gpuE8ELNS1_3repE0EEENS1_30default_config_static_selectorELNS0_4arch9wavefront6targetE0EEEvT1_,"axG",@progbits,_ZN7rocprim17ROCPRIM_400000_NS6detail17trampoline_kernelINS0_14default_configENS1_20scan_config_selectorIfEEZZNS1_9scan_implILNS1_25lookback_scan_determinismE0ELb0ELb0ES3_PKfPffZZZN2at6native31launch_logcumsumexp_cuda_kernelERKNSB_10TensorBaseESF_lENKUlvE_clEvENKUlvE0_clEvEUlffE_fEEDaPvRmT3_T4_T5_mT6_P12ihipStream_tbENKUlT_T0_E_clISt17integral_constantIbLb1EESV_IbLb0EEEEDaSR_SS_EUlSR_E0_NS1_11comp_targetILNS1_3genE4ELNS1_11target_archE910ELNS1_3gpuE8ELNS1_3repE0EEENS1_30default_config_static_selectorELNS0_4arch9wavefront6targetE0EEEvT1_,comdat
	.globl	_ZN7rocprim17ROCPRIM_400000_NS6detail17trampoline_kernelINS0_14default_configENS1_20scan_config_selectorIfEEZZNS1_9scan_implILNS1_25lookback_scan_determinismE0ELb0ELb0ES3_PKfPffZZZN2at6native31launch_logcumsumexp_cuda_kernelERKNSB_10TensorBaseESF_lENKUlvE_clEvENKUlvE0_clEvEUlffE_fEEDaPvRmT3_T4_T5_mT6_P12ihipStream_tbENKUlT_T0_E_clISt17integral_constantIbLb1EESV_IbLb0EEEEDaSR_SS_EUlSR_E0_NS1_11comp_targetILNS1_3genE4ELNS1_11target_archE910ELNS1_3gpuE8ELNS1_3repE0EEENS1_30default_config_static_selectorELNS0_4arch9wavefront6targetE0EEEvT1_ ; -- Begin function _ZN7rocprim17ROCPRIM_400000_NS6detail17trampoline_kernelINS0_14default_configENS1_20scan_config_selectorIfEEZZNS1_9scan_implILNS1_25lookback_scan_determinismE0ELb0ELb0ES3_PKfPffZZZN2at6native31launch_logcumsumexp_cuda_kernelERKNSB_10TensorBaseESF_lENKUlvE_clEvENKUlvE0_clEvEUlffE_fEEDaPvRmT3_T4_T5_mT6_P12ihipStream_tbENKUlT_T0_E_clISt17integral_constantIbLb1EESV_IbLb0EEEEDaSR_SS_EUlSR_E0_NS1_11comp_targetILNS1_3genE4ELNS1_11target_archE910ELNS1_3gpuE8ELNS1_3repE0EEENS1_30default_config_static_selectorELNS0_4arch9wavefront6targetE0EEEvT1_
	.p2align	8
	.type	_ZN7rocprim17ROCPRIM_400000_NS6detail17trampoline_kernelINS0_14default_configENS1_20scan_config_selectorIfEEZZNS1_9scan_implILNS1_25lookback_scan_determinismE0ELb0ELb0ES3_PKfPffZZZN2at6native31launch_logcumsumexp_cuda_kernelERKNSB_10TensorBaseESF_lENKUlvE_clEvENKUlvE0_clEvEUlffE_fEEDaPvRmT3_T4_T5_mT6_P12ihipStream_tbENKUlT_T0_E_clISt17integral_constantIbLb1EESV_IbLb0EEEEDaSR_SS_EUlSR_E0_NS1_11comp_targetILNS1_3genE4ELNS1_11target_archE910ELNS1_3gpuE8ELNS1_3repE0EEENS1_30default_config_static_selectorELNS0_4arch9wavefront6targetE0EEEvT1_,@function
_ZN7rocprim17ROCPRIM_400000_NS6detail17trampoline_kernelINS0_14default_configENS1_20scan_config_selectorIfEEZZNS1_9scan_implILNS1_25lookback_scan_determinismE0ELb0ELb0ES3_PKfPffZZZN2at6native31launch_logcumsumexp_cuda_kernelERKNSB_10TensorBaseESF_lENKUlvE_clEvENKUlvE0_clEvEUlffE_fEEDaPvRmT3_T4_T5_mT6_P12ihipStream_tbENKUlT_T0_E_clISt17integral_constantIbLb1EESV_IbLb0EEEEDaSR_SS_EUlSR_E0_NS1_11comp_targetILNS1_3genE4ELNS1_11target_archE910ELNS1_3gpuE8ELNS1_3repE0EEENS1_30default_config_static_selectorELNS0_4arch9wavefront6targetE0EEEvT1_: ; @_ZN7rocprim17ROCPRIM_400000_NS6detail17trampoline_kernelINS0_14default_configENS1_20scan_config_selectorIfEEZZNS1_9scan_implILNS1_25lookback_scan_determinismE0ELb0ELb0ES3_PKfPffZZZN2at6native31launch_logcumsumexp_cuda_kernelERKNSB_10TensorBaseESF_lENKUlvE_clEvENKUlvE0_clEvEUlffE_fEEDaPvRmT3_T4_T5_mT6_P12ihipStream_tbENKUlT_T0_E_clISt17integral_constantIbLb1EESV_IbLb0EEEEDaSR_SS_EUlSR_E0_NS1_11comp_targetILNS1_3genE4ELNS1_11target_archE910ELNS1_3gpuE8ELNS1_3repE0EEENS1_30default_config_static_selectorELNS0_4arch9wavefront6targetE0EEEvT1_
; %bb.0:
	.section	.rodata,"a",@progbits
	.p2align	6, 0x0
	.amdhsa_kernel _ZN7rocprim17ROCPRIM_400000_NS6detail17trampoline_kernelINS0_14default_configENS1_20scan_config_selectorIfEEZZNS1_9scan_implILNS1_25lookback_scan_determinismE0ELb0ELb0ES3_PKfPffZZZN2at6native31launch_logcumsumexp_cuda_kernelERKNSB_10TensorBaseESF_lENKUlvE_clEvENKUlvE0_clEvEUlffE_fEEDaPvRmT3_T4_T5_mT6_P12ihipStream_tbENKUlT_T0_E_clISt17integral_constantIbLb1EESV_IbLb0EEEEDaSR_SS_EUlSR_E0_NS1_11comp_targetILNS1_3genE4ELNS1_11target_archE910ELNS1_3gpuE8ELNS1_3repE0EEENS1_30default_config_static_selectorELNS0_4arch9wavefront6targetE0EEEvT1_
		.amdhsa_group_segment_fixed_size 0
		.amdhsa_private_segment_fixed_size 0
		.amdhsa_kernarg_size 32
		.amdhsa_user_sgpr_count 2
		.amdhsa_user_sgpr_dispatch_ptr 0
		.amdhsa_user_sgpr_queue_ptr 0
		.amdhsa_user_sgpr_kernarg_segment_ptr 1
		.amdhsa_user_sgpr_dispatch_id 0
		.amdhsa_user_sgpr_private_segment_size 0
		.amdhsa_wavefront_size32 1
		.amdhsa_uses_dynamic_stack 0
		.amdhsa_enable_private_segment 0
		.amdhsa_system_sgpr_workgroup_id_x 1
		.amdhsa_system_sgpr_workgroup_id_y 0
		.amdhsa_system_sgpr_workgroup_id_z 0
		.amdhsa_system_sgpr_workgroup_info 0
		.amdhsa_system_vgpr_workitem_id 0
		.amdhsa_next_free_vgpr 1
		.amdhsa_next_free_sgpr 1
		.amdhsa_reserve_vcc 0
		.amdhsa_float_round_mode_32 0
		.amdhsa_float_round_mode_16_64 0
		.amdhsa_float_denorm_mode_32 3
		.amdhsa_float_denorm_mode_16_64 3
		.amdhsa_fp16_overflow 0
		.amdhsa_workgroup_processor_mode 1
		.amdhsa_memory_ordered 1
		.amdhsa_forward_progress 1
		.amdhsa_inst_pref_size 0
		.amdhsa_round_robin_scheduling 0
		.amdhsa_exception_fp_ieee_invalid_op 0
		.amdhsa_exception_fp_denorm_src 0
		.amdhsa_exception_fp_ieee_div_zero 0
		.amdhsa_exception_fp_ieee_overflow 0
		.amdhsa_exception_fp_ieee_underflow 0
		.amdhsa_exception_fp_ieee_inexact 0
		.amdhsa_exception_int_div_zero 0
	.end_amdhsa_kernel
	.section	.text._ZN7rocprim17ROCPRIM_400000_NS6detail17trampoline_kernelINS0_14default_configENS1_20scan_config_selectorIfEEZZNS1_9scan_implILNS1_25lookback_scan_determinismE0ELb0ELb0ES3_PKfPffZZZN2at6native31launch_logcumsumexp_cuda_kernelERKNSB_10TensorBaseESF_lENKUlvE_clEvENKUlvE0_clEvEUlffE_fEEDaPvRmT3_T4_T5_mT6_P12ihipStream_tbENKUlT_T0_E_clISt17integral_constantIbLb1EESV_IbLb0EEEEDaSR_SS_EUlSR_E0_NS1_11comp_targetILNS1_3genE4ELNS1_11target_archE910ELNS1_3gpuE8ELNS1_3repE0EEENS1_30default_config_static_selectorELNS0_4arch9wavefront6targetE0EEEvT1_,"axG",@progbits,_ZN7rocprim17ROCPRIM_400000_NS6detail17trampoline_kernelINS0_14default_configENS1_20scan_config_selectorIfEEZZNS1_9scan_implILNS1_25lookback_scan_determinismE0ELb0ELb0ES3_PKfPffZZZN2at6native31launch_logcumsumexp_cuda_kernelERKNSB_10TensorBaseESF_lENKUlvE_clEvENKUlvE0_clEvEUlffE_fEEDaPvRmT3_T4_T5_mT6_P12ihipStream_tbENKUlT_T0_E_clISt17integral_constantIbLb1EESV_IbLb0EEEEDaSR_SS_EUlSR_E0_NS1_11comp_targetILNS1_3genE4ELNS1_11target_archE910ELNS1_3gpuE8ELNS1_3repE0EEENS1_30default_config_static_selectorELNS0_4arch9wavefront6targetE0EEEvT1_,comdat
.Lfunc_end145:
	.size	_ZN7rocprim17ROCPRIM_400000_NS6detail17trampoline_kernelINS0_14default_configENS1_20scan_config_selectorIfEEZZNS1_9scan_implILNS1_25lookback_scan_determinismE0ELb0ELb0ES3_PKfPffZZZN2at6native31launch_logcumsumexp_cuda_kernelERKNSB_10TensorBaseESF_lENKUlvE_clEvENKUlvE0_clEvEUlffE_fEEDaPvRmT3_T4_T5_mT6_P12ihipStream_tbENKUlT_T0_E_clISt17integral_constantIbLb1EESV_IbLb0EEEEDaSR_SS_EUlSR_E0_NS1_11comp_targetILNS1_3genE4ELNS1_11target_archE910ELNS1_3gpuE8ELNS1_3repE0EEENS1_30default_config_static_selectorELNS0_4arch9wavefront6targetE0EEEvT1_, .Lfunc_end145-_ZN7rocprim17ROCPRIM_400000_NS6detail17trampoline_kernelINS0_14default_configENS1_20scan_config_selectorIfEEZZNS1_9scan_implILNS1_25lookback_scan_determinismE0ELb0ELb0ES3_PKfPffZZZN2at6native31launch_logcumsumexp_cuda_kernelERKNSB_10TensorBaseESF_lENKUlvE_clEvENKUlvE0_clEvEUlffE_fEEDaPvRmT3_T4_T5_mT6_P12ihipStream_tbENKUlT_T0_E_clISt17integral_constantIbLb1EESV_IbLb0EEEEDaSR_SS_EUlSR_E0_NS1_11comp_targetILNS1_3genE4ELNS1_11target_archE910ELNS1_3gpuE8ELNS1_3repE0EEENS1_30default_config_static_selectorELNS0_4arch9wavefront6targetE0EEEvT1_
                                        ; -- End function
	.set _ZN7rocprim17ROCPRIM_400000_NS6detail17trampoline_kernelINS0_14default_configENS1_20scan_config_selectorIfEEZZNS1_9scan_implILNS1_25lookback_scan_determinismE0ELb0ELb0ES3_PKfPffZZZN2at6native31launch_logcumsumexp_cuda_kernelERKNSB_10TensorBaseESF_lENKUlvE_clEvENKUlvE0_clEvEUlffE_fEEDaPvRmT3_T4_T5_mT6_P12ihipStream_tbENKUlT_T0_E_clISt17integral_constantIbLb1EESV_IbLb0EEEEDaSR_SS_EUlSR_E0_NS1_11comp_targetILNS1_3genE4ELNS1_11target_archE910ELNS1_3gpuE8ELNS1_3repE0EEENS1_30default_config_static_selectorELNS0_4arch9wavefront6targetE0EEEvT1_.num_vgpr, 0
	.set _ZN7rocprim17ROCPRIM_400000_NS6detail17trampoline_kernelINS0_14default_configENS1_20scan_config_selectorIfEEZZNS1_9scan_implILNS1_25lookback_scan_determinismE0ELb0ELb0ES3_PKfPffZZZN2at6native31launch_logcumsumexp_cuda_kernelERKNSB_10TensorBaseESF_lENKUlvE_clEvENKUlvE0_clEvEUlffE_fEEDaPvRmT3_T4_T5_mT6_P12ihipStream_tbENKUlT_T0_E_clISt17integral_constantIbLb1EESV_IbLb0EEEEDaSR_SS_EUlSR_E0_NS1_11comp_targetILNS1_3genE4ELNS1_11target_archE910ELNS1_3gpuE8ELNS1_3repE0EEENS1_30default_config_static_selectorELNS0_4arch9wavefront6targetE0EEEvT1_.num_agpr, 0
	.set _ZN7rocprim17ROCPRIM_400000_NS6detail17trampoline_kernelINS0_14default_configENS1_20scan_config_selectorIfEEZZNS1_9scan_implILNS1_25lookback_scan_determinismE0ELb0ELb0ES3_PKfPffZZZN2at6native31launch_logcumsumexp_cuda_kernelERKNSB_10TensorBaseESF_lENKUlvE_clEvENKUlvE0_clEvEUlffE_fEEDaPvRmT3_T4_T5_mT6_P12ihipStream_tbENKUlT_T0_E_clISt17integral_constantIbLb1EESV_IbLb0EEEEDaSR_SS_EUlSR_E0_NS1_11comp_targetILNS1_3genE4ELNS1_11target_archE910ELNS1_3gpuE8ELNS1_3repE0EEENS1_30default_config_static_selectorELNS0_4arch9wavefront6targetE0EEEvT1_.numbered_sgpr, 0
	.set _ZN7rocprim17ROCPRIM_400000_NS6detail17trampoline_kernelINS0_14default_configENS1_20scan_config_selectorIfEEZZNS1_9scan_implILNS1_25lookback_scan_determinismE0ELb0ELb0ES3_PKfPffZZZN2at6native31launch_logcumsumexp_cuda_kernelERKNSB_10TensorBaseESF_lENKUlvE_clEvENKUlvE0_clEvEUlffE_fEEDaPvRmT3_T4_T5_mT6_P12ihipStream_tbENKUlT_T0_E_clISt17integral_constantIbLb1EESV_IbLb0EEEEDaSR_SS_EUlSR_E0_NS1_11comp_targetILNS1_3genE4ELNS1_11target_archE910ELNS1_3gpuE8ELNS1_3repE0EEENS1_30default_config_static_selectorELNS0_4arch9wavefront6targetE0EEEvT1_.num_named_barrier, 0
	.set _ZN7rocprim17ROCPRIM_400000_NS6detail17trampoline_kernelINS0_14default_configENS1_20scan_config_selectorIfEEZZNS1_9scan_implILNS1_25lookback_scan_determinismE0ELb0ELb0ES3_PKfPffZZZN2at6native31launch_logcumsumexp_cuda_kernelERKNSB_10TensorBaseESF_lENKUlvE_clEvENKUlvE0_clEvEUlffE_fEEDaPvRmT3_T4_T5_mT6_P12ihipStream_tbENKUlT_T0_E_clISt17integral_constantIbLb1EESV_IbLb0EEEEDaSR_SS_EUlSR_E0_NS1_11comp_targetILNS1_3genE4ELNS1_11target_archE910ELNS1_3gpuE8ELNS1_3repE0EEENS1_30default_config_static_selectorELNS0_4arch9wavefront6targetE0EEEvT1_.private_seg_size, 0
	.set _ZN7rocprim17ROCPRIM_400000_NS6detail17trampoline_kernelINS0_14default_configENS1_20scan_config_selectorIfEEZZNS1_9scan_implILNS1_25lookback_scan_determinismE0ELb0ELb0ES3_PKfPffZZZN2at6native31launch_logcumsumexp_cuda_kernelERKNSB_10TensorBaseESF_lENKUlvE_clEvENKUlvE0_clEvEUlffE_fEEDaPvRmT3_T4_T5_mT6_P12ihipStream_tbENKUlT_T0_E_clISt17integral_constantIbLb1EESV_IbLb0EEEEDaSR_SS_EUlSR_E0_NS1_11comp_targetILNS1_3genE4ELNS1_11target_archE910ELNS1_3gpuE8ELNS1_3repE0EEENS1_30default_config_static_selectorELNS0_4arch9wavefront6targetE0EEEvT1_.uses_vcc, 0
	.set _ZN7rocprim17ROCPRIM_400000_NS6detail17trampoline_kernelINS0_14default_configENS1_20scan_config_selectorIfEEZZNS1_9scan_implILNS1_25lookback_scan_determinismE0ELb0ELb0ES3_PKfPffZZZN2at6native31launch_logcumsumexp_cuda_kernelERKNSB_10TensorBaseESF_lENKUlvE_clEvENKUlvE0_clEvEUlffE_fEEDaPvRmT3_T4_T5_mT6_P12ihipStream_tbENKUlT_T0_E_clISt17integral_constantIbLb1EESV_IbLb0EEEEDaSR_SS_EUlSR_E0_NS1_11comp_targetILNS1_3genE4ELNS1_11target_archE910ELNS1_3gpuE8ELNS1_3repE0EEENS1_30default_config_static_selectorELNS0_4arch9wavefront6targetE0EEEvT1_.uses_flat_scratch, 0
	.set _ZN7rocprim17ROCPRIM_400000_NS6detail17trampoline_kernelINS0_14default_configENS1_20scan_config_selectorIfEEZZNS1_9scan_implILNS1_25lookback_scan_determinismE0ELb0ELb0ES3_PKfPffZZZN2at6native31launch_logcumsumexp_cuda_kernelERKNSB_10TensorBaseESF_lENKUlvE_clEvENKUlvE0_clEvEUlffE_fEEDaPvRmT3_T4_T5_mT6_P12ihipStream_tbENKUlT_T0_E_clISt17integral_constantIbLb1EESV_IbLb0EEEEDaSR_SS_EUlSR_E0_NS1_11comp_targetILNS1_3genE4ELNS1_11target_archE910ELNS1_3gpuE8ELNS1_3repE0EEENS1_30default_config_static_selectorELNS0_4arch9wavefront6targetE0EEEvT1_.has_dyn_sized_stack, 0
	.set _ZN7rocprim17ROCPRIM_400000_NS6detail17trampoline_kernelINS0_14default_configENS1_20scan_config_selectorIfEEZZNS1_9scan_implILNS1_25lookback_scan_determinismE0ELb0ELb0ES3_PKfPffZZZN2at6native31launch_logcumsumexp_cuda_kernelERKNSB_10TensorBaseESF_lENKUlvE_clEvENKUlvE0_clEvEUlffE_fEEDaPvRmT3_T4_T5_mT6_P12ihipStream_tbENKUlT_T0_E_clISt17integral_constantIbLb1EESV_IbLb0EEEEDaSR_SS_EUlSR_E0_NS1_11comp_targetILNS1_3genE4ELNS1_11target_archE910ELNS1_3gpuE8ELNS1_3repE0EEENS1_30default_config_static_selectorELNS0_4arch9wavefront6targetE0EEEvT1_.has_recursion, 0
	.set _ZN7rocprim17ROCPRIM_400000_NS6detail17trampoline_kernelINS0_14default_configENS1_20scan_config_selectorIfEEZZNS1_9scan_implILNS1_25lookback_scan_determinismE0ELb0ELb0ES3_PKfPffZZZN2at6native31launch_logcumsumexp_cuda_kernelERKNSB_10TensorBaseESF_lENKUlvE_clEvENKUlvE0_clEvEUlffE_fEEDaPvRmT3_T4_T5_mT6_P12ihipStream_tbENKUlT_T0_E_clISt17integral_constantIbLb1EESV_IbLb0EEEEDaSR_SS_EUlSR_E0_NS1_11comp_targetILNS1_3genE4ELNS1_11target_archE910ELNS1_3gpuE8ELNS1_3repE0EEENS1_30default_config_static_selectorELNS0_4arch9wavefront6targetE0EEEvT1_.has_indirect_call, 0
	.section	.AMDGPU.csdata,"",@progbits
; Kernel info:
; codeLenInByte = 0
; TotalNumSgprs: 0
; NumVgprs: 0
; ScratchSize: 0
; MemoryBound: 0
; FloatMode: 240
; IeeeMode: 1
; LDSByteSize: 0 bytes/workgroup (compile time only)
; SGPRBlocks: 0
; VGPRBlocks: 0
; NumSGPRsForWavesPerEU: 1
; NumVGPRsForWavesPerEU: 1
; Occupancy: 16
; WaveLimiterHint : 0
; COMPUTE_PGM_RSRC2:SCRATCH_EN: 0
; COMPUTE_PGM_RSRC2:USER_SGPR: 2
; COMPUTE_PGM_RSRC2:TRAP_HANDLER: 0
; COMPUTE_PGM_RSRC2:TGID_X_EN: 1
; COMPUTE_PGM_RSRC2:TGID_Y_EN: 0
; COMPUTE_PGM_RSRC2:TGID_Z_EN: 0
; COMPUTE_PGM_RSRC2:TIDIG_COMP_CNT: 0
	.section	.text._ZN7rocprim17ROCPRIM_400000_NS6detail17trampoline_kernelINS0_14default_configENS1_20scan_config_selectorIfEEZZNS1_9scan_implILNS1_25lookback_scan_determinismE0ELb0ELb0ES3_PKfPffZZZN2at6native31launch_logcumsumexp_cuda_kernelERKNSB_10TensorBaseESF_lENKUlvE_clEvENKUlvE0_clEvEUlffE_fEEDaPvRmT3_T4_T5_mT6_P12ihipStream_tbENKUlT_T0_E_clISt17integral_constantIbLb1EESV_IbLb0EEEEDaSR_SS_EUlSR_E0_NS1_11comp_targetILNS1_3genE3ELNS1_11target_archE908ELNS1_3gpuE7ELNS1_3repE0EEENS1_30default_config_static_selectorELNS0_4arch9wavefront6targetE0EEEvT1_,"axG",@progbits,_ZN7rocprim17ROCPRIM_400000_NS6detail17trampoline_kernelINS0_14default_configENS1_20scan_config_selectorIfEEZZNS1_9scan_implILNS1_25lookback_scan_determinismE0ELb0ELb0ES3_PKfPffZZZN2at6native31launch_logcumsumexp_cuda_kernelERKNSB_10TensorBaseESF_lENKUlvE_clEvENKUlvE0_clEvEUlffE_fEEDaPvRmT3_T4_T5_mT6_P12ihipStream_tbENKUlT_T0_E_clISt17integral_constantIbLb1EESV_IbLb0EEEEDaSR_SS_EUlSR_E0_NS1_11comp_targetILNS1_3genE3ELNS1_11target_archE908ELNS1_3gpuE7ELNS1_3repE0EEENS1_30default_config_static_selectorELNS0_4arch9wavefront6targetE0EEEvT1_,comdat
	.globl	_ZN7rocprim17ROCPRIM_400000_NS6detail17trampoline_kernelINS0_14default_configENS1_20scan_config_selectorIfEEZZNS1_9scan_implILNS1_25lookback_scan_determinismE0ELb0ELb0ES3_PKfPffZZZN2at6native31launch_logcumsumexp_cuda_kernelERKNSB_10TensorBaseESF_lENKUlvE_clEvENKUlvE0_clEvEUlffE_fEEDaPvRmT3_T4_T5_mT6_P12ihipStream_tbENKUlT_T0_E_clISt17integral_constantIbLb1EESV_IbLb0EEEEDaSR_SS_EUlSR_E0_NS1_11comp_targetILNS1_3genE3ELNS1_11target_archE908ELNS1_3gpuE7ELNS1_3repE0EEENS1_30default_config_static_selectorELNS0_4arch9wavefront6targetE0EEEvT1_ ; -- Begin function _ZN7rocprim17ROCPRIM_400000_NS6detail17trampoline_kernelINS0_14default_configENS1_20scan_config_selectorIfEEZZNS1_9scan_implILNS1_25lookback_scan_determinismE0ELb0ELb0ES3_PKfPffZZZN2at6native31launch_logcumsumexp_cuda_kernelERKNSB_10TensorBaseESF_lENKUlvE_clEvENKUlvE0_clEvEUlffE_fEEDaPvRmT3_T4_T5_mT6_P12ihipStream_tbENKUlT_T0_E_clISt17integral_constantIbLb1EESV_IbLb0EEEEDaSR_SS_EUlSR_E0_NS1_11comp_targetILNS1_3genE3ELNS1_11target_archE908ELNS1_3gpuE7ELNS1_3repE0EEENS1_30default_config_static_selectorELNS0_4arch9wavefront6targetE0EEEvT1_
	.p2align	8
	.type	_ZN7rocprim17ROCPRIM_400000_NS6detail17trampoline_kernelINS0_14default_configENS1_20scan_config_selectorIfEEZZNS1_9scan_implILNS1_25lookback_scan_determinismE0ELb0ELb0ES3_PKfPffZZZN2at6native31launch_logcumsumexp_cuda_kernelERKNSB_10TensorBaseESF_lENKUlvE_clEvENKUlvE0_clEvEUlffE_fEEDaPvRmT3_T4_T5_mT6_P12ihipStream_tbENKUlT_T0_E_clISt17integral_constantIbLb1EESV_IbLb0EEEEDaSR_SS_EUlSR_E0_NS1_11comp_targetILNS1_3genE3ELNS1_11target_archE908ELNS1_3gpuE7ELNS1_3repE0EEENS1_30default_config_static_selectorELNS0_4arch9wavefront6targetE0EEEvT1_,@function
_ZN7rocprim17ROCPRIM_400000_NS6detail17trampoline_kernelINS0_14default_configENS1_20scan_config_selectorIfEEZZNS1_9scan_implILNS1_25lookback_scan_determinismE0ELb0ELb0ES3_PKfPffZZZN2at6native31launch_logcumsumexp_cuda_kernelERKNSB_10TensorBaseESF_lENKUlvE_clEvENKUlvE0_clEvEUlffE_fEEDaPvRmT3_T4_T5_mT6_P12ihipStream_tbENKUlT_T0_E_clISt17integral_constantIbLb1EESV_IbLb0EEEEDaSR_SS_EUlSR_E0_NS1_11comp_targetILNS1_3genE3ELNS1_11target_archE908ELNS1_3gpuE7ELNS1_3repE0EEENS1_30default_config_static_selectorELNS0_4arch9wavefront6targetE0EEEvT1_: ; @_ZN7rocprim17ROCPRIM_400000_NS6detail17trampoline_kernelINS0_14default_configENS1_20scan_config_selectorIfEEZZNS1_9scan_implILNS1_25lookback_scan_determinismE0ELb0ELb0ES3_PKfPffZZZN2at6native31launch_logcumsumexp_cuda_kernelERKNSB_10TensorBaseESF_lENKUlvE_clEvENKUlvE0_clEvEUlffE_fEEDaPvRmT3_T4_T5_mT6_P12ihipStream_tbENKUlT_T0_E_clISt17integral_constantIbLb1EESV_IbLb0EEEEDaSR_SS_EUlSR_E0_NS1_11comp_targetILNS1_3genE3ELNS1_11target_archE908ELNS1_3gpuE7ELNS1_3repE0EEENS1_30default_config_static_selectorELNS0_4arch9wavefront6targetE0EEEvT1_
; %bb.0:
	.section	.rodata,"a",@progbits
	.p2align	6, 0x0
	.amdhsa_kernel _ZN7rocprim17ROCPRIM_400000_NS6detail17trampoline_kernelINS0_14default_configENS1_20scan_config_selectorIfEEZZNS1_9scan_implILNS1_25lookback_scan_determinismE0ELb0ELb0ES3_PKfPffZZZN2at6native31launch_logcumsumexp_cuda_kernelERKNSB_10TensorBaseESF_lENKUlvE_clEvENKUlvE0_clEvEUlffE_fEEDaPvRmT3_T4_T5_mT6_P12ihipStream_tbENKUlT_T0_E_clISt17integral_constantIbLb1EESV_IbLb0EEEEDaSR_SS_EUlSR_E0_NS1_11comp_targetILNS1_3genE3ELNS1_11target_archE908ELNS1_3gpuE7ELNS1_3repE0EEENS1_30default_config_static_selectorELNS0_4arch9wavefront6targetE0EEEvT1_
		.amdhsa_group_segment_fixed_size 0
		.amdhsa_private_segment_fixed_size 0
		.amdhsa_kernarg_size 32
		.amdhsa_user_sgpr_count 2
		.amdhsa_user_sgpr_dispatch_ptr 0
		.amdhsa_user_sgpr_queue_ptr 0
		.amdhsa_user_sgpr_kernarg_segment_ptr 1
		.amdhsa_user_sgpr_dispatch_id 0
		.amdhsa_user_sgpr_private_segment_size 0
		.amdhsa_wavefront_size32 1
		.amdhsa_uses_dynamic_stack 0
		.amdhsa_enable_private_segment 0
		.amdhsa_system_sgpr_workgroup_id_x 1
		.amdhsa_system_sgpr_workgroup_id_y 0
		.amdhsa_system_sgpr_workgroup_id_z 0
		.amdhsa_system_sgpr_workgroup_info 0
		.amdhsa_system_vgpr_workitem_id 0
		.amdhsa_next_free_vgpr 1
		.amdhsa_next_free_sgpr 1
		.amdhsa_reserve_vcc 0
		.amdhsa_float_round_mode_32 0
		.amdhsa_float_round_mode_16_64 0
		.amdhsa_float_denorm_mode_32 3
		.amdhsa_float_denorm_mode_16_64 3
		.amdhsa_fp16_overflow 0
		.amdhsa_workgroup_processor_mode 1
		.amdhsa_memory_ordered 1
		.amdhsa_forward_progress 1
		.amdhsa_inst_pref_size 0
		.amdhsa_round_robin_scheduling 0
		.amdhsa_exception_fp_ieee_invalid_op 0
		.amdhsa_exception_fp_denorm_src 0
		.amdhsa_exception_fp_ieee_div_zero 0
		.amdhsa_exception_fp_ieee_overflow 0
		.amdhsa_exception_fp_ieee_underflow 0
		.amdhsa_exception_fp_ieee_inexact 0
		.amdhsa_exception_int_div_zero 0
	.end_amdhsa_kernel
	.section	.text._ZN7rocprim17ROCPRIM_400000_NS6detail17trampoline_kernelINS0_14default_configENS1_20scan_config_selectorIfEEZZNS1_9scan_implILNS1_25lookback_scan_determinismE0ELb0ELb0ES3_PKfPffZZZN2at6native31launch_logcumsumexp_cuda_kernelERKNSB_10TensorBaseESF_lENKUlvE_clEvENKUlvE0_clEvEUlffE_fEEDaPvRmT3_T4_T5_mT6_P12ihipStream_tbENKUlT_T0_E_clISt17integral_constantIbLb1EESV_IbLb0EEEEDaSR_SS_EUlSR_E0_NS1_11comp_targetILNS1_3genE3ELNS1_11target_archE908ELNS1_3gpuE7ELNS1_3repE0EEENS1_30default_config_static_selectorELNS0_4arch9wavefront6targetE0EEEvT1_,"axG",@progbits,_ZN7rocprim17ROCPRIM_400000_NS6detail17trampoline_kernelINS0_14default_configENS1_20scan_config_selectorIfEEZZNS1_9scan_implILNS1_25lookback_scan_determinismE0ELb0ELb0ES3_PKfPffZZZN2at6native31launch_logcumsumexp_cuda_kernelERKNSB_10TensorBaseESF_lENKUlvE_clEvENKUlvE0_clEvEUlffE_fEEDaPvRmT3_T4_T5_mT6_P12ihipStream_tbENKUlT_T0_E_clISt17integral_constantIbLb1EESV_IbLb0EEEEDaSR_SS_EUlSR_E0_NS1_11comp_targetILNS1_3genE3ELNS1_11target_archE908ELNS1_3gpuE7ELNS1_3repE0EEENS1_30default_config_static_selectorELNS0_4arch9wavefront6targetE0EEEvT1_,comdat
.Lfunc_end146:
	.size	_ZN7rocprim17ROCPRIM_400000_NS6detail17trampoline_kernelINS0_14default_configENS1_20scan_config_selectorIfEEZZNS1_9scan_implILNS1_25lookback_scan_determinismE0ELb0ELb0ES3_PKfPffZZZN2at6native31launch_logcumsumexp_cuda_kernelERKNSB_10TensorBaseESF_lENKUlvE_clEvENKUlvE0_clEvEUlffE_fEEDaPvRmT3_T4_T5_mT6_P12ihipStream_tbENKUlT_T0_E_clISt17integral_constantIbLb1EESV_IbLb0EEEEDaSR_SS_EUlSR_E0_NS1_11comp_targetILNS1_3genE3ELNS1_11target_archE908ELNS1_3gpuE7ELNS1_3repE0EEENS1_30default_config_static_selectorELNS0_4arch9wavefront6targetE0EEEvT1_, .Lfunc_end146-_ZN7rocprim17ROCPRIM_400000_NS6detail17trampoline_kernelINS0_14default_configENS1_20scan_config_selectorIfEEZZNS1_9scan_implILNS1_25lookback_scan_determinismE0ELb0ELb0ES3_PKfPffZZZN2at6native31launch_logcumsumexp_cuda_kernelERKNSB_10TensorBaseESF_lENKUlvE_clEvENKUlvE0_clEvEUlffE_fEEDaPvRmT3_T4_T5_mT6_P12ihipStream_tbENKUlT_T0_E_clISt17integral_constantIbLb1EESV_IbLb0EEEEDaSR_SS_EUlSR_E0_NS1_11comp_targetILNS1_3genE3ELNS1_11target_archE908ELNS1_3gpuE7ELNS1_3repE0EEENS1_30default_config_static_selectorELNS0_4arch9wavefront6targetE0EEEvT1_
                                        ; -- End function
	.set _ZN7rocprim17ROCPRIM_400000_NS6detail17trampoline_kernelINS0_14default_configENS1_20scan_config_selectorIfEEZZNS1_9scan_implILNS1_25lookback_scan_determinismE0ELb0ELb0ES3_PKfPffZZZN2at6native31launch_logcumsumexp_cuda_kernelERKNSB_10TensorBaseESF_lENKUlvE_clEvENKUlvE0_clEvEUlffE_fEEDaPvRmT3_T4_T5_mT6_P12ihipStream_tbENKUlT_T0_E_clISt17integral_constantIbLb1EESV_IbLb0EEEEDaSR_SS_EUlSR_E0_NS1_11comp_targetILNS1_3genE3ELNS1_11target_archE908ELNS1_3gpuE7ELNS1_3repE0EEENS1_30default_config_static_selectorELNS0_4arch9wavefront6targetE0EEEvT1_.num_vgpr, 0
	.set _ZN7rocprim17ROCPRIM_400000_NS6detail17trampoline_kernelINS0_14default_configENS1_20scan_config_selectorIfEEZZNS1_9scan_implILNS1_25lookback_scan_determinismE0ELb0ELb0ES3_PKfPffZZZN2at6native31launch_logcumsumexp_cuda_kernelERKNSB_10TensorBaseESF_lENKUlvE_clEvENKUlvE0_clEvEUlffE_fEEDaPvRmT3_T4_T5_mT6_P12ihipStream_tbENKUlT_T0_E_clISt17integral_constantIbLb1EESV_IbLb0EEEEDaSR_SS_EUlSR_E0_NS1_11comp_targetILNS1_3genE3ELNS1_11target_archE908ELNS1_3gpuE7ELNS1_3repE0EEENS1_30default_config_static_selectorELNS0_4arch9wavefront6targetE0EEEvT1_.num_agpr, 0
	.set _ZN7rocprim17ROCPRIM_400000_NS6detail17trampoline_kernelINS0_14default_configENS1_20scan_config_selectorIfEEZZNS1_9scan_implILNS1_25lookback_scan_determinismE0ELb0ELb0ES3_PKfPffZZZN2at6native31launch_logcumsumexp_cuda_kernelERKNSB_10TensorBaseESF_lENKUlvE_clEvENKUlvE0_clEvEUlffE_fEEDaPvRmT3_T4_T5_mT6_P12ihipStream_tbENKUlT_T0_E_clISt17integral_constantIbLb1EESV_IbLb0EEEEDaSR_SS_EUlSR_E0_NS1_11comp_targetILNS1_3genE3ELNS1_11target_archE908ELNS1_3gpuE7ELNS1_3repE0EEENS1_30default_config_static_selectorELNS0_4arch9wavefront6targetE0EEEvT1_.numbered_sgpr, 0
	.set _ZN7rocprim17ROCPRIM_400000_NS6detail17trampoline_kernelINS0_14default_configENS1_20scan_config_selectorIfEEZZNS1_9scan_implILNS1_25lookback_scan_determinismE0ELb0ELb0ES3_PKfPffZZZN2at6native31launch_logcumsumexp_cuda_kernelERKNSB_10TensorBaseESF_lENKUlvE_clEvENKUlvE0_clEvEUlffE_fEEDaPvRmT3_T4_T5_mT6_P12ihipStream_tbENKUlT_T0_E_clISt17integral_constantIbLb1EESV_IbLb0EEEEDaSR_SS_EUlSR_E0_NS1_11comp_targetILNS1_3genE3ELNS1_11target_archE908ELNS1_3gpuE7ELNS1_3repE0EEENS1_30default_config_static_selectorELNS0_4arch9wavefront6targetE0EEEvT1_.num_named_barrier, 0
	.set _ZN7rocprim17ROCPRIM_400000_NS6detail17trampoline_kernelINS0_14default_configENS1_20scan_config_selectorIfEEZZNS1_9scan_implILNS1_25lookback_scan_determinismE0ELb0ELb0ES3_PKfPffZZZN2at6native31launch_logcumsumexp_cuda_kernelERKNSB_10TensorBaseESF_lENKUlvE_clEvENKUlvE0_clEvEUlffE_fEEDaPvRmT3_T4_T5_mT6_P12ihipStream_tbENKUlT_T0_E_clISt17integral_constantIbLb1EESV_IbLb0EEEEDaSR_SS_EUlSR_E0_NS1_11comp_targetILNS1_3genE3ELNS1_11target_archE908ELNS1_3gpuE7ELNS1_3repE0EEENS1_30default_config_static_selectorELNS0_4arch9wavefront6targetE0EEEvT1_.private_seg_size, 0
	.set _ZN7rocprim17ROCPRIM_400000_NS6detail17trampoline_kernelINS0_14default_configENS1_20scan_config_selectorIfEEZZNS1_9scan_implILNS1_25lookback_scan_determinismE0ELb0ELb0ES3_PKfPffZZZN2at6native31launch_logcumsumexp_cuda_kernelERKNSB_10TensorBaseESF_lENKUlvE_clEvENKUlvE0_clEvEUlffE_fEEDaPvRmT3_T4_T5_mT6_P12ihipStream_tbENKUlT_T0_E_clISt17integral_constantIbLb1EESV_IbLb0EEEEDaSR_SS_EUlSR_E0_NS1_11comp_targetILNS1_3genE3ELNS1_11target_archE908ELNS1_3gpuE7ELNS1_3repE0EEENS1_30default_config_static_selectorELNS0_4arch9wavefront6targetE0EEEvT1_.uses_vcc, 0
	.set _ZN7rocprim17ROCPRIM_400000_NS6detail17trampoline_kernelINS0_14default_configENS1_20scan_config_selectorIfEEZZNS1_9scan_implILNS1_25lookback_scan_determinismE0ELb0ELb0ES3_PKfPffZZZN2at6native31launch_logcumsumexp_cuda_kernelERKNSB_10TensorBaseESF_lENKUlvE_clEvENKUlvE0_clEvEUlffE_fEEDaPvRmT3_T4_T5_mT6_P12ihipStream_tbENKUlT_T0_E_clISt17integral_constantIbLb1EESV_IbLb0EEEEDaSR_SS_EUlSR_E0_NS1_11comp_targetILNS1_3genE3ELNS1_11target_archE908ELNS1_3gpuE7ELNS1_3repE0EEENS1_30default_config_static_selectorELNS0_4arch9wavefront6targetE0EEEvT1_.uses_flat_scratch, 0
	.set _ZN7rocprim17ROCPRIM_400000_NS6detail17trampoline_kernelINS0_14default_configENS1_20scan_config_selectorIfEEZZNS1_9scan_implILNS1_25lookback_scan_determinismE0ELb0ELb0ES3_PKfPffZZZN2at6native31launch_logcumsumexp_cuda_kernelERKNSB_10TensorBaseESF_lENKUlvE_clEvENKUlvE0_clEvEUlffE_fEEDaPvRmT3_T4_T5_mT6_P12ihipStream_tbENKUlT_T0_E_clISt17integral_constantIbLb1EESV_IbLb0EEEEDaSR_SS_EUlSR_E0_NS1_11comp_targetILNS1_3genE3ELNS1_11target_archE908ELNS1_3gpuE7ELNS1_3repE0EEENS1_30default_config_static_selectorELNS0_4arch9wavefront6targetE0EEEvT1_.has_dyn_sized_stack, 0
	.set _ZN7rocprim17ROCPRIM_400000_NS6detail17trampoline_kernelINS0_14default_configENS1_20scan_config_selectorIfEEZZNS1_9scan_implILNS1_25lookback_scan_determinismE0ELb0ELb0ES3_PKfPffZZZN2at6native31launch_logcumsumexp_cuda_kernelERKNSB_10TensorBaseESF_lENKUlvE_clEvENKUlvE0_clEvEUlffE_fEEDaPvRmT3_T4_T5_mT6_P12ihipStream_tbENKUlT_T0_E_clISt17integral_constantIbLb1EESV_IbLb0EEEEDaSR_SS_EUlSR_E0_NS1_11comp_targetILNS1_3genE3ELNS1_11target_archE908ELNS1_3gpuE7ELNS1_3repE0EEENS1_30default_config_static_selectorELNS0_4arch9wavefront6targetE0EEEvT1_.has_recursion, 0
	.set _ZN7rocprim17ROCPRIM_400000_NS6detail17trampoline_kernelINS0_14default_configENS1_20scan_config_selectorIfEEZZNS1_9scan_implILNS1_25lookback_scan_determinismE0ELb0ELb0ES3_PKfPffZZZN2at6native31launch_logcumsumexp_cuda_kernelERKNSB_10TensorBaseESF_lENKUlvE_clEvENKUlvE0_clEvEUlffE_fEEDaPvRmT3_T4_T5_mT6_P12ihipStream_tbENKUlT_T0_E_clISt17integral_constantIbLb1EESV_IbLb0EEEEDaSR_SS_EUlSR_E0_NS1_11comp_targetILNS1_3genE3ELNS1_11target_archE908ELNS1_3gpuE7ELNS1_3repE0EEENS1_30default_config_static_selectorELNS0_4arch9wavefront6targetE0EEEvT1_.has_indirect_call, 0
	.section	.AMDGPU.csdata,"",@progbits
; Kernel info:
; codeLenInByte = 0
; TotalNumSgprs: 0
; NumVgprs: 0
; ScratchSize: 0
; MemoryBound: 0
; FloatMode: 240
; IeeeMode: 1
; LDSByteSize: 0 bytes/workgroup (compile time only)
; SGPRBlocks: 0
; VGPRBlocks: 0
; NumSGPRsForWavesPerEU: 1
; NumVGPRsForWavesPerEU: 1
; Occupancy: 16
; WaveLimiterHint : 0
; COMPUTE_PGM_RSRC2:SCRATCH_EN: 0
; COMPUTE_PGM_RSRC2:USER_SGPR: 2
; COMPUTE_PGM_RSRC2:TRAP_HANDLER: 0
; COMPUTE_PGM_RSRC2:TGID_X_EN: 1
; COMPUTE_PGM_RSRC2:TGID_Y_EN: 0
; COMPUTE_PGM_RSRC2:TGID_Z_EN: 0
; COMPUTE_PGM_RSRC2:TIDIG_COMP_CNT: 0
	.section	.text._ZN7rocprim17ROCPRIM_400000_NS6detail17trampoline_kernelINS0_14default_configENS1_20scan_config_selectorIfEEZZNS1_9scan_implILNS1_25lookback_scan_determinismE0ELb0ELb0ES3_PKfPffZZZN2at6native31launch_logcumsumexp_cuda_kernelERKNSB_10TensorBaseESF_lENKUlvE_clEvENKUlvE0_clEvEUlffE_fEEDaPvRmT3_T4_T5_mT6_P12ihipStream_tbENKUlT_T0_E_clISt17integral_constantIbLb1EESV_IbLb0EEEEDaSR_SS_EUlSR_E0_NS1_11comp_targetILNS1_3genE2ELNS1_11target_archE906ELNS1_3gpuE6ELNS1_3repE0EEENS1_30default_config_static_selectorELNS0_4arch9wavefront6targetE0EEEvT1_,"axG",@progbits,_ZN7rocprim17ROCPRIM_400000_NS6detail17trampoline_kernelINS0_14default_configENS1_20scan_config_selectorIfEEZZNS1_9scan_implILNS1_25lookback_scan_determinismE0ELb0ELb0ES3_PKfPffZZZN2at6native31launch_logcumsumexp_cuda_kernelERKNSB_10TensorBaseESF_lENKUlvE_clEvENKUlvE0_clEvEUlffE_fEEDaPvRmT3_T4_T5_mT6_P12ihipStream_tbENKUlT_T0_E_clISt17integral_constantIbLb1EESV_IbLb0EEEEDaSR_SS_EUlSR_E0_NS1_11comp_targetILNS1_3genE2ELNS1_11target_archE906ELNS1_3gpuE6ELNS1_3repE0EEENS1_30default_config_static_selectorELNS0_4arch9wavefront6targetE0EEEvT1_,comdat
	.globl	_ZN7rocprim17ROCPRIM_400000_NS6detail17trampoline_kernelINS0_14default_configENS1_20scan_config_selectorIfEEZZNS1_9scan_implILNS1_25lookback_scan_determinismE0ELb0ELb0ES3_PKfPffZZZN2at6native31launch_logcumsumexp_cuda_kernelERKNSB_10TensorBaseESF_lENKUlvE_clEvENKUlvE0_clEvEUlffE_fEEDaPvRmT3_T4_T5_mT6_P12ihipStream_tbENKUlT_T0_E_clISt17integral_constantIbLb1EESV_IbLb0EEEEDaSR_SS_EUlSR_E0_NS1_11comp_targetILNS1_3genE2ELNS1_11target_archE906ELNS1_3gpuE6ELNS1_3repE0EEENS1_30default_config_static_selectorELNS0_4arch9wavefront6targetE0EEEvT1_ ; -- Begin function _ZN7rocprim17ROCPRIM_400000_NS6detail17trampoline_kernelINS0_14default_configENS1_20scan_config_selectorIfEEZZNS1_9scan_implILNS1_25lookback_scan_determinismE0ELb0ELb0ES3_PKfPffZZZN2at6native31launch_logcumsumexp_cuda_kernelERKNSB_10TensorBaseESF_lENKUlvE_clEvENKUlvE0_clEvEUlffE_fEEDaPvRmT3_T4_T5_mT6_P12ihipStream_tbENKUlT_T0_E_clISt17integral_constantIbLb1EESV_IbLb0EEEEDaSR_SS_EUlSR_E0_NS1_11comp_targetILNS1_3genE2ELNS1_11target_archE906ELNS1_3gpuE6ELNS1_3repE0EEENS1_30default_config_static_selectorELNS0_4arch9wavefront6targetE0EEEvT1_
	.p2align	8
	.type	_ZN7rocprim17ROCPRIM_400000_NS6detail17trampoline_kernelINS0_14default_configENS1_20scan_config_selectorIfEEZZNS1_9scan_implILNS1_25lookback_scan_determinismE0ELb0ELb0ES3_PKfPffZZZN2at6native31launch_logcumsumexp_cuda_kernelERKNSB_10TensorBaseESF_lENKUlvE_clEvENKUlvE0_clEvEUlffE_fEEDaPvRmT3_T4_T5_mT6_P12ihipStream_tbENKUlT_T0_E_clISt17integral_constantIbLb1EESV_IbLb0EEEEDaSR_SS_EUlSR_E0_NS1_11comp_targetILNS1_3genE2ELNS1_11target_archE906ELNS1_3gpuE6ELNS1_3repE0EEENS1_30default_config_static_selectorELNS0_4arch9wavefront6targetE0EEEvT1_,@function
_ZN7rocprim17ROCPRIM_400000_NS6detail17trampoline_kernelINS0_14default_configENS1_20scan_config_selectorIfEEZZNS1_9scan_implILNS1_25lookback_scan_determinismE0ELb0ELb0ES3_PKfPffZZZN2at6native31launch_logcumsumexp_cuda_kernelERKNSB_10TensorBaseESF_lENKUlvE_clEvENKUlvE0_clEvEUlffE_fEEDaPvRmT3_T4_T5_mT6_P12ihipStream_tbENKUlT_T0_E_clISt17integral_constantIbLb1EESV_IbLb0EEEEDaSR_SS_EUlSR_E0_NS1_11comp_targetILNS1_3genE2ELNS1_11target_archE906ELNS1_3gpuE6ELNS1_3repE0EEENS1_30default_config_static_selectorELNS0_4arch9wavefront6targetE0EEEvT1_: ; @_ZN7rocprim17ROCPRIM_400000_NS6detail17trampoline_kernelINS0_14default_configENS1_20scan_config_selectorIfEEZZNS1_9scan_implILNS1_25lookback_scan_determinismE0ELb0ELb0ES3_PKfPffZZZN2at6native31launch_logcumsumexp_cuda_kernelERKNSB_10TensorBaseESF_lENKUlvE_clEvENKUlvE0_clEvEUlffE_fEEDaPvRmT3_T4_T5_mT6_P12ihipStream_tbENKUlT_T0_E_clISt17integral_constantIbLb1EESV_IbLb0EEEEDaSR_SS_EUlSR_E0_NS1_11comp_targetILNS1_3genE2ELNS1_11target_archE906ELNS1_3gpuE6ELNS1_3repE0EEENS1_30default_config_static_selectorELNS0_4arch9wavefront6targetE0EEEvT1_
; %bb.0:
	.section	.rodata,"a",@progbits
	.p2align	6, 0x0
	.amdhsa_kernel _ZN7rocprim17ROCPRIM_400000_NS6detail17trampoline_kernelINS0_14default_configENS1_20scan_config_selectorIfEEZZNS1_9scan_implILNS1_25lookback_scan_determinismE0ELb0ELb0ES3_PKfPffZZZN2at6native31launch_logcumsumexp_cuda_kernelERKNSB_10TensorBaseESF_lENKUlvE_clEvENKUlvE0_clEvEUlffE_fEEDaPvRmT3_T4_T5_mT6_P12ihipStream_tbENKUlT_T0_E_clISt17integral_constantIbLb1EESV_IbLb0EEEEDaSR_SS_EUlSR_E0_NS1_11comp_targetILNS1_3genE2ELNS1_11target_archE906ELNS1_3gpuE6ELNS1_3repE0EEENS1_30default_config_static_selectorELNS0_4arch9wavefront6targetE0EEEvT1_
		.amdhsa_group_segment_fixed_size 0
		.amdhsa_private_segment_fixed_size 0
		.amdhsa_kernarg_size 32
		.amdhsa_user_sgpr_count 2
		.amdhsa_user_sgpr_dispatch_ptr 0
		.amdhsa_user_sgpr_queue_ptr 0
		.amdhsa_user_sgpr_kernarg_segment_ptr 1
		.amdhsa_user_sgpr_dispatch_id 0
		.amdhsa_user_sgpr_private_segment_size 0
		.amdhsa_wavefront_size32 1
		.amdhsa_uses_dynamic_stack 0
		.amdhsa_enable_private_segment 0
		.amdhsa_system_sgpr_workgroup_id_x 1
		.amdhsa_system_sgpr_workgroup_id_y 0
		.amdhsa_system_sgpr_workgroup_id_z 0
		.amdhsa_system_sgpr_workgroup_info 0
		.amdhsa_system_vgpr_workitem_id 0
		.amdhsa_next_free_vgpr 1
		.amdhsa_next_free_sgpr 1
		.amdhsa_reserve_vcc 0
		.amdhsa_float_round_mode_32 0
		.amdhsa_float_round_mode_16_64 0
		.amdhsa_float_denorm_mode_32 3
		.amdhsa_float_denorm_mode_16_64 3
		.amdhsa_fp16_overflow 0
		.amdhsa_workgroup_processor_mode 1
		.amdhsa_memory_ordered 1
		.amdhsa_forward_progress 1
		.amdhsa_inst_pref_size 0
		.amdhsa_round_robin_scheduling 0
		.amdhsa_exception_fp_ieee_invalid_op 0
		.amdhsa_exception_fp_denorm_src 0
		.amdhsa_exception_fp_ieee_div_zero 0
		.amdhsa_exception_fp_ieee_overflow 0
		.amdhsa_exception_fp_ieee_underflow 0
		.amdhsa_exception_fp_ieee_inexact 0
		.amdhsa_exception_int_div_zero 0
	.end_amdhsa_kernel
	.section	.text._ZN7rocprim17ROCPRIM_400000_NS6detail17trampoline_kernelINS0_14default_configENS1_20scan_config_selectorIfEEZZNS1_9scan_implILNS1_25lookback_scan_determinismE0ELb0ELb0ES3_PKfPffZZZN2at6native31launch_logcumsumexp_cuda_kernelERKNSB_10TensorBaseESF_lENKUlvE_clEvENKUlvE0_clEvEUlffE_fEEDaPvRmT3_T4_T5_mT6_P12ihipStream_tbENKUlT_T0_E_clISt17integral_constantIbLb1EESV_IbLb0EEEEDaSR_SS_EUlSR_E0_NS1_11comp_targetILNS1_3genE2ELNS1_11target_archE906ELNS1_3gpuE6ELNS1_3repE0EEENS1_30default_config_static_selectorELNS0_4arch9wavefront6targetE0EEEvT1_,"axG",@progbits,_ZN7rocprim17ROCPRIM_400000_NS6detail17trampoline_kernelINS0_14default_configENS1_20scan_config_selectorIfEEZZNS1_9scan_implILNS1_25lookback_scan_determinismE0ELb0ELb0ES3_PKfPffZZZN2at6native31launch_logcumsumexp_cuda_kernelERKNSB_10TensorBaseESF_lENKUlvE_clEvENKUlvE0_clEvEUlffE_fEEDaPvRmT3_T4_T5_mT6_P12ihipStream_tbENKUlT_T0_E_clISt17integral_constantIbLb1EESV_IbLb0EEEEDaSR_SS_EUlSR_E0_NS1_11comp_targetILNS1_3genE2ELNS1_11target_archE906ELNS1_3gpuE6ELNS1_3repE0EEENS1_30default_config_static_selectorELNS0_4arch9wavefront6targetE0EEEvT1_,comdat
.Lfunc_end147:
	.size	_ZN7rocprim17ROCPRIM_400000_NS6detail17trampoline_kernelINS0_14default_configENS1_20scan_config_selectorIfEEZZNS1_9scan_implILNS1_25lookback_scan_determinismE0ELb0ELb0ES3_PKfPffZZZN2at6native31launch_logcumsumexp_cuda_kernelERKNSB_10TensorBaseESF_lENKUlvE_clEvENKUlvE0_clEvEUlffE_fEEDaPvRmT3_T4_T5_mT6_P12ihipStream_tbENKUlT_T0_E_clISt17integral_constantIbLb1EESV_IbLb0EEEEDaSR_SS_EUlSR_E0_NS1_11comp_targetILNS1_3genE2ELNS1_11target_archE906ELNS1_3gpuE6ELNS1_3repE0EEENS1_30default_config_static_selectorELNS0_4arch9wavefront6targetE0EEEvT1_, .Lfunc_end147-_ZN7rocprim17ROCPRIM_400000_NS6detail17trampoline_kernelINS0_14default_configENS1_20scan_config_selectorIfEEZZNS1_9scan_implILNS1_25lookback_scan_determinismE0ELb0ELb0ES3_PKfPffZZZN2at6native31launch_logcumsumexp_cuda_kernelERKNSB_10TensorBaseESF_lENKUlvE_clEvENKUlvE0_clEvEUlffE_fEEDaPvRmT3_T4_T5_mT6_P12ihipStream_tbENKUlT_T0_E_clISt17integral_constantIbLb1EESV_IbLb0EEEEDaSR_SS_EUlSR_E0_NS1_11comp_targetILNS1_3genE2ELNS1_11target_archE906ELNS1_3gpuE6ELNS1_3repE0EEENS1_30default_config_static_selectorELNS0_4arch9wavefront6targetE0EEEvT1_
                                        ; -- End function
	.set _ZN7rocprim17ROCPRIM_400000_NS6detail17trampoline_kernelINS0_14default_configENS1_20scan_config_selectorIfEEZZNS1_9scan_implILNS1_25lookback_scan_determinismE0ELb0ELb0ES3_PKfPffZZZN2at6native31launch_logcumsumexp_cuda_kernelERKNSB_10TensorBaseESF_lENKUlvE_clEvENKUlvE0_clEvEUlffE_fEEDaPvRmT3_T4_T5_mT6_P12ihipStream_tbENKUlT_T0_E_clISt17integral_constantIbLb1EESV_IbLb0EEEEDaSR_SS_EUlSR_E0_NS1_11comp_targetILNS1_3genE2ELNS1_11target_archE906ELNS1_3gpuE6ELNS1_3repE0EEENS1_30default_config_static_selectorELNS0_4arch9wavefront6targetE0EEEvT1_.num_vgpr, 0
	.set _ZN7rocprim17ROCPRIM_400000_NS6detail17trampoline_kernelINS0_14default_configENS1_20scan_config_selectorIfEEZZNS1_9scan_implILNS1_25lookback_scan_determinismE0ELb0ELb0ES3_PKfPffZZZN2at6native31launch_logcumsumexp_cuda_kernelERKNSB_10TensorBaseESF_lENKUlvE_clEvENKUlvE0_clEvEUlffE_fEEDaPvRmT3_T4_T5_mT6_P12ihipStream_tbENKUlT_T0_E_clISt17integral_constantIbLb1EESV_IbLb0EEEEDaSR_SS_EUlSR_E0_NS1_11comp_targetILNS1_3genE2ELNS1_11target_archE906ELNS1_3gpuE6ELNS1_3repE0EEENS1_30default_config_static_selectorELNS0_4arch9wavefront6targetE0EEEvT1_.num_agpr, 0
	.set _ZN7rocprim17ROCPRIM_400000_NS6detail17trampoline_kernelINS0_14default_configENS1_20scan_config_selectorIfEEZZNS1_9scan_implILNS1_25lookback_scan_determinismE0ELb0ELb0ES3_PKfPffZZZN2at6native31launch_logcumsumexp_cuda_kernelERKNSB_10TensorBaseESF_lENKUlvE_clEvENKUlvE0_clEvEUlffE_fEEDaPvRmT3_T4_T5_mT6_P12ihipStream_tbENKUlT_T0_E_clISt17integral_constantIbLb1EESV_IbLb0EEEEDaSR_SS_EUlSR_E0_NS1_11comp_targetILNS1_3genE2ELNS1_11target_archE906ELNS1_3gpuE6ELNS1_3repE0EEENS1_30default_config_static_selectorELNS0_4arch9wavefront6targetE0EEEvT1_.numbered_sgpr, 0
	.set _ZN7rocprim17ROCPRIM_400000_NS6detail17trampoline_kernelINS0_14default_configENS1_20scan_config_selectorIfEEZZNS1_9scan_implILNS1_25lookback_scan_determinismE0ELb0ELb0ES3_PKfPffZZZN2at6native31launch_logcumsumexp_cuda_kernelERKNSB_10TensorBaseESF_lENKUlvE_clEvENKUlvE0_clEvEUlffE_fEEDaPvRmT3_T4_T5_mT6_P12ihipStream_tbENKUlT_T0_E_clISt17integral_constantIbLb1EESV_IbLb0EEEEDaSR_SS_EUlSR_E0_NS1_11comp_targetILNS1_3genE2ELNS1_11target_archE906ELNS1_3gpuE6ELNS1_3repE0EEENS1_30default_config_static_selectorELNS0_4arch9wavefront6targetE0EEEvT1_.num_named_barrier, 0
	.set _ZN7rocprim17ROCPRIM_400000_NS6detail17trampoline_kernelINS0_14default_configENS1_20scan_config_selectorIfEEZZNS1_9scan_implILNS1_25lookback_scan_determinismE0ELb0ELb0ES3_PKfPffZZZN2at6native31launch_logcumsumexp_cuda_kernelERKNSB_10TensorBaseESF_lENKUlvE_clEvENKUlvE0_clEvEUlffE_fEEDaPvRmT3_T4_T5_mT6_P12ihipStream_tbENKUlT_T0_E_clISt17integral_constantIbLb1EESV_IbLb0EEEEDaSR_SS_EUlSR_E0_NS1_11comp_targetILNS1_3genE2ELNS1_11target_archE906ELNS1_3gpuE6ELNS1_3repE0EEENS1_30default_config_static_selectorELNS0_4arch9wavefront6targetE0EEEvT1_.private_seg_size, 0
	.set _ZN7rocprim17ROCPRIM_400000_NS6detail17trampoline_kernelINS0_14default_configENS1_20scan_config_selectorIfEEZZNS1_9scan_implILNS1_25lookback_scan_determinismE0ELb0ELb0ES3_PKfPffZZZN2at6native31launch_logcumsumexp_cuda_kernelERKNSB_10TensorBaseESF_lENKUlvE_clEvENKUlvE0_clEvEUlffE_fEEDaPvRmT3_T4_T5_mT6_P12ihipStream_tbENKUlT_T0_E_clISt17integral_constantIbLb1EESV_IbLb0EEEEDaSR_SS_EUlSR_E0_NS1_11comp_targetILNS1_3genE2ELNS1_11target_archE906ELNS1_3gpuE6ELNS1_3repE0EEENS1_30default_config_static_selectorELNS0_4arch9wavefront6targetE0EEEvT1_.uses_vcc, 0
	.set _ZN7rocprim17ROCPRIM_400000_NS6detail17trampoline_kernelINS0_14default_configENS1_20scan_config_selectorIfEEZZNS1_9scan_implILNS1_25lookback_scan_determinismE0ELb0ELb0ES3_PKfPffZZZN2at6native31launch_logcumsumexp_cuda_kernelERKNSB_10TensorBaseESF_lENKUlvE_clEvENKUlvE0_clEvEUlffE_fEEDaPvRmT3_T4_T5_mT6_P12ihipStream_tbENKUlT_T0_E_clISt17integral_constantIbLb1EESV_IbLb0EEEEDaSR_SS_EUlSR_E0_NS1_11comp_targetILNS1_3genE2ELNS1_11target_archE906ELNS1_3gpuE6ELNS1_3repE0EEENS1_30default_config_static_selectorELNS0_4arch9wavefront6targetE0EEEvT1_.uses_flat_scratch, 0
	.set _ZN7rocprim17ROCPRIM_400000_NS6detail17trampoline_kernelINS0_14default_configENS1_20scan_config_selectorIfEEZZNS1_9scan_implILNS1_25lookback_scan_determinismE0ELb0ELb0ES3_PKfPffZZZN2at6native31launch_logcumsumexp_cuda_kernelERKNSB_10TensorBaseESF_lENKUlvE_clEvENKUlvE0_clEvEUlffE_fEEDaPvRmT3_T4_T5_mT6_P12ihipStream_tbENKUlT_T0_E_clISt17integral_constantIbLb1EESV_IbLb0EEEEDaSR_SS_EUlSR_E0_NS1_11comp_targetILNS1_3genE2ELNS1_11target_archE906ELNS1_3gpuE6ELNS1_3repE0EEENS1_30default_config_static_selectorELNS0_4arch9wavefront6targetE0EEEvT1_.has_dyn_sized_stack, 0
	.set _ZN7rocprim17ROCPRIM_400000_NS6detail17trampoline_kernelINS0_14default_configENS1_20scan_config_selectorIfEEZZNS1_9scan_implILNS1_25lookback_scan_determinismE0ELb0ELb0ES3_PKfPffZZZN2at6native31launch_logcumsumexp_cuda_kernelERKNSB_10TensorBaseESF_lENKUlvE_clEvENKUlvE0_clEvEUlffE_fEEDaPvRmT3_T4_T5_mT6_P12ihipStream_tbENKUlT_T0_E_clISt17integral_constantIbLb1EESV_IbLb0EEEEDaSR_SS_EUlSR_E0_NS1_11comp_targetILNS1_3genE2ELNS1_11target_archE906ELNS1_3gpuE6ELNS1_3repE0EEENS1_30default_config_static_selectorELNS0_4arch9wavefront6targetE0EEEvT1_.has_recursion, 0
	.set _ZN7rocprim17ROCPRIM_400000_NS6detail17trampoline_kernelINS0_14default_configENS1_20scan_config_selectorIfEEZZNS1_9scan_implILNS1_25lookback_scan_determinismE0ELb0ELb0ES3_PKfPffZZZN2at6native31launch_logcumsumexp_cuda_kernelERKNSB_10TensorBaseESF_lENKUlvE_clEvENKUlvE0_clEvEUlffE_fEEDaPvRmT3_T4_T5_mT6_P12ihipStream_tbENKUlT_T0_E_clISt17integral_constantIbLb1EESV_IbLb0EEEEDaSR_SS_EUlSR_E0_NS1_11comp_targetILNS1_3genE2ELNS1_11target_archE906ELNS1_3gpuE6ELNS1_3repE0EEENS1_30default_config_static_selectorELNS0_4arch9wavefront6targetE0EEEvT1_.has_indirect_call, 0
	.section	.AMDGPU.csdata,"",@progbits
; Kernel info:
; codeLenInByte = 0
; TotalNumSgprs: 0
; NumVgprs: 0
; ScratchSize: 0
; MemoryBound: 0
; FloatMode: 240
; IeeeMode: 1
; LDSByteSize: 0 bytes/workgroup (compile time only)
; SGPRBlocks: 0
; VGPRBlocks: 0
; NumSGPRsForWavesPerEU: 1
; NumVGPRsForWavesPerEU: 1
; Occupancy: 16
; WaveLimiterHint : 0
; COMPUTE_PGM_RSRC2:SCRATCH_EN: 0
; COMPUTE_PGM_RSRC2:USER_SGPR: 2
; COMPUTE_PGM_RSRC2:TRAP_HANDLER: 0
; COMPUTE_PGM_RSRC2:TGID_X_EN: 1
; COMPUTE_PGM_RSRC2:TGID_Y_EN: 0
; COMPUTE_PGM_RSRC2:TGID_Z_EN: 0
; COMPUTE_PGM_RSRC2:TIDIG_COMP_CNT: 0
	.section	.text._ZN7rocprim17ROCPRIM_400000_NS6detail17trampoline_kernelINS0_14default_configENS1_20scan_config_selectorIfEEZZNS1_9scan_implILNS1_25lookback_scan_determinismE0ELb0ELb0ES3_PKfPffZZZN2at6native31launch_logcumsumexp_cuda_kernelERKNSB_10TensorBaseESF_lENKUlvE_clEvENKUlvE0_clEvEUlffE_fEEDaPvRmT3_T4_T5_mT6_P12ihipStream_tbENKUlT_T0_E_clISt17integral_constantIbLb1EESV_IbLb0EEEEDaSR_SS_EUlSR_E0_NS1_11comp_targetILNS1_3genE10ELNS1_11target_archE1201ELNS1_3gpuE5ELNS1_3repE0EEENS1_30default_config_static_selectorELNS0_4arch9wavefront6targetE0EEEvT1_,"axG",@progbits,_ZN7rocprim17ROCPRIM_400000_NS6detail17trampoline_kernelINS0_14default_configENS1_20scan_config_selectorIfEEZZNS1_9scan_implILNS1_25lookback_scan_determinismE0ELb0ELb0ES3_PKfPffZZZN2at6native31launch_logcumsumexp_cuda_kernelERKNSB_10TensorBaseESF_lENKUlvE_clEvENKUlvE0_clEvEUlffE_fEEDaPvRmT3_T4_T5_mT6_P12ihipStream_tbENKUlT_T0_E_clISt17integral_constantIbLb1EESV_IbLb0EEEEDaSR_SS_EUlSR_E0_NS1_11comp_targetILNS1_3genE10ELNS1_11target_archE1201ELNS1_3gpuE5ELNS1_3repE0EEENS1_30default_config_static_selectorELNS0_4arch9wavefront6targetE0EEEvT1_,comdat
	.globl	_ZN7rocprim17ROCPRIM_400000_NS6detail17trampoline_kernelINS0_14default_configENS1_20scan_config_selectorIfEEZZNS1_9scan_implILNS1_25lookback_scan_determinismE0ELb0ELb0ES3_PKfPffZZZN2at6native31launch_logcumsumexp_cuda_kernelERKNSB_10TensorBaseESF_lENKUlvE_clEvENKUlvE0_clEvEUlffE_fEEDaPvRmT3_T4_T5_mT6_P12ihipStream_tbENKUlT_T0_E_clISt17integral_constantIbLb1EESV_IbLb0EEEEDaSR_SS_EUlSR_E0_NS1_11comp_targetILNS1_3genE10ELNS1_11target_archE1201ELNS1_3gpuE5ELNS1_3repE0EEENS1_30default_config_static_selectorELNS0_4arch9wavefront6targetE0EEEvT1_ ; -- Begin function _ZN7rocprim17ROCPRIM_400000_NS6detail17trampoline_kernelINS0_14default_configENS1_20scan_config_selectorIfEEZZNS1_9scan_implILNS1_25lookback_scan_determinismE0ELb0ELb0ES3_PKfPffZZZN2at6native31launch_logcumsumexp_cuda_kernelERKNSB_10TensorBaseESF_lENKUlvE_clEvENKUlvE0_clEvEUlffE_fEEDaPvRmT3_T4_T5_mT6_P12ihipStream_tbENKUlT_T0_E_clISt17integral_constantIbLb1EESV_IbLb0EEEEDaSR_SS_EUlSR_E0_NS1_11comp_targetILNS1_3genE10ELNS1_11target_archE1201ELNS1_3gpuE5ELNS1_3repE0EEENS1_30default_config_static_selectorELNS0_4arch9wavefront6targetE0EEEvT1_
	.p2align	8
	.type	_ZN7rocprim17ROCPRIM_400000_NS6detail17trampoline_kernelINS0_14default_configENS1_20scan_config_selectorIfEEZZNS1_9scan_implILNS1_25lookback_scan_determinismE0ELb0ELb0ES3_PKfPffZZZN2at6native31launch_logcumsumexp_cuda_kernelERKNSB_10TensorBaseESF_lENKUlvE_clEvENKUlvE0_clEvEUlffE_fEEDaPvRmT3_T4_T5_mT6_P12ihipStream_tbENKUlT_T0_E_clISt17integral_constantIbLb1EESV_IbLb0EEEEDaSR_SS_EUlSR_E0_NS1_11comp_targetILNS1_3genE10ELNS1_11target_archE1201ELNS1_3gpuE5ELNS1_3repE0EEENS1_30default_config_static_selectorELNS0_4arch9wavefront6targetE0EEEvT1_,@function
_ZN7rocprim17ROCPRIM_400000_NS6detail17trampoline_kernelINS0_14default_configENS1_20scan_config_selectorIfEEZZNS1_9scan_implILNS1_25lookback_scan_determinismE0ELb0ELb0ES3_PKfPffZZZN2at6native31launch_logcumsumexp_cuda_kernelERKNSB_10TensorBaseESF_lENKUlvE_clEvENKUlvE0_clEvEUlffE_fEEDaPvRmT3_T4_T5_mT6_P12ihipStream_tbENKUlT_T0_E_clISt17integral_constantIbLb1EESV_IbLb0EEEEDaSR_SS_EUlSR_E0_NS1_11comp_targetILNS1_3genE10ELNS1_11target_archE1201ELNS1_3gpuE5ELNS1_3repE0EEENS1_30default_config_static_selectorELNS0_4arch9wavefront6targetE0EEEvT1_: ; @_ZN7rocprim17ROCPRIM_400000_NS6detail17trampoline_kernelINS0_14default_configENS1_20scan_config_selectorIfEEZZNS1_9scan_implILNS1_25lookback_scan_determinismE0ELb0ELb0ES3_PKfPffZZZN2at6native31launch_logcumsumexp_cuda_kernelERKNSB_10TensorBaseESF_lENKUlvE_clEvENKUlvE0_clEvEUlffE_fEEDaPvRmT3_T4_T5_mT6_P12ihipStream_tbENKUlT_T0_E_clISt17integral_constantIbLb1EESV_IbLb0EEEEDaSR_SS_EUlSR_E0_NS1_11comp_targetILNS1_3genE10ELNS1_11target_archE1201ELNS1_3gpuE5ELNS1_3repE0EEENS1_30default_config_static_selectorELNS0_4arch9wavefront6targetE0EEEvT1_
; %bb.0:
	s_load_b128 s[12:15], s[0:1], 0x0
	v_lshlrev_b32_e32 v7, 2, v0
	s_wait_kmcnt 0x0
	s_load_b32 s4, s[12:13], 0x0
	v_cmp_gt_u32_e32 vcc_lo, s14, v0
	s_wait_kmcnt 0x0
	s_mov_b32 s5, s4
	s_mov_b32 s6, s4
	;; [unrolled: 1-line block ×5, first 2 shown]
	v_dual_mov_b32 v8, s4 :: v_dual_mov_b32 v1, s4
	v_dual_mov_b32 v2, s5 :: v_dual_mov_b32 v3, s6
	;; [unrolled: 1-line block ×3, first 2 shown]
	v_mov_b32_e32 v6, s9
	s_and_saveexec_b32 s2, vcc_lo
	s_cbranch_execz .LBB148_2
; %bb.1:
	global_load_b32 v8, v7, s[12:13]
	v_dual_mov_b32 v1, s4 :: v_dual_mov_b32 v2, s5
	v_dual_mov_b32 v3, s6 :: v_dual_mov_b32 v4, s7
	;; [unrolled: 1-line block ×3, first 2 shown]
.LBB148_2:
	s_or_b32 exec_lo, exec_lo, s2
	v_or_b32_e32 v1, 0x100, v0
	s_delay_alu instid0(VALU_DEP_1)
	v_cmp_gt_u32_e64 s2, s14, v1
	s_and_saveexec_b32 s3, s2
	s_cbranch_execz .LBB148_4
; %bb.3:
	global_load_b32 v2, v7, s[12:13] offset:1024
.LBB148_4:
	s_or_b32 exec_lo, exec_lo, s3
	v_or_b32_e32 v1, 0x200, v0
	s_delay_alu instid0(VALU_DEP_1)
	v_cmp_gt_u32_e64 s3, s14, v1
	s_and_saveexec_b32 s4, s3
	s_cbranch_execz .LBB148_6
; %bb.5:
	global_load_b32 v3, v7, s[12:13] offset:2048
.LBB148_6:
	s_wait_alu 0xfffe
	s_or_b32 exec_lo, exec_lo, s4
	v_or_b32_e32 v1, 0x300, v0
	s_delay_alu instid0(VALU_DEP_1)
	v_cmp_gt_u32_e64 s4, s14, v1
	s_and_saveexec_b32 s5, s4
	s_cbranch_execz .LBB148_8
; %bb.7:
	global_load_b32 v4, v7, s[12:13] offset:3072
.LBB148_8:
	s_wait_alu 0xfffe
	;; [unrolled: 10-line block ×3, first 2 shown]
	s_or_b32 exec_lo, exec_lo, s6
	v_or_b32_e32 v1, 0x500, v0
	s_delay_alu instid0(VALU_DEP_1)
	v_cmp_gt_u32_e64 s6, s14, v1
	v_cmp_le_u32_e64 s7, s14, v1
	s_and_saveexec_b32 s8, s7
	s_wait_alu 0xfffe
	s_xor_b32 s7, exec_lo, s8
	s_wait_alu 0xfffe
	s_and_not1_saveexec_b32 s7, s7
	s_cbranch_execz .LBB148_12
; %bb.11:
	v_lshlrev_b32_e32 v1, 2, v0
	global_load_b32 v6, v1, s[12:13] offset:5120
.LBB148_12:
	s_wait_alu 0xfffe
	s_or_b32 exec_lo, exec_lo, s7
	s_wait_loadcnt 0x0
	ds_store_2addr_stride64_b32 v7, v8, v2 offset1:4
	ds_store_2addr_stride64_b32 v7, v3, v4 offset0:8 offset1:12
	ds_store_2addr_stride64_b32 v7, v5, v6 offset0:16 offset1:20
	v_mad_u32_u24 v5, v0, 20, v7
	s_wait_dscnt 0x0
	s_barrier_signal -1
	s_barrier_wait -1
	global_inv scope:SCOPE_SE
	ds_load_2addr_b64 v[1:4], v5 offset1:1
	ds_load_b64 v[5:6], v5 offset:16
	s_wait_loadcnt_dscnt 0x0
	s_barrier_signal -1
	s_barrier_wait -1
	global_inv scope:SCOPE_SE
	v_dual_max_num_f32 v12, v2, v2 :: v_dual_max_num_f32 v15, v1, v1
	v_cmp_u_f32_e64 s12, v1, v1
	v_cmp_u_f32_e64 s7, v2, v2
	s_delay_alu instid0(VALU_DEP_3) | instskip(SKIP_1) | instid1(VALU_DEP_2)
	v_dual_mov_b32 v18, v1 :: v_dual_min_num_f32 v13, v15, v12
	v_max_num_f32_e32 v14, v15, v12
	v_cndmask_b32_e64 v8, v13, v1, s12
	s_delay_alu instid0(VALU_DEP_2) | instskip(SKIP_1) | instid1(VALU_DEP_2)
	v_cndmask_b32_e64 v10, v14, v1, s12
	s_wait_alu 0xf1ff
	v_cndmask_b32_e64 v9, v8, v2, s7
	s_delay_alu instid0(VALU_DEP_2) | instskip(NEXT) | instid1(VALU_DEP_2)
	v_cndmask_b32_e64 v8, v10, v2, s7
	v_cmp_class_f32_e64 s9, v9, 0x1f8
	s_delay_alu instid0(VALU_DEP_2)
	v_cmp_neq_f32_e64 s8, v9, v8
	s_or_b32 s8, s8, s9
	s_wait_alu 0xfffe
	s_and_saveexec_b32 s9, s8
	s_cbranch_execz .LBB148_14
; %bb.13:
	v_sub_f32_e32 v9, v9, v8
	s_delay_alu instid0(VALU_DEP_1) | instskip(NEXT) | instid1(VALU_DEP_1)
	v_mul_f32_e32 v10, 0x3fb8aa3b, v9
	v_fma_f32 v11, 0x3fb8aa3b, v9, -v10
	v_rndne_f32_e32 v16, v10
	s_delay_alu instid0(VALU_DEP_1) | instskip(NEXT) | instid1(VALU_DEP_1)
	v_dual_fmamk_f32 v11, v9, 0x32a5705f, v11 :: v_dual_sub_f32 v10, v10, v16
	v_add_f32_e32 v10, v10, v11
	v_cvt_i32_f32_e32 v11, v16
	v_cmp_ngt_f32_e64 s8, 0xc2ce8ed0, v9
	s_delay_alu instid0(VALU_DEP_3) | instskip(NEXT) | instid1(TRANS32_DEP_1)
	v_exp_f32_e32 v10, v10
	v_ldexp_f32 v10, v10, v11
	s_wait_alu 0xf1ff
	s_delay_alu instid0(VALU_DEP_1) | instskip(SKIP_2) | instid1(VALU_DEP_1)
	v_cndmask_b32_e64 v10, 0, v10, s8
	v_cmp_nlt_f32_e64 s8, 0x42b17218, v9
	s_wait_alu 0xf1ff
	v_cndmask_b32_e64 v11, 0x7f800000, v10, s8
	s_delay_alu instid0(VALU_DEP_1) | instskip(NEXT) | instid1(VALU_DEP_1)
	v_add_f32_e32 v16, 1.0, v11
	v_cvt_f64_f32_e32 v[9:10], v16
	s_delay_alu instid0(VALU_DEP_1) | instskip(SKIP_1) | instid1(VALU_DEP_1)
	v_frexp_exp_i32_f64_e32 v9, v[9:10]
	v_frexp_mant_f32_e32 v10, v16
	v_cmp_gt_f32_e64 s8, 0x3f2aaaab, v10
	v_add_f32_e32 v10, -1.0, v16
	s_delay_alu instid0(VALU_DEP_1) | instskip(SKIP_1) | instid1(VALU_DEP_3)
	v_sub_f32_e32 v18, v10, v16
	s_wait_alu 0xf1ff
	v_subrev_co_ci_u32_e64 v9, null, 0, v9, s8
	s_mov_b32 s8, 0x3e9b6dac
	v_sub_nc_u32_e32 v17, 0, v9
	v_cvt_f32_i32_e32 v9, v9
	s_delay_alu instid0(VALU_DEP_2) | instskip(NEXT) | instid1(VALU_DEP_1)
	v_ldexp_f32 v16, v16, v17
	v_dual_sub_f32 v10, v11, v10 :: v_dual_add_f32 v19, 1.0, v16
	v_add_f32_e32 v18, 1.0, v18
	s_delay_alu instid0(VALU_DEP_1) | instskip(NEXT) | instid1(VALU_DEP_3)
	v_add_f32_e32 v10, v10, v18
	v_add_f32_e32 v18, -1.0, v19
	s_delay_alu instid0(VALU_DEP_2) | instskip(NEXT) | instid1(VALU_DEP_2)
	v_ldexp_f32 v10, v10, v17
	v_dual_add_f32 v17, -1.0, v16 :: v_dual_sub_f32 v18, v16, v18
	s_delay_alu instid0(VALU_DEP_1) | instskip(NEXT) | instid1(VALU_DEP_2)
	v_add_f32_e32 v20, 1.0, v17
	v_add_f32_e32 v18, v10, v18
	s_delay_alu instid0(VALU_DEP_2) | instskip(NEXT) | instid1(VALU_DEP_2)
	v_sub_f32_e32 v16, v16, v20
	v_add_f32_e32 v20, v19, v18
	s_delay_alu instid0(VALU_DEP_2) | instskip(NEXT) | instid1(VALU_DEP_2)
	v_add_f32_e32 v10, v10, v16
	v_rcp_f32_e32 v16, v20
	v_sub_f32_e32 v19, v19, v20
	s_delay_alu instid0(VALU_DEP_1) | instskip(NEXT) | instid1(VALU_DEP_1)
	v_dual_add_f32 v21, v17, v10 :: v_dual_add_f32 v18, v18, v19
	v_sub_f32_e32 v17, v17, v21
	s_delay_alu instid0(TRANS32_DEP_1) | instskip(NEXT) | instid1(VALU_DEP_1)
	v_mul_f32_e32 v22, v21, v16
	v_dual_add_f32 v10, v10, v17 :: v_dual_mul_f32 v23, v20, v22
	s_delay_alu instid0(VALU_DEP_1) | instskip(NEXT) | instid1(VALU_DEP_1)
	v_fma_f32 v19, v22, v20, -v23
	v_fmac_f32_e32 v19, v22, v18
	s_delay_alu instid0(VALU_DEP_1) | instskip(NEXT) | instid1(VALU_DEP_1)
	v_add_f32_e32 v24, v23, v19
	v_sub_f32_e32 v25, v21, v24
	v_sub_f32_e32 v17, v24, v23
	s_delay_alu instid0(VALU_DEP_2) | instskip(NEXT) | instid1(VALU_DEP_2)
	v_sub_f32_e32 v21, v21, v25
	v_sub_f32_e32 v17, v17, v19
	s_delay_alu instid0(VALU_DEP_2) | instskip(NEXT) | instid1(VALU_DEP_1)
	v_sub_f32_e32 v21, v21, v24
	v_add_f32_e32 v10, v10, v21
	s_delay_alu instid0(VALU_DEP_1) | instskip(NEXT) | instid1(VALU_DEP_1)
	v_add_f32_e32 v10, v17, v10
	v_add_f32_e32 v17, v25, v10
	s_delay_alu instid0(VALU_DEP_1) | instskip(NEXT) | instid1(VALU_DEP_1)
	v_mul_f32_e32 v19, v16, v17
	v_dual_sub_f32 v24, v25, v17 :: v_dual_mul_f32 v21, v20, v19
	s_delay_alu instid0(VALU_DEP_1) | instskip(NEXT) | instid1(VALU_DEP_2)
	v_add_f32_e32 v10, v10, v24
	v_fma_f32 v20, v19, v20, -v21
	s_delay_alu instid0(VALU_DEP_1) | instskip(NEXT) | instid1(VALU_DEP_1)
	v_fmac_f32_e32 v20, v19, v18
	v_add_f32_e32 v18, v21, v20
	s_delay_alu instid0(VALU_DEP_1) | instskip(SKIP_1) | instid1(VALU_DEP_2)
	v_sub_f32_e32 v23, v17, v18
	v_sub_f32_e32 v21, v18, v21
	v_sub_f32_e32 v17, v17, v23
	s_delay_alu instid0(VALU_DEP_1) | instskip(NEXT) | instid1(VALU_DEP_3)
	v_sub_f32_e32 v17, v17, v18
	v_sub_f32_e32 v18, v21, v20
	s_delay_alu instid0(VALU_DEP_2) | instskip(SKIP_1) | instid1(VALU_DEP_2)
	v_add_f32_e32 v10, v10, v17
	v_add_f32_e32 v17, v22, v19
	;; [unrolled: 1-line block ×3, first 2 shown]
	s_delay_alu instid0(VALU_DEP_2) | instskip(NEXT) | instid1(VALU_DEP_2)
	v_sub_f32_e32 v18, v17, v22
	v_add_f32_e32 v10, v23, v10
	s_delay_alu instid0(VALU_DEP_2) | instskip(NEXT) | instid1(VALU_DEP_2)
	v_sub_f32_e32 v18, v19, v18
	v_mul_f32_e32 v10, v16, v10
	s_delay_alu instid0(VALU_DEP_1) | instskip(NEXT) | instid1(VALU_DEP_1)
	v_add_f32_e32 v10, v18, v10
	v_add_f32_e32 v16, v17, v10
	s_delay_alu instid0(VALU_DEP_1) | instskip(SKIP_1) | instid1(VALU_DEP_1)
	v_mul_f32_e32 v18, v16, v16
	s_wait_alu 0xfffe
	v_fmaak_f32 v19, s8, v18, 0x3ecc95a3
	v_mul_f32_e32 v20, v16, v18
	v_cmp_neq_f32_e64 s8, 0x7f800000, v11
	s_delay_alu instid0(VALU_DEP_3) | instskip(SKIP_2) | instid1(VALU_DEP_3)
	v_fmaak_f32 v18, v18, v19, 0x3f2aaada
	v_ldexp_f32 v19, v16, 1
	v_sub_f32_e32 v16, v16, v17
	v_mul_f32_e32 v18, v20, v18
	v_mul_f32_e32 v20, 0x3f317218, v9
	s_delay_alu instid0(VALU_DEP_2) | instskip(NEXT) | instid1(VALU_DEP_1)
	v_dual_sub_f32 v10, v10, v16 :: v_dual_add_f32 v17, v19, v18
	v_ldexp_f32 v10, v10, 1
	s_delay_alu instid0(VALU_DEP_2) | instskip(NEXT) | instid1(VALU_DEP_4)
	v_sub_f32_e32 v16, v17, v19
	v_fma_f32 v19, 0x3f317218, v9, -v20
	s_delay_alu instid0(VALU_DEP_1) | instskip(NEXT) | instid1(VALU_DEP_1)
	v_dual_sub_f32 v16, v18, v16 :: v_dual_fmamk_f32 v9, v9, 0xb102e308, v19
	v_add_f32_e32 v10, v10, v16
	s_delay_alu instid0(VALU_DEP_2) | instskip(NEXT) | instid1(VALU_DEP_2)
	v_add_f32_e32 v16, v20, v9
	v_add_f32_e32 v18, v17, v10
	s_delay_alu instid0(VALU_DEP_2) | instskip(NEXT) | instid1(VALU_DEP_2)
	v_sub_f32_e32 v20, v16, v20
	v_add_f32_e32 v19, v16, v18
	v_sub_f32_e32 v17, v18, v17
	s_delay_alu instid0(VALU_DEP_3) | instskip(NEXT) | instid1(VALU_DEP_2)
	v_sub_f32_e32 v9, v9, v20
	v_dual_sub_f32 v21, v19, v16 :: v_dual_sub_f32 v10, v10, v17
	s_delay_alu instid0(VALU_DEP_1) | instskip(NEXT) | instid1(VALU_DEP_2)
	v_sub_f32_e32 v22, v19, v21
	v_dual_sub_f32 v17, v18, v21 :: v_dual_add_f32 v18, v9, v10
	s_delay_alu instid0(VALU_DEP_2) | instskip(NEXT) | instid1(VALU_DEP_1)
	v_sub_f32_e32 v16, v16, v22
	v_dual_add_f32 v16, v17, v16 :: v_dual_sub_f32 v17, v18, v9
	s_delay_alu instid0(VALU_DEP_1) | instskip(NEXT) | instid1(VALU_DEP_2)
	v_add_f32_e32 v16, v18, v16
	v_sub_f32_e32 v18, v18, v17
	v_sub_f32_e32 v10, v10, v17
	s_delay_alu instid0(VALU_DEP_2) | instskip(NEXT) | instid1(VALU_DEP_1)
	v_dual_add_f32 v20, v19, v16 :: v_dual_sub_f32 v9, v9, v18
	v_sub_f32_e32 v17, v20, v19
	s_delay_alu instid0(VALU_DEP_2) | instskip(NEXT) | instid1(VALU_DEP_2)
	v_add_f32_e32 v9, v10, v9
	v_sub_f32_e32 v10, v16, v17
	s_delay_alu instid0(VALU_DEP_1) | instskip(NEXT) | instid1(VALU_DEP_1)
	v_add_f32_e32 v9, v9, v10
	v_add_f32_e32 v9, v20, v9
	s_wait_alu 0xf1ff
	s_delay_alu instid0(VALU_DEP_1) | instskip(SKIP_2) | instid1(VALU_DEP_1)
	v_cndmask_b32_e64 v9, 0x7f800000, v9, s8
	v_cmp_gt_f32_e64 s8, 0x33800000, |v11|
	s_wait_alu 0xf1ff
	v_cndmask_b32_e64 v9, v9, v11, s8
	s_delay_alu instid0(VALU_DEP_1)
	v_add_f32_e32 v18, v8, v9
.LBB148_14:
	s_wait_alu 0xfffe
	s_or_b32 exec_lo, exec_lo, s9
	s_delay_alu instid0(VALU_DEP_1) | instskip(SKIP_1) | instid1(VALU_DEP_2)
	v_dual_max_num_f32 v9, v18, v18 :: v_dual_max_num_f32 v8, v3, v3
	v_cmp_u_f32_e64 s8, v18, v18
	v_min_num_f32_e32 v10, v9, v8
	v_max_num_f32_e32 v9, v9, v8
	s_wait_alu 0xf1ff
	s_delay_alu instid0(VALU_DEP_2) | instskip(NEXT) | instid1(VALU_DEP_2)
	v_cndmask_b32_e64 v10, v10, v18, s8
	v_cndmask_b32_e64 v9, v9, v18, s8
	v_cmp_u_f32_e64 s8, v3, v3
	s_wait_alu 0xf1ff
	s_delay_alu instid0(VALU_DEP_1) | instskip(NEXT) | instid1(VALU_DEP_3)
	v_cndmask_b32_e64 v10, v10, v3, s8
	v_cndmask_b32_e64 v9, v9, v3, s8
	s_delay_alu instid0(VALU_DEP_2) | instskip(NEXT) | instid1(VALU_DEP_2)
	v_cmp_class_f32_e64 s10, v10, 0x1f8
	v_cmp_neq_f32_e64 s9, v10, v9
	s_or_b32 s9, s9, s10
	s_wait_alu 0xfffe
	s_and_saveexec_b32 s10, s9
	s_cbranch_execz .LBB148_16
; %bb.15:
	v_sub_f32_e32 v10, v10, v9
	s_delay_alu instid0(VALU_DEP_1) | instskip(NEXT) | instid1(VALU_DEP_1)
	v_mul_f32_e32 v11, 0x3fb8aa3b, v10
	v_fma_f32 v16, 0x3fb8aa3b, v10, -v11
	v_rndne_f32_e32 v17, v11
	s_delay_alu instid0(VALU_DEP_1) | instskip(NEXT) | instid1(VALU_DEP_1)
	v_dual_fmamk_f32 v16, v10, 0x32a5705f, v16 :: v_dual_sub_f32 v11, v11, v17
	v_add_f32_e32 v11, v11, v16
	v_cvt_i32_f32_e32 v16, v17
	v_cmp_ngt_f32_e64 s9, 0xc2ce8ed0, v10
	s_delay_alu instid0(VALU_DEP_3) | instskip(NEXT) | instid1(TRANS32_DEP_1)
	v_exp_f32_e32 v11, v11
	v_ldexp_f32 v11, v11, v16
	s_wait_alu 0xf1ff
	s_delay_alu instid0(VALU_DEP_1) | instskip(SKIP_2) | instid1(VALU_DEP_1)
	v_cndmask_b32_e64 v11, 0, v11, s9
	v_cmp_nlt_f32_e64 s9, 0x42b17218, v10
	s_wait_alu 0xf1ff
	v_cndmask_b32_e64 v16, 0x7f800000, v11, s9
	s_delay_alu instid0(VALU_DEP_1) | instskip(NEXT) | instid1(VALU_DEP_1)
	v_add_f32_e32 v17, 1.0, v16
	v_cvt_f64_f32_e32 v[10:11], v17
	s_delay_alu instid0(VALU_DEP_1) | instskip(SKIP_1) | instid1(VALU_DEP_1)
	v_frexp_exp_i32_f64_e32 v10, v[10:11]
	v_frexp_mant_f32_e32 v11, v17
	v_cmp_gt_f32_e64 s9, 0x3f2aaaab, v11
	v_add_f32_e32 v11, -1.0, v17
	s_delay_alu instid0(VALU_DEP_1) | instskip(SKIP_1) | instid1(VALU_DEP_3)
	v_sub_f32_e32 v19, v11, v17
	s_wait_alu 0xf1ff
	v_subrev_co_ci_u32_e64 v10, null, 0, v10, s9
	s_mov_b32 s9, 0x3e9b6dac
	v_sub_nc_u32_e32 v18, 0, v10
	v_cvt_f32_i32_e32 v10, v10
	s_delay_alu instid0(VALU_DEP_2) | instskip(NEXT) | instid1(VALU_DEP_1)
	v_ldexp_f32 v17, v17, v18
	v_dual_sub_f32 v11, v16, v11 :: v_dual_add_f32 v20, 1.0, v17
	v_add_f32_e32 v19, 1.0, v19
	s_delay_alu instid0(VALU_DEP_1) | instskip(NEXT) | instid1(VALU_DEP_3)
	v_add_f32_e32 v11, v11, v19
	v_add_f32_e32 v19, -1.0, v20
	s_delay_alu instid0(VALU_DEP_2) | instskip(NEXT) | instid1(VALU_DEP_2)
	v_ldexp_f32 v11, v11, v18
	v_dual_add_f32 v18, -1.0, v17 :: v_dual_sub_f32 v19, v17, v19
	s_delay_alu instid0(VALU_DEP_1) | instskip(NEXT) | instid1(VALU_DEP_2)
	v_add_f32_e32 v21, 1.0, v18
	v_add_f32_e32 v19, v11, v19
	s_delay_alu instid0(VALU_DEP_2) | instskip(NEXT) | instid1(VALU_DEP_2)
	v_sub_f32_e32 v17, v17, v21
	v_add_f32_e32 v21, v20, v19
	s_delay_alu instid0(VALU_DEP_2) | instskip(NEXT) | instid1(VALU_DEP_2)
	v_add_f32_e32 v11, v11, v17
	v_rcp_f32_e32 v17, v21
	v_sub_f32_e32 v20, v20, v21
	s_delay_alu instid0(VALU_DEP_1) | instskip(NEXT) | instid1(VALU_DEP_1)
	v_dual_add_f32 v22, v18, v11 :: v_dual_add_f32 v19, v19, v20
	v_sub_f32_e32 v18, v18, v22
	s_delay_alu instid0(TRANS32_DEP_1) | instskip(NEXT) | instid1(VALU_DEP_1)
	v_mul_f32_e32 v23, v22, v17
	v_dual_add_f32 v11, v11, v18 :: v_dual_mul_f32 v24, v21, v23
	s_delay_alu instid0(VALU_DEP_1) | instskip(NEXT) | instid1(VALU_DEP_1)
	v_fma_f32 v20, v23, v21, -v24
	v_fmac_f32_e32 v20, v23, v19
	s_delay_alu instid0(VALU_DEP_1) | instskip(NEXT) | instid1(VALU_DEP_1)
	v_add_f32_e32 v25, v24, v20
	v_sub_f32_e32 v26, v22, v25
	v_sub_f32_e32 v18, v25, v24
	s_delay_alu instid0(VALU_DEP_2) | instskip(NEXT) | instid1(VALU_DEP_2)
	v_sub_f32_e32 v22, v22, v26
	v_sub_f32_e32 v18, v18, v20
	s_delay_alu instid0(VALU_DEP_2) | instskip(NEXT) | instid1(VALU_DEP_1)
	v_sub_f32_e32 v22, v22, v25
	v_add_f32_e32 v11, v11, v22
	s_delay_alu instid0(VALU_DEP_1) | instskip(NEXT) | instid1(VALU_DEP_1)
	v_add_f32_e32 v11, v18, v11
	v_add_f32_e32 v18, v26, v11
	s_delay_alu instid0(VALU_DEP_1) | instskip(NEXT) | instid1(VALU_DEP_1)
	v_mul_f32_e32 v20, v17, v18
	v_dual_sub_f32 v25, v26, v18 :: v_dual_mul_f32 v22, v21, v20
	s_delay_alu instid0(VALU_DEP_1) | instskip(NEXT) | instid1(VALU_DEP_2)
	v_add_f32_e32 v11, v11, v25
	v_fma_f32 v21, v20, v21, -v22
	s_delay_alu instid0(VALU_DEP_1) | instskip(NEXT) | instid1(VALU_DEP_1)
	v_fmac_f32_e32 v21, v20, v19
	v_add_f32_e32 v19, v22, v21
	s_delay_alu instid0(VALU_DEP_1) | instskip(SKIP_1) | instid1(VALU_DEP_2)
	v_sub_f32_e32 v24, v18, v19
	v_sub_f32_e32 v22, v19, v22
	;; [unrolled: 1-line block ×3, first 2 shown]
	s_delay_alu instid0(VALU_DEP_1) | instskip(NEXT) | instid1(VALU_DEP_3)
	v_sub_f32_e32 v18, v18, v19
	v_sub_f32_e32 v19, v22, v21
	s_delay_alu instid0(VALU_DEP_2) | instskip(SKIP_1) | instid1(VALU_DEP_2)
	v_add_f32_e32 v11, v11, v18
	v_add_f32_e32 v18, v23, v20
	;; [unrolled: 1-line block ×3, first 2 shown]
	s_delay_alu instid0(VALU_DEP_2) | instskip(NEXT) | instid1(VALU_DEP_2)
	v_sub_f32_e32 v19, v18, v23
	v_add_f32_e32 v11, v24, v11
	s_delay_alu instid0(VALU_DEP_2) | instskip(NEXT) | instid1(VALU_DEP_2)
	v_sub_f32_e32 v19, v20, v19
	v_mul_f32_e32 v11, v17, v11
	s_delay_alu instid0(VALU_DEP_1) | instskip(NEXT) | instid1(VALU_DEP_1)
	v_add_f32_e32 v11, v19, v11
	v_add_f32_e32 v17, v18, v11
	s_delay_alu instid0(VALU_DEP_1) | instskip(SKIP_1) | instid1(VALU_DEP_1)
	v_mul_f32_e32 v19, v17, v17
	s_wait_alu 0xfffe
	v_fmaak_f32 v20, s9, v19, 0x3ecc95a3
	v_mul_f32_e32 v21, v17, v19
	v_cmp_neq_f32_e64 s9, 0x7f800000, v16
	s_delay_alu instid0(VALU_DEP_3) | instskip(SKIP_2) | instid1(VALU_DEP_3)
	v_fmaak_f32 v19, v19, v20, 0x3f2aaada
	v_ldexp_f32 v20, v17, 1
	v_sub_f32_e32 v17, v17, v18
	v_mul_f32_e32 v19, v21, v19
	v_mul_f32_e32 v21, 0x3f317218, v10
	s_delay_alu instid0(VALU_DEP_2) | instskip(NEXT) | instid1(VALU_DEP_1)
	v_dual_sub_f32 v11, v11, v17 :: v_dual_add_f32 v18, v20, v19
	v_ldexp_f32 v11, v11, 1
	s_delay_alu instid0(VALU_DEP_2) | instskip(NEXT) | instid1(VALU_DEP_4)
	v_sub_f32_e32 v17, v18, v20
	v_fma_f32 v20, 0x3f317218, v10, -v21
	s_delay_alu instid0(VALU_DEP_1) | instskip(NEXT) | instid1(VALU_DEP_1)
	v_dual_sub_f32 v17, v19, v17 :: v_dual_fmamk_f32 v10, v10, 0xb102e308, v20
	v_add_f32_e32 v11, v11, v17
	s_delay_alu instid0(VALU_DEP_2) | instskip(NEXT) | instid1(VALU_DEP_2)
	v_add_f32_e32 v17, v21, v10
	v_add_f32_e32 v19, v18, v11
	s_delay_alu instid0(VALU_DEP_2) | instskip(NEXT) | instid1(VALU_DEP_2)
	v_sub_f32_e32 v21, v17, v21
	v_add_f32_e32 v20, v17, v19
	v_sub_f32_e32 v18, v19, v18
	s_delay_alu instid0(VALU_DEP_3) | instskip(NEXT) | instid1(VALU_DEP_2)
	v_sub_f32_e32 v10, v10, v21
	v_dual_sub_f32 v22, v20, v17 :: v_dual_sub_f32 v11, v11, v18
	s_delay_alu instid0(VALU_DEP_1) | instskip(NEXT) | instid1(VALU_DEP_2)
	v_sub_f32_e32 v23, v20, v22
	v_dual_sub_f32 v18, v19, v22 :: v_dual_add_f32 v19, v10, v11
	s_delay_alu instid0(VALU_DEP_2) | instskip(NEXT) | instid1(VALU_DEP_1)
	v_sub_f32_e32 v17, v17, v23
	v_dual_add_f32 v17, v18, v17 :: v_dual_sub_f32 v18, v19, v10
	s_delay_alu instid0(VALU_DEP_1) | instskip(NEXT) | instid1(VALU_DEP_2)
	v_add_f32_e32 v17, v19, v17
	v_sub_f32_e32 v19, v19, v18
	v_sub_f32_e32 v11, v11, v18
	s_delay_alu instid0(VALU_DEP_2) | instskip(NEXT) | instid1(VALU_DEP_1)
	v_dual_add_f32 v21, v20, v17 :: v_dual_sub_f32 v10, v10, v19
	v_sub_f32_e32 v18, v21, v20
	s_delay_alu instid0(VALU_DEP_2) | instskip(NEXT) | instid1(VALU_DEP_2)
	v_add_f32_e32 v10, v11, v10
	v_sub_f32_e32 v11, v17, v18
	s_delay_alu instid0(VALU_DEP_1) | instskip(NEXT) | instid1(VALU_DEP_1)
	v_add_f32_e32 v10, v10, v11
	v_add_f32_e32 v10, v21, v10
	s_wait_alu 0xf1ff
	s_delay_alu instid0(VALU_DEP_1) | instskip(SKIP_2) | instid1(VALU_DEP_1)
	v_cndmask_b32_e64 v10, 0x7f800000, v10, s9
	v_cmp_gt_f32_e64 s9, 0x33800000, |v16|
	s_wait_alu 0xf1ff
	v_cndmask_b32_e64 v10, v10, v16, s9
	s_delay_alu instid0(VALU_DEP_1)
	v_add_f32_e32 v18, v9, v10
.LBB148_16:
	s_or_b32 exec_lo, exec_lo, s10
	s_delay_alu instid0(VALU_DEP_1) | instskip(SKIP_1) | instid1(VALU_DEP_2)
	v_dual_max_num_f32 v10, v18, v18 :: v_dual_max_num_f32 v9, v4, v4
	v_cmp_u_f32_e64 s9, v18, v18
	v_min_num_f32_e32 v11, v10, v9
	v_max_num_f32_e32 v10, v10, v9
	s_wait_alu 0xf1ff
	s_delay_alu instid0(VALU_DEP_2) | instskip(NEXT) | instid1(VALU_DEP_2)
	v_cndmask_b32_e64 v11, v11, v18, s9
	v_cndmask_b32_e64 v10, v10, v18, s9
	v_cmp_u_f32_e64 s9, v4, v4
	s_wait_alu 0xf1ff
	s_delay_alu instid0(VALU_DEP_1) | instskip(NEXT) | instid1(VALU_DEP_3)
	v_cndmask_b32_e64 v11, v11, v4, s9
	v_cndmask_b32_e64 v10, v10, v4, s9
	s_delay_alu instid0(VALU_DEP_2) | instskip(NEXT) | instid1(VALU_DEP_2)
	v_cmp_class_f32_e64 s11, v11, 0x1f8
	v_cmp_neq_f32_e64 s10, v11, v10
	s_or_b32 s10, s10, s11
	s_delay_alu instid0(SALU_CYCLE_1)
	s_and_saveexec_b32 s11, s10
	s_cbranch_execz .LBB148_18
; %bb.17:
	v_sub_f32_e32 v11, v11, v10
	s_delay_alu instid0(VALU_DEP_1) | instskip(NEXT) | instid1(VALU_DEP_1)
	v_mul_f32_e32 v16, 0x3fb8aa3b, v11
	v_fma_f32 v17, 0x3fb8aa3b, v11, -v16
	v_rndne_f32_e32 v18, v16
	s_delay_alu instid0(VALU_DEP_1) | instskip(NEXT) | instid1(VALU_DEP_1)
	v_dual_fmamk_f32 v17, v11, 0x32a5705f, v17 :: v_dual_sub_f32 v16, v16, v18
	v_add_f32_e32 v16, v16, v17
	v_cvt_i32_f32_e32 v17, v18
	v_cmp_ngt_f32_e64 s10, 0xc2ce8ed0, v11
	s_delay_alu instid0(VALU_DEP_3) | instskip(NEXT) | instid1(TRANS32_DEP_1)
	v_exp_f32_e32 v16, v16
	v_ldexp_f32 v16, v16, v17
	s_delay_alu instid0(VALU_DEP_1) | instskip(SKIP_2) | instid1(VALU_DEP_1)
	v_cndmask_b32_e64 v16, 0, v16, s10
	v_cmp_nlt_f32_e64 s10, 0x42b17218, v11
	s_wait_alu 0xf1ff
	v_cndmask_b32_e64 v11, 0x7f800000, v16, s10
	s_delay_alu instid0(VALU_DEP_1) | instskip(NEXT) | instid1(VALU_DEP_1)
	v_add_f32_e32 v18, 1.0, v11
	v_cvt_f64_f32_e32 v[16:17], v18
	s_delay_alu instid0(VALU_DEP_1) | instskip(SKIP_1) | instid1(VALU_DEP_1)
	v_frexp_exp_i32_f64_e32 v16, v[16:17]
	v_frexp_mant_f32_e32 v17, v18
	v_cmp_gt_f32_e64 s10, 0x3f2aaaab, v17
	v_add_f32_e32 v17, -1.0, v18
	s_delay_alu instid0(VALU_DEP_1) | instskip(SKIP_1) | instid1(VALU_DEP_3)
	v_dual_sub_f32 v20, v17, v18 :: v_dual_sub_f32 v17, v11, v17
	s_wait_alu 0xf1ff
	v_subrev_co_ci_u32_e64 v16, null, 0, v16, s10
	s_mov_b32 s10, 0x3e9b6dac
	v_sub_nc_u32_e32 v19, 0, v16
	v_cvt_f32_i32_e32 v16, v16
	s_delay_alu instid0(VALU_DEP_2) | instskip(NEXT) | instid1(VALU_DEP_1)
	v_ldexp_f32 v18, v18, v19
	v_dual_add_f32 v20, 1.0, v20 :: v_dual_add_f32 v21, 1.0, v18
	s_delay_alu instid0(VALU_DEP_1) | instskip(NEXT) | instid1(VALU_DEP_1)
	v_dual_add_f32 v17, v17, v20 :: v_dual_add_f32 v20, -1.0, v21
	v_ldexp_f32 v17, v17, v19
	s_delay_alu instid0(VALU_DEP_2) | instskip(NEXT) | instid1(VALU_DEP_1)
	v_dual_add_f32 v19, -1.0, v18 :: v_dual_sub_f32 v20, v18, v20
	v_add_f32_e32 v22, 1.0, v19
	s_delay_alu instid0(VALU_DEP_2) | instskip(NEXT) | instid1(VALU_DEP_2)
	v_add_f32_e32 v20, v17, v20
	v_sub_f32_e32 v18, v18, v22
	s_delay_alu instid0(VALU_DEP_1) | instskip(NEXT) | instid1(VALU_DEP_1)
	v_add_f32_e32 v17, v17, v18
	v_dual_add_f32 v23, v19, v17 :: v_dual_add_f32 v22, v21, v20
	s_delay_alu instid0(VALU_DEP_1) | instskip(NEXT) | instid1(VALU_DEP_2)
	v_sub_f32_e32 v19, v19, v23
	v_rcp_f32_e32 v18, v22
	v_sub_f32_e32 v21, v21, v22
	s_delay_alu instid0(VALU_DEP_1) | instskip(NEXT) | instid1(TRANS32_DEP_1)
	v_dual_add_f32 v17, v17, v19 :: v_dual_add_f32 v20, v20, v21
	v_mul_f32_e32 v24, v23, v18
	s_delay_alu instid0(VALU_DEP_1) | instskip(NEXT) | instid1(VALU_DEP_1)
	v_mul_f32_e32 v25, v22, v24
	v_fma_f32 v21, v24, v22, -v25
	s_delay_alu instid0(VALU_DEP_1) | instskip(NEXT) | instid1(VALU_DEP_1)
	v_fmac_f32_e32 v21, v24, v20
	v_add_f32_e32 v26, v25, v21
	s_delay_alu instid0(VALU_DEP_1) | instskip(NEXT) | instid1(VALU_DEP_1)
	v_sub_f32_e32 v27, v23, v26
	v_sub_f32_e32 v23, v23, v27
	;; [unrolled: 1-line block ×3, first 2 shown]
	s_delay_alu instid0(VALU_DEP_2) | instskip(NEXT) | instid1(VALU_DEP_2)
	v_sub_f32_e32 v23, v23, v26
	v_sub_f32_e32 v19, v19, v21
	s_delay_alu instid0(VALU_DEP_2) | instskip(NEXT) | instid1(VALU_DEP_1)
	v_add_f32_e32 v17, v17, v23
	v_add_f32_e32 v17, v19, v17
	s_delay_alu instid0(VALU_DEP_1) | instskip(NEXT) | instid1(VALU_DEP_1)
	v_add_f32_e32 v19, v27, v17
	v_mul_f32_e32 v21, v18, v19
	s_delay_alu instid0(VALU_DEP_1) | instskip(NEXT) | instid1(VALU_DEP_1)
	v_dual_sub_f32 v26, v27, v19 :: v_dual_mul_f32 v23, v22, v21
	v_add_f32_e32 v17, v17, v26
	s_delay_alu instid0(VALU_DEP_2) | instskip(NEXT) | instid1(VALU_DEP_1)
	v_fma_f32 v22, v21, v22, -v23
	v_fmac_f32_e32 v22, v21, v20
	s_delay_alu instid0(VALU_DEP_1) | instskip(NEXT) | instid1(VALU_DEP_1)
	v_add_f32_e32 v20, v23, v22
	v_sub_f32_e32 v25, v19, v20
	v_sub_f32_e32 v23, v20, v23
	s_delay_alu instid0(VALU_DEP_2) | instskip(NEXT) | instid1(VALU_DEP_1)
	v_sub_f32_e32 v19, v19, v25
	v_sub_f32_e32 v19, v19, v20
	s_delay_alu instid0(VALU_DEP_1) | instskip(SKIP_1) | instid1(VALU_DEP_1)
	v_dual_sub_f32 v20, v23, v22 :: v_dual_add_f32 v17, v17, v19
	v_add_f32_e32 v19, v24, v21
	v_dual_add_f32 v17, v20, v17 :: v_dual_sub_f32 v20, v19, v24
	s_delay_alu instid0(VALU_DEP_1) | instskip(NEXT) | instid1(VALU_DEP_1)
	v_add_f32_e32 v17, v25, v17
	v_dual_sub_f32 v20, v21, v20 :: v_dual_mul_f32 v17, v18, v17
	s_delay_alu instid0(VALU_DEP_1) | instskip(NEXT) | instid1(VALU_DEP_1)
	v_add_f32_e32 v17, v20, v17
	v_add_f32_e32 v18, v19, v17
	s_delay_alu instid0(VALU_DEP_1) | instskip(SKIP_1) | instid1(VALU_DEP_1)
	v_mul_f32_e32 v20, v18, v18
	s_wait_alu 0xfffe
	v_fmaak_f32 v21, s10, v20, 0x3ecc95a3
	v_mul_f32_e32 v22, v18, v20
	v_cmp_neq_f32_e64 s10, 0x7f800000, v11
	s_delay_alu instid0(VALU_DEP_3) | instskip(SKIP_2) | instid1(VALU_DEP_3)
	v_fmaak_f32 v20, v20, v21, 0x3f2aaada
	v_ldexp_f32 v21, v18, 1
	v_sub_f32_e32 v18, v18, v19
	v_mul_f32_e32 v20, v22, v20
	s_delay_alu instid0(VALU_DEP_2) | instskip(NEXT) | instid1(VALU_DEP_2)
	v_dual_mul_f32 v22, 0x3f317218, v16 :: v_dual_sub_f32 v17, v17, v18
	v_add_f32_e32 v19, v21, v20
	s_delay_alu instid0(VALU_DEP_2) | instskip(NEXT) | instid1(VALU_DEP_2)
	v_ldexp_f32 v17, v17, 1
	v_sub_f32_e32 v18, v19, v21
	s_delay_alu instid0(VALU_DEP_4) | instskip(NEXT) | instid1(VALU_DEP_2)
	v_fma_f32 v21, 0x3f317218, v16, -v22
	v_sub_f32_e32 v18, v20, v18
	s_delay_alu instid0(VALU_DEP_1) | instskip(NEXT) | instid1(VALU_DEP_1)
	v_dual_fmamk_f32 v16, v16, 0xb102e308, v21 :: v_dual_add_f32 v17, v17, v18
	v_add_f32_e32 v18, v22, v16
	s_delay_alu instid0(VALU_DEP_1) | instskip(NEXT) | instid1(VALU_DEP_1)
	v_sub_f32_e32 v22, v18, v22
	v_sub_f32_e32 v16, v16, v22
	s_delay_alu instid0(VALU_DEP_4) | instskip(NEXT) | instid1(VALU_DEP_1)
	v_add_f32_e32 v20, v19, v17
	v_sub_f32_e32 v19, v20, v19
	s_delay_alu instid0(VALU_DEP_1) | instskip(SKIP_1) | instid1(VALU_DEP_1)
	v_sub_f32_e32 v17, v17, v19
	v_add_f32_e32 v21, v18, v20
	v_sub_f32_e32 v23, v21, v18
	s_delay_alu instid0(VALU_DEP_1) | instskip(NEXT) | instid1(VALU_DEP_4)
	v_sub_f32_e32 v19, v20, v23
	v_add_f32_e32 v20, v16, v17
	v_sub_f32_e32 v24, v21, v23
	s_delay_alu instid0(VALU_DEP_1) | instskip(NEXT) | instid1(VALU_DEP_1)
	v_sub_f32_e32 v18, v18, v24
	v_dual_add_f32 v18, v19, v18 :: v_dual_sub_f32 v19, v20, v16
	s_delay_alu instid0(VALU_DEP_1) | instskip(SKIP_1) | instid1(VALU_DEP_2)
	v_dual_add_f32 v18, v20, v18 :: v_dual_sub_f32 v17, v17, v19
	v_sub_f32_e32 v20, v20, v19
	v_add_f32_e32 v22, v21, v18
	s_delay_alu instid0(VALU_DEP_1) | instskip(NEXT) | instid1(VALU_DEP_1)
	v_dual_sub_f32 v16, v16, v20 :: v_dual_sub_f32 v19, v22, v21
	v_dual_add_f32 v16, v17, v16 :: v_dual_sub_f32 v17, v18, v19
	s_delay_alu instid0(VALU_DEP_1) | instskip(NEXT) | instid1(VALU_DEP_1)
	v_add_f32_e32 v16, v16, v17
	v_add_f32_e32 v16, v22, v16
	s_wait_alu 0xf1ff
	s_delay_alu instid0(VALU_DEP_1) | instskip(SKIP_2) | instid1(VALU_DEP_1)
	v_cndmask_b32_e64 v16, 0x7f800000, v16, s10
	v_cmp_gt_f32_e64 s10, 0x33800000, |v11|
	s_wait_alu 0xf1ff
	v_cndmask_b32_e64 v11, v16, v11, s10
	s_delay_alu instid0(VALU_DEP_1)
	v_add_f32_e32 v18, v10, v11
.LBB148_18:
	s_or_b32 exec_lo, exec_lo, s11
	s_delay_alu instid0(VALU_DEP_1) | instskip(SKIP_1) | instid1(VALU_DEP_2)
	v_dual_max_num_f32 v11, v18, v18 :: v_dual_max_num_f32 v10, v5, v5
	v_cmp_u_f32_e64 s10, v18, v18
	v_min_num_f32_e32 v16, v11, v10
	v_max_num_f32_e32 v11, v11, v10
	s_wait_alu 0xf1ff
	s_delay_alu instid0(VALU_DEP_2) | instskip(NEXT) | instid1(VALU_DEP_2)
	v_cndmask_b32_e64 v16, v16, v18, s10
	v_cndmask_b32_e64 v11, v11, v18, s10
	v_cmp_u_f32_e64 s10, v5, v5
	s_wait_alu 0xf1ff
	s_delay_alu instid0(VALU_DEP_1) | instskip(NEXT) | instid1(VALU_DEP_3)
	v_cndmask_b32_e64 v16, v16, v5, s10
	v_cndmask_b32_e64 v11, v11, v5, s10
	s_delay_alu instid0(VALU_DEP_2) | instskip(NEXT) | instid1(VALU_DEP_2)
	v_cmp_class_f32_e64 s13, v16, 0x1f8
	v_cmp_neq_f32_e64 s11, v16, v11
	s_or_b32 s11, s11, s13
	s_wait_alu 0xfffe
	s_and_saveexec_b32 s13, s11
	s_cbranch_execz .LBB148_20
; %bb.19:
	v_sub_f32_e32 v16, v16, v11
	s_delay_alu instid0(VALU_DEP_1) | instskip(NEXT) | instid1(VALU_DEP_1)
	v_mul_f32_e32 v17, 0x3fb8aa3b, v16
	v_fma_f32 v18, 0x3fb8aa3b, v16, -v17
	v_rndne_f32_e32 v19, v17
	s_delay_alu instid0(VALU_DEP_1) | instskip(NEXT) | instid1(VALU_DEP_1)
	v_dual_fmamk_f32 v18, v16, 0x32a5705f, v18 :: v_dual_sub_f32 v17, v17, v19
	v_add_f32_e32 v17, v17, v18
	v_cvt_i32_f32_e32 v18, v19
	v_cmp_ngt_f32_e64 s11, 0xc2ce8ed0, v16
	s_delay_alu instid0(VALU_DEP_3) | instskip(NEXT) | instid1(TRANS32_DEP_1)
	v_exp_f32_e32 v17, v17
	v_ldexp_f32 v17, v17, v18
	s_wait_alu 0xf1ff
	s_delay_alu instid0(VALU_DEP_1) | instskip(SKIP_2) | instid1(VALU_DEP_1)
	v_cndmask_b32_e64 v17, 0, v17, s11
	v_cmp_nlt_f32_e64 s11, 0x42b17218, v16
	s_wait_alu 0xf1ff
	v_cndmask_b32_e64 v18, 0x7f800000, v17, s11
	s_delay_alu instid0(VALU_DEP_1) | instskip(NEXT) | instid1(VALU_DEP_1)
	v_add_f32_e32 v19, 1.0, v18
	v_cvt_f64_f32_e32 v[16:17], v19
	s_delay_alu instid0(VALU_DEP_1) | instskip(SKIP_1) | instid1(VALU_DEP_1)
	v_frexp_exp_i32_f64_e32 v16, v[16:17]
	v_frexp_mant_f32_e32 v17, v19
	v_cmp_gt_f32_e64 s11, 0x3f2aaaab, v17
	v_add_f32_e32 v17, -1.0, v19
	s_delay_alu instid0(VALU_DEP_1) | instskip(SKIP_1) | instid1(VALU_DEP_3)
	v_sub_f32_e32 v21, v17, v19
	s_wait_alu 0xf1ff
	v_subrev_co_ci_u32_e64 v16, null, 0, v16, s11
	s_mov_b32 s11, 0x3e9b6dac
	v_sub_nc_u32_e32 v20, 0, v16
	v_cvt_f32_i32_e32 v16, v16
	s_delay_alu instid0(VALU_DEP_2) | instskip(NEXT) | instid1(VALU_DEP_1)
	v_ldexp_f32 v19, v19, v20
	v_dual_sub_f32 v17, v18, v17 :: v_dual_add_f32 v22, 1.0, v19
	v_add_f32_e32 v21, 1.0, v21
	s_delay_alu instid0(VALU_DEP_1) | instskip(NEXT) | instid1(VALU_DEP_3)
	v_add_f32_e32 v17, v17, v21
	v_add_f32_e32 v21, -1.0, v22
	s_delay_alu instid0(VALU_DEP_2) | instskip(NEXT) | instid1(VALU_DEP_2)
	v_ldexp_f32 v17, v17, v20
	v_dual_add_f32 v20, -1.0, v19 :: v_dual_sub_f32 v21, v19, v21
	s_delay_alu instid0(VALU_DEP_1) | instskip(NEXT) | instid1(VALU_DEP_2)
	v_add_f32_e32 v23, 1.0, v20
	v_add_f32_e32 v21, v17, v21
	s_delay_alu instid0(VALU_DEP_2) | instskip(NEXT) | instid1(VALU_DEP_2)
	v_sub_f32_e32 v19, v19, v23
	v_add_f32_e32 v23, v22, v21
	s_delay_alu instid0(VALU_DEP_2) | instskip(NEXT) | instid1(VALU_DEP_2)
	v_add_f32_e32 v17, v17, v19
	v_rcp_f32_e32 v19, v23
	v_sub_f32_e32 v22, v22, v23
	s_delay_alu instid0(VALU_DEP_1) | instskip(NEXT) | instid1(VALU_DEP_1)
	v_dual_add_f32 v24, v20, v17 :: v_dual_add_f32 v21, v21, v22
	v_sub_f32_e32 v20, v20, v24
	s_delay_alu instid0(TRANS32_DEP_1) | instskip(NEXT) | instid1(VALU_DEP_1)
	v_mul_f32_e32 v25, v24, v19
	v_dual_add_f32 v17, v17, v20 :: v_dual_mul_f32 v26, v23, v25
	s_delay_alu instid0(VALU_DEP_1) | instskip(NEXT) | instid1(VALU_DEP_1)
	v_fma_f32 v22, v25, v23, -v26
	v_fmac_f32_e32 v22, v25, v21
	s_delay_alu instid0(VALU_DEP_1) | instskip(NEXT) | instid1(VALU_DEP_1)
	v_add_f32_e32 v27, v26, v22
	v_sub_f32_e32 v28, v24, v27
	v_sub_f32_e32 v20, v27, v26
	s_delay_alu instid0(VALU_DEP_2) | instskip(NEXT) | instid1(VALU_DEP_2)
	v_sub_f32_e32 v24, v24, v28
	v_sub_f32_e32 v20, v20, v22
	s_delay_alu instid0(VALU_DEP_2) | instskip(NEXT) | instid1(VALU_DEP_1)
	v_sub_f32_e32 v24, v24, v27
	v_add_f32_e32 v17, v17, v24
	s_delay_alu instid0(VALU_DEP_1) | instskip(NEXT) | instid1(VALU_DEP_1)
	v_add_f32_e32 v17, v20, v17
	v_add_f32_e32 v20, v28, v17
	s_delay_alu instid0(VALU_DEP_1) | instskip(NEXT) | instid1(VALU_DEP_1)
	v_mul_f32_e32 v22, v19, v20
	v_dual_sub_f32 v27, v28, v20 :: v_dual_mul_f32 v24, v23, v22
	s_delay_alu instid0(VALU_DEP_1) | instskip(NEXT) | instid1(VALU_DEP_2)
	v_add_f32_e32 v17, v17, v27
	v_fma_f32 v23, v22, v23, -v24
	s_delay_alu instid0(VALU_DEP_1) | instskip(NEXT) | instid1(VALU_DEP_1)
	v_fmac_f32_e32 v23, v22, v21
	v_add_f32_e32 v21, v24, v23
	s_delay_alu instid0(VALU_DEP_1) | instskip(SKIP_1) | instid1(VALU_DEP_2)
	v_sub_f32_e32 v26, v20, v21
	v_sub_f32_e32 v24, v21, v24
	;; [unrolled: 1-line block ×3, first 2 shown]
	s_delay_alu instid0(VALU_DEP_1) | instskip(NEXT) | instid1(VALU_DEP_3)
	v_sub_f32_e32 v20, v20, v21
	v_sub_f32_e32 v21, v24, v23
	s_delay_alu instid0(VALU_DEP_2) | instskip(SKIP_1) | instid1(VALU_DEP_2)
	v_add_f32_e32 v17, v17, v20
	v_add_f32_e32 v20, v25, v22
	v_add_f32_e32 v17, v21, v17
	s_delay_alu instid0(VALU_DEP_2) | instskip(NEXT) | instid1(VALU_DEP_2)
	v_sub_f32_e32 v21, v20, v25
	v_add_f32_e32 v17, v26, v17
	s_delay_alu instid0(VALU_DEP_2) | instskip(NEXT) | instid1(VALU_DEP_2)
	v_sub_f32_e32 v21, v22, v21
	v_mul_f32_e32 v17, v19, v17
	s_delay_alu instid0(VALU_DEP_1) | instskip(NEXT) | instid1(VALU_DEP_1)
	v_add_f32_e32 v17, v21, v17
	v_add_f32_e32 v19, v20, v17
	s_delay_alu instid0(VALU_DEP_1) | instskip(SKIP_1) | instid1(VALU_DEP_1)
	v_mul_f32_e32 v21, v19, v19
	s_wait_alu 0xfffe
	v_fmaak_f32 v22, s11, v21, 0x3ecc95a3
	v_mul_f32_e32 v23, v19, v21
	v_cmp_neq_f32_e64 s11, 0x7f800000, v18
	s_delay_alu instid0(VALU_DEP_3) | instskip(SKIP_2) | instid1(VALU_DEP_3)
	v_fmaak_f32 v21, v21, v22, 0x3f2aaada
	v_ldexp_f32 v22, v19, 1
	v_sub_f32_e32 v19, v19, v20
	v_mul_f32_e32 v21, v23, v21
	v_mul_f32_e32 v23, 0x3f317218, v16
	s_delay_alu instid0(VALU_DEP_2) | instskip(NEXT) | instid1(VALU_DEP_1)
	v_dual_sub_f32 v17, v17, v19 :: v_dual_add_f32 v20, v22, v21
	v_ldexp_f32 v17, v17, 1
	s_delay_alu instid0(VALU_DEP_2) | instskip(NEXT) | instid1(VALU_DEP_4)
	v_sub_f32_e32 v19, v20, v22
	v_fma_f32 v22, 0x3f317218, v16, -v23
	s_delay_alu instid0(VALU_DEP_1) | instskip(NEXT) | instid1(VALU_DEP_1)
	v_dual_sub_f32 v19, v21, v19 :: v_dual_fmamk_f32 v16, v16, 0xb102e308, v22
	v_add_f32_e32 v17, v17, v19
	s_delay_alu instid0(VALU_DEP_2) | instskip(NEXT) | instid1(VALU_DEP_2)
	v_add_f32_e32 v19, v23, v16
	v_add_f32_e32 v21, v20, v17
	s_delay_alu instid0(VALU_DEP_2) | instskip(NEXT) | instid1(VALU_DEP_2)
	v_sub_f32_e32 v23, v19, v23
	v_add_f32_e32 v22, v19, v21
	v_sub_f32_e32 v20, v21, v20
	s_delay_alu instid0(VALU_DEP_3) | instskip(NEXT) | instid1(VALU_DEP_2)
	v_sub_f32_e32 v16, v16, v23
	v_dual_sub_f32 v24, v22, v19 :: v_dual_sub_f32 v17, v17, v20
	s_delay_alu instid0(VALU_DEP_1) | instskip(NEXT) | instid1(VALU_DEP_2)
	v_sub_f32_e32 v25, v22, v24
	v_dual_sub_f32 v20, v21, v24 :: v_dual_add_f32 v21, v16, v17
	s_delay_alu instid0(VALU_DEP_2) | instskip(NEXT) | instid1(VALU_DEP_1)
	v_sub_f32_e32 v19, v19, v25
	v_dual_add_f32 v19, v20, v19 :: v_dual_sub_f32 v20, v21, v16
	s_delay_alu instid0(VALU_DEP_1) | instskip(NEXT) | instid1(VALU_DEP_2)
	v_add_f32_e32 v19, v21, v19
	v_sub_f32_e32 v21, v21, v20
	v_sub_f32_e32 v17, v17, v20
	s_delay_alu instid0(VALU_DEP_2) | instskip(NEXT) | instid1(VALU_DEP_1)
	v_dual_add_f32 v23, v22, v19 :: v_dual_sub_f32 v16, v16, v21
	v_sub_f32_e32 v20, v23, v22
	s_delay_alu instid0(VALU_DEP_2) | instskip(NEXT) | instid1(VALU_DEP_2)
	v_add_f32_e32 v16, v17, v16
	v_sub_f32_e32 v17, v19, v20
	s_delay_alu instid0(VALU_DEP_1) | instskip(NEXT) | instid1(VALU_DEP_1)
	v_add_f32_e32 v16, v16, v17
	v_add_f32_e32 v16, v23, v16
	s_wait_alu 0xf1ff
	s_delay_alu instid0(VALU_DEP_1) | instskip(SKIP_2) | instid1(VALU_DEP_1)
	v_cndmask_b32_e64 v16, 0x7f800000, v16, s11
	v_cmp_gt_f32_e64 s11, 0x33800000, |v18|
	s_wait_alu 0xf1ff
	v_cndmask_b32_e64 v16, v16, v18, s11
	s_delay_alu instid0(VALU_DEP_1)
	v_add_f32_e32 v18, v11, v16
.LBB148_20:
	s_wait_alu 0xfffe
	s_or_b32 exec_lo, exec_lo, s13
	s_delay_alu instid0(VALU_DEP_1) | instskip(SKIP_2) | instid1(VALU_DEP_2)
	v_max_num_f32_e32 v16, v18, v18
	v_max_num_f32_e32 v11, v6, v6
	v_cmp_u_f32_e64 s11, v18, v18
	v_min_num_f32_e32 v17, v16, v11
	v_max_num_f32_e32 v16, v16, v11
	s_wait_alu 0xf1ff
	s_delay_alu instid0(VALU_DEP_2) | instskip(NEXT) | instid1(VALU_DEP_2)
	v_cndmask_b32_e64 v17, v17, v18, s11
	v_cndmask_b32_e64 v16, v16, v18, s11
	v_cmp_u_f32_e64 s11, v6, v6
	s_wait_alu 0xf1ff
	s_delay_alu instid0(VALU_DEP_1) | instskip(NEXT) | instid1(VALU_DEP_3)
	v_cndmask_b32_e64 v17, v17, v6, s11
	v_cndmask_b32_e64 v16, v16, v6, s11
	s_delay_alu instid0(VALU_DEP_2) | instskip(NEXT) | instid1(VALU_DEP_2)
	v_cmp_class_f32_e64 s14, v17, 0x1f8
	v_cmp_neq_f32_e64 s13, v17, v16
	s_or_b32 s13, s13, s14
	s_wait_alu 0xfffe
	s_and_saveexec_b32 s14, s13
	s_cbranch_execz .LBB148_22
; %bb.21:
	v_sub_f32_e32 v17, v17, v16
	s_delay_alu instid0(VALU_DEP_1) | instskip(NEXT) | instid1(VALU_DEP_1)
	v_mul_f32_e32 v18, 0x3fb8aa3b, v17
	v_fma_f32 v19, 0x3fb8aa3b, v17, -v18
	v_rndne_f32_e32 v20, v18
	s_delay_alu instid0(VALU_DEP_1) | instskip(NEXT) | instid1(VALU_DEP_1)
	v_dual_fmamk_f32 v19, v17, 0x32a5705f, v19 :: v_dual_sub_f32 v18, v18, v20
	v_add_f32_e32 v18, v18, v19
	v_cvt_i32_f32_e32 v19, v20
	v_cmp_ngt_f32_e64 s13, 0xc2ce8ed0, v17
	s_delay_alu instid0(VALU_DEP_3) | instskip(NEXT) | instid1(TRANS32_DEP_1)
	v_exp_f32_e32 v18, v18
	v_ldexp_f32 v18, v18, v19
	s_wait_alu 0xf1ff
	s_delay_alu instid0(VALU_DEP_1) | instskip(SKIP_2) | instid1(VALU_DEP_1)
	v_cndmask_b32_e64 v18, 0, v18, s13
	v_cmp_nlt_f32_e64 s13, 0x42b17218, v17
	s_wait_alu 0xf1ff
	v_cndmask_b32_e64 v19, 0x7f800000, v18, s13
	s_delay_alu instid0(VALU_DEP_1) | instskip(NEXT) | instid1(VALU_DEP_1)
	v_add_f32_e32 v20, 1.0, v19
	v_cvt_f64_f32_e32 v[17:18], v20
	s_delay_alu instid0(VALU_DEP_1) | instskip(SKIP_1) | instid1(VALU_DEP_1)
	v_frexp_exp_i32_f64_e32 v17, v[17:18]
	v_frexp_mant_f32_e32 v18, v20
	v_cmp_gt_f32_e64 s13, 0x3f2aaaab, v18
	v_add_f32_e32 v18, -1.0, v20
	s_delay_alu instid0(VALU_DEP_1) | instskip(SKIP_1) | instid1(VALU_DEP_3)
	v_sub_f32_e32 v22, v18, v20
	s_wait_alu 0xf1ff
	v_subrev_co_ci_u32_e64 v17, null, 0, v17, s13
	s_mov_b32 s13, 0x3e9b6dac
	v_sub_nc_u32_e32 v21, 0, v17
	v_cvt_f32_i32_e32 v17, v17
	s_delay_alu instid0(VALU_DEP_2) | instskip(NEXT) | instid1(VALU_DEP_1)
	v_ldexp_f32 v20, v20, v21
	v_dual_sub_f32 v18, v19, v18 :: v_dual_add_f32 v23, 1.0, v20
	v_add_f32_e32 v22, 1.0, v22
	s_delay_alu instid0(VALU_DEP_1) | instskip(NEXT) | instid1(VALU_DEP_3)
	v_add_f32_e32 v18, v18, v22
	v_add_f32_e32 v22, -1.0, v23
	s_delay_alu instid0(VALU_DEP_2) | instskip(NEXT) | instid1(VALU_DEP_2)
	v_ldexp_f32 v18, v18, v21
	v_dual_add_f32 v21, -1.0, v20 :: v_dual_sub_f32 v22, v20, v22
	s_delay_alu instid0(VALU_DEP_1) | instskip(NEXT) | instid1(VALU_DEP_2)
	v_add_f32_e32 v24, 1.0, v21
	v_add_f32_e32 v22, v18, v22
	s_delay_alu instid0(VALU_DEP_2) | instskip(NEXT) | instid1(VALU_DEP_2)
	v_sub_f32_e32 v20, v20, v24
	v_add_f32_e32 v24, v23, v22
	s_delay_alu instid0(VALU_DEP_2) | instskip(NEXT) | instid1(VALU_DEP_2)
	v_add_f32_e32 v18, v18, v20
	v_rcp_f32_e32 v20, v24
	v_sub_f32_e32 v23, v23, v24
	s_delay_alu instid0(VALU_DEP_1) | instskip(NEXT) | instid1(VALU_DEP_1)
	v_dual_add_f32 v25, v21, v18 :: v_dual_add_f32 v22, v22, v23
	v_sub_f32_e32 v21, v21, v25
	s_delay_alu instid0(TRANS32_DEP_1) | instskip(NEXT) | instid1(VALU_DEP_1)
	v_mul_f32_e32 v26, v25, v20
	v_dual_add_f32 v18, v18, v21 :: v_dual_mul_f32 v27, v24, v26
	s_delay_alu instid0(VALU_DEP_1) | instskip(NEXT) | instid1(VALU_DEP_1)
	v_fma_f32 v23, v26, v24, -v27
	v_fmac_f32_e32 v23, v26, v22
	s_delay_alu instid0(VALU_DEP_1) | instskip(NEXT) | instid1(VALU_DEP_1)
	v_add_f32_e32 v28, v27, v23
	v_sub_f32_e32 v29, v25, v28
	v_sub_f32_e32 v21, v28, v27
	s_delay_alu instid0(VALU_DEP_2) | instskip(NEXT) | instid1(VALU_DEP_2)
	v_sub_f32_e32 v25, v25, v29
	v_sub_f32_e32 v21, v21, v23
	s_delay_alu instid0(VALU_DEP_2) | instskip(NEXT) | instid1(VALU_DEP_1)
	v_sub_f32_e32 v25, v25, v28
	v_add_f32_e32 v18, v18, v25
	s_delay_alu instid0(VALU_DEP_1) | instskip(NEXT) | instid1(VALU_DEP_1)
	v_add_f32_e32 v18, v21, v18
	v_add_f32_e32 v21, v29, v18
	s_delay_alu instid0(VALU_DEP_1) | instskip(NEXT) | instid1(VALU_DEP_1)
	v_mul_f32_e32 v23, v20, v21
	v_dual_sub_f32 v28, v29, v21 :: v_dual_mul_f32 v25, v24, v23
	s_delay_alu instid0(VALU_DEP_1) | instskip(NEXT) | instid1(VALU_DEP_2)
	v_add_f32_e32 v18, v18, v28
	v_fma_f32 v24, v23, v24, -v25
	s_delay_alu instid0(VALU_DEP_1) | instskip(NEXT) | instid1(VALU_DEP_1)
	v_fmac_f32_e32 v24, v23, v22
	v_add_f32_e32 v22, v25, v24
	s_delay_alu instid0(VALU_DEP_1) | instskip(SKIP_1) | instid1(VALU_DEP_2)
	v_sub_f32_e32 v27, v21, v22
	v_sub_f32_e32 v25, v22, v25
	;; [unrolled: 1-line block ×3, first 2 shown]
	s_delay_alu instid0(VALU_DEP_1) | instskip(NEXT) | instid1(VALU_DEP_3)
	v_sub_f32_e32 v21, v21, v22
	v_sub_f32_e32 v22, v25, v24
	s_delay_alu instid0(VALU_DEP_2) | instskip(SKIP_1) | instid1(VALU_DEP_2)
	v_add_f32_e32 v18, v18, v21
	v_add_f32_e32 v21, v26, v23
	v_add_f32_e32 v18, v22, v18
	s_delay_alu instid0(VALU_DEP_2) | instskip(NEXT) | instid1(VALU_DEP_2)
	v_sub_f32_e32 v22, v21, v26
	v_add_f32_e32 v18, v27, v18
	s_delay_alu instid0(VALU_DEP_2) | instskip(NEXT) | instid1(VALU_DEP_2)
	v_sub_f32_e32 v22, v23, v22
	v_mul_f32_e32 v18, v20, v18
	s_delay_alu instid0(VALU_DEP_1) | instskip(NEXT) | instid1(VALU_DEP_1)
	v_add_f32_e32 v18, v22, v18
	v_add_f32_e32 v20, v21, v18
	s_delay_alu instid0(VALU_DEP_1) | instskip(SKIP_1) | instid1(VALU_DEP_1)
	v_mul_f32_e32 v22, v20, v20
	s_wait_alu 0xfffe
	v_fmaak_f32 v23, s13, v22, 0x3ecc95a3
	v_mul_f32_e32 v24, v20, v22
	v_cmp_neq_f32_e64 s13, 0x7f800000, v19
	s_delay_alu instid0(VALU_DEP_3) | instskip(SKIP_2) | instid1(VALU_DEP_3)
	v_fmaak_f32 v22, v22, v23, 0x3f2aaada
	v_ldexp_f32 v23, v20, 1
	v_sub_f32_e32 v20, v20, v21
	v_mul_f32_e32 v22, v24, v22
	v_mul_f32_e32 v24, 0x3f317218, v17
	s_delay_alu instid0(VALU_DEP_2) | instskip(NEXT) | instid1(VALU_DEP_1)
	v_dual_sub_f32 v18, v18, v20 :: v_dual_add_f32 v21, v23, v22
	v_ldexp_f32 v18, v18, 1
	s_delay_alu instid0(VALU_DEP_2) | instskip(NEXT) | instid1(VALU_DEP_4)
	v_sub_f32_e32 v20, v21, v23
	v_fma_f32 v23, 0x3f317218, v17, -v24
	s_delay_alu instid0(VALU_DEP_1) | instskip(NEXT) | instid1(VALU_DEP_1)
	v_dual_sub_f32 v20, v22, v20 :: v_dual_fmamk_f32 v17, v17, 0xb102e308, v23
	v_add_f32_e32 v18, v18, v20
	s_delay_alu instid0(VALU_DEP_2) | instskip(NEXT) | instid1(VALU_DEP_2)
	v_add_f32_e32 v20, v24, v17
	v_add_f32_e32 v22, v21, v18
	s_delay_alu instid0(VALU_DEP_2) | instskip(NEXT) | instid1(VALU_DEP_2)
	v_sub_f32_e32 v24, v20, v24
	v_add_f32_e32 v23, v20, v22
	v_sub_f32_e32 v21, v22, v21
	s_delay_alu instid0(VALU_DEP_3) | instskip(NEXT) | instid1(VALU_DEP_2)
	v_sub_f32_e32 v17, v17, v24
	v_dual_sub_f32 v25, v23, v20 :: v_dual_sub_f32 v18, v18, v21
	s_delay_alu instid0(VALU_DEP_1) | instskip(NEXT) | instid1(VALU_DEP_2)
	v_sub_f32_e32 v26, v23, v25
	v_dual_sub_f32 v21, v22, v25 :: v_dual_add_f32 v22, v17, v18
	s_delay_alu instid0(VALU_DEP_2) | instskip(NEXT) | instid1(VALU_DEP_1)
	v_sub_f32_e32 v20, v20, v26
	v_dual_add_f32 v20, v21, v20 :: v_dual_sub_f32 v21, v22, v17
	s_delay_alu instid0(VALU_DEP_1) | instskip(NEXT) | instid1(VALU_DEP_2)
	v_add_f32_e32 v20, v22, v20
	v_sub_f32_e32 v22, v22, v21
	v_sub_f32_e32 v18, v18, v21
	s_delay_alu instid0(VALU_DEP_2) | instskip(NEXT) | instid1(VALU_DEP_1)
	v_dual_add_f32 v24, v23, v20 :: v_dual_sub_f32 v17, v17, v22
	v_sub_f32_e32 v21, v24, v23
	s_delay_alu instid0(VALU_DEP_2) | instskip(NEXT) | instid1(VALU_DEP_2)
	v_add_f32_e32 v17, v18, v17
	v_sub_f32_e32 v18, v20, v21
	s_delay_alu instid0(VALU_DEP_1) | instskip(NEXT) | instid1(VALU_DEP_1)
	v_add_f32_e32 v17, v17, v18
	v_add_f32_e32 v17, v24, v17
	s_wait_alu 0xf1ff
	s_delay_alu instid0(VALU_DEP_1) | instskip(SKIP_2) | instid1(VALU_DEP_1)
	v_cndmask_b32_e64 v17, 0x7f800000, v17, s13
	v_cmp_gt_f32_e64 s13, 0x33800000, |v19|
	s_wait_alu 0xf1ff
	v_cndmask_b32_e64 v17, v17, v19, s13
	s_delay_alu instid0(VALU_DEP_1)
	v_add_f32_e32 v18, v16, v17
.LBB148_22:
	s_wait_alu 0xfffe
	s_or_b32 exec_lo, exec_lo, s14
	s_load_b64 s[14:15], s[0:1], 0x18
	v_mbcnt_lo_u32_b32 v17, -1, 0
	v_mov_b32_dpp v20, v18 row_shr:1 row_mask:0xf bank_mask:0xf
	s_mov_b32 s1, exec_lo
	s_delay_alu instid0(VALU_DEP_2) | instskip(NEXT) | instid1(VALU_DEP_1)
	v_and_b32_e32 v19, 15, v17
	v_cmpx_ne_u32_e32 0, v19
	s_cbranch_execz .LBB148_26
; %bb.23:
	v_dual_max_num_f32 v16, v18, v18 :: v_dual_max_num_f32 v21, v20, v20
	v_cmp_u_f32_e64 s0, v20, v20
	s_delay_alu instid0(VALU_DEP_2) | instskip(SKIP_1) | instid1(VALU_DEP_2)
	v_min_num_f32_e32 v22, v21, v16
	v_max_num_f32_e32 v16, v21, v16
	v_cndmask_b32_e64 v21, v22, v20, s0
	s_delay_alu instid0(VALU_DEP_2) | instskip(SKIP_2) | instid1(VALU_DEP_1)
	v_cndmask_b32_e64 v16, v16, v20, s0
	v_cmp_u_f32_e64 s0, v18, v18
	s_wait_alu 0xf1ff
	v_cndmask_b32_e64 v21, v21, v18, s0
	s_delay_alu instid0(VALU_DEP_3) | instskip(NEXT) | instid1(VALU_DEP_2)
	v_cndmask_b32_e64 v16, v16, v18, s0
	v_cmp_class_f32_e64 s13, v21, 0x1f8
	s_delay_alu instid0(VALU_DEP_2)
	v_cmp_neq_f32_e64 s0, v21, v16
	s_or_b32 s0, s0, s13
	s_wait_alu 0xfffe
	s_and_saveexec_b32 s13, s0
	s_cbranch_execz .LBB148_25
; %bb.24:
	v_sub_f32_e32 v18, v21, v16
	s_delay_alu instid0(VALU_DEP_1) | instskip(SKIP_1) | instid1(VALU_DEP_2)
	v_mul_f32_e32 v20, 0x3fb8aa3b, v18
	v_cmp_ngt_f32_e64 s0, 0xc2ce8ed0, v18
	v_fma_f32 v21, 0x3fb8aa3b, v18, -v20
	v_rndne_f32_e32 v22, v20
	s_delay_alu instid0(VALU_DEP_1) | instskip(NEXT) | instid1(VALU_DEP_1)
	v_dual_fmamk_f32 v21, v18, 0x32a5705f, v21 :: v_dual_sub_f32 v20, v20, v22
	v_add_f32_e32 v20, v20, v21
	v_cvt_i32_f32_e32 v21, v22
	s_delay_alu instid0(VALU_DEP_2) | instskip(NEXT) | instid1(TRANS32_DEP_1)
	v_exp_f32_e32 v20, v20
	v_ldexp_f32 v20, v20, v21
	s_wait_alu 0xf1ff
	s_delay_alu instid0(VALU_DEP_1) | instskip(SKIP_2) | instid1(VALU_DEP_1)
	v_cndmask_b32_e64 v20, 0, v20, s0
	v_cmp_nlt_f32_e64 s0, 0x42b17218, v18
	s_wait_alu 0xf1ff
	v_cndmask_b32_e64 v18, 0x7f800000, v20, s0
	s_delay_alu instid0(VALU_DEP_1) | instskip(NEXT) | instid1(VALU_DEP_1)
	v_add_f32_e32 v22, 1.0, v18
	v_cvt_f64_f32_e32 v[20:21], v22
	s_delay_alu instid0(VALU_DEP_1) | instskip(SKIP_1) | instid1(VALU_DEP_1)
	v_frexp_exp_i32_f64_e32 v20, v[20:21]
	v_frexp_mant_f32_e32 v21, v22
	v_cmp_gt_f32_e64 s0, 0x3f2aaaab, v21
	v_add_f32_e32 v21, -1.0, v22
	s_delay_alu instid0(VALU_DEP_1) | instskip(NEXT) | instid1(VALU_DEP_1)
	v_dual_sub_f32 v24, v21, v22 :: v_dual_sub_f32 v21, v18, v21
	v_add_f32_e32 v24, 1.0, v24
	s_delay_alu instid0(VALU_DEP_1)
	v_add_f32_e32 v21, v21, v24
	s_wait_alu 0xf1ff
	v_subrev_co_ci_u32_e64 v20, null, 0, v20, s0
	s_mov_b32 s0, 0x3e9b6dac
	v_sub_nc_u32_e32 v23, 0, v20
	v_cvt_f32_i32_e32 v20, v20
	s_delay_alu instid0(VALU_DEP_2) | instskip(SKIP_1) | instid1(VALU_DEP_2)
	v_ldexp_f32 v22, v22, v23
	v_ldexp_f32 v21, v21, v23
	v_add_f32_e32 v25, 1.0, v22
	s_delay_alu instid0(VALU_DEP_1) | instskip(NEXT) | instid1(VALU_DEP_1)
	v_dual_add_f32 v23, -1.0, v22 :: v_dual_add_f32 v24, -1.0, v25
	v_add_f32_e32 v26, 1.0, v23
	s_delay_alu instid0(VALU_DEP_2) | instskip(NEXT) | instid1(VALU_DEP_2)
	v_sub_f32_e32 v24, v22, v24
	v_sub_f32_e32 v22, v22, v26
	s_delay_alu instid0(VALU_DEP_2) | instskip(NEXT) | instid1(VALU_DEP_2)
	v_add_f32_e32 v24, v21, v24
	v_add_f32_e32 v21, v21, v22
	s_delay_alu instid0(VALU_DEP_1) | instskip(NEXT) | instid1(VALU_DEP_1)
	v_dual_add_f32 v27, v23, v21 :: v_dual_add_f32 v26, v25, v24
	v_sub_f32_e32 v23, v23, v27
	s_delay_alu instid0(VALU_DEP_2) | instskip(SKIP_1) | instid1(VALU_DEP_1)
	v_rcp_f32_e32 v22, v26
	v_sub_f32_e32 v25, v25, v26
	v_dual_add_f32 v21, v21, v23 :: v_dual_add_f32 v24, v24, v25
	s_delay_alu instid0(TRANS32_DEP_1) | instskip(NEXT) | instid1(VALU_DEP_1)
	v_mul_f32_e32 v28, v27, v22
	v_mul_f32_e32 v29, v26, v28
	s_delay_alu instid0(VALU_DEP_1) | instskip(NEXT) | instid1(VALU_DEP_1)
	v_fma_f32 v25, v28, v26, -v29
	v_fmac_f32_e32 v25, v28, v24
	s_delay_alu instid0(VALU_DEP_1) | instskip(NEXT) | instid1(VALU_DEP_1)
	v_add_f32_e32 v30, v29, v25
	v_sub_f32_e32 v31, v27, v30
	v_sub_f32_e32 v23, v30, v29
	s_delay_alu instid0(VALU_DEP_2) | instskip(NEXT) | instid1(VALU_DEP_2)
	v_sub_f32_e32 v27, v27, v31
	v_sub_f32_e32 v23, v23, v25
	s_delay_alu instid0(VALU_DEP_2) | instskip(NEXT) | instid1(VALU_DEP_1)
	v_sub_f32_e32 v27, v27, v30
	v_add_f32_e32 v21, v21, v27
	s_delay_alu instid0(VALU_DEP_1) | instskip(NEXT) | instid1(VALU_DEP_1)
	v_add_f32_e32 v21, v23, v21
	v_add_f32_e32 v23, v31, v21
	s_delay_alu instid0(VALU_DEP_1) | instskip(NEXT) | instid1(VALU_DEP_1)
	v_mul_f32_e32 v25, v22, v23
	v_dual_sub_f32 v30, v31, v23 :: v_dual_mul_f32 v27, v26, v25
	s_delay_alu instid0(VALU_DEP_1) | instskip(NEXT) | instid1(VALU_DEP_2)
	v_add_f32_e32 v21, v21, v30
	v_fma_f32 v26, v25, v26, -v27
	s_delay_alu instid0(VALU_DEP_1) | instskip(NEXT) | instid1(VALU_DEP_1)
	v_fmac_f32_e32 v26, v25, v24
	v_add_f32_e32 v24, v27, v26
	s_delay_alu instid0(VALU_DEP_1) | instskip(NEXT) | instid1(VALU_DEP_1)
	v_sub_f32_e32 v29, v23, v24
	v_sub_f32_e32 v23, v23, v29
	s_delay_alu instid0(VALU_DEP_1) | instskip(NEXT) | instid1(VALU_DEP_1)
	v_sub_f32_e32 v23, v23, v24
	v_add_f32_e32 v21, v21, v23
	v_add_f32_e32 v23, v28, v25
	v_sub_f32_e32 v27, v24, v27
	s_delay_alu instid0(VALU_DEP_1) | instskip(NEXT) | instid1(VALU_DEP_1)
	v_sub_f32_e32 v24, v27, v26
	v_dual_add_f32 v21, v24, v21 :: v_dual_sub_f32 v24, v23, v28
	s_delay_alu instid0(VALU_DEP_1) | instskip(NEXT) | instid1(VALU_DEP_1)
	v_add_f32_e32 v21, v29, v21
	v_dual_sub_f32 v24, v25, v24 :: v_dual_mul_f32 v21, v22, v21
	s_delay_alu instid0(VALU_DEP_1) | instskip(NEXT) | instid1(VALU_DEP_1)
	v_add_f32_e32 v21, v24, v21
	v_add_f32_e32 v22, v23, v21
	s_delay_alu instid0(VALU_DEP_1) | instskip(SKIP_1) | instid1(VALU_DEP_1)
	v_mul_f32_e32 v24, v22, v22
	s_wait_alu 0xfffe
	v_fmaak_f32 v25, s0, v24, 0x3ecc95a3
	v_mul_f32_e32 v26, v22, v24
	v_cmp_neq_f32_e64 s0, 0x7f800000, v18
	s_delay_alu instid0(VALU_DEP_3) | instskip(SKIP_2) | instid1(VALU_DEP_3)
	v_fmaak_f32 v24, v24, v25, 0x3f2aaada
	v_ldexp_f32 v25, v22, 1
	v_sub_f32_e32 v22, v22, v23
	v_mul_f32_e32 v24, v26, v24
	s_delay_alu instid0(VALU_DEP_2) | instskip(NEXT) | instid1(VALU_DEP_2)
	v_dual_mul_f32 v26, 0x3f317218, v20 :: v_dual_sub_f32 v21, v21, v22
	v_add_f32_e32 v23, v25, v24
	s_delay_alu instid0(VALU_DEP_2) | instskip(NEXT) | instid1(VALU_DEP_2)
	v_ldexp_f32 v21, v21, 1
	v_sub_f32_e32 v22, v23, v25
	s_delay_alu instid0(VALU_DEP_4) | instskip(NEXT) | instid1(VALU_DEP_2)
	v_fma_f32 v25, 0x3f317218, v20, -v26
	v_sub_f32_e32 v22, v24, v22
	s_delay_alu instid0(VALU_DEP_1) | instskip(NEXT) | instid1(VALU_DEP_1)
	v_dual_fmamk_f32 v20, v20, 0xb102e308, v25 :: v_dual_add_f32 v21, v21, v22
	v_add_f32_e32 v22, v26, v20
	s_delay_alu instid0(VALU_DEP_1) | instskip(NEXT) | instid1(VALU_DEP_1)
	v_sub_f32_e32 v26, v22, v26
	v_sub_f32_e32 v20, v20, v26
	s_delay_alu instid0(VALU_DEP_4) | instskip(NEXT) | instid1(VALU_DEP_1)
	v_add_f32_e32 v24, v23, v21
	v_sub_f32_e32 v23, v24, v23
	s_delay_alu instid0(VALU_DEP_1) | instskip(SKIP_1) | instid1(VALU_DEP_1)
	v_sub_f32_e32 v21, v21, v23
	v_add_f32_e32 v25, v22, v24
	v_sub_f32_e32 v27, v25, v22
	s_delay_alu instid0(VALU_DEP_1) | instskip(NEXT) | instid1(VALU_DEP_4)
	v_sub_f32_e32 v23, v24, v27
	v_add_f32_e32 v24, v20, v21
	v_sub_f32_e32 v28, v25, v27
	s_delay_alu instid0(VALU_DEP_1) | instskip(NEXT) | instid1(VALU_DEP_1)
	v_sub_f32_e32 v22, v22, v28
	v_dual_add_f32 v22, v23, v22 :: v_dual_sub_f32 v23, v24, v20
	s_delay_alu instid0(VALU_DEP_1) | instskip(SKIP_1) | instid1(VALU_DEP_2)
	v_dual_add_f32 v22, v24, v22 :: v_dual_sub_f32 v21, v21, v23
	v_sub_f32_e32 v24, v24, v23
	v_add_f32_e32 v26, v25, v22
	s_delay_alu instid0(VALU_DEP_1) | instskip(NEXT) | instid1(VALU_DEP_1)
	v_dual_sub_f32 v20, v20, v24 :: v_dual_sub_f32 v23, v26, v25
	v_dual_add_f32 v20, v21, v20 :: v_dual_sub_f32 v21, v22, v23
	s_delay_alu instid0(VALU_DEP_1) | instskip(NEXT) | instid1(VALU_DEP_1)
	v_add_f32_e32 v20, v20, v21
	v_add_f32_e32 v20, v26, v20
	s_wait_alu 0xf1ff
	s_delay_alu instid0(VALU_DEP_1) | instskip(SKIP_2) | instid1(VALU_DEP_1)
	v_cndmask_b32_e64 v20, 0x7f800000, v20, s0
	v_cmp_gt_f32_e64 s0, 0x33800000, |v18|
	s_wait_alu 0xf1ff
	v_cndmask_b32_e64 v18, v20, v18, s0
	s_delay_alu instid0(VALU_DEP_1)
	v_add_f32_e32 v20, v16, v18
.LBB148_25:
	s_wait_alu 0xfffe
	s_or_b32 exec_lo, exec_lo, s13
	s_delay_alu instid0(VALU_DEP_1)
	v_mov_b32_e32 v18, v20
.LBB148_26:
	s_or_b32 exec_lo, exec_lo, s1
	v_mul_u32_u24_e32 v16, 20, v0
	s_delay_alu instid0(VALU_DEP_2)
	v_mov_b32_dpp v20, v18 row_shr:2 row_mask:0xf bank_mask:0xf
	s_mov_b32 s1, exec_lo
	v_cmpx_lt_u32_e32 1, v19
	s_cbranch_execz .LBB148_30
; %bb.27:
	s_delay_alu instid0(VALU_DEP_2) | instskip(SKIP_1) | instid1(VALU_DEP_2)
	v_dual_max_num_f32 v21, v18, v18 :: v_dual_max_num_f32 v22, v20, v20
	v_cmp_u_f32_e64 s0, v20, v20
	v_min_num_f32_e32 v23, v22, v21
	v_max_num_f32_e32 v21, v22, v21
	s_wait_alu 0xf1ff
	s_delay_alu instid0(VALU_DEP_2) | instskip(NEXT) | instid1(VALU_DEP_2)
	v_cndmask_b32_e64 v22, v23, v20, s0
	v_cndmask_b32_e64 v23, v21, v20, s0
	v_cmp_u_f32_e64 s0, v18, v18
	s_wait_alu 0xf1ff
	s_delay_alu instid0(VALU_DEP_1) | instskip(NEXT) | instid1(VALU_DEP_3)
	v_cndmask_b32_e64 v21, v22, v18, s0
	v_cndmask_b32_e64 v18, v23, v18, s0
	s_delay_alu instid0(VALU_DEP_2) | instskip(NEXT) | instid1(VALU_DEP_2)
	v_cmp_class_f32_e64 s13, v21, 0x1f8
	v_cmp_neq_f32_e64 s0, v21, v18
	s_or_b32 s0, s0, s13
	s_wait_alu 0xfffe
	s_and_saveexec_b32 s13, s0
	s_cbranch_execz .LBB148_29
; %bb.28:
	v_sub_f32_e32 v20, v21, v18
	s_delay_alu instid0(VALU_DEP_1) | instskip(SKIP_1) | instid1(VALU_DEP_2)
	v_mul_f32_e32 v21, 0x3fb8aa3b, v20
	v_cmp_ngt_f32_e64 s0, 0xc2ce8ed0, v20
	v_fma_f32 v22, 0x3fb8aa3b, v20, -v21
	v_rndne_f32_e32 v23, v21
	s_delay_alu instid0(VALU_DEP_1) | instskip(NEXT) | instid1(VALU_DEP_1)
	v_dual_fmamk_f32 v22, v20, 0x32a5705f, v22 :: v_dual_sub_f32 v21, v21, v23
	v_add_f32_e32 v21, v21, v22
	v_cvt_i32_f32_e32 v22, v23
	s_delay_alu instid0(VALU_DEP_2) | instskip(NEXT) | instid1(TRANS32_DEP_1)
	v_exp_f32_e32 v21, v21
	v_ldexp_f32 v21, v21, v22
	s_wait_alu 0xf1ff
	s_delay_alu instid0(VALU_DEP_1) | instskip(SKIP_2) | instid1(VALU_DEP_1)
	v_cndmask_b32_e64 v21, 0, v21, s0
	v_cmp_nlt_f32_e64 s0, 0x42b17218, v20
	s_wait_alu 0xf1ff
	v_cndmask_b32_e64 v22, 0x7f800000, v21, s0
	s_delay_alu instid0(VALU_DEP_1) | instskip(NEXT) | instid1(VALU_DEP_1)
	v_add_f32_e32 v23, 1.0, v22
	v_cvt_f64_f32_e32 v[20:21], v23
	s_delay_alu instid0(VALU_DEP_1) | instskip(SKIP_1) | instid1(VALU_DEP_1)
	v_frexp_exp_i32_f64_e32 v20, v[20:21]
	v_frexp_mant_f32_e32 v21, v23
	v_cmp_gt_f32_e64 s0, 0x3f2aaaab, v21
	v_add_f32_e32 v21, -1.0, v23
	s_delay_alu instid0(VALU_DEP_1)
	v_sub_f32_e32 v25, v21, v23
	v_sub_f32_e32 v21, v22, v21
	s_wait_alu 0xf1ff
	v_subrev_co_ci_u32_e64 v20, null, 0, v20, s0
	s_mov_b32 s0, 0x3e9b6dac
	v_sub_nc_u32_e32 v24, 0, v20
	v_cvt_f32_i32_e32 v20, v20
	s_delay_alu instid0(VALU_DEP_2) | instskip(NEXT) | instid1(VALU_DEP_1)
	v_ldexp_f32 v23, v23, v24
	v_dual_add_f32 v26, 1.0, v23 :: v_dual_add_f32 v25, 1.0, v25
	s_delay_alu instid0(VALU_DEP_1) | instskip(NEXT) | instid1(VALU_DEP_2)
	v_add_f32_e32 v21, v21, v25
	v_add_f32_e32 v25, -1.0, v26
	s_delay_alu instid0(VALU_DEP_2) | instskip(NEXT) | instid1(VALU_DEP_2)
	v_ldexp_f32 v21, v21, v24
	v_dual_add_f32 v24, -1.0, v23 :: v_dual_sub_f32 v25, v23, v25
	s_delay_alu instid0(VALU_DEP_1) | instskip(NEXT) | instid1(VALU_DEP_2)
	v_add_f32_e32 v27, 1.0, v24
	v_add_f32_e32 v25, v21, v25
	s_delay_alu instid0(VALU_DEP_2) | instskip(NEXT) | instid1(VALU_DEP_2)
	v_sub_f32_e32 v23, v23, v27
	v_add_f32_e32 v27, v26, v25
	s_delay_alu instid0(VALU_DEP_2) | instskip(NEXT) | instid1(VALU_DEP_2)
	v_add_f32_e32 v21, v21, v23
	v_rcp_f32_e32 v23, v27
	v_sub_f32_e32 v26, v26, v27
	s_delay_alu instid0(VALU_DEP_1) | instskip(NEXT) | instid1(VALU_DEP_1)
	v_dual_add_f32 v28, v24, v21 :: v_dual_add_f32 v25, v25, v26
	v_sub_f32_e32 v24, v24, v28
	s_delay_alu instid0(TRANS32_DEP_1) | instskip(NEXT) | instid1(VALU_DEP_1)
	v_mul_f32_e32 v29, v28, v23
	v_dual_add_f32 v21, v21, v24 :: v_dual_mul_f32 v30, v27, v29
	s_delay_alu instid0(VALU_DEP_1) | instskip(NEXT) | instid1(VALU_DEP_1)
	v_fma_f32 v26, v29, v27, -v30
	v_fmac_f32_e32 v26, v29, v25
	s_delay_alu instid0(VALU_DEP_1) | instskip(NEXT) | instid1(VALU_DEP_1)
	v_add_f32_e32 v31, v30, v26
	v_sub_f32_e32 v32, v28, v31
	v_sub_f32_e32 v24, v31, v30
	s_delay_alu instid0(VALU_DEP_2) | instskip(NEXT) | instid1(VALU_DEP_2)
	v_sub_f32_e32 v28, v28, v32
	v_sub_f32_e32 v24, v24, v26
	s_delay_alu instid0(VALU_DEP_2) | instskip(NEXT) | instid1(VALU_DEP_1)
	v_sub_f32_e32 v28, v28, v31
	v_add_f32_e32 v21, v21, v28
	s_delay_alu instid0(VALU_DEP_1) | instskip(NEXT) | instid1(VALU_DEP_1)
	v_add_f32_e32 v21, v24, v21
	v_add_f32_e32 v24, v32, v21
	s_delay_alu instid0(VALU_DEP_1) | instskip(NEXT) | instid1(VALU_DEP_1)
	v_mul_f32_e32 v26, v23, v24
	v_dual_sub_f32 v31, v32, v24 :: v_dual_mul_f32 v28, v27, v26
	s_delay_alu instid0(VALU_DEP_1) | instskip(NEXT) | instid1(VALU_DEP_2)
	v_add_f32_e32 v21, v21, v31
	v_fma_f32 v27, v26, v27, -v28
	s_delay_alu instid0(VALU_DEP_1) | instskip(NEXT) | instid1(VALU_DEP_1)
	v_fmac_f32_e32 v27, v26, v25
	v_add_f32_e32 v25, v28, v27
	s_delay_alu instid0(VALU_DEP_1) | instskip(SKIP_1) | instid1(VALU_DEP_2)
	v_sub_f32_e32 v30, v24, v25
	v_sub_f32_e32 v28, v25, v28
	v_sub_f32_e32 v24, v24, v30
	s_delay_alu instid0(VALU_DEP_1) | instskip(NEXT) | instid1(VALU_DEP_3)
	v_sub_f32_e32 v24, v24, v25
	v_sub_f32_e32 v25, v28, v27
	s_delay_alu instid0(VALU_DEP_2) | instskip(SKIP_1) | instid1(VALU_DEP_2)
	v_add_f32_e32 v21, v21, v24
	v_add_f32_e32 v24, v29, v26
	;; [unrolled: 1-line block ×3, first 2 shown]
	s_delay_alu instid0(VALU_DEP_2) | instskip(NEXT) | instid1(VALU_DEP_2)
	v_sub_f32_e32 v25, v24, v29
	v_add_f32_e32 v21, v30, v21
	s_delay_alu instid0(VALU_DEP_2) | instskip(NEXT) | instid1(VALU_DEP_2)
	v_sub_f32_e32 v25, v26, v25
	v_mul_f32_e32 v21, v23, v21
	s_delay_alu instid0(VALU_DEP_1) | instskip(NEXT) | instid1(VALU_DEP_1)
	v_add_f32_e32 v21, v25, v21
	v_add_f32_e32 v23, v24, v21
	s_delay_alu instid0(VALU_DEP_1) | instskip(SKIP_1) | instid1(VALU_DEP_1)
	v_mul_f32_e32 v25, v23, v23
	s_wait_alu 0xfffe
	v_fmaak_f32 v26, s0, v25, 0x3ecc95a3
	v_mul_f32_e32 v27, v23, v25
	v_cmp_neq_f32_e64 s0, 0x7f800000, v22
	s_delay_alu instid0(VALU_DEP_3) | instskip(SKIP_2) | instid1(VALU_DEP_3)
	v_fmaak_f32 v25, v25, v26, 0x3f2aaada
	v_ldexp_f32 v26, v23, 1
	v_sub_f32_e32 v23, v23, v24
	v_mul_f32_e32 v25, v27, v25
	v_mul_f32_e32 v27, 0x3f317218, v20
	s_delay_alu instid0(VALU_DEP_2) | instskip(NEXT) | instid1(VALU_DEP_1)
	v_dual_sub_f32 v21, v21, v23 :: v_dual_add_f32 v24, v26, v25
	v_ldexp_f32 v21, v21, 1
	s_delay_alu instid0(VALU_DEP_2) | instskip(NEXT) | instid1(VALU_DEP_4)
	v_sub_f32_e32 v23, v24, v26
	v_fma_f32 v26, 0x3f317218, v20, -v27
	s_delay_alu instid0(VALU_DEP_1) | instskip(NEXT) | instid1(VALU_DEP_1)
	v_dual_sub_f32 v23, v25, v23 :: v_dual_fmamk_f32 v20, v20, 0xb102e308, v26
	v_add_f32_e32 v21, v21, v23
	s_delay_alu instid0(VALU_DEP_2) | instskip(NEXT) | instid1(VALU_DEP_2)
	v_add_f32_e32 v23, v27, v20
	v_add_f32_e32 v25, v24, v21
	s_delay_alu instid0(VALU_DEP_2) | instskip(NEXT) | instid1(VALU_DEP_2)
	v_sub_f32_e32 v27, v23, v27
	v_add_f32_e32 v26, v23, v25
	v_sub_f32_e32 v24, v25, v24
	s_delay_alu instid0(VALU_DEP_3) | instskip(NEXT) | instid1(VALU_DEP_2)
	v_sub_f32_e32 v20, v20, v27
	v_dual_sub_f32 v28, v26, v23 :: v_dual_sub_f32 v21, v21, v24
	s_delay_alu instid0(VALU_DEP_1) | instskip(NEXT) | instid1(VALU_DEP_2)
	v_sub_f32_e32 v29, v26, v28
	v_dual_sub_f32 v24, v25, v28 :: v_dual_add_f32 v25, v20, v21
	s_delay_alu instid0(VALU_DEP_2) | instskip(NEXT) | instid1(VALU_DEP_1)
	v_sub_f32_e32 v23, v23, v29
	v_dual_add_f32 v23, v24, v23 :: v_dual_sub_f32 v24, v25, v20
	s_delay_alu instid0(VALU_DEP_1) | instskip(NEXT) | instid1(VALU_DEP_2)
	v_add_f32_e32 v23, v25, v23
	v_sub_f32_e32 v25, v25, v24
	v_sub_f32_e32 v21, v21, v24
	s_delay_alu instid0(VALU_DEP_2) | instskip(NEXT) | instid1(VALU_DEP_1)
	v_dual_add_f32 v27, v26, v23 :: v_dual_sub_f32 v20, v20, v25
	v_sub_f32_e32 v24, v27, v26
	s_delay_alu instid0(VALU_DEP_2) | instskip(NEXT) | instid1(VALU_DEP_2)
	v_add_f32_e32 v20, v21, v20
	v_sub_f32_e32 v21, v23, v24
	s_delay_alu instid0(VALU_DEP_1) | instskip(NEXT) | instid1(VALU_DEP_1)
	v_add_f32_e32 v20, v20, v21
	v_add_f32_e32 v20, v27, v20
	s_wait_alu 0xf1ff
	s_delay_alu instid0(VALU_DEP_1) | instskip(SKIP_2) | instid1(VALU_DEP_1)
	v_cndmask_b32_e64 v20, 0x7f800000, v20, s0
	v_cmp_gt_f32_e64 s0, 0x33800000, |v22|
	s_wait_alu 0xf1ff
	v_cndmask_b32_e64 v20, v20, v22, s0
	s_delay_alu instid0(VALU_DEP_1)
	v_add_f32_e32 v20, v18, v20
.LBB148_29:
	s_wait_alu 0xfffe
	s_or_b32 exec_lo, exec_lo, s13
	s_delay_alu instid0(VALU_DEP_1)
	v_mov_b32_e32 v18, v20
.LBB148_30:
	s_wait_alu 0xfffe
	s_or_b32 exec_lo, exec_lo, s1
	s_delay_alu instid0(VALU_DEP_1)
	v_mov_b32_dpp v20, v18 row_shr:4 row_mask:0xf bank_mask:0xf
	s_mov_b32 s1, exec_lo
	v_cmpx_lt_u32_e32 3, v19
	s_cbranch_execz .LBB148_34
; %bb.31:
	s_delay_alu instid0(VALU_DEP_2) | instskip(SKIP_1) | instid1(VALU_DEP_2)
	v_dual_max_num_f32 v21, v18, v18 :: v_dual_max_num_f32 v22, v20, v20
	v_cmp_u_f32_e64 s0, v20, v20
	v_min_num_f32_e32 v23, v22, v21
	v_max_num_f32_e32 v21, v22, v21
	s_wait_alu 0xf1ff
	s_delay_alu instid0(VALU_DEP_2) | instskip(NEXT) | instid1(VALU_DEP_2)
	v_cndmask_b32_e64 v22, v23, v20, s0
	v_cndmask_b32_e64 v23, v21, v20, s0
	v_cmp_u_f32_e64 s0, v18, v18
	s_wait_alu 0xf1ff
	s_delay_alu instid0(VALU_DEP_1) | instskip(NEXT) | instid1(VALU_DEP_3)
	v_cndmask_b32_e64 v21, v22, v18, s0
	v_cndmask_b32_e64 v18, v23, v18, s0
	s_delay_alu instid0(VALU_DEP_2) | instskip(NEXT) | instid1(VALU_DEP_2)
	v_cmp_class_f32_e64 s13, v21, 0x1f8
	v_cmp_neq_f32_e64 s0, v21, v18
	s_or_b32 s0, s0, s13
	s_wait_alu 0xfffe
	s_and_saveexec_b32 s13, s0
	s_cbranch_execz .LBB148_33
; %bb.32:
	v_sub_f32_e32 v20, v21, v18
	s_delay_alu instid0(VALU_DEP_1) | instskip(SKIP_1) | instid1(VALU_DEP_2)
	v_mul_f32_e32 v21, 0x3fb8aa3b, v20
	v_cmp_ngt_f32_e64 s0, 0xc2ce8ed0, v20
	v_fma_f32 v22, 0x3fb8aa3b, v20, -v21
	v_rndne_f32_e32 v23, v21
	s_delay_alu instid0(VALU_DEP_1) | instskip(NEXT) | instid1(VALU_DEP_1)
	v_dual_fmamk_f32 v22, v20, 0x32a5705f, v22 :: v_dual_sub_f32 v21, v21, v23
	v_add_f32_e32 v21, v21, v22
	v_cvt_i32_f32_e32 v22, v23
	s_delay_alu instid0(VALU_DEP_2) | instskip(NEXT) | instid1(TRANS32_DEP_1)
	v_exp_f32_e32 v21, v21
	v_ldexp_f32 v21, v21, v22
	s_wait_alu 0xf1ff
	s_delay_alu instid0(VALU_DEP_1) | instskip(SKIP_2) | instid1(VALU_DEP_1)
	v_cndmask_b32_e64 v21, 0, v21, s0
	v_cmp_nlt_f32_e64 s0, 0x42b17218, v20
	s_wait_alu 0xf1ff
	v_cndmask_b32_e64 v22, 0x7f800000, v21, s0
	s_delay_alu instid0(VALU_DEP_1) | instskip(NEXT) | instid1(VALU_DEP_1)
	v_add_f32_e32 v23, 1.0, v22
	v_cvt_f64_f32_e32 v[20:21], v23
	s_delay_alu instid0(VALU_DEP_1) | instskip(SKIP_1) | instid1(VALU_DEP_1)
	v_frexp_exp_i32_f64_e32 v20, v[20:21]
	v_frexp_mant_f32_e32 v21, v23
	v_cmp_gt_f32_e64 s0, 0x3f2aaaab, v21
	v_add_f32_e32 v21, -1.0, v23
	s_delay_alu instid0(VALU_DEP_1)
	v_sub_f32_e32 v25, v21, v23
	v_sub_f32_e32 v21, v22, v21
	s_wait_alu 0xf1ff
	v_subrev_co_ci_u32_e64 v20, null, 0, v20, s0
	s_mov_b32 s0, 0x3e9b6dac
	v_sub_nc_u32_e32 v24, 0, v20
	v_cvt_f32_i32_e32 v20, v20
	s_delay_alu instid0(VALU_DEP_2) | instskip(NEXT) | instid1(VALU_DEP_1)
	v_ldexp_f32 v23, v23, v24
	v_dual_add_f32 v26, 1.0, v23 :: v_dual_add_f32 v25, 1.0, v25
	s_delay_alu instid0(VALU_DEP_1) | instskip(NEXT) | instid1(VALU_DEP_2)
	v_add_f32_e32 v21, v21, v25
	v_add_f32_e32 v25, -1.0, v26
	s_delay_alu instid0(VALU_DEP_2) | instskip(NEXT) | instid1(VALU_DEP_2)
	v_ldexp_f32 v21, v21, v24
	v_dual_add_f32 v24, -1.0, v23 :: v_dual_sub_f32 v25, v23, v25
	s_delay_alu instid0(VALU_DEP_1) | instskip(NEXT) | instid1(VALU_DEP_2)
	v_add_f32_e32 v27, 1.0, v24
	v_add_f32_e32 v25, v21, v25
	s_delay_alu instid0(VALU_DEP_2) | instskip(NEXT) | instid1(VALU_DEP_2)
	v_sub_f32_e32 v23, v23, v27
	v_add_f32_e32 v27, v26, v25
	s_delay_alu instid0(VALU_DEP_2) | instskip(NEXT) | instid1(VALU_DEP_2)
	v_add_f32_e32 v21, v21, v23
	v_rcp_f32_e32 v23, v27
	v_sub_f32_e32 v26, v26, v27
	s_delay_alu instid0(VALU_DEP_1) | instskip(NEXT) | instid1(VALU_DEP_1)
	v_dual_add_f32 v28, v24, v21 :: v_dual_add_f32 v25, v25, v26
	v_sub_f32_e32 v24, v24, v28
	s_delay_alu instid0(TRANS32_DEP_1) | instskip(NEXT) | instid1(VALU_DEP_1)
	v_mul_f32_e32 v29, v28, v23
	v_dual_add_f32 v21, v21, v24 :: v_dual_mul_f32 v30, v27, v29
	s_delay_alu instid0(VALU_DEP_1) | instskip(NEXT) | instid1(VALU_DEP_1)
	v_fma_f32 v26, v29, v27, -v30
	v_fmac_f32_e32 v26, v29, v25
	s_delay_alu instid0(VALU_DEP_1) | instskip(NEXT) | instid1(VALU_DEP_1)
	v_add_f32_e32 v31, v30, v26
	v_sub_f32_e32 v32, v28, v31
	v_sub_f32_e32 v24, v31, v30
	s_delay_alu instid0(VALU_DEP_2) | instskip(NEXT) | instid1(VALU_DEP_2)
	v_sub_f32_e32 v28, v28, v32
	v_sub_f32_e32 v24, v24, v26
	s_delay_alu instid0(VALU_DEP_2) | instskip(NEXT) | instid1(VALU_DEP_1)
	v_sub_f32_e32 v28, v28, v31
	v_add_f32_e32 v21, v21, v28
	s_delay_alu instid0(VALU_DEP_1) | instskip(NEXT) | instid1(VALU_DEP_1)
	v_add_f32_e32 v21, v24, v21
	v_add_f32_e32 v24, v32, v21
	s_delay_alu instid0(VALU_DEP_1) | instskip(NEXT) | instid1(VALU_DEP_1)
	v_mul_f32_e32 v26, v23, v24
	v_dual_sub_f32 v31, v32, v24 :: v_dual_mul_f32 v28, v27, v26
	s_delay_alu instid0(VALU_DEP_1) | instskip(NEXT) | instid1(VALU_DEP_2)
	v_add_f32_e32 v21, v21, v31
	v_fma_f32 v27, v26, v27, -v28
	s_delay_alu instid0(VALU_DEP_1) | instskip(NEXT) | instid1(VALU_DEP_1)
	v_fmac_f32_e32 v27, v26, v25
	v_add_f32_e32 v25, v28, v27
	s_delay_alu instid0(VALU_DEP_1) | instskip(SKIP_1) | instid1(VALU_DEP_2)
	v_sub_f32_e32 v30, v24, v25
	v_sub_f32_e32 v28, v25, v28
	v_sub_f32_e32 v24, v24, v30
	s_delay_alu instid0(VALU_DEP_1) | instskip(NEXT) | instid1(VALU_DEP_3)
	v_sub_f32_e32 v24, v24, v25
	v_sub_f32_e32 v25, v28, v27
	s_delay_alu instid0(VALU_DEP_2) | instskip(SKIP_1) | instid1(VALU_DEP_2)
	v_add_f32_e32 v21, v21, v24
	v_add_f32_e32 v24, v29, v26
	;; [unrolled: 1-line block ×3, first 2 shown]
	s_delay_alu instid0(VALU_DEP_2) | instskip(NEXT) | instid1(VALU_DEP_2)
	v_sub_f32_e32 v25, v24, v29
	v_add_f32_e32 v21, v30, v21
	s_delay_alu instid0(VALU_DEP_2) | instskip(NEXT) | instid1(VALU_DEP_2)
	v_sub_f32_e32 v25, v26, v25
	v_mul_f32_e32 v21, v23, v21
	s_delay_alu instid0(VALU_DEP_1) | instskip(NEXT) | instid1(VALU_DEP_1)
	v_add_f32_e32 v21, v25, v21
	v_add_f32_e32 v23, v24, v21
	s_delay_alu instid0(VALU_DEP_1) | instskip(SKIP_1) | instid1(VALU_DEP_1)
	v_mul_f32_e32 v25, v23, v23
	s_wait_alu 0xfffe
	v_fmaak_f32 v26, s0, v25, 0x3ecc95a3
	v_mul_f32_e32 v27, v23, v25
	v_cmp_neq_f32_e64 s0, 0x7f800000, v22
	s_delay_alu instid0(VALU_DEP_3) | instskip(SKIP_2) | instid1(VALU_DEP_3)
	v_fmaak_f32 v25, v25, v26, 0x3f2aaada
	v_ldexp_f32 v26, v23, 1
	v_sub_f32_e32 v23, v23, v24
	v_mul_f32_e32 v25, v27, v25
	v_mul_f32_e32 v27, 0x3f317218, v20
	s_delay_alu instid0(VALU_DEP_2) | instskip(NEXT) | instid1(VALU_DEP_1)
	v_dual_sub_f32 v21, v21, v23 :: v_dual_add_f32 v24, v26, v25
	v_ldexp_f32 v21, v21, 1
	s_delay_alu instid0(VALU_DEP_2) | instskip(NEXT) | instid1(VALU_DEP_4)
	v_sub_f32_e32 v23, v24, v26
	v_fma_f32 v26, 0x3f317218, v20, -v27
	s_delay_alu instid0(VALU_DEP_1) | instskip(NEXT) | instid1(VALU_DEP_1)
	v_dual_sub_f32 v23, v25, v23 :: v_dual_fmamk_f32 v20, v20, 0xb102e308, v26
	v_add_f32_e32 v21, v21, v23
	s_delay_alu instid0(VALU_DEP_2) | instskip(NEXT) | instid1(VALU_DEP_2)
	v_add_f32_e32 v23, v27, v20
	v_add_f32_e32 v25, v24, v21
	s_delay_alu instid0(VALU_DEP_2) | instskip(NEXT) | instid1(VALU_DEP_2)
	v_sub_f32_e32 v27, v23, v27
	v_add_f32_e32 v26, v23, v25
	v_sub_f32_e32 v24, v25, v24
	s_delay_alu instid0(VALU_DEP_3) | instskip(NEXT) | instid1(VALU_DEP_2)
	v_sub_f32_e32 v20, v20, v27
	v_dual_sub_f32 v28, v26, v23 :: v_dual_sub_f32 v21, v21, v24
	s_delay_alu instid0(VALU_DEP_1) | instskip(NEXT) | instid1(VALU_DEP_2)
	v_sub_f32_e32 v29, v26, v28
	v_dual_sub_f32 v24, v25, v28 :: v_dual_add_f32 v25, v20, v21
	s_delay_alu instid0(VALU_DEP_2) | instskip(NEXT) | instid1(VALU_DEP_1)
	v_sub_f32_e32 v23, v23, v29
	v_dual_add_f32 v23, v24, v23 :: v_dual_sub_f32 v24, v25, v20
	s_delay_alu instid0(VALU_DEP_1) | instskip(NEXT) | instid1(VALU_DEP_2)
	v_add_f32_e32 v23, v25, v23
	v_sub_f32_e32 v25, v25, v24
	v_sub_f32_e32 v21, v21, v24
	s_delay_alu instid0(VALU_DEP_2) | instskip(NEXT) | instid1(VALU_DEP_1)
	v_dual_add_f32 v27, v26, v23 :: v_dual_sub_f32 v20, v20, v25
	v_sub_f32_e32 v24, v27, v26
	s_delay_alu instid0(VALU_DEP_2) | instskip(NEXT) | instid1(VALU_DEP_2)
	v_add_f32_e32 v20, v21, v20
	v_sub_f32_e32 v21, v23, v24
	s_delay_alu instid0(VALU_DEP_1) | instskip(NEXT) | instid1(VALU_DEP_1)
	v_add_f32_e32 v20, v20, v21
	v_add_f32_e32 v20, v27, v20
	s_wait_alu 0xf1ff
	s_delay_alu instid0(VALU_DEP_1) | instskip(SKIP_2) | instid1(VALU_DEP_1)
	v_cndmask_b32_e64 v20, 0x7f800000, v20, s0
	v_cmp_gt_f32_e64 s0, 0x33800000, |v22|
	s_wait_alu 0xf1ff
	v_cndmask_b32_e64 v20, v20, v22, s0
	s_delay_alu instid0(VALU_DEP_1)
	v_add_f32_e32 v20, v18, v20
.LBB148_33:
	s_wait_alu 0xfffe
	s_or_b32 exec_lo, exec_lo, s13
	s_delay_alu instid0(VALU_DEP_1)
	v_mov_b32_e32 v18, v20
.LBB148_34:
	s_wait_alu 0xfffe
	s_or_b32 exec_lo, exec_lo, s1
	s_delay_alu instid0(VALU_DEP_1)
	v_mov_b32_dpp v20, v18 row_shr:8 row_mask:0xf bank_mask:0xf
	s_mov_b32 s1, exec_lo
	v_cmpx_lt_u32_e32 7, v19
	s_cbranch_execz .LBB148_38
; %bb.35:
	v_max_num_f32_e32 v19, v18, v18
	v_max_num_f32_e32 v21, v20, v20
	v_cmp_u_f32_e64 s0, v20, v20
	s_delay_alu instid0(VALU_DEP_2) | instskip(SKIP_2) | instid1(VALU_DEP_2)
	v_min_num_f32_e32 v22, v21, v19
	v_max_num_f32_e32 v19, v21, v19
	s_wait_alu 0xf1ff
	v_cndmask_b32_e64 v21, v22, v20, s0
	s_delay_alu instid0(VALU_DEP_2) | instskip(SKIP_2) | instid1(VALU_DEP_1)
	v_cndmask_b32_e64 v22, v19, v20, s0
	v_cmp_u_f32_e64 s0, v18, v18
	s_wait_alu 0xf1ff
	v_cndmask_b32_e64 v19, v21, v18, s0
	s_delay_alu instid0(VALU_DEP_3) | instskip(NEXT) | instid1(VALU_DEP_2)
	v_cndmask_b32_e64 v18, v22, v18, s0
	v_cmp_class_f32_e64 s13, v19, 0x1f8
	s_delay_alu instid0(VALU_DEP_2)
	v_cmp_neq_f32_e64 s0, v19, v18
	s_or_b32 s0, s0, s13
	s_wait_alu 0xfffe
	s_and_saveexec_b32 s13, s0
	s_cbranch_execz .LBB148_37
; %bb.36:
	v_sub_f32_e32 v19, v19, v18
	s_delay_alu instid0(VALU_DEP_1) | instskip(NEXT) | instid1(VALU_DEP_1)
	v_mul_f32_e32 v20, 0x3fb8aa3b, v19
	v_fma_f32 v21, 0x3fb8aa3b, v19, -v20
	v_rndne_f32_e32 v22, v20
	s_delay_alu instid0(VALU_DEP_1) | instskip(NEXT) | instid1(VALU_DEP_1)
	v_dual_fmamk_f32 v21, v19, 0x32a5705f, v21 :: v_dual_sub_f32 v20, v20, v22
	v_add_f32_e32 v20, v20, v21
	v_cvt_i32_f32_e32 v21, v22
	v_cmp_ngt_f32_e64 s0, 0xc2ce8ed0, v19
	s_delay_alu instid0(VALU_DEP_3) | instskip(NEXT) | instid1(TRANS32_DEP_1)
	v_exp_f32_e32 v20, v20
	v_ldexp_f32 v20, v20, v21
	s_wait_alu 0xf1ff
	s_delay_alu instid0(VALU_DEP_1) | instskip(SKIP_2) | instid1(VALU_DEP_1)
	v_cndmask_b32_e64 v20, 0, v20, s0
	v_cmp_nlt_f32_e64 s0, 0x42b17218, v19
	s_wait_alu 0xf1ff
	v_cndmask_b32_e64 v21, 0x7f800000, v20, s0
	s_delay_alu instid0(VALU_DEP_1) | instskip(NEXT) | instid1(VALU_DEP_1)
	v_add_f32_e32 v22, 1.0, v21
	v_cvt_f64_f32_e32 v[19:20], v22
	s_delay_alu instid0(VALU_DEP_1) | instskip(SKIP_1) | instid1(VALU_DEP_1)
	v_frexp_exp_i32_f64_e32 v19, v[19:20]
	v_frexp_mant_f32_e32 v20, v22
	v_cmp_gt_f32_e64 s0, 0x3f2aaaab, v20
	v_add_f32_e32 v20, -1.0, v22
	s_delay_alu instid0(VALU_DEP_1) | instskip(SKIP_1) | instid1(VALU_DEP_3)
	v_sub_f32_e32 v24, v20, v22
	s_wait_alu 0xf1ff
	v_subrev_co_ci_u32_e64 v19, null, 0, v19, s0
	s_mov_b32 s0, 0x3e9b6dac
	v_sub_nc_u32_e32 v23, 0, v19
	v_cvt_f32_i32_e32 v19, v19
	s_delay_alu instid0(VALU_DEP_2) | instskip(NEXT) | instid1(VALU_DEP_1)
	v_ldexp_f32 v22, v22, v23
	v_dual_sub_f32 v20, v21, v20 :: v_dual_add_f32 v25, 1.0, v22
	v_add_f32_e32 v24, 1.0, v24
	s_delay_alu instid0(VALU_DEP_1) | instskip(NEXT) | instid1(VALU_DEP_3)
	v_add_f32_e32 v20, v20, v24
	v_add_f32_e32 v24, -1.0, v25
	s_delay_alu instid0(VALU_DEP_2) | instskip(NEXT) | instid1(VALU_DEP_2)
	v_ldexp_f32 v20, v20, v23
	v_dual_add_f32 v23, -1.0, v22 :: v_dual_sub_f32 v24, v22, v24
	s_delay_alu instid0(VALU_DEP_1) | instskip(NEXT) | instid1(VALU_DEP_2)
	v_add_f32_e32 v26, 1.0, v23
	v_add_f32_e32 v24, v20, v24
	s_delay_alu instid0(VALU_DEP_2) | instskip(NEXT) | instid1(VALU_DEP_2)
	v_sub_f32_e32 v22, v22, v26
	v_add_f32_e32 v26, v25, v24
	s_delay_alu instid0(VALU_DEP_2) | instskip(NEXT) | instid1(VALU_DEP_2)
	v_add_f32_e32 v20, v20, v22
	v_rcp_f32_e32 v22, v26
	v_sub_f32_e32 v25, v25, v26
	s_delay_alu instid0(VALU_DEP_1) | instskip(NEXT) | instid1(VALU_DEP_1)
	v_dual_add_f32 v27, v23, v20 :: v_dual_add_f32 v24, v24, v25
	v_sub_f32_e32 v23, v23, v27
	s_delay_alu instid0(TRANS32_DEP_1) | instskip(NEXT) | instid1(VALU_DEP_1)
	v_mul_f32_e32 v28, v27, v22
	v_dual_add_f32 v20, v20, v23 :: v_dual_mul_f32 v29, v26, v28
	s_delay_alu instid0(VALU_DEP_1) | instskip(NEXT) | instid1(VALU_DEP_1)
	v_fma_f32 v25, v28, v26, -v29
	v_fmac_f32_e32 v25, v28, v24
	s_delay_alu instid0(VALU_DEP_1) | instskip(NEXT) | instid1(VALU_DEP_1)
	v_add_f32_e32 v30, v29, v25
	v_sub_f32_e32 v31, v27, v30
	v_sub_f32_e32 v23, v30, v29
	s_delay_alu instid0(VALU_DEP_2) | instskip(NEXT) | instid1(VALU_DEP_2)
	v_sub_f32_e32 v27, v27, v31
	v_sub_f32_e32 v23, v23, v25
	s_delay_alu instid0(VALU_DEP_2) | instskip(NEXT) | instid1(VALU_DEP_1)
	v_sub_f32_e32 v27, v27, v30
	v_add_f32_e32 v20, v20, v27
	s_delay_alu instid0(VALU_DEP_1) | instskip(NEXT) | instid1(VALU_DEP_1)
	v_add_f32_e32 v20, v23, v20
	v_add_f32_e32 v23, v31, v20
	s_delay_alu instid0(VALU_DEP_1) | instskip(NEXT) | instid1(VALU_DEP_1)
	v_mul_f32_e32 v25, v22, v23
	v_dual_sub_f32 v30, v31, v23 :: v_dual_mul_f32 v27, v26, v25
	s_delay_alu instid0(VALU_DEP_1) | instskip(NEXT) | instid1(VALU_DEP_2)
	v_add_f32_e32 v20, v20, v30
	v_fma_f32 v26, v25, v26, -v27
	s_delay_alu instid0(VALU_DEP_1) | instskip(NEXT) | instid1(VALU_DEP_1)
	v_fmac_f32_e32 v26, v25, v24
	v_add_f32_e32 v24, v27, v26
	s_delay_alu instid0(VALU_DEP_1) | instskip(SKIP_1) | instid1(VALU_DEP_2)
	v_sub_f32_e32 v29, v23, v24
	v_sub_f32_e32 v27, v24, v27
	;; [unrolled: 1-line block ×3, first 2 shown]
	s_delay_alu instid0(VALU_DEP_1) | instskip(NEXT) | instid1(VALU_DEP_3)
	v_sub_f32_e32 v23, v23, v24
	v_sub_f32_e32 v24, v27, v26
	s_delay_alu instid0(VALU_DEP_2) | instskip(SKIP_1) | instid1(VALU_DEP_2)
	v_add_f32_e32 v20, v20, v23
	v_add_f32_e32 v23, v28, v25
	;; [unrolled: 1-line block ×3, first 2 shown]
	s_delay_alu instid0(VALU_DEP_2) | instskip(NEXT) | instid1(VALU_DEP_2)
	v_sub_f32_e32 v24, v23, v28
	v_add_f32_e32 v20, v29, v20
	s_delay_alu instid0(VALU_DEP_2) | instskip(NEXT) | instid1(VALU_DEP_2)
	v_sub_f32_e32 v24, v25, v24
	v_mul_f32_e32 v20, v22, v20
	s_delay_alu instid0(VALU_DEP_1) | instskip(NEXT) | instid1(VALU_DEP_1)
	v_add_f32_e32 v20, v24, v20
	v_add_f32_e32 v22, v23, v20
	s_delay_alu instid0(VALU_DEP_1) | instskip(SKIP_1) | instid1(VALU_DEP_1)
	v_mul_f32_e32 v24, v22, v22
	s_wait_alu 0xfffe
	v_fmaak_f32 v25, s0, v24, 0x3ecc95a3
	v_mul_f32_e32 v26, v22, v24
	v_cmp_neq_f32_e64 s0, 0x7f800000, v21
	s_delay_alu instid0(VALU_DEP_3) | instskip(SKIP_2) | instid1(VALU_DEP_3)
	v_fmaak_f32 v24, v24, v25, 0x3f2aaada
	v_ldexp_f32 v25, v22, 1
	v_sub_f32_e32 v22, v22, v23
	v_mul_f32_e32 v24, v26, v24
	v_mul_f32_e32 v26, 0x3f317218, v19
	s_delay_alu instid0(VALU_DEP_2) | instskip(NEXT) | instid1(VALU_DEP_1)
	v_dual_sub_f32 v20, v20, v22 :: v_dual_add_f32 v23, v25, v24
	v_ldexp_f32 v20, v20, 1
	s_delay_alu instid0(VALU_DEP_2) | instskip(NEXT) | instid1(VALU_DEP_4)
	v_sub_f32_e32 v22, v23, v25
	v_fma_f32 v25, 0x3f317218, v19, -v26
	s_delay_alu instid0(VALU_DEP_1) | instskip(NEXT) | instid1(VALU_DEP_1)
	v_dual_sub_f32 v22, v24, v22 :: v_dual_fmamk_f32 v19, v19, 0xb102e308, v25
	v_add_f32_e32 v20, v20, v22
	s_delay_alu instid0(VALU_DEP_2) | instskip(NEXT) | instid1(VALU_DEP_2)
	v_add_f32_e32 v22, v26, v19
	v_add_f32_e32 v24, v23, v20
	s_delay_alu instid0(VALU_DEP_2) | instskip(NEXT) | instid1(VALU_DEP_2)
	v_sub_f32_e32 v26, v22, v26
	v_add_f32_e32 v25, v22, v24
	v_sub_f32_e32 v23, v24, v23
	s_delay_alu instid0(VALU_DEP_3) | instskip(NEXT) | instid1(VALU_DEP_2)
	v_sub_f32_e32 v19, v19, v26
	v_dual_sub_f32 v27, v25, v22 :: v_dual_sub_f32 v20, v20, v23
	s_delay_alu instid0(VALU_DEP_1) | instskip(NEXT) | instid1(VALU_DEP_2)
	v_sub_f32_e32 v28, v25, v27
	v_dual_sub_f32 v23, v24, v27 :: v_dual_add_f32 v24, v19, v20
	s_delay_alu instid0(VALU_DEP_2) | instskip(NEXT) | instid1(VALU_DEP_1)
	v_sub_f32_e32 v22, v22, v28
	v_dual_add_f32 v22, v23, v22 :: v_dual_sub_f32 v23, v24, v19
	s_delay_alu instid0(VALU_DEP_1) | instskip(NEXT) | instid1(VALU_DEP_2)
	v_add_f32_e32 v22, v24, v22
	v_sub_f32_e32 v24, v24, v23
	v_sub_f32_e32 v20, v20, v23
	s_delay_alu instid0(VALU_DEP_2) | instskip(NEXT) | instid1(VALU_DEP_1)
	v_dual_add_f32 v26, v25, v22 :: v_dual_sub_f32 v19, v19, v24
	v_sub_f32_e32 v23, v26, v25
	s_delay_alu instid0(VALU_DEP_2) | instskip(NEXT) | instid1(VALU_DEP_2)
	v_add_f32_e32 v19, v20, v19
	v_sub_f32_e32 v20, v22, v23
	s_delay_alu instid0(VALU_DEP_1) | instskip(NEXT) | instid1(VALU_DEP_1)
	v_add_f32_e32 v19, v19, v20
	v_add_f32_e32 v19, v26, v19
	s_wait_alu 0xf1ff
	s_delay_alu instid0(VALU_DEP_1) | instskip(SKIP_2) | instid1(VALU_DEP_1)
	v_cndmask_b32_e64 v19, 0x7f800000, v19, s0
	v_cmp_gt_f32_e64 s0, 0x33800000, |v21|
	s_wait_alu 0xf1ff
	v_cndmask_b32_e64 v19, v19, v21, s0
	s_delay_alu instid0(VALU_DEP_1)
	v_add_f32_e32 v20, v18, v19
.LBB148_37:
	s_wait_alu 0xfffe
	s_or_b32 exec_lo, exec_lo, s13
	s_delay_alu instid0(VALU_DEP_1)
	v_mov_b32_e32 v18, v20
.LBB148_38:
	s_wait_alu 0xfffe
	s_or_b32 exec_lo, exec_lo, s1
	ds_swizzle_b32 v19, v18 offset:swizzle(BROADCAST,32,15)
	v_and_b32_e32 v20, 16, v17
	s_mov_b32 s1, exec_lo
	s_delay_alu instid0(VALU_DEP_1)
	v_cmpx_ne_u32_e32 0, v20
	s_cbranch_execz .LBB148_42
; %bb.39:
	s_wait_dscnt 0x0
	v_dual_max_num_f32 v20, v18, v18 :: v_dual_max_num_f32 v21, v19, v19
	v_cmp_u_f32_e64 s0, v19, v19
	s_delay_alu instid0(VALU_DEP_2) | instskip(SKIP_2) | instid1(VALU_DEP_2)
	v_min_num_f32_e32 v22, v21, v20
	v_max_num_f32_e32 v20, v21, v20
	s_wait_alu 0xf1ff
	v_cndmask_b32_e64 v21, v22, v19, s0
	s_delay_alu instid0(VALU_DEP_2) | instskip(SKIP_2) | instid1(VALU_DEP_1)
	v_cndmask_b32_e64 v22, v20, v19, s0
	v_cmp_u_f32_e64 s0, v18, v18
	s_wait_alu 0xf1ff
	v_cndmask_b32_e64 v20, v21, v18, s0
	s_delay_alu instid0(VALU_DEP_3) | instskip(NEXT) | instid1(VALU_DEP_2)
	v_cndmask_b32_e64 v18, v22, v18, s0
	v_cmp_class_f32_e64 s13, v20, 0x1f8
	s_delay_alu instid0(VALU_DEP_2)
	v_cmp_neq_f32_e64 s0, v20, v18
	s_or_b32 s0, s0, s13
	s_wait_alu 0xfffe
	s_and_saveexec_b32 s13, s0
	s_cbranch_execz .LBB148_41
; %bb.40:
	v_sub_f32_e32 v19, v20, v18
	s_delay_alu instid0(VALU_DEP_1) | instskip(SKIP_1) | instid1(VALU_DEP_2)
	v_mul_f32_e32 v20, 0x3fb8aa3b, v19
	v_cmp_ngt_f32_e64 s0, 0xc2ce8ed0, v19
	v_fma_f32 v21, 0x3fb8aa3b, v19, -v20
	v_rndne_f32_e32 v22, v20
	s_delay_alu instid0(VALU_DEP_1) | instskip(NEXT) | instid1(VALU_DEP_1)
	v_dual_fmamk_f32 v21, v19, 0x32a5705f, v21 :: v_dual_sub_f32 v20, v20, v22
	v_add_f32_e32 v20, v20, v21
	v_cvt_i32_f32_e32 v21, v22
	s_delay_alu instid0(VALU_DEP_2) | instskip(NEXT) | instid1(TRANS32_DEP_1)
	v_exp_f32_e32 v20, v20
	v_ldexp_f32 v20, v20, v21
	s_wait_alu 0xf1ff
	s_delay_alu instid0(VALU_DEP_1) | instskip(SKIP_2) | instid1(VALU_DEP_1)
	v_cndmask_b32_e64 v20, 0, v20, s0
	v_cmp_nlt_f32_e64 s0, 0x42b17218, v19
	s_wait_alu 0xf1ff
	v_cndmask_b32_e64 v21, 0x7f800000, v20, s0
	s_delay_alu instid0(VALU_DEP_1) | instskip(NEXT) | instid1(VALU_DEP_1)
	v_add_f32_e32 v22, 1.0, v21
	v_cvt_f64_f32_e32 v[19:20], v22
	s_delay_alu instid0(VALU_DEP_1) | instskip(SKIP_1) | instid1(VALU_DEP_1)
	v_frexp_exp_i32_f64_e32 v19, v[19:20]
	v_frexp_mant_f32_e32 v20, v22
	v_cmp_gt_f32_e64 s0, 0x3f2aaaab, v20
	v_add_f32_e32 v20, -1.0, v22
	s_delay_alu instid0(VALU_DEP_1)
	v_sub_f32_e32 v24, v20, v22
	v_sub_f32_e32 v20, v21, v20
	s_wait_alu 0xf1ff
	v_subrev_co_ci_u32_e64 v19, null, 0, v19, s0
	s_mov_b32 s0, 0x3e9b6dac
	v_sub_nc_u32_e32 v23, 0, v19
	v_cvt_f32_i32_e32 v19, v19
	s_delay_alu instid0(VALU_DEP_2) | instskip(NEXT) | instid1(VALU_DEP_1)
	v_ldexp_f32 v22, v22, v23
	v_dual_add_f32 v25, 1.0, v22 :: v_dual_add_f32 v24, 1.0, v24
	s_delay_alu instid0(VALU_DEP_1) | instskip(NEXT) | instid1(VALU_DEP_2)
	v_add_f32_e32 v20, v20, v24
	v_add_f32_e32 v24, -1.0, v25
	s_delay_alu instid0(VALU_DEP_2) | instskip(NEXT) | instid1(VALU_DEP_2)
	v_ldexp_f32 v20, v20, v23
	v_dual_add_f32 v23, -1.0, v22 :: v_dual_sub_f32 v24, v22, v24
	s_delay_alu instid0(VALU_DEP_1) | instskip(NEXT) | instid1(VALU_DEP_2)
	v_add_f32_e32 v26, 1.0, v23
	v_add_f32_e32 v24, v20, v24
	s_delay_alu instid0(VALU_DEP_2) | instskip(NEXT) | instid1(VALU_DEP_2)
	v_sub_f32_e32 v22, v22, v26
	v_add_f32_e32 v26, v25, v24
	s_delay_alu instid0(VALU_DEP_2) | instskip(NEXT) | instid1(VALU_DEP_2)
	v_add_f32_e32 v20, v20, v22
	v_rcp_f32_e32 v22, v26
	v_sub_f32_e32 v25, v25, v26
	s_delay_alu instid0(VALU_DEP_1) | instskip(NEXT) | instid1(VALU_DEP_1)
	v_dual_add_f32 v27, v23, v20 :: v_dual_add_f32 v24, v24, v25
	v_sub_f32_e32 v23, v23, v27
	s_delay_alu instid0(TRANS32_DEP_1) | instskip(NEXT) | instid1(VALU_DEP_1)
	v_mul_f32_e32 v28, v27, v22
	v_dual_add_f32 v20, v20, v23 :: v_dual_mul_f32 v29, v26, v28
	s_delay_alu instid0(VALU_DEP_1) | instskip(NEXT) | instid1(VALU_DEP_1)
	v_fma_f32 v25, v28, v26, -v29
	v_fmac_f32_e32 v25, v28, v24
	s_delay_alu instid0(VALU_DEP_1) | instskip(NEXT) | instid1(VALU_DEP_1)
	v_add_f32_e32 v30, v29, v25
	v_sub_f32_e32 v31, v27, v30
	v_sub_f32_e32 v23, v30, v29
	s_delay_alu instid0(VALU_DEP_2) | instskip(NEXT) | instid1(VALU_DEP_2)
	v_sub_f32_e32 v27, v27, v31
	v_sub_f32_e32 v23, v23, v25
	s_delay_alu instid0(VALU_DEP_2) | instskip(NEXT) | instid1(VALU_DEP_1)
	v_sub_f32_e32 v27, v27, v30
	v_add_f32_e32 v20, v20, v27
	s_delay_alu instid0(VALU_DEP_1) | instskip(NEXT) | instid1(VALU_DEP_1)
	v_add_f32_e32 v20, v23, v20
	v_add_f32_e32 v23, v31, v20
	s_delay_alu instid0(VALU_DEP_1) | instskip(NEXT) | instid1(VALU_DEP_1)
	v_mul_f32_e32 v25, v22, v23
	v_dual_sub_f32 v30, v31, v23 :: v_dual_mul_f32 v27, v26, v25
	s_delay_alu instid0(VALU_DEP_1) | instskip(NEXT) | instid1(VALU_DEP_2)
	v_add_f32_e32 v20, v20, v30
	v_fma_f32 v26, v25, v26, -v27
	s_delay_alu instid0(VALU_DEP_1) | instskip(NEXT) | instid1(VALU_DEP_1)
	v_fmac_f32_e32 v26, v25, v24
	v_add_f32_e32 v24, v27, v26
	s_delay_alu instid0(VALU_DEP_1) | instskip(SKIP_1) | instid1(VALU_DEP_2)
	v_sub_f32_e32 v29, v23, v24
	v_sub_f32_e32 v27, v24, v27
	;; [unrolled: 1-line block ×3, first 2 shown]
	s_delay_alu instid0(VALU_DEP_1) | instskip(NEXT) | instid1(VALU_DEP_3)
	v_sub_f32_e32 v23, v23, v24
	v_sub_f32_e32 v24, v27, v26
	s_delay_alu instid0(VALU_DEP_2) | instskip(SKIP_1) | instid1(VALU_DEP_2)
	v_add_f32_e32 v20, v20, v23
	v_add_f32_e32 v23, v28, v25
	;; [unrolled: 1-line block ×3, first 2 shown]
	s_delay_alu instid0(VALU_DEP_2) | instskip(NEXT) | instid1(VALU_DEP_2)
	v_sub_f32_e32 v24, v23, v28
	v_add_f32_e32 v20, v29, v20
	s_delay_alu instid0(VALU_DEP_2) | instskip(NEXT) | instid1(VALU_DEP_2)
	v_sub_f32_e32 v24, v25, v24
	v_mul_f32_e32 v20, v22, v20
	s_delay_alu instid0(VALU_DEP_1) | instskip(NEXT) | instid1(VALU_DEP_1)
	v_add_f32_e32 v20, v24, v20
	v_add_f32_e32 v22, v23, v20
	s_delay_alu instid0(VALU_DEP_1) | instskip(SKIP_1) | instid1(VALU_DEP_1)
	v_mul_f32_e32 v24, v22, v22
	s_wait_alu 0xfffe
	v_fmaak_f32 v25, s0, v24, 0x3ecc95a3
	v_mul_f32_e32 v26, v22, v24
	v_cmp_neq_f32_e64 s0, 0x7f800000, v21
	s_delay_alu instid0(VALU_DEP_3) | instskip(SKIP_2) | instid1(VALU_DEP_3)
	v_fmaak_f32 v24, v24, v25, 0x3f2aaada
	v_ldexp_f32 v25, v22, 1
	v_sub_f32_e32 v22, v22, v23
	v_mul_f32_e32 v24, v26, v24
	v_mul_f32_e32 v26, 0x3f317218, v19
	s_delay_alu instid0(VALU_DEP_2) | instskip(NEXT) | instid1(VALU_DEP_1)
	v_dual_sub_f32 v20, v20, v22 :: v_dual_add_f32 v23, v25, v24
	v_ldexp_f32 v20, v20, 1
	s_delay_alu instid0(VALU_DEP_2) | instskip(NEXT) | instid1(VALU_DEP_4)
	v_sub_f32_e32 v22, v23, v25
	v_fma_f32 v25, 0x3f317218, v19, -v26
	s_delay_alu instid0(VALU_DEP_1) | instskip(NEXT) | instid1(VALU_DEP_1)
	v_dual_sub_f32 v22, v24, v22 :: v_dual_fmamk_f32 v19, v19, 0xb102e308, v25
	v_add_f32_e32 v20, v20, v22
	s_delay_alu instid0(VALU_DEP_2) | instskip(NEXT) | instid1(VALU_DEP_2)
	v_add_f32_e32 v22, v26, v19
	v_add_f32_e32 v24, v23, v20
	s_delay_alu instid0(VALU_DEP_2) | instskip(NEXT) | instid1(VALU_DEP_2)
	v_sub_f32_e32 v26, v22, v26
	v_add_f32_e32 v25, v22, v24
	v_sub_f32_e32 v23, v24, v23
	s_delay_alu instid0(VALU_DEP_3) | instskip(NEXT) | instid1(VALU_DEP_2)
	v_sub_f32_e32 v19, v19, v26
	v_dual_sub_f32 v27, v25, v22 :: v_dual_sub_f32 v20, v20, v23
	s_delay_alu instid0(VALU_DEP_1) | instskip(NEXT) | instid1(VALU_DEP_2)
	v_sub_f32_e32 v28, v25, v27
	v_dual_sub_f32 v23, v24, v27 :: v_dual_add_f32 v24, v19, v20
	s_delay_alu instid0(VALU_DEP_2) | instskip(NEXT) | instid1(VALU_DEP_1)
	v_sub_f32_e32 v22, v22, v28
	v_dual_add_f32 v22, v23, v22 :: v_dual_sub_f32 v23, v24, v19
	s_delay_alu instid0(VALU_DEP_1) | instskip(NEXT) | instid1(VALU_DEP_2)
	v_add_f32_e32 v22, v24, v22
	v_sub_f32_e32 v24, v24, v23
	v_sub_f32_e32 v20, v20, v23
	s_delay_alu instid0(VALU_DEP_2) | instskip(NEXT) | instid1(VALU_DEP_1)
	v_dual_add_f32 v26, v25, v22 :: v_dual_sub_f32 v19, v19, v24
	v_sub_f32_e32 v23, v26, v25
	s_delay_alu instid0(VALU_DEP_2) | instskip(NEXT) | instid1(VALU_DEP_2)
	v_add_f32_e32 v19, v20, v19
	v_sub_f32_e32 v20, v22, v23
	s_delay_alu instid0(VALU_DEP_1) | instskip(NEXT) | instid1(VALU_DEP_1)
	v_add_f32_e32 v19, v19, v20
	v_add_f32_e32 v19, v26, v19
	s_wait_alu 0xf1ff
	s_delay_alu instid0(VALU_DEP_1) | instskip(SKIP_2) | instid1(VALU_DEP_1)
	v_cndmask_b32_e64 v19, 0x7f800000, v19, s0
	v_cmp_gt_f32_e64 s0, 0x33800000, |v21|
	s_wait_alu 0xf1ff
	v_cndmask_b32_e64 v19, v19, v21, s0
	s_delay_alu instid0(VALU_DEP_1)
	v_add_f32_e32 v19, v18, v19
.LBB148_41:
	s_wait_alu 0xfffe
	s_or_b32 exec_lo, exec_lo, s13
	s_delay_alu instid0(VALU_DEP_1)
	v_mov_b32_e32 v18, v19
.LBB148_42:
	s_wait_alu 0xfffe
	s_or_b32 exec_lo, exec_lo, s1
	v_or_b32_e32 v20, 31, v0
	s_wait_dscnt 0x0
	v_lshrrev_b32_e32 v19, 5, v0
	s_mov_b32 s1, exec_lo
	s_delay_alu instid0(VALU_DEP_2)
	v_cmpx_eq_u32_e64 v0, v20
; %bb.43:
	s_delay_alu instid0(VALU_DEP_2)
	v_lshlrev_b32_e32 v20, 2, v19
	ds_store_b32 v20, v18
; %bb.44:
	s_wait_alu 0xfffe
	s_or_b32 exec_lo, exec_lo, s1
	s_delay_alu instid0(SALU_CYCLE_1)
	s_mov_b32 s1, exec_lo
	s_wait_loadcnt_dscnt 0x0
	s_barrier_signal -1
	s_barrier_wait -1
	global_inv scope:SCOPE_SE
	v_cmpx_gt_u32_e32 8, v0
	s_cbranch_execz .LBB148_58
; %bb.45:
	ds_load_b32 v21, v7
	v_and_b32_e32 v20, 7, v17
	s_mov_b32 s13, exec_lo
	s_wait_dscnt 0x0
	v_mov_b32_dpp v22, v21 row_shr:1 row_mask:0xf bank_mask:0xf
	s_delay_alu instid0(VALU_DEP_2)
	v_cmpx_ne_u32_e32 0, v20
	s_cbranch_execz .LBB148_49
; %bb.46:
	s_delay_alu instid0(VALU_DEP_2) | instskip(SKIP_1) | instid1(VALU_DEP_2)
	v_dual_max_num_f32 v23, v21, v21 :: v_dual_max_num_f32 v24, v22, v22
	v_cmp_u_f32_e64 s0, v22, v22
	v_min_num_f32_e32 v25, v24, v23
	v_max_num_f32_e32 v23, v24, v23
	s_wait_alu 0xf1ff
	s_delay_alu instid0(VALU_DEP_2) | instskip(NEXT) | instid1(VALU_DEP_2)
	v_cndmask_b32_e64 v24, v25, v22, s0
	v_cndmask_b32_e64 v25, v23, v22, s0
	v_cmp_u_f32_e64 s0, v21, v21
	s_wait_alu 0xf1ff
	s_delay_alu instid0(VALU_DEP_1) | instskip(NEXT) | instid1(VALU_DEP_3)
	v_cndmask_b32_e64 v23, v24, v21, s0
	v_cndmask_b32_e64 v21, v25, v21, s0
	s_delay_alu instid0(VALU_DEP_2) | instskip(NEXT) | instid1(VALU_DEP_2)
	v_cmp_class_f32_e64 s16, v23, 0x1f8
	v_cmp_neq_f32_e64 s0, v23, v21
	s_or_b32 s0, s0, s16
	s_wait_alu 0xfffe
	s_and_saveexec_b32 s16, s0
	s_cbranch_execz .LBB148_48
; %bb.47:
	v_sub_f32_e32 v22, v23, v21
	s_delay_alu instid0(VALU_DEP_1) | instskip(SKIP_1) | instid1(VALU_DEP_2)
	v_mul_f32_e32 v23, 0x3fb8aa3b, v22
	v_cmp_ngt_f32_e64 s0, 0xc2ce8ed0, v22
	v_fma_f32 v24, 0x3fb8aa3b, v22, -v23
	v_rndne_f32_e32 v25, v23
	s_delay_alu instid0(VALU_DEP_1) | instskip(NEXT) | instid1(VALU_DEP_1)
	v_dual_fmamk_f32 v24, v22, 0x32a5705f, v24 :: v_dual_sub_f32 v23, v23, v25
	v_add_f32_e32 v23, v23, v24
	v_cvt_i32_f32_e32 v24, v25
	s_delay_alu instid0(VALU_DEP_2) | instskip(NEXT) | instid1(TRANS32_DEP_1)
	v_exp_f32_e32 v23, v23
	v_ldexp_f32 v23, v23, v24
	s_wait_alu 0xf1ff
	s_delay_alu instid0(VALU_DEP_1) | instskip(SKIP_2) | instid1(VALU_DEP_1)
	v_cndmask_b32_e64 v23, 0, v23, s0
	v_cmp_nlt_f32_e64 s0, 0x42b17218, v22
	s_wait_alu 0xf1ff
	v_cndmask_b32_e64 v24, 0x7f800000, v23, s0
	s_delay_alu instid0(VALU_DEP_1) | instskip(NEXT) | instid1(VALU_DEP_1)
	v_add_f32_e32 v25, 1.0, v24
	v_cvt_f64_f32_e32 v[22:23], v25
	s_delay_alu instid0(VALU_DEP_1) | instskip(SKIP_1) | instid1(VALU_DEP_1)
	v_frexp_exp_i32_f64_e32 v22, v[22:23]
	v_frexp_mant_f32_e32 v23, v25
	v_cmp_gt_f32_e64 s0, 0x3f2aaaab, v23
	v_add_f32_e32 v23, -1.0, v25
	s_delay_alu instid0(VALU_DEP_1)
	v_sub_f32_e32 v27, v23, v25
	v_sub_f32_e32 v23, v24, v23
	s_wait_alu 0xf1ff
	v_subrev_co_ci_u32_e64 v22, null, 0, v22, s0
	s_mov_b32 s0, 0x3e9b6dac
	v_sub_nc_u32_e32 v26, 0, v22
	v_cvt_f32_i32_e32 v22, v22
	s_delay_alu instid0(VALU_DEP_2) | instskip(NEXT) | instid1(VALU_DEP_1)
	v_ldexp_f32 v25, v25, v26
	v_dual_add_f32 v28, 1.0, v25 :: v_dual_add_f32 v27, 1.0, v27
	s_delay_alu instid0(VALU_DEP_1) | instskip(NEXT) | instid1(VALU_DEP_2)
	v_add_f32_e32 v23, v23, v27
	v_add_f32_e32 v27, -1.0, v28
	s_delay_alu instid0(VALU_DEP_2) | instskip(NEXT) | instid1(VALU_DEP_2)
	v_ldexp_f32 v23, v23, v26
	v_dual_add_f32 v26, -1.0, v25 :: v_dual_sub_f32 v27, v25, v27
	s_delay_alu instid0(VALU_DEP_1) | instskip(NEXT) | instid1(VALU_DEP_2)
	v_add_f32_e32 v29, 1.0, v26
	v_add_f32_e32 v27, v23, v27
	s_delay_alu instid0(VALU_DEP_2) | instskip(NEXT) | instid1(VALU_DEP_2)
	v_sub_f32_e32 v25, v25, v29
	v_add_f32_e32 v29, v28, v27
	s_delay_alu instid0(VALU_DEP_2) | instskip(NEXT) | instid1(VALU_DEP_2)
	v_add_f32_e32 v23, v23, v25
	v_rcp_f32_e32 v25, v29
	v_sub_f32_e32 v28, v28, v29
	s_delay_alu instid0(VALU_DEP_1) | instskip(NEXT) | instid1(VALU_DEP_1)
	v_dual_add_f32 v30, v26, v23 :: v_dual_add_f32 v27, v27, v28
	v_sub_f32_e32 v26, v26, v30
	s_delay_alu instid0(TRANS32_DEP_1) | instskip(NEXT) | instid1(VALU_DEP_1)
	v_mul_f32_e32 v31, v30, v25
	v_dual_add_f32 v23, v23, v26 :: v_dual_mul_f32 v32, v29, v31
	s_delay_alu instid0(VALU_DEP_1) | instskip(NEXT) | instid1(VALU_DEP_1)
	v_fma_f32 v28, v31, v29, -v32
	v_fmac_f32_e32 v28, v31, v27
	s_delay_alu instid0(VALU_DEP_1) | instskip(NEXT) | instid1(VALU_DEP_1)
	v_add_f32_e32 v33, v32, v28
	v_sub_f32_e32 v34, v30, v33
	v_sub_f32_e32 v26, v33, v32
	s_delay_alu instid0(VALU_DEP_2) | instskip(NEXT) | instid1(VALU_DEP_2)
	v_sub_f32_e32 v30, v30, v34
	v_sub_f32_e32 v26, v26, v28
	s_delay_alu instid0(VALU_DEP_2) | instskip(NEXT) | instid1(VALU_DEP_1)
	v_sub_f32_e32 v30, v30, v33
	v_add_f32_e32 v23, v23, v30
	s_delay_alu instid0(VALU_DEP_1) | instskip(NEXT) | instid1(VALU_DEP_1)
	v_add_f32_e32 v23, v26, v23
	v_add_f32_e32 v26, v34, v23
	s_delay_alu instid0(VALU_DEP_1) | instskip(NEXT) | instid1(VALU_DEP_1)
	v_mul_f32_e32 v28, v25, v26
	v_dual_sub_f32 v33, v34, v26 :: v_dual_mul_f32 v30, v29, v28
	s_delay_alu instid0(VALU_DEP_1) | instskip(NEXT) | instid1(VALU_DEP_2)
	v_add_f32_e32 v23, v23, v33
	v_fma_f32 v29, v28, v29, -v30
	s_delay_alu instid0(VALU_DEP_1) | instskip(NEXT) | instid1(VALU_DEP_1)
	v_fmac_f32_e32 v29, v28, v27
	v_add_f32_e32 v27, v30, v29
	s_delay_alu instid0(VALU_DEP_1) | instskip(SKIP_1) | instid1(VALU_DEP_2)
	v_sub_f32_e32 v32, v26, v27
	v_sub_f32_e32 v30, v27, v30
	;; [unrolled: 1-line block ×3, first 2 shown]
	s_delay_alu instid0(VALU_DEP_1) | instskip(NEXT) | instid1(VALU_DEP_3)
	v_sub_f32_e32 v26, v26, v27
	v_sub_f32_e32 v27, v30, v29
	s_delay_alu instid0(VALU_DEP_2) | instskip(SKIP_1) | instid1(VALU_DEP_2)
	v_add_f32_e32 v23, v23, v26
	v_add_f32_e32 v26, v31, v28
	;; [unrolled: 1-line block ×3, first 2 shown]
	s_delay_alu instid0(VALU_DEP_2) | instskip(NEXT) | instid1(VALU_DEP_2)
	v_sub_f32_e32 v27, v26, v31
	v_add_f32_e32 v23, v32, v23
	s_delay_alu instid0(VALU_DEP_2) | instskip(NEXT) | instid1(VALU_DEP_2)
	v_sub_f32_e32 v27, v28, v27
	v_mul_f32_e32 v23, v25, v23
	s_delay_alu instid0(VALU_DEP_1) | instskip(NEXT) | instid1(VALU_DEP_1)
	v_add_f32_e32 v23, v27, v23
	v_add_f32_e32 v25, v26, v23
	s_delay_alu instid0(VALU_DEP_1) | instskip(SKIP_1) | instid1(VALU_DEP_1)
	v_mul_f32_e32 v27, v25, v25
	s_wait_alu 0xfffe
	v_fmaak_f32 v28, s0, v27, 0x3ecc95a3
	v_mul_f32_e32 v29, v25, v27
	v_cmp_neq_f32_e64 s0, 0x7f800000, v24
	s_delay_alu instid0(VALU_DEP_3) | instskip(SKIP_2) | instid1(VALU_DEP_3)
	v_fmaak_f32 v27, v27, v28, 0x3f2aaada
	v_ldexp_f32 v28, v25, 1
	v_sub_f32_e32 v25, v25, v26
	v_mul_f32_e32 v27, v29, v27
	v_mul_f32_e32 v29, 0x3f317218, v22
	s_delay_alu instid0(VALU_DEP_2) | instskip(NEXT) | instid1(VALU_DEP_1)
	v_dual_sub_f32 v23, v23, v25 :: v_dual_add_f32 v26, v28, v27
	v_ldexp_f32 v23, v23, 1
	s_delay_alu instid0(VALU_DEP_2) | instskip(NEXT) | instid1(VALU_DEP_4)
	v_sub_f32_e32 v25, v26, v28
	v_fma_f32 v28, 0x3f317218, v22, -v29
	s_delay_alu instid0(VALU_DEP_1) | instskip(NEXT) | instid1(VALU_DEP_1)
	v_dual_sub_f32 v25, v27, v25 :: v_dual_fmamk_f32 v22, v22, 0xb102e308, v28
	v_add_f32_e32 v23, v23, v25
	s_delay_alu instid0(VALU_DEP_2) | instskip(NEXT) | instid1(VALU_DEP_2)
	v_add_f32_e32 v25, v29, v22
	v_add_f32_e32 v27, v26, v23
	s_delay_alu instid0(VALU_DEP_2) | instskip(NEXT) | instid1(VALU_DEP_2)
	v_sub_f32_e32 v29, v25, v29
	v_add_f32_e32 v28, v25, v27
	v_sub_f32_e32 v26, v27, v26
	s_delay_alu instid0(VALU_DEP_3) | instskip(NEXT) | instid1(VALU_DEP_2)
	v_sub_f32_e32 v22, v22, v29
	v_dual_sub_f32 v30, v28, v25 :: v_dual_sub_f32 v23, v23, v26
	s_delay_alu instid0(VALU_DEP_1) | instskip(NEXT) | instid1(VALU_DEP_2)
	v_sub_f32_e32 v31, v28, v30
	v_dual_sub_f32 v26, v27, v30 :: v_dual_add_f32 v27, v22, v23
	s_delay_alu instid0(VALU_DEP_2) | instskip(NEXT) | instid1(VALU_DEP_1)
	v_sub_f32_e32 v25, v25, v31
	v_dual_add_f32 v25, v26, v25 :: v_dual_sub_f32 v26, v27, v22
	s_delay_alu instid0(VALU_DEP_1) | instskip(NEXT) | instid1(VALU_DEP_2)
	v_add_f32_e32 v25, v27, v25
	v_sub_f32_e32 v27, v27, v26
	v_sub_f32_e32 v23, v23, v26
	s_delay_alu instid0(VALU_DEP_2) | instskip(NEXT) | instid1(VALU_DEP_1)
	v_dual_add_f32 v29, v28, v25 :: v_dual_sub_f32 v22, v22, v27
	v_sub_f32_e32 v26, v29, v28
	s_delay_alu instid0(VALU_DEP_2) | instskip(NEXT) | instid1(VALU_DEP_2)
	v_add_f32_e32 v22, v23, v22
	v_sub_f32_e32 v23, v25, v26
	s_delay_alu instid0(VALU_DEP_1) | instskip(NEXT) | instid1(VALU_DEP_1)
	v_add_f32_e32 v22, v22, v23
	v_add_f32_e32 v22, v29, v22
	s_wait_alu 0xf1ff
	s_delay_alu instid0(VALU_DEP_1) | instskip(SKIP_2) | instid1(VALU_DEP_1)
	v_cndmask_b32_e64 v22, 0x7f800000, v22, s0
	v_cmp_gt_f32_e64 s0, 0x33800000, |v24|
	s_wait_alu 0xf1ff
	v_cndmask_b32_e64 v22, v22, v24, s0
	s_delay_alu instid0(VALU_DEP_1)
	v_add_f32_e32 v22, v21, v22
.LBB148_48:
	s_or_b32 exec_lo, exec_lo, s16
	s_delay_alu instid0(VALU_DEP_1)
	v_mov_b32_e32 v21, v22
.LBB148_49:
	s_wait_alu 0xfffe
	s_or_b32 exec_lo, exec_lo, s13
	s_delay_alu instid0(VALU_DEP_1)
	v_mov_b32_dpp v22, v21 row_shr:2 row_mask:0xf bank_mask:0xf
	s_mov_b32 s13, exec_lo
	v_cmpx_lt_u32_e32 1, v20
	s_cbranch_execz .LBB148_53
; %bb.50:
	s_delay_alu instid0(VALU_DEP_2) | instskip(SKIP_1) | instid1(VALU_DEP_2)
	v_dual_max_num_f32 v23, v21, v21 :: v_dual_max_num_f32 v24, v22, v22
	v_cmp_u_f32_e64 s0, v22, v22
	v_min_num_f32_e32 v25, v24, v23
	v_max_num_f32_e32 v23, v24, v23
	s_wait_alu 0xf1ff
	s_delay_alu instid0(VALU_DEP_2) | instskip(NEXT) | instid1(VALU_DEP_2)
	v_cndmask_b32_e64 v24, v25, v22, s0
	v_cndmask_b32_e64 v25, v23, v22, s0
	v_cmp_u_f32_e64 s0, v21, v21
	s_wait_alu 0xf1ff
	s_delay_alu instid0(VALU_DEP_1) | instskip(NEXT) | instid1(VALU_DEP_3)
	v_cndmask_b32_e64 v23, v24, v21, s0
	v_cndmask_b32_e64 v21, v25, v21, s0
	s_delay_alu instid0(VALU_DEP_2) | instskip(NEXT) | instid1(VALU_DEP_2)
	v_cmp_class_f32_e64 s16, v23, 0x1f8
	v_cmp_neq_f32_e64 s0, v23, v21
	s_or_b32 s0, s0, s16
	s_wait_alu 0xfffe
	s_and_saveexec_b32 s16, s0
	s_cbranch_execz .LBB148_52
; %bb.51:
	v_sub_f32_e32 v22, v23, v21
	s_delay_alu instid0(VALU_DEP_1) | instskip(SKIP_1) | instid1(VALU_DEP_2)
	v_mul_f32_e32 v23, 0x3fb8aa3b, v22
	v_cmp_ngt_f32_e64 s0, 0xc2ce8ed0, v22
	v_fma_f32 v24, 0x3fb8aa3b, v22, -v23
	v_rndne_f32_e32 v25, v23
	s_delay_alu instid0(VALU_DEP_1) | instskip(NEXT) | instid1(VALU_DEP_1)
	v_dual_fmamk_f32 v24, v22, 0x32a5705f, v24 :: v_dual_sub_f32 v23, v23, v25
	v_add_f32_e32 v23, v23, v24
	v_cvt_i32_f32_e32 v24, v25
	s_delay_alu instid0(VALU_DEP_2) | instskip(NEXT) | instid1(TRANS32_DEP_1)
	v_exp_f32_e32 v23, v23
	v_ldexp_f32 v23, v23, v24
	s_wait_alu 0xf1ff
	s_delay_alu instid0(VALU_DEP_1) | instskip(SKIP_2) | instid1(VALU_DEP_1)
	v_cndmask_b32_e64 v23, 0, v23, s0
	v_cmp_nlt_f32_e64 s0, 0x42b17218, v22
	s_wait_alu 0xf1ff
	v_cndmask_b32_e64 v24, 0x7f800000, v23, s0
	s_delay_alu instid0(VALU_DEP_1) | instskip(NEXT) | instid1(VALU_DEP_1)
	v_add_f32_e32 v25, 1.0, v24
	v_cvt_f64_f32_e32 v[22:23], v25
	s_delay_alu instid0(VALU_DEP_1) | instskip(SKIP_1) | instid1(VALU_DEP_1)
	v_frexp_exp_i32_f64_e32 v22, v[22:23]
	v_frexp_mant_f32_e32 v23, v25
	v_cmp_gt_f32_e64 s0, 0x3f2aaaab, v23
	v_add_f32_e32 v23, -1.0, v25
	s_delay_alu instid0(VALU_DEP_1)
	v_sub_f32_e32 v27, v23, v25
	v_sub_f32_e32 v23, v24, v23
	s_wait_alu 0xf1ff
	v_subrev_co_ci_u32_e64 v22, null, 0, v22, s0
	s_mov_b32 s0, 0x3e9b6dac
	v_sub_nc_u32_e32 v26, 0, v22
	v_cvt_f32_i32_e32 v22, v22
	s_delay_alu instid0(VALU_DEP_2) | instskip(NEXT) | instid1(VALU_DEP_1)
	v_ldexp_f32 v25, v25, v26
	v_dual_add_f32 v28, 1.0, v25 :: v_dual_add_f32 v27, 1.0, v27
	s_delay_alu instid0(VALU_DEP_1) | instskip(NEXT) | instid1(VALU_DEP_2)
	v_add_f32_e32 v23, v23, v27
	v_add_f32_e32 v27, -1.0, v28
	s_delay_alu instid0(VALU_DEP_2) | instskip(NEXT) | instid1(VALU_DEP_2)
	v_ldexp_f32 v23, v23, v26
	v_dual_add_f32 v26, -1.0, v25 :: v_dual_sub_f32 v27, v25, v27
	s_delay_alu instid0(VALU_DEP_1) | instskip(NEXT) | instid1(VALU_DEP_2)
	v_add_f32_e32 v29, 1.0, v26
	v_add_f32_e32 v27, v23, v27
	s_delay_alu instid0(VALU_DEP_2) | instskip(NEXT) | instid1(VALU_DEP_2)
	v_sub_f32_e32 v25, v25, v29
	v_add_f32_e32 v29, v28, v27
	s_delay_alu instid0(VALU_DEP_2) | instskip(NEXT) | instid1(VALU_DEP_2)
	v_add_f32_e32 v23, v23, v25
	v_rcp_f32_e32 v25, v29
	v_sub_f32_e32 v28, v28, v29
	s_delay_alu instid0(VALU_DEP_1) | instskip(NEXT) | instid1(VALU_DEP_1)
	v_dual_add_f32 v30, v26, v23 :: v_dual_add_f32 v27, v27, v28
	v_sub_f32_e32 v26, v26, v30
	s_delay_alu instid0(TRANS32_DEP_1) | instskip(NEXT) | instid1(VALU_DEP_1)
	v_mul_f32_e32 v31, v30, v25
	v_dual_add_f32 v23, v23, v26 :: v_dual_mul_f32 v32, v29, v31
	s_delay_alu instid0(VALU_DEP_1) | instskip(NEXT) | instid1(VALU_DEP_1)
	v_fma_f32 v28, v31, v29, -v32
	v_fmac_f32_e32 v28, v31, v27
	s_delay_alu instid0(VALU_DEP_1) | instskip(NEXT) | instid1(VALU_DEP_1)
	v_add_f32_e32 v33, v32, v28
	v_sub_f32_e32 v34, v30, v33
	v_sub_f32_e32 v26, v33, v32
	s_delay_alu instid0(VALU_DEP_2) | instskip(NEXT) | instid1(VALU_DEP_2)
	v_sub_f32_e32 v30, v30, v34
	v_sub_f32_e32 v26, v26, v28
	s_delay_alu instid0(VALU_DEP_2) | instskip(NEXT) | instid1(VALU_DEP_1)
	v_sub_f32_e32 v30, v30, v33
	v_add_f32_e32 v23, v23, v30
	s_delay_alu instid0(VALU_DEP_1) | instskip(NEXT) | instid1(VALU_DEP_1)
	v_add_f32_e32 v23, v26, v23
	v_add_f32_e32 v26, v34, v23
	s_delay_alu instid0(VALU_DEP_1) | instskip(NEXT) | instid1(VALU_DEP_1)
	v_mul_f32_e32 v28, v25, v26
	v_dual_sub_f32 v33, v34, v26 :: v_dual_mul_f32 v30, v29, v28
	s_delay_alu instid0(VALU_DEP_1) | instskip(NEXT) | instid1(VALU_DEP_2)
	v_add_f32_e32 v23, v23, v33
	v_fma_f32 v29, v28, v29, -v30
	s_delay_alu instid0(VALU_DEP_1) | instskip(NEXT) | instid1(VALU_DEP_1)
	v_fmac_f32_e32 v29, v28, v27
	v_add_f32_e32 v27, v30, v29
	s_delay_alu instid0(VALU_DEP_1) | instskip(SKIP_1) | instid1(VALU_DEP_2)
	v_sub_f32_e32 v32, v26, v27
	v_sub_f32_e32 v30, v27, v30
	;; [unrolled: 1-line block ×3, first 2 shown]
	s_delay_alu instid0(VALU_DEP_1) | instskip(NEXT) | instid1(VALU_DEP_3)
	v_sub_f32_e32 v26, v26, v27
	v_sub_f32_e32 v27, v30, v29
	s_delay_alu instid0(VALU_DEP_2) | instskip(SKIP_1) | instid1(VALU_DEP_2)
	v_add_f32_e32 v23, v23, v26
	v_add_f32_e32 v26, v31, v28
	;; [unrolled: 1-line block ×3, first 2 shown]
	s_delay_alu instid0(VALU_DEP_2) | instskip(NEXT) | instid1(VALU_DEP_2)
	v_sub_f32_e32 v27, v26, v31
	v_add_f32_e32 v23, v32, v23
	s_delay_alu instid0(VALU_DEP_2) | instskip(NEXT) | instid1(VALU_DEP_2)
	v_sub_f32_e32 v27, v28, v27
	v_mul_f32_e32 v23, v25, v23
	s_delay_alu instid0(VALU_DEP_1) | instskip(NEXT) | instid1(VALU_DEP_1)
	v_add_f32_e32 v23, v27, v23
	v_add_f32_e32 v25, v26, v23
	s_delay_alu instid0(VALU_DEP_1) | instskip(SKIP_1) | instid1(VALU_DEP_1)
	v_mul_f32_e32 v27, v25, v25
	s_wait_alu 0xfffe
	v_fmaak_f32 v28, s0, v27, 0x3ecc95a3
	v_mul_f32_e32 v29, v25, v27
	v_cmp_neq_f32_e64 s0, 0x7f800000, v24
	s_delay_alu instid0(VALU_DEP_3) | instskip(SKIP_2) | instid1(VALU_DEP_3)
	v_fmaak_f32 v27, v27, v28, 0x3f2aaada
	v_ldexp_f32 v28, v25, 1
	v_sub_f32_e32 v25, v25, v26
	v_mul_f32_e32 v27, v29, v27
	v_mul_f32_e32 v29, 0x3f317218, v22
	s_delay_alu instid0(VALU_DEP_2) | instskip(NEXT) | instid1(VALU_DEP_1)
	v_dual_sub_f32 v23, v23, v25 :: v_dual_add_f32 v26, v28, v27
	v_ldexp_f32 v23, v23, 1
	s_delay_alu instid0(VALU_DEP_2) | instskip(NEXT) | instid1(VALU_DEP_4)
	v_sub_f32_e32 v25, v26, v28
	v_fma_f32 v28, 0x3f317218, v22, -v29
	s_delay_alu instid0(VALU_DEP_1) | instskip(NEXT) | instid1(VALU_DEP_1)
	v_dual_sub_f32 v25, v27, v25 :: v_dual_fmamk_f32 v22, v22, 0xb102e308, v28
	v_add_f32_e32 v23, v23, v25
	s_delay_alu instid0(VALU_DEP_2) | instskip(NEXT) | instid1(VALU_DEP_2)
	v_add_f32_e32 v25, v29, v22
	v_add_f32_e32 v27, v26, v23
	s_delay_alu instid0(VALU_DEP_2) | instskip(NEXT) | instid1(VALU_DEP_2)
	v_sub_f32_e32 v29, v25, v29
	v_add_f32_e32 v28, v25, v27
	v_sub_f32_e32 v26, v27, v26
	s_delay_alu instid0(VALU_DEP_3) | instskip(NEXT) | instid1(VALU_DEP_2)
	v_sub_f32_e32 v22, v22, v29
	v_dual_sub_f32 v30, v28, v25 :: v_dual_sub_f32 v23, v23, v26
	s_delay_alu instid0(VALU_DEP_1) | instskip(NEXT) | instid1(VALU_DEP_2)
	v_sub_f32_e32 v31, v28, v30
	v_dual_sub_f32 v26, v27, v30 :: v_dual_add_f32 v27, v22, v23
	s_delay_alu instid0(VALU_DEP_2) | instskip(NEXT) | instid1(VALU_DEP_1)
	v_sub_f32_e32 v25, v25, v31
	v_dual_add_f32 v25, v26, v25 :: v_dual_sub_f32 v26, v27, v22
	s_delay_alu instid0(VALU_DEP_1) | instskip(NEXT) | instid1(VALU_DEP_2)
	v_add_f32_e32 v25, v27, v25
	v_sub_f32_e32 v27, v27, v26
	v_sub_f32_e32 v23, v23, v26
	s_delay_alu instid0(VALU_DEP_2) | instskip(NEXT) | instid1(VALU_DEP_1)
	v_dual_add_f32 v29, v28, v25 :: v_dual_sub_f32 v22, v22, v27
	v_sub_f32_e32 v26, v29, v28
	s_delay_alu instid0(VALU_DEP_2) | instskip(NEXT) | instid1(VALU_DEP_2)
	v_add_f32_e32 v22, v23, v22
	v_sub_f32_e32 v23, v25, v26
	s_delay_alu instid0(VALU_DEP_1) | instskip(NEXT) | instid1(VALU_DEP_1)
	v_add_f32_e32 v22, v22, v23
	v_add_f32_e32 v22, v29, v22
	s_wait_alu 0xf1ff
	s_delay_alu instid0(VALU_DEP_1) | instskip(SKIP_2) | instid1(VALU_DEP_1)
	v_cndmask_b32_e64 v22, 0x7f800000, v22, s0
	v_cmp_gt_f32_e64 s0, 0x33800000, |v24|
	s_wait_alu 0xf1ff
	v_cndmask_b32_e64 v22, v22, v24, s0
	s_delay_alu instid0(VALU_DEP_1)
	v_add_f32_e32 v22, v21, v22
.LBB148_52:
	s_or_b32 exec_lo, exec_lo, s16
	s_delay_alu instid0(VALU_DEP_1)
	v_mov_b32_e32 v21, v22
.LBB148_53:
	s_wait_alu 0xfffe
	s_or_b32 exec_lo, exec_lo, s13
	s_delay_alu instid0(VALU_DEP_1)
	v_mov_b32_dpp v22, v21 row_shr:4 row_mask:0xf bank_mask:0xf
	s_mov_b32 s13, exec_lo
	v_cmpx_lt_u32_e32 3, v20
	s_cbranch_execz .LBB148_57
; %bb.54:
	s_delay_alu instid0(VALU_DEP_2) | instskip(SKIP_1) | instid1(VALU_DEP_2)
	v_dual_max_num_f32 v20, v21, v21 :: v_dual_max_num_f32 v23, v22, v22
	v_cmp_u_f32_e64 s0, v22, v22
	v_min_num_f32_e32 v24, v23, v20
	v_max_num_f32_e32 v20, v23, v20
	s_wait_alu 0xf1ff
	s_delay_alu instid0(VALU_DEP_2) | instskip(NEXT) | instid1(VALU_DEP_2)
	v_cndmask_b32_e64 v23, v24, v22, s0
	v_cndmask_b32_e64 v20, v20, v22, s0
	v_cmp_u_f32_e64 s0, v21, v21
	s_wait_alu 0xf1ff
	s_delay_alu instid0(VALU_DEP_1) | instskip(NEXT) | instid1(VALU_DEP_3)
	v_cndmask_b32_e64 v23, v23, v21, s0
	v_cndmask_b32_e64 v20, v20, v21, s0
	s_delay_alu instid0(VALU_DEP_2) | instskip(NEXT) | instid1(VALU_DEP_2)
	v_cmp_class_f32_e64 s16, v23, 0x1f8
	v_cmp_neq_f32_e64 s0, v23, v20
	s_or_b32 s0, s0, s16
	s_wait_alu 0xfffe
	s_and_saveexec_b32 s16, s0
	s_cbranch_execz .LBB148_56
; %bb.55:
	v_sub_f32_e32 v21, v23, v20
	s_delay_alu instid0(VALU_DEP_1) | instskip(NEXT) | instid1(VALU_DEP_1)
	v_mul_f32_e32 v22, 0x3fb8aa3b, v21
	v_fma_f32 v23, 0x3fb8aa3b, v21, -v22
	v_rndne_f32_e32 v24, v22
	s_delay_alu instid0(VALU_DEP_1) | instskip(NEXT) | instid1(VALU_DEP_1)
	v_dual_fmamk_f32 v23, v21, 0x32a5705f, v23 :: v_dual_sub_f32 v22, v22, v24
	v_add_f32_e32 v22, v22, v23
	v_cvt_i32_f32_e32 v23, v24
	v_cmp_ngt_f32_e64 s0, 0xc2ce8ed0, v21
	s_delay_alu instid0(VALU_DEP_3) | instskip(NEXT) | instid1(TRANS32_DEP_1)
	v_exp_f32_e32 v22, v22
	v_ldexp_f32 v22, v22, v23
	s_wait_alu 0xf1ff
	s_delay_alu instid0(VALU_DEP_1) | instskip(SKIP_2) | instid1(VALU_DEP_1)
	v_cndmask_b32_e64 v22, 0, v22, s0
	v_cmp_nlt_f32_e64 s0, 0x42b17218, v21
	s_wait_alu 0xf1ff
	v_cndmask_b32_e64 v23, 0x7f800000, v22, s0
	s_delay_alu instid0(VALU_DEP_1) | instskip(NEXT) | instid1(VALU_DEP_1)
	v_add_f32_e32 v24, 1.0, v23
	v_cvt_f64_f32_e32 v[21:22], v24
	s_delay_alu instid0(VALU_DEP_1) | instskip(SKIP_1) | instid1(VALU_DEP_1)
	v_frexp_exp_i32_f64_e32 v21, v[21:22]
	v_frexp_mant_f32_e32 v22, v24
	v_cmp_gt_f32_e64 s0, 0x3f2aaaab, v22
	v_add_f32_e32 v22, -1.0, v24
	s_delay_alu instid0(VALU_DEP_1) | instskip(SKIP_1) | instid1(VALU_DEP_3)
	v_sub_f32_e32 v26, v22, v24
	s_wait_alu 0xf1ff
	v_subrev_co_ci_u32_e64 v21, null, 0, v21, s0
	s_mov_b32 s0, 0x3e9b6dac
	v_sub_nc_u32_e32 v25, 0, v21
	v_cvt_f32_i32_e32 v21, v21
	s_delay_alu instid0(VALU_DEP_2) | instskip(NEXT) | instid1(VALU_DEP_1)
	v_ldexp_f32 v24, v24, v25
	v_dual_sub_f32 v22, v23, v22 :: v_dual_add_f32 v27, 1.0, v24
	v_add_f32_e32 v26, 1.0, v26
	s_delay_alu instid0(VALU_DEP_1) | instskip(NEXT) | instid1(VALU_DEP_3)
	v_add_f32_e32 v22, v22, v26
	v_add_f32_e32 v26, -1.0, v27
	s_delay_alu instid0(VALU_DEP_2) | instskip(NEXT) | instid1(VALU_DEP_2)
	v_ldexp_f32 v22, v22, v25
	v_dual_add_f32 v25, -1.0, v24 :: v_dual_sub_f32 v26, v24, v26
	s_delay_alu instid0(VALU_DEP_1) | instskip(NEXT) | instid1(VALU_DEP_2)
	v_add_f32_e32 v28, 1.0, v25
	v_add_f32_e32 v26, v22, v26
	s_delay_alu instid0(VALU_DEP_2) | instskip(NEXT) | instid1(VALU_DEP_2)
	v_sub_f32_e32 v24, v24, v28
	v_add_f32_e32 v28, v27, v26
	s_delay_alu instid0(VALU_DEP_2) | instskip(NEXT) | instid1(VALU_DEP_2)
	v_add_f32_e32 v22, v22, v24
	v_rcp_f32_e32 v24, v28
	v_sub_f32_e32 v27, v27, v28
	s_delay_alu instid0(VALU_DEP_1) | instskip(NEXT) | instid1(VALU_DEP_1)
	v_dual_add_f32 v29, v25, v22 :: v_dual_add_f32 v26, v26, v27
	v_sub_f32_e32 v25, v25, v29
	s_delay_alu instid0(TRANS32_DEP_1) | instskip(NEXT) | instid1(VALU_DEP_1)
	v_mul_f32_e32 v30, v29, v24
	v_dual_add_f32 v22, v22, v25 :: v_dual_mul_f32 v31, v28, v30
	s_delay_alu instid0(VALU_DEP_1) | instskip(NEXT) | instid1(VALU_DEP_1)
	v_fma_f32 v27, v30, v28, -v31
	v_fmac_f32_e32 v27, v30, v26
	s_delay_alu instid0(VALU_DEP_1) | instskip(NEXT) | instid1(VALU_DEP_1)
	v_add_f32_e32 v32, v31, v27
	v_sub_f32_e32 v33, v29, v32
	v_sub_f32_e32 v25, v32, v31
	s_delay_alu instid0(VALU_DEP_2) | instskip(NEXT) | instid1(VALU_DEP_2)
	v_sub_f32_e32 v29, v29, v33
	v_sub_f32_e32 v25, v25, v27
	s_delay_alu instid0(VALU_DEP_2) | instskip(NEXT) | instid1(VALU_DEP_1)
	v_sub_f32_e32 v29, v29, v32
	v_add_f32_e32 v22, v22, v29
	s_delay_alu instid0(VALU_DEP_1) | instskip(NEXT) | instid1(VALU_DEP_1)
	v_add_f32_e32 v22, v25, v22
	v_add_f32_e32 v25, v33, v22
	s_delay_alu instid0(VALU_DEP_1) | instskip(NEXT) | instid1(VALU_DEP_1)
	v_mul_f32_e32 v27, v24, v25
	v_dual_sub_f32 v32, v33, v25 :: v_dual_mul_f32 v29, v28, v27
	s_delay_alu instid0(VALU_DEP_1) | instskip(NEXT) | instid1(VALU_DEP_2)
	v_add_f32_e32 v22, v22, v32
	v_fma_f32 v28, v27, v28, -v29
	s_delay_alu instid0(VALU_DEP_1) | instskip(NEXT) | instid1(VALU_DEP_1)
	v_fmac_f32_e32 v28, v27, v26
	v_add_f32_e32 v26, v29, v28
	s_delay_alu instid0(VALU_DEP_1) | instskip(SKIP_1) | instid1(VALU_DEP_2)
	v_sub_f32_e32 v31, v25, v26
	v_sub_f32_e32 v29, v26, v29
	;; [unrolled: 1-line block ×3, first 2 shown]
	s_delay_alu instid0(VALU_DEP_1) | instskip(NEXT) | instid1(VALU_DEP_3)
	v_sub_f32_e32 v25, v25, v26
	v_sub_f32_e32 v26, v29, v28
	s_delay_alu instid0(VALU_DEP_2) | instskip(SKIP_1) | instid1(VALU_DEP_2)
	v_add_f32_e32 v22, v22, v25
	v_add_f32_e32 v25, v30, v27
	;; [unrolled: 1-line block ×3, first 2 shown]
	s_delay_alu instid0(VALU_DEP_2) | instskip(NEXT) | instid1(VALU_DEP_2)
	v_sub_f32_e32 v26, v25, v30
	v_add_f32_e32 v22, v31, v22
	s_delay_alu instid0(VALU_DEP_2) | instskip(NEXT) | instid1(VALU_DEP_2)
	v_sub_f32_e32 v26, v27, v26
	v_mul_f32_e32 v22, v24, v22
	s_delay_alu instid0(VALU_DEP_1) | instskip(NEXT) | instid1(VALU_DEP_1)
	v_add_f32_e32 v22, v26, v22
	v_add_f32_e32 v24, v25, v22
	s_delay_alu instid0(VALU_DEP_1) | instskip(SKIP_1) | instid1(VALU_DEP_1)
	v_mul_f32_e32 v26, v24, v24
	s_wait_alu 0xfffe
	v_fmaak_f32 v27, s0, v26, 0x3ecc95a3
	v_mul_f32_e32 v28, v24, v26
	v_cmp_neq_f32_e64 s0, 0x7f800000, v23
	s_delay_alu instid0(VALU_DEP_3) | instskip(SKIP_2) | instid1(VALU_DEP_3)
	v_fmaak_f32 v26, v26, v27, 0x3f2aaada
	v_ldexp_f32 v27, v24, 1
	v_sub_f32_e32 v24, v24, v25
	v_mul_f32_e32 v26, v28, v26
	v_mul_f32_e32 v28, 0x3f317218, v21
	s_delay_alu instid0(VALU_DEP_2) | instskip(NEXT) | instid1(VALU_DEP_1)
	v_dual_sub_f32 v22, v22, v24 :: v_dual_add_f32 v25, v27, v26
	v_ldexp_f32 v22, v22, 1
	s_delay_alu instid0(VALU_DEP_2) | instskip(NEXT) | instid1(VALU_DEP_4)
	v_sub_f32_e32 v24, v25, v27
	v_fma_f32 v27, 0x3f317218, v21, -v28
	s_delay_alu instid0(VALU_DEP_1) | instskip(NEXT) | instid1(VALU_DEP_1)
	v_dual_sub_f32 v24, v26, v24 :: v_dual_fmamk_f32 v21, v21, 0xb102e308, v27
	v_add_f32_e32 v22, v22, v24
	s_delay_alu instid0(VALU_DEP_2) | instskip(NEXT) | instid1(VALU_DEP_2)
	v_add_f32_e32 v24, v28, v21
	v_add_f32_e32 v26, v25, v22
	s_delay_alu instid0(VALU_DEP_2) | instskip(NEXT) | instid1(VALU_DEP_2)
	v_sub_f32_e32 v28, v24, v28
	v_add_f32_e32 v27, v24, v26
	v_sub_f32_e32 v25, v26, v25
	s_delay_alu instid0(VALU_DEP_3) | instskip(NEXT) | instid1(VALU_DEP_2)
	v_sub_f32_e32 v21, v21, v28
	v_dual_sub_f32 v29, v27, v24 :: v_dual_sub_f32 v22, v22, v25
	s_delay_alu instid0(VALU_DEP_1) | instskip(NEXT) | instid1(VALU_DEP_2)
	v_sub_f32_e32 v30, v27, v29
	v_dual_sub_f32 v25, v26, v29 :: v_dual_add_f32 v26, v21, v22
	s_delay_alu instid0(VALU_DEP_2) | instskip(NEXT) | instid1(VALU_DEP_1)
	v_sub_f32_e32 v24, v24, v30
	v_dual_add_f32 v24, v25, v24 :: v_dual_sub_f32 v25, v26, v21
	s_delay_alu instid0(VALU_DEP_1) | instskip(NEXT) | instid1(VALU_DEP_2)
	v_add_f32_e32 v24, v26, v24
	v_sub_f32_e32 v26, v26, v25
	v_sub_f32_e32 v22, v22, v25
	s_delay_alu instid0(VALU_DEP_2) | instskip(NEXT) | instid1(VALU_DEP_1)
	v_dual_add_f32 v28, v27, v24 :: v_dual_sub_f32 v21, v21, v26
	v_sub_f32_e32 v25, v28, v27
	s_delay_alu instid0(VALU_DEP_2) | instskip(NEXT) | instid1(VALU_DEP_2)
	v_add_f32_e32 v21, v22, v21
	v_sub_f32_e32 v22, v24, v25
	s_delay_alu instid0(VALU_DEP_1) | instskip(NEXT) | instid1(VALU_DEP_1)
	v_add_f32_e32 v21, v21, v22
	v_add_f32_e32 v21, v28, v21
	s_wait_alu 0xf1ff
	s_delay_alu instid0(VALU_DEP_1) | instskip(SKIP_2) | instid1(VALU_DEP_1)
	v_cndmask_b32_e64 v21, 0x7f800000, v21, s0
	v_cmp_gt_f32_e64 s0, 0x33800000, |v23|
	s_wait_alu 0xf1ff
	v_cndmask_b32_e64 v21, v21, v23, s0
	s_delay_alu instid0(VALU_DEP_1)
	v_add_f32_e32 v22, v20, v21
.LBB148_56:
	s_or_b32 exec_lo, exec_lo, s16
	s_delay_alu instid0(VALU_DEP_1)
	v_mov_b32_e32 v21, v22
.LBB148_57:
	s_wait_alu 0xfffe
	s_or_b32 exec_lo, exec_lo, s13
	ds_store_b32 v7, v21
.LBB148_58:
	s_wait_alu 0xfffe
	s_or_b32 exec_lo, exec_lo, s1
	s_delay_alu instid0(SALU_CYCLE_1)
	s_mov_b32 s1, exec_lo
	s_wait_loadcnt_dscnt 0x0
	s_barrier_signal -1
	s_barrier_wait -1
	global_inv scope:SCOPE_SE
                                        ; implicit-def: $vgpr20
	v_cmpx_lt_u32_e32 31, v0
	s_cbranch_execz .LBB148_62
; %bb.59:
	v_lshl_add_u32 v19, v19, 2, -4
	ds_load_b32 v20, v19
	v_max_num_f32_e32 v19, v18, v18
	s_wait_dscnt 0x0
	v_max_num_f32_e32 v21, v20, v20
	v_cmp_u_f32_e64 s0, v20, v20
	s_delay_alu instid0(VALU_DEP_2) | instskip(SKIP_2) | instid1(VALU_DEP_2)
	v_min_num_f32_e32 v22, v21, v19
	v_max_num_f32_e32 v19, v21, v19
	s_wait_alu 0xf1ff
	v_cndmask_b32_e64 v21, v22, v20, s0
	s_delay_alu instid0(VALU_DEP_2) | instskip(SKIP_2) | instid1(VALU_DEP_1)
	v_cndmask_b32_e64 v19, v19, v20, s0
	v_cmp_u_f32_e64 s0, v18, v18
	s_wait_alu 0xf1ff
	v_cndmask_b32_e64 v21, v21, v18, s0
	s_delay_alu instid0(VALU_DEP_3) | instskip(SKIP_1) | instid1(VALU_DEP_3)
	v_cndmask_b32_e64 v19, v19, v18, s0
	v_mov_b32_e32 v18, v20
	v_cmp_class_f32_e64 s13, v21, 0x1f8
	s_delay_alu instid0(VALU_DEP_3)
	v_cmp_neq_f32_e64 s0, v21, v19
	s_or_b32 s0, s0, s13
	s_wait_alu 0xfffe
	s_and_saveexec_b32 s13, s0
	s_cbranch_execz .LBB148_61
; %bb.60:
	v_sub_f32_e32 v18, v21, v19
	s_delay_alu instid0(VALU_DEP_1) | instskip(SKIP_1) | instid1(VALU_DEP_2)
	v_mul_f32_e32 v21, 0x3fb8aa3b, v18
	v_cmp_ngt_f32_e64 s0, 0xc2ce8ed0, v18
	v_fma_f32 v22, 0x3fb8aa3b, v18, -v21
	v_rndne_f32_e32 v23, v21
	s_delay_alu instid0(VALU_DEP_1) | instskip(NEXT) | instid1(VALU_DEP_1)
	v_dual_fmamk_f32 v22, v18, 0x32a5705f, v22 :: v_dual_sub_f32 v21, v21, v23
	v_add_f32_e32 v21, v21, v22
	v_cvt_i32_f32_e32 v22, v23
	s_delay_alu instid0(VALU_DEP_2) | instskip(NEXT) | instid1(TRANS32_DEP_1)
	v_exp_f32_e32 v21, v21
	v_ldexp_f32 v21, v21, v22
	s_wait_alu 0xf1ff
	s_delay_alu instid0(VALU_DEP_1) | instskip(SKIP_2) | instid1(VALU_DEP_1)
	v_cndmask_b32_e64 v21, 0, v21, s0
	v_cmp_nlt_f32_e64 s0, 0x42b17218, v18
	s_wait_alu 0xf1ff
	v_cndmask_b32_e64 v18, 0x7f800000, v21, s0
	s_delay_alu instid0(VALU_DEP_1) | instskip(NEXT) | instid1(VALU_DEP_1)
	v_add_f32_e32 v23, 1.0, v18
	v_cvt_f64_f32_e32 v[21:22], v23
	s_delay_alu instid0(VALU_DEP_1) | instskip(SKIP_1) | instid1(VALU_DEP_1)
	v_frexp_exp_i32_f64_e32 v21, v[21:22]
	v_frexp_mant_f32_e32 v22, v23
	v_cmp_gt_f32_e64 s0, 0x3f2aaaab, v22
	v_add_f32_e32 v22, -1.0, v23
	s_delay_alu instid0(VALU_DEP_1) | instskip(NEXT) | instid1(VALU_DEP_1)
	v_sub_f32_e32 v25, v22, v23
	v_dual_sub_f32 v22, v18, v22 :: v_dual_add_f32 v25, 1.0, v25
	s_delay_alu instid0(VALU_DEP_1)
	v_add_f32_e32 v22, v22, v25
	s_wait_alu 0xf1ff
	v_subrev_co_ci_u32_e64 v21, null, 0, v21, s0
	s_mov_b32 s0, 0x3e9b6dac
	v_sub_nc_u32_e32 v24, 0, v21
	v_cvt_f32_i32_e32 v21, v21
	s_delay_alu instid0(VALU_DEP_2) | instskip(SKIP_1) | instid1(VALU_DEP_2)
	v_ldexp_f32 v23, v23, v24
	v_ldexp_f32 v22, v22, v24
	v_add_f32_e32 v26, 1.0, v23
	s_delay_alu instid0(VALU_DEP_1) | instskip(NEXT) | instid1(VALU_DEP_1)
	v_dual_add_f32 v24, -1.0, v23 :: v_dual_add_f32 v25, -1.0, v26
	v_add_f32_e32 v27, 1.0, v24
	s_delay_alu instid0(VALU_DEP_2) | instskip(NEXT) | instid1(VALU_DEP_2)
	v_sub_f32_e32 v25, v23, v25
	v_sub_f32_e32 v23, v23, v27
	s_delay_alu instid0(VALU_DEP_2) | instskip(NEXT) | instid1(VALU_DEP_2)
	v_add_f32_e32 v25, v22, v25
	v_add_f32_e32 v22, v22, v23
	s_delay_alu instid0(VALU_DEP_1) | instskip(NEXT) | instid1(VALU_DEP_1)
	v_dual_add_f32 v28, v24, v22 :: v_dual_add_f32 v27, v26, v25
	v_sub_f32_e32 v24, v24, v28
	s_delay_alu instid0(VALU_DEP_2) | instskip(SKIP_1) | instid1(VALU_DEP_1)
	v_rcp_f32_e32 v23, v27
	v_sub_f32_e32 v26, v26, v27
	v_dual_add_f32 v22, v22, v24 :: v_dual_add_f32 v25, v25, v26
	s_delay_alu instid0(TRANS32_DEP_1) | instskip(NEXT) | instid1(VALU_DEP_1)
	v_mul_f32_e32 v29, v28, v23
	v_mul_f32_e32 v30, v27, v29
	s_delay_alu instid0(VALU_DEP_1) | instskip(NEXT) | instid1(VALU_DEP_1)
	v_fma_f32 v26, v29, v27, -v30
	v_fmac_f32_e32 v26, v29, v25
	s_delay_alu instid0(VALU_DEP_1) | instskip(NEXT) | instid1(VALU_DEP_1)
	v_add_f32_e32 v31, v30, v26
	v_sub_f32_e32 v32, v28, v31
	s_delay_alu instid0(VALU_DEP_1) | instskip(SKIP_1) | instid1(VALU_DEP_2)
	v_sub_f32_e32 v28, v28, v32
	v_sub_f32_e32 v24, v31, v30
	;; [unrolled: 1-line block ×3, first 2 shown]
	s_delay_alu instid0(VALU_DEP_2) | instskip(NEXT) | instid1(VALU_DEP_2)
	v_sub_f32_e32 v24, v24, v26
	v_add_f32_e32 v22, v22, v28
	s_delay_alu instid0(VALU_DEP_1) | instskip(NEXT) | instid1(VALU_DEP_1)
	v_add_f32_e32 v22, v24, v22
	v_add_f32_e32 v24, v32, v22
	s_delay_alu instid0(VALU_DEP_1) | instskip(NEXT) | instid1(VALU_DEP_1)
	v_mul_f32_e32 v26, v23, v24
	v_dual_sub_f32 v31, v32, v24 :: v_dual_mul_f32 v28, v27, v26
	s_delay_alu instid0(VALU_DEP_1) | instskip(NEXT) | instid1(VALU_DEP_2)
	v_add_f32_e32 v22, v22, v31
	v_fma_f32 v27, v26, v27, -v28
	s_delay_alu instid0(VALU_DEP_1) | instskip(NEXT) | instid1(VALU_DEP_1)
	v_fmac_f32_e32 v27, v26, v25
	v_add_f32_e32 v25, v28, v27
	s_delay_alu instid0(VALU_DEP_1) | instskip(SKIP_1) | instid1(VALU_DEP_2)
	v_sub_f32_e32 v30, v24, v25
	v_sub_f32_e32 v28, v25, v28
	;; [unrolled: 1-line block ×3, first 2 shown]
	s_delay_alu instid0(VALU_DEP_1) | instskip(NEXT) | instid1(VALU_DEP_1)
	v_sub_f32_e32 v24, v24, v25
	v_dual_sub_f32 v25, v28, v27 :: v_dual_add_f32 v22, v22, v24
	v_add_f32_e32 v24, v29, v26
	s_delay_alu instid0(VALU_DEP_1) | instskip(NEXT) | instid1(VALU_DEP_1)
	v_dual_add_f32 v22, v25, v22 :: v_dual_sub_f32 v25, v24, v29
	v_add_f32_e32 v22, v30, v22
	s_delay_alu instid0(VALU_DEP_1) | instskip(NEXT) | instid1(VALU_DEP_1)
	v_dual_sub_f32 v25, v26, v25 :: v_dual_mul_f32 v22, v23, v22
	v_add_f32_e32 v22, v25, v22
	s_delay_alu instid0(VALU_DEP_1) | instskip(NEXT) | instid1(VALU_DEP_1)
	v_add_f32_e32 v23, v24, v22
	v_mul_f32_e32 v25, v23, v23
	s_wait_alu 0xfffe
	s_delay_alu instid0(VALU_DEP_1) | instskip(SKIP_2) | instid1(VALU_DEP_3)
	v_fmaak_f32 v26, s0, v25, 0x3ecc95a3
	v_mul_f32_e32 v27, v23, v25
	v_cmp_neq_f32_e64 s0, 0x7f800000, v18
	v_fmaak_f32 v25, v25, v26, 0x3f2aaada
	v_ldexp_f32 v26, v23, 1
	v_sub_f32_e32 v23, v23, v24
	s_delay_alu instid0(VALU_DEP_3) | instskip(NEXT) | instid1(VALU_DEP_2)
	v_mul_f32_e32 v25, v27, v25
	v_dual_mul_f32 v27, 0x3f317218, v21 :: v_dual_sub_f32 v22, v22, v23
	s_delay_alu instid0(VALU_DEP_2) | instskip(NEXT) | instid1(VALU_DEP_2)
	v_add_f32_e32 v24, v26, v25
	v_ldexp_f32 v22, v22, 1
	s_delay_alu instid0(VALU_DEP_2) | instskip(NEXT) | instid1(VALU_DEP_4)
	v_sub_f32_e32 v23, v24, v26
	v_fma_f32 v26, 0x3f317218, v21, -v27
	s_delay_alu instid0(VALU_DEP_2) | instskip(NEXT) | instid1(VALU_DEP_1)
	v_sub_f32_e32 v23, v25, v23
	v_dual_fmamk_f32 v21, v21, 0xb102e308, v26 :: v_dual_add_f32 v22, v22, v23
	s_delay_alu instid0(VALU_DEP_1) | instskip(NEXT) | instid1(VALU_DEP_1)
	v_add_f32_e32 v23, v27, v21
	v_sub_f32_e32 v27, v23, v27
	s_delay_alu instid0(VALU_DEP_1) | instskip(NEXT) | instid1(VALU_DEP_4)
	v_sub_f32_e32 v21, v21, v27
	v_add_f32_e32 v25, v24, v22
	s_delay_alu instid0(VALU_DEP_1) | instskip(NEXT) | instid1(VALU_DEP_1)
	v_sub_f32_e32 v24, v25, v24
	v_sub_f32_e32 v22, v22, v24
	v_add_f32_e32 v26, v23, v25
	s_delay_alu instid0(VALU_DEP_1) | instskip(NEXT) | instid1(VALU_DEP_1)
	v_sub_f32_e32 v28, v26, v23
	v_sub_f32_e32 v24, v25, v28
	s_delay_alu instid0(VALU_DEP_4) | instskip(SKIP_1) | instid1(VALU_DEP_1)
	v_add_f32_e32 v25, v21, v22
	v_sub_f32_e32 v29, v26, v28
	v_sub_f32_e32 v23, v23, v29
	s_delay_alu instid0(VALU_DEP_1) | instskip(NEXT) | instid1(VALU_DEP_1)
	v_dual_add_f32 v23, v24, v23 :: v_dual_sub_f32 v24, v25, v21
	v_dual_add_f32 v23, v25, v23 :: v_dual_sub_f32 v22, v22, v24
	v_sub_f32_e32 v25, v25, v24
	s_delay_alu instid0(VALU_DEP_2) | instskip(NEXT) | instid1(VALU_DEP_1)
	v_add_f32_e32 v27, v26, v23
	v_dual_sub_f32 v21, v21, v25 :: v_dual_sub_f32 v24, v27, v26
	s_delay_alu instid0(VALU_DEP_1) | instskip(NEXT) | instid1(VALU_DEP_1)
	v_dual_add_f32 v21, v22, v21 :: v_dual_sub_f32 v22, v23, v24
	v_add_f32_e32 v21, v21, v22
	s_delay_alu instid0(VALU_DEP_1) | instskip(SKIP_1) | instid1(VALU_DEP_1)
	v_add_f32_e32 v21, v27, v21
	s_wait_alu 0xf1ff
	v_cndmask_b32_e64 v21, 0x7f800000, v21, s0
	v_cmp_gt_f32_e64 s0, 0x33800000, |v18|
	s_wait_alu 0xf1ff
	s_delay_alu instid0(VALU_DEP_1) | instskip(NEXT) | instid1(VALU_DEP_1)
	v_cndmask_b32_e64 v18, v21, v18, s0
	v_add_f32_e32 v18, v19, v18
.LBB148_61:
	s_wait_alu 0xfffe
	s_or_b32 exec_lo, exec_lo, s13
.LBB148_62:
	s_wait_alu 0xfffe
	s_or_b32 exec_lo, exec_lo, s1
	v_add_nc_u32_e32 v19, -1, v17
	s_mov_b32 s1, exec_lo
	s_delay_alu instid0(VALU_DEP_1) | instskip(SKIP_1) | instid1(VALU_DEP_1)
	v_cmp_gt_i32_e64 s0, 0, v19
	s_wait_alu 0xf1ff
	v_cndmask_b32_e64 v19, v19, v17, s0
	s_delay_alu instid0(VALU_DEP_1)
	v_lshlrev_b32_e32 v19, 2, v19
	ds_bpermute_b32 v18, v19, v18
	v_cmpx_ne_u32_e32 0, v0
	s_cbranch_execz .LBB148_66
; %bb.63:
	v_cmp_eq_u32_e64 s0, 0, v17
	s_wait_dscnt 0x0
	s_wait_alu 0xf1ff
	s_delay_alu instid0(VALU_DEP_1) | instskip(NEXT) | instid1(VALU_DEP_1)
	v_cndmask_b32_e64 v17, v18, v20, s0
	v_max_num_f32_e32 v13, v17, v17
	v_cmp_u_f32_e64 s0, v17, v17
	s_delay_alu instid0(VALU_DEP_2) | instskip(SKIP_2) | instid1(VALU_DEP_2)
	v_min_num_f32_e32 v14, v13, v15
	v_max_num_f32_e32 v13, v13, v15
	s_wait_alu 0xf1ff
	v_cndmask_b32_e64 v14, v14, v17, s0
	s_delay_alu instid0(VALU_DEP_2) | instskip(NEXT) | instid1(VALU_DEP_2)
	v_cndmask_b32_e64 v15, v13, v17, s0
	v_cndmask_b32_e64 v13, v14, v1, s12
	s_delay_alu instid0(VALU_DEP_2) | instskip(NEXT) | instid1(VALU_DEP_2)
	v_cndmask_b32_e64 v1, v15, v1, s12
	v_cmp_class_f32_e64 s12, v13, 0x1f8
	s_delay_alu instid0(VALU_DEP_2)
	v_cmp_neq_f32_e64 s0, v13, v1
	s_or_b32 s0, s0, s12
	s_wait_alu 0xfffe
	s_and_saveexec_b32 s12, s0
	s_cbranch_execz .LBB148_65
; %bb.64:
	v_sub_f32_e32 v13, v13, v1
	s_delay_alu instid0(VALU_DEP_1) | instskip(NEXT) | instid1(VALU_DEP_1)
	v_mul_f32_e32 v14, 0x3fb8aa3b, v13
	v_fma_f32 v15, 0x3fb8aa3b, v13, -v14
	v_rndne_f32_e32 v17, v14
	s_delay_alu instid0(VALU_DEP_1) | instskip(NEXT) | instid1(VALU_DEP_1)
	v_dual_fmamk_f32 v15, v13, 0x32a5705f, v15 :: v_dual_sub_f32 v14, v14, v17
	v_add_f32_e32 v14, v14, v15
	v_cvt_i32_f32_e32 v15, v17
	v_cmp_ngt_f32_e64 s0, 0xc2ce8ed0, v13
	s_delay_alu instid0(VALU_DEP_3) | instskip(NEXT) | instid1(TRANS32_DEP_1)
	v_exp_f32_e32 v14, v14
	v_ldexp_f32 v14, v14, v15
	s_wait_alu 0xf1ff
	s_delay_alu instid0(VALU_DEP_1) | instskip(SKIP_2) | instid1(VALU_DEP_1)
	v_cndmask_b32_e64 v14, 0, v14, s0
	v_cmp_nlt_f32_e64 s0, 0x42b17218, v13
	s_wait_alu 0xf1ff
	v_cndmask_b32_e64 v15, 0x7f800000, v14, s0
	s_delay_alu instid0(VALU_DEP_1) | instskip(NEXT) | instid1(VALU_DEP_1)
	v_add_f32_e32 v17, 1.0, v15
	v_cvt_f64_f32_e32 v[13:14], v17
	s_delay_alu instid0(VALU_DEP_1) | instskip(SKIP_1) | instid1(VALU_DEP_1)
	v_frexp_exp_i32_f64_e32 v13, v[13:14]
	v_frexp_mant_f32_e32 v14, v17
	v_cmp_gt_f32_e64 s0, 0x3f2aaaab, v14
	v_add_f32_e32 v14, -1.0, v17
	s_delay_alu instid0(VALU_DEP_1) | instskip(NEXT) | instid1(VALU_DEP_1)
	v_sub_f32_e32 v19, v14, v17
	v_dual_add_f32 v19, 1.0, v19 :: v_dual_sub_f32 v14, v15, v14
	s_wait_alu 0xf1ff
	v_subrev_co_ci_u32_e64 v13, null, 0, v13, s0
	s_mov_b32 s0, 0x3e9b6dac
	v_sub_nc_u32_e32 v18, 0, v13
	v_cvt_f32_i32_e32 v13, v13
	s_delay_alu instid0(VALU_DEP_2) | instskip(NEXT) | instid1(VALU_DEP_1)
	v_ldexp_f32 v17, v17, v18
	v_add_f32_e32 v20, 1.0, v17
	s_delay_alu instid0(VALU_DEP_1) | instskip(NEXT) | instid1(VALU_DEP_1)
	v_dual_add_f32 v14, v14, v19 :: v_dual_add_f32 v19, -1.0, v20
	v_ldexp_f32 v14, v14, v18
	s_delay_alu instid0(VALU_DEP_2) | instskip(NEXT) | instid1(VALU_DEP_1)
	v_dual_sub_f32 v19, v17, v19 :: v_dual_add_f32 v18, -1.0, v17
	v_add_f32_e32 v19, v14, v19
	s_delay_alu instid0(VALU_DEP_2) | instskip(NEXT) | instid1(VALU_DEP_1)
	v_add_f32_e32 v21, 1.0, v18
	v_sub_f32_e32 v17, v17, v21
	s_delay_alu instid0(VALU_DEP_1) | instskip(NEXT) | instid1(VALU_DEP_1)
	v_add_f32_e32 v14, v14, v17
	v_dual_add_f32 v22, v18, v14 :: v_dual_add_f32 v21, v20, v19
	s_delay_alu instid0(VALU_DEP_1) | instskip(NEXT) | instid1(VALU_DEP_2)
	v_sub_f32_e32 v18, v18, v22
	v_rcp_f32_e32 v17, v21
	v_sub_f32_e32 v20, v20, v21
	s_delay_alu instid0(VALU_DEP_1) | instskip(NEXT) | instid1(TRANS32_DEP_1)
	v_dual_add_f32 v14, v14, v18 :: v_dual_add_f32 v19, v19, v20
	v_mul_f32_e32 v23, v22, v17
	s_delay_alu instid0(VALU_DEP_1) | instskip(NEXT) | instid1(VALU_DEP_1)
	v_mul_f32_e32 v24, v21, v23
	v_fma_f32 v20, v23, v21, -v24
	s_delay_alu instid0(VALU_DEP_1) | instskip(NEXT) | instid1(VALU_DEP_1)
	v_fmac_f32_e32 v20, v23, v19
	v_add_f32_e32 v25, v24, v20
	s_delay_alu instid0(VALU_DEP_1) | instskip(SKIP_1) | instid1(VALU_DEP_2)
	v_sub_f32_e32 v26, v22, v25
	v_sub_f32_e32 v18, v25, v24
	;; [unrolled: 1-line block ×3, first 2 shown]
	s_delay_alu instid0(VALU_DEP_2) | instskip(NEXT) | instid1(VALU_DEP_2)
	v_sub_f32_e32 v18, v18, v20
	v_sub_f32_e32 v22, v22, v25
	s_delay_alu instid0(VALU_DEP_1) | instskip(NEXT) | instid1(VALU_DEP_1)
	v_add_f32_e32 v14, v14, v22
	v_add_f32_e32 v14, v18, v14
	s_delay_alu instid0(VALU_DEP_1) | instskip(NEXT) | instid1(VALU_DEP_1)
	v_add_f32_e32 v18, v26, v14
	v_mul_f32_e32 v20, v17, v18
	s_delay_alu instid0(VALU_DEP_1) | instskip(NEXT) | instid1(VALU_DEP_1)
	v_dual_sub_f32 v25, v26, v18 :: v_dual_mul_f32 v22, v21, v20
	v_add_f32_e32 v14, v14, v25
	s_delay_alu instid0(VALU_DEP_2) | instskip(NEXT) | instid1(VALU_DEP_1)
	v_fma_f32 v21, v20, v21, -v22
	v_fmac_f32_e32 v21, v20, v19
	s_delay_alu instid0(VALU_DEP_1) | instskip(NEXT) | instid1(VALU_DEP_1)
	v_add_f32_e32 v19, v22, v21
	v_sub_f32_e32 v24, v18, v19
	v_sub_f32_e32 v22, v19, v22
	s_delay_alu instid0(VALU_DEP_2) | instskip(NEXT) | instid1(VALU_DEP_1)
	v_sub_f32_e32 v18, v18, v24
	v_sub_f32_e32 v18, v18, v19
	s_delay_alu instid0(VALU_DEP_3) | instskip(NEXT) | instid1(VALU_DEP_2)
	v_sub_f32_e32 v19, v22, v21
	v_add_f32_e32 v14, v14, v18
	v_add_f32_e32 v18, v23, v20
	s_delay_alu instid0(VALU_DEP_1) | instskip(NEXT) | instid1(VALU_DEP_1)
	v_dual_add_f32 v14, v19, v14 :: v_dual_sub_f32 v19, v18, v23
	v_add_f32_e32 v14, v24, v14
	s_delay_alu instid0(VALU_DEP_1) | instskip(NEXT) | instid1(VALU_DEP_1)
	v_dual_sub_f32 v19, v20, v19 :: v_dual_mul_f32 v14, v17, v14
	v_add_f32_e32 v14, v19, v14
	s_delay_alu instid0(VALU_DEP_1) | instskip(NEXT) | instid1(VALU_DEP_1)
	v_add_f32_e32 v17, v18, v14
	v_mul_f32_e32 v19, v17, v17
	s_wait_alu 0xfffe
	s_delay_alu instid0(VALU_DEP_1) | instskip(SKIP_2) | instid1(VALU_DEP_3)
	v_fmaak_f32 v20, s0, v19, 0x3ecc95a3
	v_mul_f32_e32 v21, v17, v19
	v_cmp_neq_f32_e64 s0, 0x7f800000, v15
	v_fmaak_f32 v19, v19, v20, 0x3f2aaada
	v_ldexp_f32 v20, v17, 1
	v_sub_f32_e32 v17, v17, v18
	s_delay_alu instid0(VALU_DEP_3) | instskip(SKIP_1) | instid1(VALU_DEP_3)
	v_mul_f32_e32 v19, v21, v19
	v_mul_f32_e32 v21, 0x3f317218, v13
	v_sub_f32_e32 v14, v14, v17
	s_delay_alu instid0(VALU_DEP_3) | instskip(NEXT) | instid1(VALU_DEP_2)
	v_add_f32_e32 v18, v20, v19
	v_ldexp_f32 v14, v14, 1
	s_delay_alu instid0(VALU_DEP_2) | instskip(SKIP_1) | instid1(VALU_DEP_2)
	v_sub_f32_e32 v17, v18, v20
	v_fma_f32 v20, 0x3f317218, v13, -v21
	v_sub_f32_e32 v17, v19, v17
	s_delay_alu instid0(VALU_DEP_1) | instskip(NEXT) | instid1(VALU_DEP_1)
	v_dual_fmamk_f32 v13, v13, 0xb102e308, v20 :: v_dual_add_f32 v14, v14, v17
	v_add_f32_e32 v17, v21, v13
	s_delay_alu instid0(VALU_DEP_2) | instskip(NEXT) | instid1(VALU_DEP_2)
	v_add_f32_e32 v19, v18, v14
	v_sub_f32_e32 v21, v17, v21
	s_delay_alu instid0(VALU_DEP_2) | instskip(NEXT) | instid1(VALU_DEP_2)
	v_add_f32_e32 v20, v17, v19
	v_sub_f32_e32 v13, v13, v21
	s_delay_alu instid0(VALU_DEP_2) | instskip(SKIP_1) | instid1(VALU_DEP_2)
	v_sub_f32_e32 v22, v20, v17
	v_sub_f32_e32 v18, v19, v18
	;; [unrolled: 1-line block ×3, first 2 shown]
	s_delay_alu instid0(VALU_DEP_2) | instskip(NEXT) | instid1(VALU_DEP_2)
	v_sub_f32_e32 v14, v14, v18
	v_dual_sub_f32 v18, v19, v22 :: v_dual_sub_f32 v17, v17, v23
	s_delay_alu instid0(VALU_DEP_2) | instskip(NEXT) | instid1(VALU_DEP_2)
	v_add_f32_e32 v19, v13, v14
	v_add_f32_e32 v17, v18, v17
	s_delay_alu instid0(VALU_DEP_2) | instskip(NEXT) | instid1(VALU_DEP_2)
	v_sub_f32_e32 v18, v19, v13
	v_add_f32_e32 v17, v19, v17
	s_delay_alu instid0(VALU_DEP_2) | instskip(NEXT) | instid1(VALU_DEP_2)
	v_sub_f32_e32 v19, v19, v18
	v_dual_sub_f32 v14, v14, v18 :: v_dual_add_f32 v21, v20, v17
	s_delay_alu instid0(VALU_DEP_2) | instskip(NEXT) | instid1(VALU_DEP_1)
	v_sub_f32_e32 v13, v13, v19
	v_dual_sub_f32 v18, v21, v20 :: v_dual_add_f32 v13, v14, v13
	s_delay_alu instid0(VALU_DEP_1) | instskip(NEXT) | instid1(VALU_DEP_1)
	v_sub_f32_e32 v14, v17, v18
	v_add_f32_e32 v13, v13, v14
	s_delay_alu instid0(VALU_DEP_1) | instskip(SKIP_1) | instid1(VALU_DEP_1)
	v_add_f32_e32 v13, v21, v13
	s_wait_alu 0xf1ff
	v_cndmask_b32_e64 v13, 0x7f800000, v13, s0
	v_cmp_gt_f32_e64 s0, 0x33800000, |v15|
	s_wait_alu 0xf1ff
	s_delay_alu instid0(VALU_DEP_1) | instskip(NEXT) | instid1(VALU_DEP_1)
	v_cndmask_b32_e64 v13, v13, v15, s0
	v_add_f32_e32 v17, v1, v13
.LBB148_65:
	s_wait_alu 0xfffe
	s_or_b32 exec_lo, exec_lo, s12
	s_delay_alu instid0(VALU_DEP_1) | instskip(SKIP_1) | instid1(VALU_DEP_1)
	v_max_num_f32_e32 v1, v17, v17
	;;#ASMSTART
	;;#ASMEND
	v_min_num_f32_e32 v13, v1, v12
	v_max_num_f32_e32 v14, v1, v12
	v_mov_b32_e32 v1, v17
.LBB148_66:
	s_wait_alu 0xfffe
	s_or_b32 exec_lo, exec_lo, s1
	s_delay_alu instid0(VALU_DEP_1) | instskip(SKIP_1) | instid1(VALU_DEP_1)
	v_cmp_u_f32_e64 s0, v1, v1
	s_wait_alu 0xf1ff
	v_cndmask_b32_e64 v12, v13, v1, s0
	v_cndmask_b32_e64 v14, v14, v1, s0
	s_delay_alu instid0(VALU_DEP_2) | instskip(NEXT) | instid1(VALU_DEP_2)
	v_cndmask_b32_e64 v13, v12, v2, s7
	v_cndmask_b32_e64 v12, v14, v2, s7
	v_mov_b32_e32 v2, v1
	s_delay_alu instid0(VALU_DEP_3) | instskip(NEXT) | instid1(VALU_DEP_3)
	v_cmp_class_f32_e64 s1, v13, 0x1f8
	v_cmp_neq_f32_e64 s0, v13, v12
	s_or_b32 s0, s0, s1
	s_wait_alu 0xfffe
	s_and_saveexec_b32 s1, s0
	s_cbranch_execz .LBB148_68
; %bb.67:
	v_sub_f32_e32 v2, v13, v12
	s_delay_alu instid0(VALU_DEP_1) | instskip(SKIP_1) | instid1(VALU_DEP_2)
	v_mul_f32_e32 v13, 0x3fb8aa3b, v2
	v_cmp_ngt_f32_e64 s0, 0xc2ce8ed0, v2
	v_fma_f32 v14, 0x3fb8aa3b, v2, -v13
	v_rndne_f32_e32 v15, v13
	s_delay_alu instid0(VALU_DEP_1) | instskip(NEXT) | instid1(VALU_DEP_1)
	v_dual_fmamk_f32 v14, v2, 0x32a5705f, v14 :: v_dual_sub_f32 v13, v13, v15
	v_add_f32_e32 v13, v13, v14
	v_cvt_i32_f32_e32 v14, v15
	s_delay_alu instid0(VALU_DEP_2) | instskip(NEXT) | instid1(TRANS32_DEP_1)
	v_exp_f32_e32 v13, v13
	v_ldexp_f32 v13, v13, v14
	s_wait_alu 0xf1ff
	s_delay_alu instid0(VALU_DEP_1) | instskip(SKIP_2) | instid1(VALU_DEP_1)
	v_cndmask_b32_e64 v13, 0, v13, s0
	v_cmp_nlt_f32_e64 s0, 0x42b17218, v2
	s_wait_alu 0xf1ff
	v_cndmask_b32_e64 v2, 0x7f800000, v13, s0
	s_delay_alu instid0(VALU_DEP_1) | instskip(NEXT) | instid1(VALU_DEP_1)
	v_add_f32_e32 v15, 1.0, v2
	v_cvt_f64_f32_e32 v[13:14], v15
	s_delay_alu instid0(VALU_DEP_1) | instskip(SKIP_1) | instid1(VALU_DEP_1)
	v_frexp_exp_i32_f64_e32 v13, v[13:14]
	v_frexp_mant_f32_e32 v14, v15
	v_cmp_gt_f32_e64 s0, 0x3f2aaaab, v14
	v_add_f32_e32 v14, -1.0, v15
	s_wait_dscnt 0x0
	s_delay_alu instid0(VALU_DEP_1)
	v_sub_f32_e32 v18, v14, v15
	s_wait_alu 0xf1ff
	v_subrev_co_ci_u32_e64 v13, null, 0, v13, s0
	s_mov_b32 s0, 0x3e9b6dac
	v_sub_nc_u32_e32 v17, 0, v13
	v_cvt_f32_i32_e32 v13, v13
	s_delay_alu instid0(VALU_DEP_2) | instskip(SKIP_1) | instid1(VALU_DEP_2)
	v_ldexp_f32 v15, v15, v17
	v_sub_f32_e32 v14, v2, v14
	v_dual_add_f32 v18, 1.0, v18 :: v_dual_add_f32 v19, 1.0, v15
	s_delay_alu instid0(VALU_DEP_1) | instskip(NEXT) | instid1(VALU_DEP_2)
	v_add_f32_e32 v14, v14, v18
	v_add_f32_e32 v18, -1.0, v19
	s_delay_alu instid0(VALU_DEP_2) | instskip(NEXT) | instid1(VALU_DEP_2)
	v_ldexp_f32 v14, v14, v17
	v_dual_add_f32 v17, -1.0, v15 :: v_dual_sub_f32 v18, v15, v18
	s_delay_alu instid0(VALU_DEP_1) | instskip(NEXT) | instid1(VALU_DEP_1)
	v_add_f32_e32 v20, 1.0, v17
	v_dual_add_f32 v18, v14, v18 :: v_dual_sub_f32 v15, v15, v20
	s_delay_alu instid0(VALU_DEP_1) | instskip(NEXT) | instid1(VALU_DEP_1)
	v_add_f32_e32 v14, v14, v15
	v_add_f32_e32 v21, v17, v14
	s_delay_alu instid0(VALU_DEP_1) | instskip(NEXT) | instid1(VALU_DEP_1)
	v_dual_sub_f32 v17, v17, v21 :: v_dual_add_f32 v20, v19, v18
	v_rcp_f32_e32 v15, v20
	v_sub_f32_e32 v19, v19, v20
	s_delay_alu instid0(VALU_DEP_1) | instskip(NEXT) | instid1(TRANS32_DEP_1)
	v_add_f32_e32 v18, v18, v19
	v_mul_f32_e32 v22, v21, v15
	s_delay_alu instid0(VALU_DEP_1) | instskip(NEXT) | instid1(VALU_DEP_1)
	v_mul_f32_e32 v23, v20, v22
	v_fma_f32 v19, v22, v20, -v23
	s_delay_alu instid0(VALU_DEP_1) | instskip(NEXT) | instid1(VALU_DEP_1)
	v_fmac_f32_e32 v19, v22, v18
	v_add_f32_e32 v24, v23, v19
	s_delay_alu instid0(VALU_DEP_1) | instskip(SKIP_1) | instid1(VALU_DEP_1)
	v_dual_add_f32 v14, v14, v17 :: v_dual_sub_f32 v17, v24, v23
	v_sub_f32_e32 v25, v21, v24
	v_sub_f32_e32 v21, v21, v25
	s_delay_alu instid0(VALU_DEP_1) | instskip(NEXT) | instid1(VALU_DEP_1)
	v_sub_f32_e32 v21, v21, v24
	v_dual_sub_f32 v17, v17, v19 :: v_dual_add_f32 v14, v14, v21
	s_delay_alu instid0(VALU_DEP_1) | instskip(NEXT) | instid1(VALU_DEP_1)
	v_add_f32_e32 v14, v17, v14
	v_add_f32_e32 v17, v25, v14
	s_delay_alu instid0(VALU_DEP_1) | instskip(NEXT) | instid1(VALU_DEP_1)
	v_mul_f32_e32 v19, v15, v17
	v_dual_sub_f32 v24, v25, v17 :: v_dual_mul_f32 v21, v20, v19
	s_delay_alu instid0(VALU_DEP_1) | instskip(NEXT) | instid1(VALU_DEP_2)
	v_add_f32_e32 v14, v14, v24
	v_fma_f32 v20, v19, v20, -v21
	s_delay_alu instid0(VALU_DEP_1) | instskip(NEXT) | instid1(VALU_DEP_1)
	v_fmac_f32_e32 v20, v19, v18
	v_add_f32_e32 v18, v21, v20
	s_delay_alu instid0(VALU_DEP_1) | instskip(NEXT) | instid1(VALU_DEP_1)
	v_sub_f32_e32 v23, v17, v18
	v_sub_f32_e32 v17, v17, v23
	s_delay_alu instid0(VALU_DEP_1) | instskip(NEXT) | instid1(VALU_DEP_1)
	v_sub_f32_e32 v17, v17, v18
	v_add_f32_e32 v14, v14, v17
	v_add_f32_e32 v17, v22, v19
	v_sub_f32_e32 v21, v18, v21
	s_delay_alu instid0(VALU_DEP_1) | instskip(NEXT) | instid1(VALU_DEP_1)
	v_sub_f32_e32 v18, v21, v20
	v_add_f32_e32 v14, v18, v14
	s_delay_alu instid0(VALU_DEP_4) | instskip(NEXT) | instid1(VALU_DEP_2)
	v_sub_f32_e32 v18, v17, v22
	v_add_f32_e32 v14, v23, v14
	s_delay_alu instid0(VALU_DEP_2) | instskip(NEXT) | instid1(VALU_DEP_2)
	v_sub_f32_e32 v18, v19, v18
	v_mul_f32_e32 v14, v15, v14
	s_delay_alu instid0(VALU_DEP_1) | instskip(NEXT) | instid1(VALU_DEP_1)
	v_add_f32_e32 v14, v18, v14
	v_add_f32_e32 v15, v17, v14
	s_delay_alu instid0(VALU_DEP_1) | instskip(SKIP_1) | instid1(VALU_DEP_1)
	v_mul_f32_e32 v18, v15, v15
	s_wait_alu 0xfffe
	v_fmaak_f32 v19, s0, v18, 0x3ecc95a3
	v_mul_f32_e32 v20, v15, v18
	v_cmp_neq_f32_e64 s0, 0x7f800000, v2
	s_delay_alu instid0(VALU_DEP_3) | instskip(SKIP_1) | instid1(VALU_DEP_2)
	v_fmaak_f32 v18, v18, v19, 0x3f2aaada
	v_ldexp_f32 v19, v15, 1
	v_dual_sub_f32 v15, v15, v17 :: v_dual_mul_f32 v18, v20, v18
	v_mul_f32_e32 v20, 0x3f317218, v13
	s_delay_alu instid0(VALU_DEP_2) | instskip(NEXT) | instid1(VALU_DEP_1)
	v_dual_sub_f32 v14, v14, v15 :: v_dual_add_f32 v17, v19, v18
	v_ldexp_f32 v14, v14, 1
	s_delay_alu instid0(VALU_DEP_2) | instskip(NEXT) | instid1(VALU_DEP_4)
	v_sub_f32_e32 v15, v17, v19
	v_fma_f32 v19, 0x3f317218, v13, -v20
	s_delay_alu instid0(VALU_DEP_2) | instskip(NEXT) | instid1(VALU_DEP_1)
	v_sub_f32_e32 v15, v18, v15
	v_dual_fmamk_f32 v13, v13, 0xb102e308, v19 :: v_dual_add_f32 v14, v14, v15
	s_delay_alu instid0(VALU_DEP_1) | instskip(NEXT) | instid1(VALU_DEP_1)
	v_dual_add_f32 v15, v20, v13 :: v_dual_add_f32 v18, v17, v14
	v_add_f32_e32 v19, v15, v18
	v_sub_f32_e32 v17, v18, v17
	s_delay_alu instid0(VALU_DEP_2) | instskip(SKIP_1) | instid1(VALU_DEP_2)
	v_sub_f32_e32 v21, v19, v15
	v_sub_f32_e32 v20, v15, v20
	;; [unrolled: 1-line block ×3, first 2 shown]
	s_delay_alu instid0(VALU_DEP_1) | instskip(SKIP_1) | instid1(VALU_DEP_4)
	v_dual_sub_f32 v15, v15, v22 :: v_dual_sub_f32 v14, v14, v17
	v_sub_f32_e32 v17, v18, v21
	v_sub_f32_e32 v13, v13, v20
	s_delay_alu instid0(VALU_DEP_2) | instskip(NEXT) | instid1(VALU_DEP_2)
	v_add_f32_e32 v15, v17, v15
	v_add_f32_e32 v18, v13, v14
	s_delay_alu instid0(VALU_DEP_1) | instskip(NEXT) | instid1(VALU_DEP_1)
	v_add_f32_e32 v15, v18, v15
	v_dual_sub_f32 v17, v18, v13 :: v_dual_add_f32 v20, v19, v15
	s_delay_alu instid0(VALU_DEP_1) | instskip(NEXT) | instid1(VALU_DEP_1)
	v_sub_f32_e32 v18, v18, v17
	v_dual_sub_f32 v13, v13, v18 :: v_dual_sub_f32 v14, v14, v17
	s_delay_alu instid0(VALU_DEP_3) | instskip(NEXT) | instid1(VALU_DEP_2)
	v_sub_f32_e32 v17, v20, v19
	v_add_f32_e32 v13, v14, v13
	s_delay_alu instid0(VALU_DEP_2) | instskip(NEXT) | instid1(VALU_DEP_1)
	v_sub_f32_e32 v14, v15, v17
	v_add_f32_e32 v13, v13, v14
	s_delay_alu instid0(VALU_DEP_1) | instskip(SKIP_1) | instid1(VALU_DEP_1)
	v_add_f32_e32 v13, v20, v13
	s_wait_alu 0xf1ff
	v_cndmask_b32_e64 v13, 0x7f800000, v13, s0
	v_cmp_gt_f32_e64 s0, 0x33800000, |v2|
	s_wait_alu 0xf1ff
	s_delay_alu instid0(VALU_DEP_1) | instskip(NEXT) | instid1(VALU_DEP_1)
	v_cndmask_b32_e64 v2, v13, v2, s0
	v_add_f32_e32 v2, v12, v2
.LBB148_68:
	s_wait_alu 0xfffe
	s_or_b32 exec_lo, exec_lo, s1
	s_delay_alu instid0(VALU_DEP_1) | instskip(SKIP_1) | instid1(VALU_DEP_2)
	v_max_num_f32_e32 v12, v2, v2
	v_cmp_u_f32_e64 s0, v2, v2
	v_min_num_f32_e32 v13, v12, v8
	v_max_num_f32_e32 v8, v12, v8
	s_wait_alu 0xf1ff
	s_delay_alu instid0(VALU_DEP_2) | instskip(NEXT) | instid1(VALU_DEP_2)
	v_cndmask_b32_e64 v12, v13, v2, s0
	v_cndmask_b32_e64 v8, v8, v2, s0
	s_delay_alu instid0(VALU_DEP_2) | instskip(NEXT) | instid1(VALU_DEP_2)
	v_cndmask_b32_e64 v12, v12, v3, s8
	v_cndmask_b32_e64 v8, v8, v3, s8
	v_mov_b32_e32 v3, v2
	s_delay_alu instid0(VALU_DEP_3) | instskip(NEXT) | instid1(VALU_DEP_3)
	v_cmp_class_f32_e64 s1, v12, 0x1f8
	v_cmp_neq_f32_e64 s0, v12, v8
	s_or_b32 s0, s0, s1
	s_wait_alu 0xfffe
	s_and_saveexec_b32 s1, s0
	s_cbranch_execz .LBB148_70
; %bb.69:
	v_sub_f32_e32 v3, v12, v8
	s_delay_alu instid0(VALU_DEP_1) | instskip(SKIP_1) | instid1(VALU_DEP_2)
	v_mul_f32_e32 v12, 0x3fb8aa3b, v3
	v_cmp_ngt_f32_e64 s0, 0xc2ce8ed0, v3
	v_fma_f32 v13, 0x3fb8aa3b, v3, -v12
	v_rndne_f32_e32 v14, v12
	s_delay_alu instid0(VALU_DEP_1) | instskip(NEXT) | instid1(VALU_DEP_1)
	v_dual_fmamk_f32 v13, v3, 0x32a5705f, v13 :: v_dual_sub_f32 v12, v12, v14
	v_add_f32_e32 v12, v12, v13
	v_cvt_i32_f32_e32 v13, v14
	s_delay_alu instid0(VALU_DEP_2) | instskip(NEXT) | instid1(TRANS32_DEP_1)
	v_exp_f32_e32 v12, v12
	v_ldexp_f32 v12, v12, v13
	s_wait_alu 0xf1ff
	s_delay_alu instid0(VALU_DEP_1) | instskip(SKIP_2) | instid1(VALU_DEP_1)
	v_cndmask_b32_e64 v12, 0, v12, s0
	v_cmp_nlt_f32_e64 s0, 0x42b17218, v3
	s_wait_alu 0xf1ff
	v_cndmask_b32_e64 v3, 0x7f800000, v12, s0
	s_delay_alu instid0(VALU_DEP_1) | instskip(NEXT) | instid1(VALU_DEP_1)
	v_add_f32_e32 v14, 1.0, v3
	v_cvt_f64_f32_e32 v[12:13], v14
	s_delay_alu instid0(VALU_DEP_1) | instskip(SKIP_1) | instid1(VALU_DEP_1)
	v_frexp_exp_i32_f64_e32 v12, v[12:13]
	v_frexp_mant_f32_e32 v13, v14
	v_cmp_gt_f32_e64 s0, 0x3f2aaaab, v13
	v_add_f32_e32 v13, -1.0, v14
	s_delay_alu instid0(VALU_DEP_1)
	v_sub_f32_e32 v17, v13, v14
	v_sub_f32_e32 v13, v3, v13
	s_wait_alu 0xf1ff
	v_subrev_co_ci_u32_e64 v12, null, 0, v12, s0
	s_mov_b32 s0, 0x3e9b6dac
	v_sub_nc_u32_e32 v15, 0, v12
	v_cvt_f32_i32_e32 v12, v12
	s_delay_alu instid0(VALU_DEP_2) | instskip(SKIP_1) | instid1(VALU_DEP_1)
	v_ldexp_f32 v14, v14, v15
	s_wait_dscnt 0x0
	v_dual_add_f32 v17, 1.0, v17 :: v_dual_add_f32 v18, 1.0, v14
	s_delay_alu instid0(VALU_DEP_1) | instskip(NEXT) | instid1(VALU_DEP_1)
	v_add_f32_e32 v13, v13, v17
	v_ldexp_f32 v13, v13, v15
	v_add_f32_e32 v15, -1.0, v14
	s_delay_alu instid0(VALU_DEP_4) | instskip(NEXT) | instid1(VALU_DEP_2)
	v_add_f32_e32 v17, -1.0, v18
	v_add_f32_e32 v19, 1.0, v15
	s_delay_alu instid0(VALU_DEP_2) | instskip(NEXT) | instid1(VALU_DEP_1)
	v_sub_f32_e32 v17, v14, v17
	v_dual_sub_f32 v14, v14, v19 :: v_dual_add_f32 v17, v13, v17
	s_delay_alu instid0(VALU_DEP_1) | instskip(NEXT) | instid1(VALU_DEP_2)
	v_add_f32_e32 v13, v13, v14
	v_add_f32_e32 v19, v18, v17
	s_delay_alu instid0(VALU_DEP_2) | instskip(NEXT) | instid1(VALU_DEP_2)
	v_add_f32_e32 v20, v15, v13
	v_rcp_f32_e32 v14, v19
	v_sub_f32_e32 v18, v18, v19
	s_delay_alu instid0(VALU_DEP_1) | instskip(NEXT) | instid1(TRANS32_DEP_1)
	v_add_f32_e32 v17, v17, v18
	v_mul_f32_e32 v21, v20, v14
	s_delay_alu instid0(VALU_DEP_1) | instskip(SKIP_1) | instid1(VALU_DEP_2)
	v_mul_f32_e32 v22, v19, v21
	v_sub_f32_e32 v15, v15, v20
	v_fma_f32 v18, v21, v19, -v22
	s_delay_alu instid0(VALU_DEP_2) | instskip(NEXT) | instid1(VALU_DEP_2)
	v_add_f32_e32 v13, v13, v15
	v_fmac_f32_e32 v18, v21, v17
	s_delay_alu instid0(VALU_DEP_1) | instskip(NEXT) | instid1(VALU_DEP_1)
	v_add_f32_e32 v23, v22, v18
	v_dual_sub_f32 v24, v20, v23 :: v_dual_sub_f32 v15, v23, v22
	s_delay_alu instid0(VALU_DEP_1) | instskip(NEXT) | instid1(VALU_DEP_1)
	v_dual_sub_f32 v20, v20, v24 :: v_dual_sub_f32 v15, v15, v18
	v_sub_f32_e32 v20, v20, v23
	s_delay_alu instid0(VALU_DEP_1) | instskip(NEXT) | instid1(VALU_DEP_1)
	v_add_f32_e32 v13, v13, v20
	v_add_f32_e32 v13, v15, v13
	s_delay_alu instid0(VALU_DEP_1) | instskip(NEXT) | instid1(VALU_DEP_1)
	v_add_f32_e32 v15, v24, v13
	v_mul_f32_e32 v18, v14, v15
	s_delay_alu instid0(VALU_DEP_1) | instskip(NEXT) | instid1(VALU_DEP_1)
	v_dual_sub_f32 v23, v24, v15 :: v_dual_mul_f32 v20, v19, v18
	v_add_f32_e32 v13, v13, v23
	s_delay_alu instid0(VALU_DEP_2) | instskip(NEXT) | instid1(VALU_DEP_1)
	v_fma_f32 v19, v18, v19, -v20
	v_fmac_f32_e32 v19, v18, v17
	s_delay_alu instid0(VALU_DEP_1) | instskip(NEXT) | instid1(VALU_DEP_1)
	v_add_f32_e32 v17, v20, v19
	v_sub_f32_e32 v22, v15, v17
	s_delay_alu instid0(VALU_DEP_1) | instskip(NEXT) | instid1(VALU_DEP_1)
	v_dual_sub_f32 v20, v17, v20 :: v_dual_sub_f32 v15, v15, v22
	v_sub_f32_e32 v15, v15, v17
	s_delay_alu instid0(VALU_DEP_2) | instskip(NEXT) | instid1(VALU_DEP_2)
	v_sub_f32_e32 v17, v20, v19
	v_add_f32_e32 v13, v13, v15
	v_add_f32_e32 v15, v21, v18
	s_delay_alu instid0(VALU_DEP_2) | instskip(NEXT) | instid1(VALU_DEP_2)
	v_add_f32_e32 v13, v17, v13
	v_sub_f32_e32 v17, v15, v21
	s_delay_alu instid0(VALU_DEP_2) | instskip(NEXT) | instid1(VALU_DEP_2)
	v_add_f32_e32 v13, v22, v13
	v_sub_f32_e32 v17, v18, v17
	s_delay_alu instid0(VALU_DEP_2) | instskip(NEXT) | instid1(VALU_DEP_1)
	v_mul_f32_e32 v13, v14, v13
	v_add_f32_e32 v13, v17, v13
	s_delay_alu instid0(VALU_DEP_1) | instskip(NEXT) | instid1(VALU_DEP_1)
	v_add_f32_e32 v14, v15, v13
	v_mul_f32_e32 v17, v14, v14
	s_wait_alu 0xfffe
	s_delay_alu instid0(VALU_DEP_1) | instskip(SKIP_2) | instid1(VALU_DEP_3)
	v_fmaak_f32 v18, s0, v17, 0x3ecc95a3
	v_mul_f32_e32 v19, v14, v17
	v_cmp_neq_f32_e64 s0, 0x7f800000, v3
	v_fmaak_f32 v17, v17, v18, 0x3f2aaada
	v_ldexp_f32 v18, v14, 1
	s_delay_alu instid0(VALU_DEP_2) | instskip(SKIP_1) | instid1(VALU_DEP_2)
	v_dual_sub_f32 v14, v14, v15 :: v_dual_mul_f32 v17, v19, v17
	v_mul_f32_e32 v19, 0x3f317218, v12
	v_sub_f32_e32 v13, v13, v14
	s_delay_alu instid0(VALU_DEP_3) | instskip(NEXT) | instid1(VALU_DEP_2)
	v_add_f32_e32 v15, v18, v17
	v_ldexp_f32 v13, v13, 1
	s_delay_alu instid0(VALU_DEP_2) | instskip(SKIP_1) | instid1(VALU_DEP_2)
	v_sub_f32_e32 v14, v15, v18
	v_fma_f32 v18, 0x3f317218, v12, -v19
	v_sub_f32_e32 v14, v17, v14
	s_delay_alu instid0(VALU_DEP_1) | instskip(NEXT) | instid1(VALU_DEP_1)
	v_dual_fmamk_f32 v12, v12, 0xb102e308, v18 :: v_dual_add_f32 v13, v13, v14
	v_add_f32_e32 v14, v19, v12
	s_delay_alu instid0(VALU_DEP_2) | instskip(NEXT) | instid1(VALU_DEP_2)
	v_add_f32_e32 v17, v15, v13
	v_sub_f32_e32 v19, v14, v19
	s_delay_alu instid0(VALU_DEP_2) | instskip(NEXT) | instid1(VALU_DEP_2)
	v_dual_add_f32 v18, v14, v17 :: v_dual_sub_f32 v15, v17, v15
	v_sub_f32_e32 v12, v12, v19
	s_delay_alu instid0(VALU_DEP_2) | instskip(NEXT) | instid1(VALU_DEP_1)
	v_dual_sub_f32 v20, v18, v14 :: v_dual_sub_f32 v13, v13, v15
	v_sub_f32_e32 v21, v18, v20
	v_sub_f32_e32 v15, v17, v20
	s_delay_alu instid0(VALU_DEP_3) | instskip(NEXT) | instid1(VALU_DEP_3)
	v_add_f32_e32 v17, v12, v13
	v_sub_f32_e32 v14, v14, v21
	s_delay_alu instid0(VALU_DEP_1) | instskip(NEXT) | instid1(VALU_DEP_1)
	v_dual_add_f32 v14, v15, v14 :: v_dual_sub_f32 v15, v17, v12
	v_add_f32_e32 v14, v17, v14
	s_delay_alu instid0(VALU_DEP_2) | instskip(SKIP_1) | instid1(VALU_DEP_2)
	v_sub_f32_e32 v17, v17, v15
	v_sub_f32_e32 v13, v13, v15
	v_dual_add_f32 v19, v18, v14 :: v_dual_sub_f32 v12, v12, v17
	s_delay_alu instid0(VALU_DEP_1) | instskip(NEXT) | instid1(VALU_DEP_1)
	v_dual_sub_f32 v15, v19, v18 :: v_dual_add_f32 v12, v13, v12
	v_sub_f32_e32 v13, v14, v15
	s_delay_alu instid0(VALU_DEP_1) | instskip(NEXT) | instid1(VALU_DEP_1)
	v_add_f32_e32 v12, v12, v13
	v_add_f32_e32 v12, v19, v12
	s_wait_alu 0xf1ff
	s_delay_alu instid0(VALU_DEP_1) | instskip(SKIP_2) | instid1(VALU_DEP_1)
	v_cndmask_b32_e64 v12, 0x7f800000, v12, s0
	v_cmp_gt_f32_e64 s0, 0x33800000, |v3|
	s_wait_alu 0xf1ff
	v_cndmask_b32_e64 v3, v12, v3, s0
	s_delay_alu instid0(VALU_DEP_1)
	v_add_f32_e32 v3, v8, v3
.LBB148_70:
	s_wait_alu 0xfffe
	s_or_b32 exec_lo, exec_lo, s1
	s_delay_alu instid0(VALU_DEP_1) | instskip(SKIP_1) | instid1(VALU_DEP_2)
	v_max_num_f32_e32 v8, v3, v3
	v_cmp_u_f32_e64 s0, v3, v3
	v_min_num_f32_e32 v12, v8, v9
	v_max_num_f32_e32 v8, v8, v9
	s_wait_alu 0xf1ff
	s_delay_alu instid0(VALU_DEP_2) | instskip(NEXT) | instid1(VALU_DEP_2)
	v_cndmask_b32_e64 v9, v12, v3, s0
	v_cndmask_b32_e64 v8, v8, v3, s0
	s_delay_alu instid0(VALU_DEP_2) | instskip(NEXT) | instid1(VALU_DEP_2)
	v_cndmask_b32_e64 v9, v9, v4, s9
	v_cndmask_b32_e64 v8, v8, v4, s9
	v_mov_b32_e32 v4, v3
	s_delay_alu instid0(VALU_DEP_3) | instskip(NEXT) | instid1(VALU_DEP_3)
	v_cmp_class_f32_e64 s1, v9, 0x1f8
	v_cmp_neq_f32_e64 s0, v9, v8
	s_or_b32 s0, s0, s1
	s_wait_alu 0xfffe
	s_and_saveexec_b32 s1, s0
	s_cbranch_execz .LBB148_72
; %bb.71:
	v_sub_f32_e32 v4, v9, v8
	s_delay_alu instid0(VALU_DEP_1) | instskip(SKIP_1) | instid1(VALU_DEP_2)
	v_mul_f32_e32 v9, 0x3fb8aa3b, v4
	v_cmp_ngt_f32_e64 s0, 0xc2ce8ed0, v4
	v_fma_f32 v12, 0x3fb8aa3b, v4, -v9
	v_rndne_f32_e32 v13, v9
	s_delay_alu instid0(VALU_DEP_1) | instskip(NEXT) | instid1(VALU_DEP_1)
	v_dual_fmamk_f32 v12, v4, 0x32a5705f, v12 :: v_dual_sub_f32 v9, v9, v13
	v_add_f32_e32 v9, v9, v12
	v_cvt_i32_f32_e32 v12, v13
	s_delay_alu instid0(VALU_DEP_2) | instskip(NEXT) | instid1(TRANS32_DEP_1)
	v_exp_f32_e32 v9, v9
	v_ldexp_f32 v9, v9, v12
	s_wait_alu 0xf1ff
	s_delay_alu instid0(VALU_DEP_1) | instskip(SKIP_2) | instid1(VALU_DEP_1)
	v_cndmask_b32_e64 v9, 0, v9, s0
	v_cmp_nlt_f32_e64 s0, 0x42b17218, v4
	s_wait_alu 0xf1ff
	v_cndmask_b32_e64 v4, 0x7f800000, v9, s0
	s_delay_alu instid0(VALU_DEP_1) | instskip(NEXT) | instid1(VALU_DEP_1)
	v_add_f32_e32 v9, 1.0, v4
	v_cvt_f64_f32_e32 v[12:13], v9
	s_delay_alu instid0(VALU_DEP_1) | instskip(SKIP_1) | instid1(VALU_DEP_1)
	v_frexp_exp_i32_f64_e32 v12, v[12:13]
	v_frexp_mant_f32_e32 v13, v9
	v_cmp_gt_f32_e64 s0, 0x3f2aaaab, v13
	v_add_f32_e32 v13, -1.0, v9
	s_delay_alu instid0(VALU_DEP_1)
	v_sub_f32_e32 v15, v13, v9
	v_sub_f32_e32 v13, v4, v13
	s_wait_alu 0xf1ff
	v_subrev_co_ci_u32_e64 v12, null, 0, v12, s0
	s_mov_b32 s0, 0x3e9b6dac
	v_sub_nc_u32_e32 v14, 0, v12
	v_cvt_f32_i32_e32 v12, v12
	s_delay_alu instid0(VALU_DEP_2) | instskip(SKIP_1) | instid1(VALU_DEP_2)
	v_ldexp_f32 v9, v9, v14
	v_add_f32_e32 v15, 1.0, v15
	v_add_f32_e32 v17, 1.0, v9
	s_delay_alu instid0(VALU_DEP_2) | instskip(NEXT) | instid1(VALU_DEP_2)
	v_add_f32_e32 v13, v13, v15
	v_add_f32_e32 v15, -1.0, v17
	s_delay_alu instid0(VALU_DEP_2) | instskip(NEXT) | instid1(VALU_DEP_2)
	v_ldexp_f32 v13, v13, v14
	v_dual_add_f32 v14, -1.0, v9 :: v_dual_sub_f32 v15, v9, v15
	s_wait_dscnt 0x0
	s_delay_alu instid0(VALU_DEP_1) | instskip(NEXT) | instid1(VALU_DEP_1)
	v_dual_add_f32 v18, 1.0, v14 :: v_dual_add_f32 v15, v13, v15
	v_sub_f32_e32 v9, v9, v18
	s_delay_alu instid0(VALU_DEP_2) | instskip(NEXT) | instid1(VALU_DEP_2)
	v_add_f32_e32 v18, v17, v15
	v_add_f32_e32 v9, v13, v9
	s_delay_alu instid0(VALU_DEP_2) | instskip(SKIP_1) | instid1(VALU_DEP_2)
	v_rcp_f32_e32 v13, v18
	v_sub_f32_e32 v17, v17, v18
	v_add_f32_e32 v19, v14, v9
	s_delay_alu instid0(VALU_DEP_1)
	v_dual_add_f32 v15, v15, v17 :: v_dual_sub_f32 v14, v14, v19
	s_delay_alu instid0(TRANS32_DEP_1) | instid1(VALU_DEP_1)
	v_dual_mul_f32 v20, v19, v13 :: v_dual_add_f32 v9, v9, v14
	s_delay_alu instid0(VALU_DEP_1) | instskip(NEXT) | instid1(VALU_DEP_1)
	v_mul_f32_e32 v21, v18, v20
	v_fma_f32 v17, v20, v18, -v21
	s_delay_alu instid0(VALU_DEP_1) | instskip(NEXT) | instid1(VALU_DEP_1)
	v_fmac_f32_e32 v17, v20, v15
	v_add_f32_e32 v22, v21, v17
	s_delay_alu instid0(VALU_DEP_1) | instskip(NEXT) | instid1(VALU_DEP_1)
	v_sub_f32_e32 v23, v19, v22
	v_dual_sub_f32 v19, v19, v23 :: v_dual_sub_f32 v14, v22, v21
	s_delay_alu instid0(VALU_DEP_1) | instskip(NEXT) | instid1(VALU_DEP_1)
	v_dual_sub_f32 v19, v19, v22 :: v_dual_sub_f32 v14, v14, v17
	v_add_f32_e32 v9, v9, v19
	s_delay_alu instid0(VALU_DEP_1) | instskip(NEXT) | instid1(VALU_DEP_1)
	v_add_f32_e32 v9, v14, v9
	v_add_f32_e32 v14, v23, v9
	s_delay_alu instid0(VALU_DEP_1) | instskip(NEXT) | instid1(VALU_DEP_1)
	v_mul_f32_e32 v17, v13, v14
	v_dual_sub_f32 v22, v23, v14 :: v_dual_mul_f32 v19, v18, v17
	s_delay_alu instid0(VALU_DEP_1) | instskip(NEXT) | instid1(VALU_DEP_2)
	v_add_f32_e32 v9, v9, v22
	v_fma_f32 v18, v17, v18, -v19
	s_delay_alu instid0(VALU_DEP_1) | instskip(NEXT) | instid1(VALU_DEP_1)
	v_fmac_f32_e32 v18, v17, v15
	v_add_f32_e32 v15, v19, v18
	s_delay_alu instid0(VALU_DEP_1) | instskip(NEXT) | instid1(VALU_DEP_1)
	v_sub_f32_e32 v21, v14, v15
	v_dual_sub_f32 v19, v15, v19 :: v_dual_sub_f32 v14, v14, v21
	s_delay_alu instid0(VALU_DEP_1) | instskip(NEXT) | instid1(VALU_DEP_1)
	v_dual_sub_f32 v14, v14, v15 :: v_dual_sub_f32 v15, v19, v18
	v_dual_add_f32 v9, v9, v14 :: v_dual_add_f32 v14, v20, v17
	s_delay_alu instid0(VALU_DEP_1) | instskip(NEXT) | instid1(VALU_DEP_2)
	v_add_f32_e32 v9, v15, v9
	v_sub_f32_e32 v15, v14, v20
	s_delay_alu instid0(VALU_DEP_2) | instskip(NEXT) | instid1(VALU_DEP_2)
	v_add_f32_e32 v9, v21, v9
	v_sub_f32_e32 v15, v17, v15
	s_delay_alu instid0(VALU_DEP_2) | instskip(NEXT) | instid1(VALU_DEP_1)
	v_mul_f32_e32 v9, v13, v9
	v_add_f32_e32 v9, v15, v9
	s_delay_alu instid0(VALU_DEP_1) | instskip(NEXT) | instid1(VALU_DEP_1)
	v_add_f32_e32 v13, v14, v9
	v_mul_f32_e32 v15, v13, v13
	s_wait_alu 0xfffe
	s_delay_alu instid0(VALU_DEP_1) | instskip(SKIP_2) | instid1(VALU_DEP_3)
	v_fmaak_f32 v17, s0, v15, 0x3ecc95a3
	v_mul_f32_e32 v18, v13, v15
	v_cmp_neq_f32_e64 s0, 0x7f800000, v4
	v_fmaak_f32 v15, v15, v17, 0x3f2aaada
	v_ldexp_f32 v17, v13, 1
	v_sub_f32_e32 v13, v13, v14
	s_delay_alu instid0(VALU_DEP_3) | instskip(NEXT) | instid1(VALU_DEP_2)
	v_dual_mul_f32 v15, v18, v15 :: v_dual_mul_f32 v18, 0x3f317218, v12
	v_sub_f32_e32 v9, v9, v13
	s_delay_alu instid0(VALU_DEP_2) | instskip(NEXT) | instid1(VALU_DEP_2)
	v_add_f32_e32 v14, v17, v15
	v_ldexp_f32 v9, v9, 1
	s_delay_alu instid0(VALU_DEP_2) | instskip(SKIP_1) | instid1(VALU_DEP_1)
	v_sub_f32_e32 v13, v14, v17
	v_fma_f32 v17, 0x3f317218, v12, -v18
	v_dual_sub_f32 v13, v15, v13 :: v_dual_fmamk_f32 v12, v12, 0xb102e308, v17
	s_delay_alu instid0(VALU_DEP_1) | instskip(NEXT) | instid1(VALU_DEP_2)
	v_add_f32_e32 v9, v9, v13
	v_add_f32_e32 v13, v18, v12
	s_delay_alu instid0(VALU_DEP_1) | instskip(NEXT) | instid1(VALU_DEP_1)
	v_dual_add_f32 v15, v14, v9 :: v_dual_sub_f32 v18, v13, v18
	v_dual_add_f32 v17, v13, v15 :: v_dual_sub_f32 v14, v15, v14
	s_delay_alu instid0(VALU_DEP_1) | instskip(NEXT) | instid1(VALU_DEP_2)
	v_dual_sub_f32 v12, v12, v18 :: v_dual_sub_f32 v19, v17, v13
	v_sub_f32_e32 v9, v9, v14
	s_delay_alu instid0(VALU_DEP_2) | instskip(NEXT) | instid1(VALU_DEP_2)
	v_sub_f32_e32 v20, v17, v19
	v_dual_sub_f32 v14, v15, v19 :: v_dual_add_f32 v15, v12, v9
	s_delay_alu instid0(VALU_DEP_2) | instskip(NEXT) | instid1(VALU_DEP_1)
	v_sub_f32_e32 v13, v13, v20
	v_dual_add_f32 v13, v14, v13 :: v_dual_sub_f32 v14, v15, v12
	s_delay_alu instid0(VALU_DEP_1) | instskip(NEXT) | instid1(VALU_DEP_2)
	v_add_f32_e32 v13, v15, v13
	v_sub_f32_e32 v15, v15, v14
	v_sub_f32_e32 v9, v9, v14
	s_delay_alu instid0(VALU_DEP_3) | instskip(NEXT) | instid1(VALU_DEP_3)
	v_add_f32_e32 v18, v17, v13
	v_sub_f32_e32 v12, v12, v15
	s_delay_alu instid0(VALU_DEP_1) | instskip(NEXT) | instid1(VALU_DEP_1)
	v_dual_sub_f32 v14, v18, v17 :: v_dual_add_f32 v9, v9, v12
	v_sub_f32_e32 v12, v13, v14
	s_delay_alu instid0(VALU_DEP_1) | instskip(NEXT) | instid1(VALU_DEP_1)
	v_add_f32_e32 v9, v9, v12
	v_add_f32_e32 v9, v18, v9
	s_wait_alu 0xf1ff
	s_delay_alu instid0(VALU_DEP_1) | instskip(SKIP_2) | instid1(VALU_DEP_1)
	v_cndmask_b32_e64 v9, 0x7f800000, v9, s0
	v_cmp_gt_f32_e64 s0, 0x33800000, |v4|
	s_wait_alu 0xf1ff
	v_cndmask_b32_e64 v4, v9, v4, s0
	s_delay_alu instid0(VALU_DEP_1)
	v_add_f32_e32 v4, v8, v4
.LBB148_72:
	s_wait_alu 0xfffe
	s_or_b32 exec_lo, exec_lo, s1
	s_delay_alu instid0(VALU_DEP_1) | instskip(SKIP_1) | instid1(VALU_DEP_2)
	v_max_num_f32_e32 v8, v4, v4
	v_cmp_u_f32_e64 s0, v4, v4
	v_min_num_f32_e32 v9, v8, v10
	v_max_num_f32_e32 v8, v8, v10
	s_wait_alu 0xf1ff
	s_delay_alu instid0(VALU_DEP_2) | instskip(NEXT) | instid1(VALU_DEP_2)
	v_cndmask_b32_e64 v9, v9, v4, s0
	v_cndmask_b32_e64 v8, v8, v4, s0
	s_delay_alu instid0(VALU_DEP_2) | instskip(NEXT) | instid1(VALU_DEP_2)
	v_cndmask_b32_e64 v9, v9, v5, s10
	v_cndmask_b32_e64 v8, v8, v5, s10
	v_mov_b32_e32 v5, v4
	s_delay_alu instid0(VALU_DEP_3) | instskip(NEXT) | instid1(VALU_DEP_3)
	v_cmp_class_f32_e64 s1, v9, 0x1f8
	v_cmp_neq_f32_e64 s0, v9, v8
	s_or_b32 s0, s0, s1
	s_wait_alu 0xfffe
	s_and_saveexec_b32 s1, s0
	s_cbranch_execz .LBB148_74
; %bb.73:
	v_sub_f32_e32 v5, v9, v8
	s_delay_alu instid0(VALU_DEP_1) | instskip(SKIP_1) | instid1(VALU_DEP_2)
	v_mul_f32_e32 v9, 0x3fb8aa3b, v5
	v_cmp_ngt_f32_e64 s0, 0xc2ce8ed0, v5
	v_fma_f32 v10, 0x3fb8aa3b, v5, -v9
	v_rndne_f32_e32 v12, v9
	s_delay_alu instid0(VALU_DEP_2) | instskip(NEXT) | instid1(VALU_DEP_2)
	v_fmamk_f32 v10, v5, 0x32a5705f, v10
	v_sub_f32_e32 v9, v9, v12
	s_delay_alu instid0(VALU_DEP_1) | instskip(SKIP_1) | instid1(VALU_DEP_2)
	v_add_f32_e32 v9, v9, v10
	v_cvt_i32_f32_e32 v10, v12
	v_exp_f32_e32 v9, v9
	s_delay_alu instid0(TRANS32_DEP_1) | instskip(SKIP_1) | instid1(VALU_DEP_1)
	v_ldexp_f32 v9, v9, v10
	s_wait_alu 0xf1ff
	v_cndmask_b32_e64 v9, 0, v9, s0
	v_cmp_nlt_f32_e64 s0, 0x42b17218, v5
	s_wait_alu 0xf1ff
	s_delay_alu instid0(VALU_DEP_1) | instskip(NEXT) | instid1(VALU_DEP_1)
	v_cndmask_b32_e64 v5, 0x7f800000, v9, s0
	v_add_f32_e32 v12, 1.0, v5
	s_delay_alu instid0(VALU_DEP_1) | instskip(NEXT) | instid1(VALU_DEP_1)
	v_cvt_f64_f32_e32 v[9:10], v12
	v_frexp_exp_i32_f64_e32 v9, v[9:10]
	v_frexp_mant_f32_e32 v10, v12
	s_delay_alu instid0(VALU_DEP_1) | instskip(SKIP_1) | instid1(VALU_DEP_1)
	v_cmp_gt_f32_e64 s0, 0x3f2aaaab, v10
	v_add_f32_e32 v10, -1.0, v12
	v_sub_f32_e32 v14, v10, v12
	s_delay_alu instid0(VALU_DEP_1)
	v_add_f32_e32 v14, 1.0, v14
	s_wait_alu 0xf1ff
	v_subrev_co_ci_u32_e64 v9, null, 0, v9, s0
	s_mov_b32 s0, 0x3e9b6dac
	v_sub_nc_u32_e32 v13, 0, v9
	v_cvt_f32_i32_e32 v9, v9
	s_delay_alu instid0(VALU_DEP_2) | instskip(NEXT) | instid1(VALU_DEP_1)
	v_ldexp_f32 v12, v12, v13
	v_dual_sub_f32 v10, v5, v10 :: v_dual_add_f32 v15, 1.0, v12
	s_delay_alu instid0(VALU_DEP_1) | instskip(NEXT) | instid1(VALU_DEP_2)
	v_add_f32_e32 v10, v10, v14
	v_add_f32_e32 v14, -1.0, v15
	s_delay_alu instid0(VALU_DEP_2) | instskip(NEXT) | instid1(VALU_DEP_2)
	v_ldexp_f32 v10, v10, v13
	v_dual_add_f32 v13, -1.0, v12 :: v_dual_sub_f32 v14, v12, v14
	s_delay_alu instid0(VALU_DEP_1) | instskip(NEXT) | instid1(VALU_DEP_1)
	v_dual_add_f32 v17, 1.0, v13 :: v_dual_add_f32 v14, v10, v14
	v_dual_sub_f32 v12, v12, v17 :: v_dual_add_f32 v17, v15, v14
	s_delay_alu instid0(VALU_DEP_1) | instskip(NEXT) | instid1(VALU_DEP_1)
	v_sub_f32_e32 v15, v15, v17
	v_add_f32_e32 v14, v14, v15
	s_delay_alu instid0(VALU_DEP_3) | instskip(SKIP_2) | instid1(VALU_DEP_1)
	v_add_f32_e32 v10, v10, v12
	v_rcp_f32_e32 v12, v17
	s_wait_dscnt 0x0
	v_add_f32_e32 v18, v13, v10
	s_delay_alu instid0(VALU_DEP_1) | instskip(NEXT) | instid1(TRANS32_DEP_1)
	v_sub_f32_e32 v13, v13, v18
	v_mul_f32_e32 v19, v18, v12
	s_delay_alu instid0(VALU_DEP_1) | instskip(NEXT) | instid1(VALU_DEP_1)
	v_mul_f32_e32 v20, v17, v19
	v_fma_f32 v15, v19, v17, -v20
	s_delay_alu instid0(VALU_DEP_1) | instskip(NEXT) | instid1(VALU_DEP_1)
	v_dual_fmac_f32 v15, v19, v14 :: v_dual_add_f32 v10, v10, v13
	v_add_f32_e32 v21, v20, v15
	s_delay_alu instid0(VALU_DEP_1) | instskip(NEXT) | instid1(VALU_DEP_1)
	v_dual_sub_f32 v22, v18, v21 :: v_dual_sub_f32 v13, v21, v20
	v_dual_sub_f32 v18, v18, v22 :: v_dual_sub_f32 v13, v13, v15
	s_delay_alu instid0(VALU_DEP_1) | instskip(NEXT) | instid1(VALU_DEP_1)
	v_sub_f32_e32 v18, v18, v21
	v_add_f32_e32 v10, v10, v18
	s_delay_alu instid0(VALU_DEP_1) | instskip(NEXT) | instid1(VALU_DEP_1)
	v_add_f32_e32 v10, v13, v10
	v_add_f32_e32 v13, v22, v10
	s_delay_alu instid0(VALU_DEP_1) | instskip(NEXT) | instid1(VALU_DEP_1)
	v_mul_f32_e32 v15, v12, v13
	v_dual_sub_f32 v21, v22, v13 :: v_dual_mul_f32 v18, v17, v15
	s_delay_alu instid0(VALU_DEP_1) | instskip(NEXT) | instid1(VALU_DEP_1)
	v_fma_f32 v17, v15, v17, -v18
	v_fmac_f32_e32 v17, v15, v14
	s_delay_alu instid0(VALU_DEP_1) | instskip(NEXT) | instid1(VALU_DEP_1)
	v_add_f32_e32 v14, v18, v17
	v_sub_f32_e32 v20, v13, v14
	s_delay_alu instid0(VALU_DEP_1) | instskip(NEXT) | instid1(VALU_DEP_1)
	v_dual_sub_f32 v18, v14, v18 :: v_dual_sub_f32 v13, v13, v20
	v_dual_add_f32 v10, v10, v21 :: v_dual_sub_f32 v13, v13, v14
	s_delay_alu instid0(VALU_DEP_2) | instskip(NEXT) | instid1(VALU_DEP_2)
	v_sub_f32_e32 v14, v18, v17
	v_dual_add_f32 v10, v10, v13 :: v_dual_add_f32 v13, v19, v15
	s_delay_alu instid0(VALU_DEP_1) | instskip(NEXT) | instid1(VALU_DEP_2)
	v_add_f32_e32 v10, v14, v10
	v_sub_f32_e32 v14, v13, v19
	s_delay_alu instid0(VALU_DEP_2) | instskip(NEXT) | instid1(VALU_DEP_2)
	v_add_f32_e32 v10, v20, v10
	v_sub_f32_e32 v14, v15, v14
	s_delay_alu instid0(VALU_DEP_2) | instskip(NEXT) | instid1(VALU_DEP_1)
	v_mul_f32_e32 v10, v12, v10
	v_add_f32_e32 v10, v14, v10
	s_delay_alu instid0(VALU_DEP_1) | instskip(NEXT) | instid1(VALU_DEP_1)
	v_add_f32_e32 v12, v13, v10
	v_mul_f32_e32 v14, v12, v12
	s_wait_alu 0xfffe
	s_delay_alu instid0(VALU_DEP_1) | instskip(SKIP_2) | instid1(VALU_DEP_3)
	v_fmaak_f32 v15, s0, v14, 0x3ecc95a3
	v_mul_f32_e32 v17, v12, v14
	v_cmp_neq_f32_e64 s0, 0x7f800000, v5
	v_fmaak_f32 v14, v14, v15, 0x3f2aaada
	v_ldexp_f32 v15, v12, 1
	s_delay_alu instid0(VALU_DEP_2) | instskip(SKIP_2) | instid1(VALU_DEP_2)
	v_mul_f32_e32 v14, v17, v14
	v_sub_f32_e32 v12, v12, v13
	v_mul_f32_e32 v17, 0x3f317218, v9
	v_dual_add_f32 v13, v15, v14 :: v_dual_sub_f32 v10, v10, v12
	s_delay_alu instid0(VALU_DEP_1) | instskip(NEXT) | instid1(VALU_DEP_3)
	v_sub_f32_e32 v12, v13, v15
	v_fma_f32 v15, 0x3f317218, v9, -v17
	s_delay_alu instid0(VALU_DEP_3) | instskip(NEXT) | instid1(VALU_DEP_2)
	v_ldexp_f32 v10, v10, 1
	v_dual_sub_f32 v12, v14, v12 :: v_dual_fmamk_f32 v9, v9, 0xb102e308, v15
	s_delay_alu instid0(VALU_DEP_1) | instskip(NEXT) | instid1(VALU_DEP_2)
	v_add_f32_e32 v10, v10, v12
	v_add_f32_e32 v12, v17, v9
	s_delay_alu instid0(VALU_DEP_1) | instskip(NEXT) | instid1(VALU_DEP_1)
	v_dual_add_f32 v14, v13, v10 :: v_dual_sub_f32 v17, v12, v17
	v_add_f32_e32 v15, v12, v14
	v_sub_f32_e32 v13, v14, v13
	s_delay_alu instid0(VALU_DEP_2) | instskip(NEXT) | instid1(VALU_DEP_1)
	v_dual_sub_f32 v9, v9, v17 :: v_dual_sub_f32 v18, v15, v12
	v_dual_sub_f32 v10, v10, v13 :: v_dual_sub_f32 v19, v15, v18
	v_sub_f32_e32 v13, v14, v18
	s_delay_alu instid0(VALU_DEP_2) | instskip(NEXT) | instid1(VALU_DEP_3)
	v_add_f32_e32 v14, v9, v10
	v_sub_f32_e32 v12, v12, v19
	s_delay_alu instid0(VALU_DEP_1) | instskip(NEXT) | instid1(VALU_DEP_1)
	v_dual_add_f32 v12, v13, v12 :: v_dual_sub_f32 v13, v14, v9
	v_add_f32_e32 v12, v14, v12
	s_delay_alu instid0(VALU_DEP_2) | instskip(NEXT) | instid1(VALU_DEP_2)
	v_sub_f32_e32 v14, v14, v13
	v_dual_sub_f32 v10, v10, v13 :: v_dual_add_f32 v17, v15, v12
	s_delay_alu instid0(VALU_DEP_2) | instskip(NEXT) | instid1(VALU_DEP_2)
	v_sub_f32_e32 v9, v9, v14
	v_sub_f32_e32 v13, v17, v15
	s_delay_alu instid0(VALU_DEP_2) | instskip(NEXT) | instid1(VALU_DEP_2)
	v_add_f32_e32 v9, v10, v9
	v_sub_f32_e32 v10, v12, v13
	s_delay_alu instid0(VALU_DEP_1) | instskip(NEXT) | instid1(VALU_DEP_1)
	v_add_f32_e32 v9, v9, v10
	v_add_f32_e32 v9, v17, v9
	s_wait_alu 0xf1ff
	s_delay_alu instid0(VALU_DEP_1) | instskip(SKIP_2) | instid1(VALU_DEP_1)
	v_cndmask_b32_e64 v9, 0x7f800000, v9, s0
	v_cmp_gt_f32_e64 s0, 0x33800000, |v5|
	s_wait_alu 0xf1ff
	v_cndmask_b32_e64 v5, v9, v5, s0
	s_delay_alu instid0(VALU_DEP_1)
	v_add_f32_e32 v5, v8, v5
.LBB148_74:
	s_wait_alu 0xfffe
	s_or_b32 exec_lo, exec_lo, s1
	s_delay_alu instid0(VALU_DEP_1) | instskip(SKIP_1) | instid1(VALU_DEP_2)
	v_max_num_f32_e32 v8, v5, v5
	v_cmp_u_f32_e64 s0, v5, v5
	v_min_num_f32_e32 v9, v8, v11
	v_max_num_f32_e32 v8, v8, v11
	s_wait_alu 0xf1ff
	s_delay_alu instid0(VALU_DEP_2) | instskip(NEXT) | instid1(VALU_DEP_2)
	v_cndmask_b32_e64 v9, v9, v5, s0
	v_cndmask_b32_e64 v8, v8, v5, s0
	s_delay_alu instid0(VALU_DEP_2) | instskip(NEXT) | instid1(VALU_DEP_2)
	v_cndmask_b32_e64 v9, v9, v6, s11
	v_cndmask_b32_e64 v8, v8, v6, s11
	v_mov_b32_e32 v6, v5
	s_delay_alu instid0(VALU_DEP_3) | instskip(NEXT) | instid1(VALU_DEP_3)
	v_cmp_class_f32_e64 s1, v9, 0x1f8
	v_cmp_neq_f32_e64 s0, v9, v8
	s_or_b32 s0, s0, s1
	s_wait_alu 0xfffe
	s_and_saveexec_b32 s1, s0
	s_cbranch_execz .LBB148_76
; %bb.75:
	v_sub_f32_e32 v6, v9, v8
	s_delay_alu instid0(VALU_DEP_1) | instskip(SKIP_1) | instid1(VALU_DEP_2)
	v_mul_f32_e32 v9, 0x3fb8aa3b, v6
	v_cmp_ngt_f32_e64 s0, 0xc2ce8ed0, v6
	v_fma_f32 v10, 0x3fb8aa3b, v6, -v9
	v_rndne_f32_e32 v11, v9
	s_delay_alu instid0(VALU_DEP_1) | instskip(NEXT) | instid1(VALU_DEP_1)
	v_dual_fmamk_f32 v10, v6, 0x32a5705f, v10 :: v_dual_sub_f32 v9, v9, v11
	v_add_f32_e32 v9, v9, v10
	v_cvt_i32_f32_e32 v10, v11
	s_delay_alu instid0(VALU_DEP_2) | instskip(NEXT) | instid1(TRANS32_DEP_1)
	v_exp_f32_e32 v9, v9
	v_ldexp_f32 v9, v9, v10
	s_wait_alu 0xf1ff
	s_delay_alu instid0(VALU_DEP_1) | instskip(SKIP_2) | instid1(VALU_DEP_1)
	v_cndmask_b32_e64 v9, 0, v9, s0
	v_cmp_nlt_f32_e64 s0, 0x42b17218, v6
	s_wait_alu 0xf1ff
	v_cndmask_b32_e64 v6, 0x7f800000, v9, s0
	s_delay_alu instid0(VALU_DEP_1) | instskip(NEXT) | instid1(VALU_DEP_1)
	v_add_f32_e32 v11, 1.0, v6
	v_cvt_f64_f32_e32 v[9:10], v11
	s_delay_alu instid0(VALU_DEP_1) | instskip(SKIP_1) | instid1(VALU_DEP_1)
	v_frexp_exp_i32_f64_e32 v9, v[9:10]
	v_frexp_mant_f32_e32 v10, v11
	v_cmp_gt_f32_e64 s0, 0x3f2aaaab, v10
	v_add_f32_e32 v10, -1.0, v11
	s_delay_alu instid0(VALU_DEP_1) | instskip(NEXT) | instid1(VALU_DEP_1)
	v_sub_f32_e32 v13, v10, v11
	v_dual_sub_f32 v10, v6, v10 :: v_dual_add_f32 v13, 1.0, v13
	s_delay_alu instid0(VALU_DEP_1)
	v_add_f32_e32 v10, v10, v13
	s_wait_alu 0xf1ff
	v_subrev_co_ci_u32_e64 v9, null, 0, v9, s0
	s_mov_b32 s0, 0x3e9b6dac
	v_sub_nc_u32_e32 v12, 0, v9
	v_cvt_f32_i32_e32 v9, v9
	s_delay_alu instid0(VALU_DEP_2) | instskip(SKIP_1) | instid1(VALU_DEP_2)
	v_ldexp_f32 v11, v11, v12
	v_ldexp_f32 v10, v10, v12
	v_add_f32_e32 v14, 1.0, v11
	s_delay_alu instid0(VALU_DEP_1) | instskip(NEXT) | instid1(VALU_DEP_1)
	v_dual_add_f32 v12, -1.0, v11 :: v_dual_add_f32 v13, -1.0, v14
	v_add_f32_e32 v15, 1.0, v12
	s_delay_alu instid0(VALU_DEP_2) | instskip(NEXT) | instid1(VALU_DEP_2)
	v_sub_f32_e32 v13, v11, v13
	v_sub_f32_e32 v11, v11, v15
	s_delay_alu instid0(VALU_DEP_2) | instskip(NEXT) | instid1(VALU_DEP_2)
	v_add_f32_e32 v13, v10, v13
	v_add_f32_e32 v10, v10, v11
	s_delay_alu instid0(VALU_DEP_2) | instskip(NEXT) | instid1(VALU_DEP_1)
	v_add_f32_e32 v15, v14, v13
	v_dual_add_f32 v17, v12, v10 :: v_dual_sub_f32 v14, v14, v15
	v_rcp_f32_e32 v11, v15
	s_delay_alu instid0(VALU_DEP_1) | instskip(NEXT) | instid1(VALU_DEP_1)
	v_dual_sub_f32 v12, v12, v17 :: v_dual_add_f32 v13, v13, v14
	v_add_f32_e32 v10, v10, v12
	s_wait_dscnt 0x0
	s_delay_alu instid0(TRANS32_DEP_1) | instskip(NEXT) | instid1(VALU_DEP_1)
	v_mul_f32_e32 v18, v17, v11
	v_mul_f32_e32 v19, v15, v18
	s_delay_alu instid0(VALU_DEP_1) | instskip(NEXT) | instid1(VALU_DEP_1)
	v_fma_f32 v14, v18, v15, -v19
	v_fmac_f32_e32 v14, v18, v13
	s_delay_alu instid0(VALU_DEP_1) | instskip(NEXT) | instid1(VALU_DEP_1)
	v_add_f32_e32 v20, v19, v14
	v_dual_sub_f32 v12, v20, v19 :: v_dual_sub_f32 v21, v17, v20
	s_delay_alu instid0(VALU_DEP_1) | instskip(NEXT) | instid1(VALU_DEP_1)
	v_dual_sub_f32 v12, v12, v14 :: v_dual_sub_f32 v17, v17, v21
	v_sub_f32_e32 v17, v17, v20
	s_delay_alu instid0(VALU_DEP_1) | instskip(NEXT) | instid1(VALU_DEP_1)
	v_add_f32_e32 v10, v10, v17
	v_add_f32_e32 v10, v12, v10
	s_delay_alu instid0(VALU_DEP_1) | instskip(NEXT) | instid1(VALU_DEP_1)
	v_add_f32_e32 v12, v21, v10
	v_mul_f32_e32 v14, v11, v12
	s_delay_alu instid0(VALU_DEP_1) | instskip(NEXT) | instid1(VALU_DEP_1)
	v_mul_f32_e32 v17, v15, v14
	v_fma_f32 v15, v14, v15, -v17
	s_delay_alu instid0(VALU_DEP_1) | instskip(NEXT) | instid1(VALU_DEP_1)
	v_dual_fmac_f32 v15, v14, v13 :: v_dual_sub_f32 v20, v21, v12
	v_dual_add_f32 v13, v17, v15 :: v_dual_add_f32 v10, v10, v20
	s_delay_alu instid0(VALU_DEP_1) | instskip(SKIP_1) | instid1(VALU_DEP_1)
	v_sub_f32_e32 v17, v13, v17
	v_sub_f32_e32 v19, v12, v13
	;; [unrolled: 1-line block ×3, first 2 shown]
	s_delay_alu instid0(VALU_DEP_1) | instskip(NEXT) | instid1(VALU_DEP_1)
	v_dual_sub_f32 v12, v12, v13 :: v_dual_sub_f32 v13, v17, v15
	v_add_f32_e32 v10, v10, v12
	v_add_f32_e32 v12, v18, v14
	s_delay_alu instid0(VALU_DEP_2) | instskip(NEXT) | instid1(VALU_DEP_2)
	v_add_f32_e32 v10, v13, v10
	v_sub_f32_e32 v13, v12, v18
	s_delay_alu instid0(VALU_DEP_1) | instskip(NEXT) | instid1(VALU_DEP_1)
	v_dual_sub_f32 v13, v14, v13 :: v_dual_add_f32 v10, v19, v10
	v_mul_f32_e32 v10, v11, v10
	s_delay_alu instid0(VALU_DEP_1) | instskip(NEXT) | instid1(VALU_DEP_1)
	v_add_f32_e32 v10, v13, v10
	v_add_f32_e32 v11, v12, v10
	s_delay_alu instid0(VALU_DEP_1) | instskip(SKIP_1) | instid1(VALU_DEP_1)
	v_mul_f32_e32 v13, v11, v11
	s_wait_alu 0xfffe
	v_fmaak_f32 v14, s0, v13, 0x3ecc95a3
	v_mul_f32_e32 v15, v11, v13
	v_cmp_neq_f32_e64 s0, 0x7f800000, v6
	s_delay_alu instid0(VALU_DEP_3) | instskip(SKIP_2) | instid1(VALU_DEP_1)
	v_fmaak_f32 v13, v13, v14, 0x3f2aaada
	v_ldexp_f32 v14, v11, 1
	v_sub_f32_e32 v11, v11, v12
	v_sub_f32_e32 v10, v10, v11
	s_delay_alu instid0(VALU_DEP_1) | instskip(SKIP_2) | instid1(VALU_DEP_2)
	v_ldexp_f32 v10, v10, 1
	v_mul_f32_e32 v13, v15, v13
	v_mul_f32_e32 v15, 0x3f317218, v9
	v_add_f32_e32 v12, v14, v13
	s_delay_alu instid0(VALU_DEP_1) | instskip(NEXT) | instid1(VALU_DEP_3)
	v_sub_f32_e32 v11, v12, v14
	v_fma_f32 v14, 0x3f317218, v9, -v15
	s_delay_alu instid0(VALU_DEP_2) | instskip(NEXT) | instid1(VALU_DEP_1)
	v_sub_f32_e32 v11, v13, v11
	v_add_f32_e32 v10, v10, v11
	s_delay_alu instid0(VALU_DEP_1) | instskip(NEXT) | instid1(VALU_DEP_4)
	v_add_f32_e32 v13, v12, v10
	v_fmamk_f32 v9, v9, 0xb102e308, v14
	s_delay_alu instid0(VALU_DEP_1) | instskip(NEXT) | instid1(VALU_DEP_1)
	v_dual_sub_f32 v12, v13, v12 :: v_dual_add_f32 v11, v15, v9
	v_sub_f32_e32 v10, v10, v12
	s_delay_alu instid0(VALU_DEP_2) | instskip(SKIP_1) | instid1(VALU_DEP_1)
	v_add_f32_e32 v14, v11, v13
	v_sub_f32_e32 v15, v11, v15
	v_sub_f32_e32 v9, v9, v15
	s_delay_alu instid0(VALU_DEP_3) | instskip(NEXT) | instid1(VALU_DEP_1)
	v_sub_f32_e32 v17, v14, v11
	v_sub_f32_e32 v18, v14, v17
	;; [unrolled: 1-line block ×3, first 2 shown]
	s_delay_alu instid0(VALU_DEP_4) | instskip(NEXT) | instid1(VALU_DEP_3)
	v_add_f32_e32 v13, v9, v10
	v_sub_f32_e32 v11, v11, v18
	s_delay_alu instid0(VALU_DEP_1) | instskip(NEXT) | instid1(VALU_DEP_1)
	v_dual_add_f32 v11, v12, v11 :: v_dual_sub_f32 v12, v13, v9
	v_add_f32_e32 v11, v13, v11
	s_delay_alu instid0(VALU_DEP_2) | instskip(SKIP_1) | instid1(VALU_DEP_3)
	v_sub_f32_e32 v13, v13, v12
	v_sub_f32_e32 v10, v10, v12
	v_add_f32_e32 v15, v14, v11
	s_delay_alu instid0(VALU_DEP_1) | instskip(NEXT) | instid1(VALU_DEP_1)
	v_dual_sub_f32 v9, v9, v13 :: v_dual_sub_f32 v12, v15, v14
	v_dual_add_f32 v9, v10, v9 :: v_dual_sub_f32 v10, v11, v12
	s_delay_alu instid0(VALU_DEP_1) | instskip(NEXT) | instid1(VALU_DEP_1)
	v_add_f32_e32 v9, v9, v10
	v_add_f32_e32 v9, v15, v9
	s_wait_alu 0xf1ff
	s_delay_alu instid0(VALU_DEP_1) | instskip(SKIP_2) | instid1(VALU_DEP_1)
	v_cndmask_b32_e64 v9, 0x7f800000, v9, s0
	v_cmp_gt_f32_e64 s0, 0x33800000, |v6|
	s_wait_alu 0xf1ff
	v_cndmask_b32_e64 v6, v9, v6, s0
	s_delay_alu instid0(VALU_DEP_1)
	v_add_f32_e32 v6, v8, v6
.LBB148_76:
	s_wait_alu 0xfffe
	s_or_b32 exec_lo, exec_lo, s1
	v_add_nc_u32_e32 v8, v7, v16
	s_wait_loadcnt_dscnt 0x0
	s_barrier_signal -1
	s_barrier_wait -1
	global_inv scope:SCOPE_SE
	ds_store_2addr_b64 v8, v[1:2], v[3:4] offset1:1
	ds_store_b64 v8, v[5:6] offset:16
	s_wait_loadcnt_dscnt 0x0
	s_barrier_signal -1
	s_barrier_wait -1
	global_inv scope:SCOPE_SE
	ds_load_2addr_stride64_b32 v[4:5], v7 offset0:4 offset1:8
	ds_load_2addr_stride64_b32 v[2:3], v7 offset0:12 offset1:16
	ds_load_b32 v6, v7 offset:5120
	v_lshlrev_b32_e32 v0, 2, v0
	s_wait_kmcnt 0x0
	s_delay_alu instid0(VALU_DEP_1)
	v_add_co_u32 v0, s0, s14, v0
	s_wait_alu 0xf1ff
	v_add_co_ci_u32_e64 v1, null, s15, 0, s0
	s_and_saveexec_b32 s0, vcc_lo
	s_cbranch_execnz .LBB148_83
; %bb.77:
	s_wait_alu 0xfffe
	s_or_b32 exec_lo, exec_lo, s0
	s_and_saveexec_b32 s0, s2
	s_cbranch_execnz .LBB148_84
.LBB148_78:
	s_wait_alu 0xfffe
	s_or_b32 exec_lo, exec_lo, s0
	s_and_saveexec_b32 s0, s3
	s_cbranch_execnz .LBB148_85
.LBB148_79:
	s_wait_alu 0xfffe
	s_or_b32 exec_lo, exec_lo, s0
	s_and_saveexec_b32 s0, s4
	s_cbranch_execnz .LBB148_86
.LBB148_80:
	s_wait_alu 0xfffe
	s_or_b32 exec_lo, exec_lo, s0
	s_and_saveexec_b32 s0, s5
	s_cbranch_execnz .LBB148_87
.LBB148_81:
	s_wait_alu 0xfffe
	s_or_b32 exec_lo, exec_lo, s0
	s_and_saveexec_b32 s0, s6
	s_cbranch_execnz .LBB148_88
.LBB148_82:
	s_endpgm
.LBB148_83:
	ds_load_b32 v7, v7
	s_wait_dscnt 0x0
	global_store_b32 v[0:1], v7, off
	s_wait_alu 0xfffe
	s_or_b32 exec_lo, exec_lo, s0
	s_and_saveexec_b32 s0, s2
	s_cbranch_execz .LBB148_78
.LBB148_84:
	s_wait_dscnt 0x2
	global_store_b32 v[0:1], v4, off offset:1024
	s_wait_alu 0xfffe
	s_or_b32 exec_lo, exec_lo, s0
	s_and_saveexec_b32 s0, s3
	s_cbranch_execz .LBB148_79
.LBB148_85:
	s_wait_dscnt 0x2
	global_store_b32 v[0:1], v5, off offset:2048
	s_wait_alu 0xfffe
	s_or_b32 exec_lo, exec_lo, s0
	s_and_saveexec_b32 s0, s4
	s_cbranch_execz .LBB148_80
.LBB148_86:
	s_wait_dscnt 0x1
	global_store_b32 v[0:1], v2, off offset:3072
	s_wait_alu 0xfffe
	s_or_b32 exec_lo, exec_lo, s0
	s_and_saveexec_b32 s0, s5
	s_cbranch_execz .LBB148_81
.LBB148_87:
	s_wait_dscnt 0x1
	global_store_b32 v[0:1], v3, off offset:4096
	s_wait_alu 0xfffe
	s_or_b32 exec_lo, exec_lo, s0
	s_and_saveexec_b32 s0, s6
	s_cbranch_execz .LBB148_82
.LBB148_88:
	s_wait_dscnt 0x0
	global_store_b32 v[0:1], v6, off offset:5120
	s_endpgm
	.section	.rodata,"a",@progbits
	.p2align	6, 0x0
	.amdhsa_kernel _ZN7rocprim17ROCPRIM_400000_NS6detail17trampoline_kernelINS0_14default_configENS1_20scan_config_selectorIfEEZZNS1_9scan_implILNS1_25lookback_scan_determinismE0ELb0ELb0ES3_PKfPffZZZN2at6native31launch_logcumsumexp_cuda_kernelERKNSB_10TensorBaseESF_lENKUlvE_clEvENKUlvE0_clEvEUlffE_fEEDaPvRmT3_T4_T5_mT6_P12ihipStream_tbENKUlT_T0_E_clISt17integral_constantIbLb1EESV_IbLb0EEEEDaSR_SS_EUlSR_E0_NS1_11comp_targetILNS1_3genE10ELNS1_11target_archE1201ELNS1_3gpuE5ELNS1_3repE0EEENS1_30default_config_static_selectorELNS0_4arch9wavefront6targetE0EEEvT1_
		.amdhsa_group_segment_fixed_size 6144
		.amdhsa_private_segment_fixed_size 0
		.amdhsa_kernarg_size 32
		.amdhsa_user_sgpr_count 2
		.amdhsa_user_sgpr_dispatch_ptr 0
		.amdhsa_user_sgpr_queue_ptr 0
		.amdhsa_user_sgpr_kernarg_segment_ptr 1
		.amdhsa_user_sgpr_dispatch_id 0
		.amdhsa_user_sgpr_private_segment_size 0
		.amdhsa_wavefront_size32 1
		.amdhsa_uses_dynamic_stack 0
		.amdhsa_enable_private_segment 0
		.amdhsa_system_sgpr_workgroup_id_x 1
		.amdhsa_system_sgpr_workgroup_id_y 0
		.amdhsa_system_sgpr_workgroup_id_z 0
		.amdhsa_system_sgpr_workgroup_info 0
		.amdhsa_system_vgpr_workitem_id 0
		.amdhsa_next_free_vgpr 35
		.amdhsa_next_free_sgpr 17
		.amdhsa_reserve_vcc 1
		.amdhsa_float_round_mode_32 0
		.amdhsa_float_round_mode_16_64 0
		.amdhsa_float_denorm_mode_32 3
		.amdhsa_float_denorm_mode_16_64 3
		.amdhsa_fp16_overflow 0
		.amdhsa_workgroup_processor_mode 1
		.amdhsa_memory_ordered 1
		.amdhsa_forward_progress 1
		.amdhsa_inst_pref_size 163
		.amdhsa_round_robin_scheduling 0
		.amdhsa_exception_fp_ieee_invalid_op 0
		.amdhsa_exception_fp_denorm_src 0
		.amdhsa_exception_fp_ieee_div_zero 0
		.amdhsa_exception_fp_ieee_overflow 0
		.amdhsa_exception_fp_ieee_underflow 0
		.amdhsa_exception_fp_ieee_inexact 0
		.amdhsa_exception_int_div_zero 0
	.end_amdhsa_kernel
	.section	.text._ZN7rocprim17ROCPRIM_400000_NS6detail17trampoline_kernelINS0_14default_configENS1_20scan_config_selectorIfEEZZNS1_9scan_implILNS1_25lookback_scan_determinismE0ELb0ELb0ES3_PKfPffZZZN2at6native31launch_logcumsumexp_cuda_kernelERKNSB_10TensorBaseESF_lENKUlvE_clEvENKUlvE0_clEvEUlffE_fEEDaPvRmT3_T4_T5_mT6_P12ihipStream_tbENKUlT_T0_E_clISt17integral_constantIbLb1EESV_IbLb0EEEEDaSR_SS_EUlSR_E0_NS1_11comp_targetILNS1_3genE10ELNS1_11target_archE1201ELNS1_3gpuE5ELNS1_3repE0EEENS1_30default_config_static_selectorELNS0_4arch9wavefront6targetE0EEEvT1_,"axG",@progbits,_ZN7rocprim17ROCPRIM_400000_NS6detail17trampoline_kernelINS0_14default_configENS1_20scan_config_selectorIfEEZZNS1_9scan_implILNS1_25lookback_scan_determinismE0ELb0ELb0ES3_PKfPffZZZN2at6native31launch_logcumsumexp_cuda_kernelERKNSB_10TensorBaseESF_lENKUlvE_clEvENKUlvE0_clEvEUlffE_fEEDaPvRmT3_T4_T5_mT6_P12ihipStream_tbENKUlT_T0_E_clISt17integral_constantIbLb1EESV_IbLb0EEEEDaSR_SS_EUlSR_E0_NS1_11comp_targetILNS1_3genE10ELNS1_11target_archE1201ELNS1_3gpuE5ELNS1_3repE0EEENS1_30default_config_static_selectorELNS0_4arch9wavefront6targetE0EEEvT1_,comdat
.Lfunc_end148:
	.size	_ZN7rocprim17ROCPRIM_400000_NS6detail17trampoline_kernelINS0_14default_configENS1_20scan_config_selectorIfEEZZNS1_9scan_implILNS1_25lookback_scan_determinismE0ELb0ELb0ES3_PKfPffZZZN2at6native31launch_logcumsumexp_cuda_kernelERKNSB_10TensorBaseESF_lENKUlvE_clEvENKUlvE0_clEvEUlffE_fEEDaPvRmT3_T4_T5_mT6_P12ihipStream_tbENKUlT_T0_E_clISt17integral_constantIbLb1EESV_IbLb0EEEEDaSR_SS_EUlSR_E0_NS1_11comp_targetILNS1_3genE10ELNS1_11target_archE1201ELNS1_3gpuE5ELNS1_3repE0EEENS1_30default_config_static_selectorELNS0_4arch9wavefront6targetE0EEEvT1_, .Lfunc_end148-_ZN7rocprim17ROCPRIM_400000_NS6detail17trampoline_kernelINS0_14default_configENS1_20scan_config_selectorIfEEZZNS1_9scan_implILNS1_25lookback_scan_determinismE0ELb0ELb0ES3_PKfPffZZZN2at6native31launch_logcumsumexp_cuda_kernelERKNSB_10TensorBaseESF_lENKUlvE_clEvENKUlvE0_clEvEUlffE_fEEDaPvRmT3_T4_T5_mT6_P12ihipStream_tbENKUlT_T0_E_clISt17integral_constantIbLb1EESV_IbLb0EEEEDaSR_SS_EUlSR_E0_NS1_11comp_targetILNS1_3genE10ELNS1_11target_archE1201ELNS1_3gpuE5ELNS1_3repE0EEENS1_30default_config_static_selectorELNS0_4arch9wavefront6targetE0EEEvT1_
                                        ; -- End function
	.set _ZN7rocprim17ROCPRIM_400000_NS6detail17trampoline_kernelINS0_14default_configENS1_20scan_config_selectorIfEEZZNS1_9scan_implILNS1_25lookback_scan_determinismE0ELb0ELb0ES3_PKfPffZZZN2at6native31launch_logcumsumexp_cuda_kernelERKNSB_10TensorBaseESF_lENKUlvE_clEvENKUlvE0_clEvEUlffE_fEEDaPvRmT3_T4_T5_mT6_P12ihipStream_tbENKUlT_T0_E_clISt17integral_constantIbLb1EESV_IbLb0EEEEDaSR_SS_EUlSR_E0_NS1_11comp_targetILNS1_3genE10ELNS1_11target_archE1201ELNS1_3gpuE5ELNS1_3repE0EEENS1_30default_config_static_selectorELNS0_4arch9wavefront6targetE0EEEvT1_.num_vgpr, 35
	.set _ZN7rocprim17ROCPRIM_400000_NS6detail17trampoline_kernelINS0_14default_configENS1_20scan_config_selectorIfEEZZNS1_9scan_implILNS1_25lookback_scan_determinismE0ELb0ELb0ES3_PKfPffZZZN2at6native31launch_logcumsumexp_cuda_kernelERKNSB_10TensorBaseESF_lENKUlvE_clEvENKUlvE0_clEvEUlffE_fEEDaPvRmT3_T4_T5_mT6_P12ihipStream_tbENKUlT_T0_E_clISt17integral_constantIbLb1EESV_IbLb0EEEEDaSR_SS_EUlSR_E0_NS1_11comp_targetILNS1_3genE10ELNS1_11target_archE1201ELNS1_3gpuE5ELNS1_3repE0EEENS1_30default_config_static_selectorELNS0_4arch9wavefront6targetE0EEEvT1_.num_agpr, 0
	.set _ZN7rocprim17ROCPRIM_400000_NS6detail17trampoline_kernelINS0_14default_configENS1_20scan_config_selectorIfEEZZNS1_9scan_implILNS1_25lookback_scan_determinismE0ELb0ELb0ES3_PKfPffZZZN2at6native31launch_logcumsumexp_cuda_kernelERKNSB_10TensorBaseESF_lENKUlvE_clEvENKUlvE0_clEvEUlffE_fEEDaPvRmT3_T4_T5_mT6_P12ihipStream_tbENKUlT_T0_E_clISt17integral_constantIbLb1EESV_IbLb0EEEEDaSR_SS_EUlSR_E0_NS1_11comp_targetILNS1_3genE10ELNS1_11target_archE1201ELNS1_3gpuE5ELNS1_3repE0EEENS1_30default_config_static_selectorELNS0_4arch9wavefront6targetE0EEEvT1_.numbered_sgpr, 17
	.set _ZN7rocprim17ROCPRIM_400000_NS6detail17trampoline_kernelINS0_14default_configENS1_20scan_config_selectorIfEEZZNS1_9scan_implILNS1_25lookback_scan_determinismE0ELb0ELb0ES3_PKfPffZZZN2at6native31launch_logcumsumexp_cuda_kernelERKNSB_10TensorBaseESF_lENKUlvE_clEvENKUlvE0_clEvEUlffE_fEEDaPvRmT3_T4_T5_mT6_P12ihipStream_tbENKUlT_T0_E_clISt17integral_constantIbLb1EESV_IbLb0EEEEDaSR_SS_EUlSR_E0_NS1_11comp_targetILNS1_3genE10ELNS1_11target_archE1201ELNS1_3gpuE5ELNS1_3repE0EEENS1_30default_config_static_selectorELNS0_4arch9wavefront6targetE0EEEvT1_.num_named_barrier, 0
	.set _ZN7rocprim17ROCPRIM_400000_NS6detail17trampoline_kernelINS0_14default_configENS1_20scan_config_selectorIfEEZZNS1_9scan_implILNS1_25lookback_scan_determinismE0ELb0ELb0ES3_PKfPffZZZN2at6native31launch_logcumsumexp_cuda_kernelERKNSB_10TensorBaseESF_lENKUlvE_clEvENKUlvE0_clEvEUlffE_fEEDaPvRmT3_T4_T5_mT6_P12ihipStream_tbENKUlT_T0_E_clISt17integral_constantIbLb1EESV_IbLb0EEEEDaSR_SS_EUlSR_E0_NS1_11comp_targetILNS1_3genE10ELNS1_11target_archE1201ELNS1_3gpuE5ELNS1_3repE0EEENS1_30default_config_static_selectorELNS0_4arch9wavefront6targetE0EEEvT1_.private_seg_size, 0
	.set _ZN7rocprim17ROCPRIM_400000_NS6detail17trampoline_kernelINS0_14default_configENS1_20scan_config_selectorIfEEZZNS1_9scan_implILNS1_25lookback_scan_determinismE0ELb0ELb0ES3_PKfPffZZZN2at6native31launch_logcumsumexp_cuda_kernelERKNSB_10TensorBaseESF_lENKUlvE_clEvENKUlvE0_clEvEUlffE_fEEDaPvRmT3_T4_T5_mT6_P12ihipStream_tbENKUlT_T0_E_clISt17integral_constantIbLb1EESV_IbLb0EEEEDaSR_SS_EUlSR_E0_NS1_11comp_targetILNS1_3genE10ELNS1_11target_archE1201ELNS1_3gpuE5ELNS1_3repE0EEENS1_30default_config_static_selectorELNS0_4arch9wavefront6targetE0EEEvT1_.uses_vcc, 1
	.set _ZN7rocprim17ROCPRIM_400000_NS6detail17trampoline_kernelINS0_14default_configENS1_20scan_config_selectorIfEEZZNS1_9scan_implILNS1_25lookback_scan_determinismE0ELb0ELb0ES3_PKfPffZZZN2at6native31launch_logcumsumexp_cuda_kernelERKNSB_10TensorBaseESF_lENKUlvE_clEvENKUlvE0_clEvEUlffE_fEEDaPvRmT3_T4_T5_mT6_P12ihipStream_tbENKUlT_T0_E_clISt17integral_constantIbLb1EESV_IbLb0EEEEDaSR_SS_EUlSR_E0_NS1_11comp_targetILNS1_3genE10ELNS1_11target_archE1201ELNS1_3gpuE5ELNS1_3repE0EEENS1_30default_config_static_selectorELNS0_4arch9wavefront6targetE0EEEvT1_.uses_flat_scratch, 0
	.set _ZN7rocprim17ROCPRIM_400000_NS6detail17trampoline_kernelINS0_14default_configENS1_20scan_config_selectorIfEEZZNS1_9scan_implILNS1_25lookback_scan_determinismE0ELb0ELb0ES3_PKfPffZZZN2at6native31launch_logcumsumexp_cuda_kernelERKNSB_10TensorBaseESF_lENKUlvE_clEvENKUlvE0_clEvEUlffE_fEEDaPvRmT3_T4_T5_mT6_P12ihipStream_tbENKUlT_T0_E_clISt17integral_constantIbLb1EESV_IbLb0EEEEDaSR_SS_EUlSR_E0_NS1_11comp_targetILNS1_3genE10ELNS1_11target_archE1201ELNS1_3gpuE5ELNS1_3repE0EEENS1_30default_config_static_selectorELNS0_4arch9wavefront6targetE0EEEvT1_.has_dyn_sized_stack, 0
	.set _ZN7rocprim17ROCPRIM_400000_NS6detail17trampoline_kernelINS0_14default_configENS1_20scan_config_selectorIfEEZZNS1_9scan_implILNS1_25lookback_scan_determinismE0ELb0ELb0ES3_PKfPffZZZN2at6native31launch_logcumsumexp_cuda_kernelERKNSB_10TensorBaseESF_lENKUlvE_clEvENKUlvE0_clEvEUlffE_fEEDaPvRmT3_T4_T5_mT6_P12ihipStream_tbENKUlT_T0_E_clISt17integral_constantIbLb1EESV_IbLb0EEEEDaSR_SS_EUlSR_E0_NS1_11comp_targetILNS1_3genE10ELNS1_11target_archE1201ELNS1_3gpuE5ELNS1_3repE0EEENS1_30default_config_static_selectorELNS0_4arch9wavefront6targetE0EEEvT1_.has_recursion, 0
	.set _ZN7rocprim17ROCPRIM_400000_NS6detail17trampoline_kernelINS0_14default_configENS1_20scan_config_selectorIfEEZZNS1_9scan_implILNS1_25lookback_scan_determinismE0ELb0ELb0ES3_PKfPffZZZN2at6native31launch_logcumsumexp_cuda_kernelERKNSB_10TensorBaseESF_lENKUlvE_clEvENKUlvE0_clEvEUlffE_fEEDaPvRmT3_T4_T5_mT6_P12ihipStream_tbENKUlT_T0_E_clISt17integral_constantIbLb1EESV_IbLb0EEEEDaSR_SS_EUlSR_E0_NS1_11comp_targetILNS1_3genE10ELNS1_11target_archE1201ELNS1_3gpuE5ELNS1_3repE0EEENS1_30default_config_static_selectorELNS0_4arch9wavefront6targetE0EEEvT1_.has_indirect_call, 0
	.section	.AMDGPU.csdata,"",@progbits
; Kernel info:
; codeLenInByte = 20840
; TotalNumSgprs: 19
; NumVgprs: 35
; ScratchSize: 0
; MemoryBound: 0
; FloatMode: 240
; IeeeMode: 1
; LDSByteSize: 6144 bytes/workgroup (compile time only)
; SGPRBlocks: 0
; VGPRBlocks: 4
; NumSGPRsForWavesPerEU: 19
; NumVGPRsForWavesPerEU: 35
; Occupancy: 16
; WaveLimiterHint : 0
; COMPUTE_PGM_RSRC2:SCRATCH_EN: 0
; COMPUTE_PGM_RSRC2:USER_SGPR: 2
; COMPUTE_PGM_RSRC2:TRAP_HANDLER: 0
; COMPUTE_PGM_RSRC2:TGID_X_EN: 1
; COMPUTE_PGM_RSRC2:TGID_Y_EN: 0
; COMPUTE_PGM_RSRC2:TGID_Z_EN: 0
; COMPUTE_PGM_RSRC2:TIDIG_COMP_CNT: 0
	.section	.text._ZN7rocprim17ROCPRIM_400000_NS6detail17trampoline_kernelINS0_14default_configENS1_20scan_config_selectorIfEEZZNS1_9scan_implILNS1_25lookback_scan_determinismE0ELb0ELb0ES3_PKfPffZZZN2at6native31launch_logcumsumexp_cuda_kernelERKNSB_10TensorBaseESF_lENKUlvE_clEvENKUlvE0_clEvEUlffE_fEEDaPvRmT3_T4_T5_mT6_P12ihipStream_tbENKUlT_T0_E_clISt17integral_constantIbLb1EESV_IbLb0EEEEDaSR_SS_EUlSR_E0_NS1_11comp_targetILNS1_3genE10ELNS1_11target_archE1200ELNS1_3gpuE4ELNS1_3repE0EEENS1_30default_config_static_selectorELNS0_4arch9wavefront6targetE0EEEvT1_,"axG",@progbits,_ZN7rocprim17ROCPRIM_400000_NS6detail17trampoline_kernelINS0_14default_configENS1_20scan_config_selectorIfEEZZNS1_9scan_implILNS1_25lookback_scan_determinismE0ELb0ELb0ES3_PKfPffZZZN2at6native31launch_logcumsumexp_cuda_kernelERKNSB_10TensorBaseESF_lENKUlvE_clEvENKUlvE0_clEvEUlffE_fEEDaPvRmT3_T4_T5_mT6_P12ihipStream_tbENKUlT_T0_E_clISt17integral_constantIbLb1EESV_IbLb0EEEEDaSR_SS_EUlSR_E0_NS1_11comp_targetILNS1_3genE10ELNS1_11target_archE1200ELNS1_3gpuE4ELNS1_3repE0EEENS1_30default_config_static_selectorELNS0_4arch9wavefront6targetE0EEEvT1_,comdat
	.globl	_ZN7rocprim17ROCPRIM_400000_NS6detail17trampoline_kernelINS0_14default_configENS1_20scan_config_selectorIfEEZZNS1_9scan_implILNS1_25lookback_scan_determinismE0ELb0ELb0ES3_PKfPffZZZN2at6native31launch_logcumsumexp_cuda_kernelERKNSB_10TensorBaseESF_lENKUlvE_clEvENKUlvE0_clEvEUlffE_fEEDaPvRmT3_T4_T5_mT6_P12ihipStream_tbENKUlT_T0_E_clISt17integral_constantIbLb1EESV_IbLb0EEEEDaSR_SS_EUlSR_E0_NS1_11comp_targetILNS1_3genE10ELNS1_11target_archE1200ELNS1_3gpuE4ELNS1_3repE0EEENS1_30default_config_static_selectorELNS0_4arch9wavefront6targetE0EEEvT1_ ; -- Begin function _ZN7rocprim17ROCPRIM_400000_NS6detail17trampoline_kernelINS0_14default_configENS1_20scan_config_selectorIfEEZZNS1_9scan_implILNS1_25lookback_scan_determinismE0ELb0ELb0ES3_PKfPffZZZN2at6native31launch_logcumsumexp_cuda_kernelERKNSB_10TensorBaseESF_lENKUlvE_clEvENKUlvE0_clEvEUlffE_fEEDaPvRmT3_T4_T5_mT6_P12ihipStream_tbENKUlT_T0_E_clISt17integral_constantIbLb1EESV_IbLb0EEEEDaSR_SS_EUlSR_E0_NS1_11comp_targetILNS1_3genE10ELNS1_11target_archE1200ELNS1_3gpuE4ELNS1_3repE0EEENS1_30default_config_static_selectorELNS0_4arch9wavefront6targetE0EEEvT1_
	.p2align	8
	.type	_ZN7rocprim17ROCPRIM_400000_NS6detail17trampoline_kernelINS0_14default_configENS1_20scan_config_selectorIfEEZZNS1_9scan_implILNS1_25lookback_scan_determinismE0ELb0ELb0ES3_PKfPffZZZN2at6native31launch_logcumsumexp_cuda_kernelERKNSB_10TensorBaseESF_lENKUlvE_clEvENKUlvE0_clEvEUlffE_fEEDaPvRmT3_T4_T5_mT6_P12ihipStream_tbENKUlT_T0_E_clISt17integral_constantIbLb1EESV_IbLb0EEEEDaSR_SS_EUlSR_E0_NS1_11comp_targetILNS1_3genE10ELNS1_11target_archE1200ELNS1_3gpuE4ELNS1_3repE0EEENS1_30default_config_static_selectorELNS0_4arch9wavefront6targetE0EEEvT1_,@function
_ZN7rocprim17ROCPRIM_400000_NS6detail17trampoline_kernelINS0_14default_configENS1_20scan_config_selectorIfEEZZNS1_9scan_implILNS1_25lookback_scan_determinismE0ELb0ELb0ES3_PKfPffZZZN2at6native31launch_logcumsumexp_cuda_kernelERKNSB_10TensorBaseESF_lENKUlvE_clEvENKUlvE0_clEvEUlffE_fEEDaPvRmT3_T4_T5_mT6_P12ihipStream_tbENKUlT_T0_E_clISt17integral_constantIbLb1EESV_IbLb0EEEEDaSR_SS_EUlSR_E0_NS1_11comp_targetILNS1_3genE10ELNS1_11target_archE1200ELNS1_3gpuE4ELNS1_3repE0EEENS1_30default_config_static_selectorELNS0_4arch9wavefront6targetE0EEEvT1_: ; @_ZN7rocprim17ROCPRIM_400000_NS6detail17trampoline_kernelINS0_14default_configENS1_20scan_config_selectorIfEEZZNS1_9scan_implILNS1_25lookback_scan_determinismE0ELb0ELb0ES3_PKfPffZZZN2at6native31launch_logcumsumexp_cuda_kernelERKNSB_10TensorBaseESF_lENKUlvE_clEvENKUlvE0_clEvEUlffE_fEEDaPvRmT3_T4_T5_mT6_P12ihipStream_tbENKUlT_T0_E_clISt17integral_constantIbLb1EESV_IbLb0EEEEDaSR_SS_EUlSR_E0_NS1_11comp_targetILNS1_3genE10ELNS1_11target_archE1200ELNS1_3gpuE4ELNS1_3repE0EEENS1_30default_config_static_selectorELNS0_4arch9wavefront6targetE0EEEvT1_
; %bb.0:
	.section	.rodata,"a",@progbits
	.p2align	6, 0x0
	.amdhsa_kernel _ZN7rocprim17ROCPRIM_400000_NS6detail17trampoline_kernelINS0_14default_configENS1_20scan_config_selectorIfEEZZNS1_9scan_implILNS1_25lookback_scan_determinismE0ELb0ELb0ES3_PKfPffZZZN2at6native31launch_logcumsumexp_cuda_kernelERKNSB_10TensorBaseESF_lENKUlvE_clEvENKUlvE0_clEvEUlffE_fEEDaPvRmT3_T4_T5_mT6_P12ihipStream_tbENKUlT_T0_E_clISt17integral_constantIbLb1EESV_IbLb0EEEEDaSR_SS_EUlSR_E0_NS1_11comp_targetILNS1_3genE10ELNS1_11target_archE1200ELNS1_3gpuE4ELNS1_3repE0EEENS1_30default_config_static_selectorELNS0_4arch9wavefront6targetE0EEEvT1_
		.amdhsa_group_segment_fixed_size 0
		.amdhsa_private_segment_fixed_size 0
		.amdhsa_kernarg_size 32
		.amdhsa_user_sgpr_count 2
		.amdhsa_user_sgpr_dispatch_ptr 0
		.amdhsa_user_sgpr_queue_ptr 0
		.amdhsa_user_sgpr_kernarg_segment_ptr 1
		.amdhsa_user_sgpr_dispatch_id 0
		.amdhsa_user_sgpr_private_segment_size 0
		.amdhsa_wavefront_size32 1
		.amdhsa_uses_dynamic_stack 0
		.amdhsa_enable_private_segment 0
		.amdhsa_system_sgpr_workgroup_id_x 1
		.amdhsa_system_sgpr_workgroup_id_y 0
		.amdhsa_system_sgpr_workgroup_id_z 0
		.amdhsa_system_sgpr_workgroup_info 0
		.amdhsa_system_vgpr_workitem_id 0
		.amdhsa_next_free_vgpr 1
		.amdhsa_next_free_sgpr 1
		.amdhsa_reserve_vcc 0
		.amdhsa_float_round_mode_32 0
		.amdhsa_float_round_mode_16_64 0
		.amdhsa_float_denorm_mode_32 3
		.amdhsa_float_denorm_mode_16_64 3
		.amdhsa_fp16_overflow 0
		.amdhsa_workgroup_processor_mode 1
		.amdhsa_memory_ordered 1
		.amdhsa_forward_progress 1
		.amdhsa_inst_pref_size 0
		.amdhsa_round_robin_scheduling 0
		.amdhsa_exception_fp_ieee_invalid_op 0
		.amdhsa_exception_fp_denorm_src 0
		.amdhsa_exception_fp_ieee_div_zero 0
		.amdhsa_exception_fp_ieee_overflow 0
		.amdhsa_exception_fp_ieee_underflow 0
		.amdhsa_exception_fp_ieee_inexact 0
		.amdhsa_exception_int_div_zero 0
	.end_amdhsa_kernel
	.section	.text._ZN7rocprim17ROCPRIM_400000_NS6detail17trampoline_kernelINS0_14default_configENS1_20scan_config_selectorIfEEZZNS1_9scan_implILNS1_25lookback_scan_determinismE0ELb0ELb0ES3_PKfPffZZZN2at6native31launch_logcumsumexp_cuda_kernelERKNSB_10TensorBaseESF_lENKUlvE_clEvENKUlvE0_clEvEUlffE_fEEDaPvRmT3_T4_T5_mT6_P12ihipStream_tbENKUlT_T0_E_clISt17integral_constantIbLb1EESV_IbLb0EEEEDaSR_SS_EUlSR_E0_NS1_11comp_targetILNS1_3genE10ELNS1_11target_archE1200ELNS1_3gpuE4ELNS1_3repE0EEENS1_30default_config_static_selectorELNS0_4arch9wavefront6targetE0EEEvT1_,"axG",@progbits,_ZN7rocprim17ROCPRIM_400000_NS6detail17trampoline_kernelINS0_14default_configENS1_20scan_config_selectorIfEEZZNS1_9scan_implILNS1_25lookback_scan_determinismE0ELb0ELb0ES3_PKfPffZZZN2at6native31launch_logcumsumexp_cuda_kernelERKNSB_10TensorBaseESF_lENKUlvE_clEvENKUlvE0_clEvEUlffE_fEEDaPvRmT3_T4_T5_mT6_P12ihipStream_tbENKUlT_T0_E_clISt17integral_constantIbLb1EESV_IbLb0EEEEDaSR_SS_EUlSR_E0_NS1_11comp_targetILNS1_3genE10ELNS1_11target_archE1200ELNS1_3gpuE4ELNS1_3repE0EEENS1_30default_config_static_selectorELNS0_4arch9wavefront6targetE0EEEvT1_,comdat
.Lfunc_end149:
	.size	_ZN7rocprim17ROCPRIM_400000_NS6detail17trampoline_kernelINS0_14default_configENS1_20scan_config_selectorIfEEZZNS1_9scan_implILNS1_25lookback_scan_determinismE0ELb0ELb0ES3_PKfPffZZZN2at6native31launch_logcumsumexp_cuda_kernelERKNSB_10TensorBaseESF_lENKUlvE_clEvENKUlvE0_clEvEUlffE_fEEDaPvRmT3_T4_T5_mT6_P12ihipStream_tbENKUlT_T0_E_clISt17integral_constantIbLb1EESV_IbLb0EEEEDaSR_SS_EUlSR_E0_NS1_11comp_targetILNS1_3genE10ELNS1_11target_archE1200ELNS1_3gpuE4ELNS1_3repE0EEENS1_30default_config_static_selectorELNS0_4arch9wavefront6targetE0EEEvT1_, .Lfunc_end149-_ZN7rocprim17ROCPRIM_400000_NS6detail17trampoline_kernelINS0_14default_configENS1_20scan_config_selectorIfEEZZNS1_9scan_implILNS1_25lookback_scan_determinismE0ELb0ELb0ES3_PKfPffZZZN2at6native31launch_logcumsumexp_cuda_kernelERKNSB_10TensorBaseESF_lENKUlvE_clEvENKUlvE0_clEvEUlffE_fEEDaPvRmT3_T4_T5_mT6_P12ihipStream_tbENKUlT_T0_E_clISt17integral_constantIbLb1EESV_IbLb0EEEEDaSR_SS_EUlSR_E0_NS1_11comp_targetILNS1_3genE10ELNS1_11target_archE1200ELNS1_3gpuE4ELNS1_3repE0EEENS1_30default_config_static_selectorELNS0_4arch9wavefront6targetE0EEEvT1_
                                        ; -- End function
	.set _ZN7rocprim17ROCPRIM_400000_NS6detail17trampoline_kernelINS0_14default_configENS1_20scan_config_selectorIfEEZZNS1_9scan_implILNS1_25lookback_scan_determinismE0ELb0ELb0ES3_PKfPffZZZN2at6native31launch_logcumsumexp_cuda_kernelERKNSB_10TensorBaseESF_lENKUlvE_clEvENKUlvE0_clEvEUlffE_fEEDaPvRmT3_T4_T5_mT6_P12ihipStream_tbENKUlT_T0_E_clISt17integral_constantIbLb1EESV_IbLb0EEEEDaSR_SS_EUlSR_E0_NS1_11comp_targetILNS1_3genE10ELNS1_11target_archE1200ELNS1_3gpuE4ELNS1_3repE0EEENS1_30default_config_static_selectorELNS0_4arch9wavefront6targetE0EEEvT1_.num_vgpr, 0
	.set _ZN7rocprim17ROCPRIM_400000_NS6detail17trampoline_kernelINS0_14default_configENS1_20scan_config_selectorIfEEZZNS1_9scan_implILNS1_25lookback_scan_determinismE0ELb0ELb0ES3_PKfPffZZZN2at6native31launch_logcumsumexp_cuda_kernelERKNSB_10TensorBaseESF_lENKUlvE_clEvENKUlvE0_clEvEUlffE_fEEDaPvRmT3_T4_T5_mT6_P12ihipStream_tbENKUlT_T0_E_clISt17integral_constantIbLb1EESV_IbLb0EEEEDaSR_SS_EUlSR_E0_NS1_11comp_targetILNS1_3genE10ELNS1_11target_archE1200ELNS1_3gpuE4ELNS1_3repE0EEENS1_30default_config_static_selectorELNS0_4arch9wavefront6targetE0EEEvT1_.num_agpr, 0
	.set _ZN7rocprim17ROCPRIM_400000_NS6detail17trampoline_kernelINS0_14default_configENS1_20scan_config_selectorIfEEZZNS1_9scan_implILNS1_25lookback_scan_determinismE0ELb0ELb0ES3_PKfPffZZZN2at6native31launch_logcumsumexp_cuda_kernelERKNSB_10TensorBaseESF_lENKUlvE_clEvENKUlvE0_clEvEUlffE_fEEDaPvRmT3_T4_T5_mT6_P12ihipStream_tbENKUlT_T0_E_clISt17integral_constantIbLb1EESV_IbLb0EEEEDaSR_SS_EUlSR_E0_NS1_11comp_targetILNS1_3genE10ELNS1_11target_archE1200ELNS1_3gpuE4ELNS1_3repE0EEENS1_30default_config_static_selectorELNS0_4arch9wavefront6targetE0EEEvT1_.numbered_sgpr, 0
	.set _ZN7rocprim17ROCPRIM_400000_NS6detail17trampoline_kernelINS0_14default_configENS1_20scan_config_selectorIfEEZZNS1_9scan_implILNS1_25lookback_scan_determinismE0ELb0ELb0ES3_PKfPffZZZN2at6native31launch_logcumsumexp_cuda_kernelERKNSB_10TensorBaseESF_lENKUlvE_clEvENKUlvE0_clEvEUlffE_fEEDaPvRmT3_T4_T5_mT6_P12ihipStream_tbENKUlT_T0_E_clISt17integral_constantIbLb1EESV_IbLb0EEEEDaSR_SS_EUlSR_E0_NS1_11comp_targetILNS1_3genE10ELNS1_11target_archE1200ELNS1_3gpuE4ELNS1_3repE0EEENS1_30default_config_static_selectorELNS0_4arch9wavefront6targetE0EEEvT1_.num_named_barrier, 0
	.set _ZN7rocprim17ROCPRIM_400000_NS6detail17trampoline_kernelINS0_14default_configENS1_20scan_config_selectorIfEEZZNS1_9scan_implILNS1_25lookback_scan_determinismE0ELb0ELb0ES3_PKfPffZZZN2at6native31launch_logcumsumexp_cuda_kernelERKNSB_10TensorBaseESF_lENKUlvE_clEvENKUlvE0_clEvEUlffE_fEEDaPvRmT3_T4_T5_mT6_P12ihipStream_tbENKUlT_T0_E_clISt17integral_constantIbLb1EESV_IbLb0EEEEDaSR_SS_EUlSR_E0_NS1_11comp_targetILNS1_3genE10ELNS1_11target_archE1200ELNS1_3gpuE4ELNS1_3repE0EEENS1_30default_config_static_selectorELNS0_4arch9wavefront6targetE0EEEvT1_.private_seg_size, 0
	.set _ZN7rocprim17ROCPRIM_400000_NS6detail17trampoline_kernelINS0_14default_configENS1_20scan_config_selectorIfEEZZNS1_9scan_implILNS1_25lookback_scan_determinismE0ELb0ELb0ES3_PKfPffZZZN2at6native31launch_logcumsumexp_cuda_kernelERKNSB_10TensorBaseESF_lENKUlvE_clEvENKUlvE0_clEvEUlffE_fEEDaPvRmT3_T4_T5_mT6_P12ihipStream_tbENKUlT_T0_E_clISt17integral_constantIbLb1EESV_IbLb0EEEEDaSR_SS_EUlSR_E0_NS1_11comp_targetILNS1_3genE10ELNS1_11target_archE1200ELNS1_3gpuE4ELNS1_3repE0EEENS1_30default_config_static_selectorELNS0_4arch9wavefront6targetE0EEEvT1_.uses_vcc, 0
	.set _ZN7rocprim17ROCPRIM_400000_NS6detail17trampoline_kernelINS0_14default_configENS1_20scan_config_selectorIfEEZZNS1_9scan_implILNS1_25lookback_scan_determinismE0ELb0ELb0ES3_PKfPffZZZN2at6native31launch_logcumsumexp_cuda_kernelERKNSB_10TensorBaseESF_lENKUlvE_clEvENKUlvE0_clEvEUlffE_fEEDaPvRmT3_T4_T5_mT6_P12ihipStream_tbENKUlT_T0_E_clISt17integral_constantIbLb1EESV_IbLb0EEEEDaSR_SS_EUlSR_E0_NS1_11comp_targetILNS1_3genE10ELNS1_11target_archE1200ELNS1_3gpuE4ELNS1_3repE0EEENS1_30default_config_static_selectorELNS0_4arch9wavefront6targetE0EEEvT1_.uses_flat_scratch, 0
	.set _ZN7rocprim17ROCPRIM_400000_NS6detail17trampoline_kernelINS0_14default_configENS1_20scan_config_selectorIfEEZZNS1_9scan_implILNS1_25lookback_scan_determinismE0ELb0ELb0ES3_PKfPffZZZN2at6native31launch_logcumsumexp_cuda_kernelERKNSB_10TensorBaseESF_lENKUlvE_clEvENKUlvE0_clEvEUlffE_fEEDaPvRmT3_T4_T5_mT6_P12ihipStream_tbENKUlT_T0_E_clISt17integral_constantIbLb1EESV_IbLb0EEEEDaSR_SS_EUlSR_E0_NS1_11comp_targetILNS1_3genE10ELNS1_11target_archE1200ELNS1_3gpuE4ELNS1_3repE0EEENS1_30default_config_static_selectorELNS0_4arch9wavefront6targetE0EEEvT1_.has_dyn_sized_stack, 0
	.set _ZN7rocprim17ROCPRIM_400000_NS6detail17trampoline_kernelINS0_14default_configENS1_20scan_config_selectorIfEEZZNS1_9scan_implILNS1_25lookback_scan_determinismE0ELb0ELb0ES3_PKfPffZZZN2at6native31launch_logcumsumexp_cuda_kernelERKNSB_10TensorBaseESF_lENKUlvE_clEvENKUlvE0_clEvEUlffE_fEEDaPvRmT3_T4_T5_mT6_P12ihipStream_tbENKUlT_T0_E_clISt17integral_constantIbLb1EESV_IbLb0EEEEDaSR_SS_EUlSR_E0_NS1_11comp_targetILNS1_3genE10ELNS1_11target_archE1200ELNS1_3gpuE4ELNS1_3repE0EEENS1_30default_config_static_selectorELNS0_4arch9wavefront6targetE0EEEvT1_.has_recursion, 0
	.set _ZN7rocprim17ROCPRIM_400000_NS6detail17trampoline_kernelINS0_14default_configENS1_20scan_config_selectorIfEEZZNS1_9scan_implILNS1_25lookback_scan_determinismE0ELb0ELb0ES3_PKfPffZZZN2at6native31launch_logcumsumexp_cuda_kernelERKNSB_10TensorBaseESF_lENKUlvE_clEvENKUlvE0_clEvEUlffE_fEEDaPvRmT3_T4_T5_mT6_P12ihipStream_tbENKUlT_T0_E_clISt17integral_constantIbLb1EESV_IbLb0EEEEDaSR_SS_EUlSR_E0_NS1_11comp_targetILNS1_3genE10ELNS1_11target_archE1200ELNS1_3gpuE4ELNS1_3repE0EEENS1_30default_config_static_selectorELNS0_4arch9wavefront6targetE0EEEvT1_.has_indirect_call, 0
	.section	.AMDGPU.csdata,"",@progbits
; Kernel info:
; codeLenInByte = 0
; TotalNumSgprs: 0
; NumVgprs: 0
; ScratchSize: 0
; MemoryBound: 0
; FloatMode: 240
; IeeeMode: 1
; LDSByteSize: 0 bytes/workgroup (compile time only)
; SGPRBlocks: 0
; VGPRBlocks: 0
; NumSGPRsForWavesPerEU: 1
; NumVGPRsForWavesPerEU: 1
; Occupancy: 16
; WaveLimiterHint : 0
; COMPUTE_PGM_RSRC2:SCRATCH_EN: 0
; COMPUTE_PGM_RSRC2:USER_SGPR: 2
; COMPUTE_PGM_RSRC2:TRAP_HANDLER: 0
; COMPUTE_PGM_RSRC2:TGID_X_EN: 1
; COMPUTE_PGM_RSRC2:TGID_Y_EN: 0
; COMPUTE_PGM_RSRC2:TGID_Z_EN: 0
; COMPUTE_PGM_RSRC2:TIDIG_COMP_CNT: 0
	.section	.text._ZN7rocprim17ROCPRIM_400000_NS6detail17trampoline_kernelINS0_14default_configENS1_20scan_config_selectorIfEEZZNS1_9scan_implILNS1_25lookback_scan_determinismE0ELb0ELb0ES3_PKfPffZZZN2at6native31launch_logcumsumexp_cuda_kernelERKNSB_10TensorBaseESF_lENKUlvE_clEvENKUlvE0_clEvEUlffE_fEEDaPvRmT3_T4_T5_mT6_P12ihipStream_tbENKUlT_T0_E_clISt17integral_constantIbLb1EESV_IbLb0EEEEDaSR_SS_EUlSR_E0_NS1_11comp_targetILNS1_3genE9ELNS1_11target_archE1100ELNS1_3gpuE3ELNS1_3repE0EEENS1_30default_config_static_selectorELNS0_4arch9wavefront6targetE0EEEvT1_,"axG",@progbits,_ZN7rocprim17ROCPRIM_400000_NS6detail17trampoline_kernelINS0_14default_configENS1_20scan_config_selectorIfEEZZNS1_9scan_implILNS1_25lookback_scan_determinismE0ELb0ELb0ES3_PKfPffZZZN2at6native31launch_logcumsumexp_cuda_kernelERKNSB_10TensorBaseESF_lENKUlvE_clEvENKUlvE0_clEvEUlffE_fEEDaPvRmT3_T4_T5_mT6_P12ihipStream_tbENKUlT_T0_E_clISt17integral_constantIbLb1EESV_IbLb0EEEEDaSR_SS_EUlSR_E0_NS1_11comp_targetILNS1_3genE9ELNS1_11target_archE1100ELNS1_3gpuE3ELNS1_3repE0EEENS1_30default_config_static_selectorELNS0_4arch9wavefront6targetE0EEEvT1_,comdat
	.globl	_ZN7rocprim17ROCPRIM_400000_NS6detail17trampoline_kernelINS0_14default_configENS1_20scan_config_selectorIfEEZZNS1_9scan_implILNS1_25lookback_scan_determinismE0ELb0ELb0ES3_PKfPffZZZN2at6native31launch_logcumsumexp_cuda_kernelERKNSB_10TensorBaseESF_lENKUlvE_clEvENKUlvE0_clEvEUlffE_fEEDaPvRmT3_T4_T5_mT6_P12ihipStream_tbENKUlT_T0_E_clISt17integral_constantIbLb1EESV_IbLb0EEEEDaSR_SS_EUlSR_E0_NS1_11comp_targetILNS1_3genE9ELNS1_11target_archE1100ELNS1_3gpuE3ELNS1_3repE0EEENS1_30default_config_static_selectorELNS0_4arch9wavefront6targetE0EEEvT1_ ; -- Begin function _ZN7rocprim17ROCPRIM_400000_NS6detail17trampoline_kernelINS0_14default_configENS1_20scan_config_selectorIfEEZZNS1_9scan_implILNS1_25lookback_scan_determinismE0ELb0ELb0ES3_PKfPffZZZN2at6native31launch_logcumsumexp_cuda_kernelERKNSB_10TensorBaseESF_lENKUlvE_clEvENKUlvE0_clEvEUlffE_fEEDaPvRmT3_T4_T5_mT6_P12ihipStream_tbENKUlT_T0_E_clISt17integral_constantIbLb1EESV_IbLb0EEEEDaSR_SS_EUlSR_E0_NS1_11comp_targetILNS1_3genE9ELNS1_11target_archE1100ELNS1_3gpuE3ELNS1_3repE0EEENS1_30default_config_static_selectorELNS0_4arch9wavefront6targetE0EEEvT1_
	.p2align	8
	.type	_ZN7rocprim17ROCPRIM_400000_NS6detail17trampoline_kernelINS0_14default_configENS1_20scan_config_selectorIfEEZZNS1_9scan_implILNS1_25lookback_scan_determinismE0ELb0ELb0ES3_PKfPffZZZN2at6native31launch_logcumsumexp_cuda_kernelERKNSB_10TensorBaseESF_lENKUlvE_clEvENKUlvE0_clEvEUlffE_fEEDaPvRmT3_T4_T5_mT6_P12ihipStream_tbENKUlT_T0_E_clISt17integral_constantIbLb1EESV_IbLb0EEEEDaSR_SS_EUlSR_E0_NS1_11comp_targetILNS1_3genE9ELNS1_11target_archE1100ELNS1_3gpuE3ELNS1_3repE0EEENS1_30default_config_static_selectorELNS0_4arch9wavefront6targetE0EEEvT1_,@function
_ZN7rocprim17ROCPRIM_400000_NS6detail17trampoline_kernelINS0_14default_configENS1_20scan_config_selectorIfEEZZNS1_9scan_implILNS1_25lookback_scan_determinismE0ELb0ELb0ES3_PKfPffZZZN2at6native31launch_logcumsumexp_cuda_kernelERKNSB_10TensorBaseESF_lENKUlvE_clEvENKUlvE0_clEvEUlffE_fEEDaPvRmT3_T4_T5_mT6_P12ihipStream_tbENKUlT_T0_E_clISt17integral_constantIbLb1EESV_IbLb0EEEEDaSR_SS_EUlSR_E0_NS1_11comp_targetILNS1_3genE9ELNS1_11target_archE1100ELNS1_3gpuE3ELNS1_3repE0EEENS1_30default_config_static_selectorELNS0_4arch9wavefront6targetE0EEEvT1_: ; @_ZN7rocprim17ROCPRIM_400000_NS6detail17trampoline_kernelINS0_14default_configENS1_20scan_config_selectorIfEEZZNS1_9scan_implILNS1_25lookback_scan_determinismE0ELb0ELb0ES3_PKfPffZZZN2at6native31launch_logcumsumexp_cuda_kernelERKNSB_10TensorBaseESF_lENKUlvE_clEvENKUlvE0_clEvEUlffE_fEEDaPvRmT3_T4_T5_mT6_P12ihipStream_tbENKUlT_T0_E_clISt17integral_constantIbLb1EESV_IbLb0EEEEDaSR_SS_EUlSR_E0_NS1_11comp_targetILNS1_3genE9ELNS1_11target_archE1100ELNS1_3gpuE3ELNS1_3repE0EEENS1_30default_config_static_selectorELNS0_4arch9wavefront6targetE0EEEvT1_
; %bb.0:
	.section	.rodata,"a",@progbits
	.p2align	6, 0x0
	.amdhsa_kernel _ZN7rocprim17ROCPRIM_400000_NS6detail17trampoline_kernelINS0_14default_configENS1_20scan_config_selectorIfEEZZNS1_9scan_implILNS1_25lookback_scan_determinismE0ELb0ELb0ES3_PKfPffZZZN2at6native31launch_logcumsumexp_cuda_kernelERKNSB_10TensorBaseESF_lENKUlvE_clEvENKUlvE0_clEvEUlffE_fEEDaPvRmT3_T4_T5_mT6_P12ihipStream_tbENKUlT_T0_E_clISt17integral_constantIbLb1EESV_IbLb0EEEEDaSR_SS_EUlSR_E0_NS1_11comp_targetILNS1_3genE9ELNS1_11target_archE1100ELNS1_3gpuE3ELNS1_3repE0EEENS1_30default_config_static_selectorELNS0_4arch9wavefront6targetE0EEEvT1_
		.amdhsa_group_segment_fixed_size 0
		.amdhsa_private_segment_fixed_size 0
		.amdhsa_kernarg_size 32
		.amdhsa_user_sgpr_count 2
		.amdhsa_user_sgpr_dispatch_ptr 0
		.amdhsa_user_sgpr_queue_ptr 0
		.amdhsa_user_sgpr_kernarg_segment_ptr 1
		.amdhsa_user_sgpr_dispatch_id 0
		.amdhsa_user_sgpr_private_segment_size 0
		.amdhsa_wavefront_size32 1
		.amdhsa_uses_dynamic_stack 0
		.amdhsa_enable_private_segment 0
		.amdhsa_system_sgpr_workgroup_id_x 1
		.amdhsa_system_sgpr_workgroup_id_y 0
		.amdhsa_system_sgpr_workgroup_id_z 0
		.amdhsa_system_sgpr_workgroup_info 0
		.amdhsa_system_vgpr_workitem_id 0
		.amdhsa_next_free_vgpr 1
		.amdhsa_next_free_sgpr 1
		.amdhsa_reserve_vcc 0
		.amdhsa_float_round_mode_32 0
		.amdhsa_float_round_mode_16_64 0
		.amdhsa_float_denorm_mode_32 3
		.amdhsa_float_denorm_mode_16_64 3
		.amdhsa_fp16_overflow 0
		.amdhsa_workgroup_processor_mode 1
		.amdhsa_memory_ordered 1
		.amdhsa_forward_progress 1
		.amdhsa_inst_pref_size 0
		.amdhsa_round_robin_scheduling 0
		.amdhsa_exception_fp_ieee_invalid_op 0
		.amdhsa_exception_fp_denorm_src 0
		.amdhsa_exception_fp_ieee_div_zero 0
		.amdhsa_exception_fp_ieee_overflow 0
		.amdhsa_exception_fp_ieee_underflow 0
		.amdhsa_exception_fp_ieee_inexact 0
		.amdhsa_exception_int_div_zero 0
	.end_amdhsa_kernel
	.section	.text._ZN7rocprim17ROCPRIM_400000_NS6detail17trampoline_kernelINS0_14default_configENS1_20scan_config_selectorIfEEZZNS1_9scan_implILNS1_25lookback_scan_determinismE0ELb0ELb0ES3_PKfPffZZZN2at6native31launch_logcumsumexp_cuda_kernelERKNSB_10TensorBaseESF_lENKUlvE_clEvENKUlvE0_clEvEUlffE_fEEDaPvRmT3_T4_T5_mT6_P12ihipStream_tbENKUlT_T0_E_clISt17integral_constantIbLb1EESV_IbLb0EEEEDaSR_SS_EUlSR_E0_NS1_11comp_targetILNS1_3genE9ELNS1_11target_archE1100ELNS1_3gpuE3ELNS1_3repE0EEENS1_30default_config_static_selectorELNS0_4arch9wavefront6targetE0EEEvT1_,"axG",@progbits,_ZN7rocprim17ROCPRIM_400000_NS6detail17trampoline_kernelINS0_14default_configENS1_20scan_config_selectorIfEEZZNS1_9scan_implILNS1_25lookback_scan_determinismE0ELb0ELb0ES3_PKfPffZZZN2at6native31launch_logcumsumexp_cuda_kernelERKNSB_10TensorBaseESF_lENKUlvE_clEvENKUlvE0_clEvEUlffE_fEEDaPvRmT3_T4_T5_mT6_P12ihipStream_tbENKUlT_T0_E_clISt17integral_constantIbLb1EESV_IbLb0EEEEDaSR_SS_EUlSR_E0_NS1_11comp_targetILNS1_3genE9ELNS1_11target_archE1100ELNS1_3gpuE3ELNS1_3repE0EEENS1_30default_config_static_selectorELNS0_4arch9wavefront6targetE0EEEvT1_,comdat
.Lfunc_end150:
	.size	_ZN7rocprim17ROCPRIM_400000_NS6detail17trampoline_kernelINS0_14default_configENS1_20scan_config_selectorIfEEZZNS1_9scan_implILNS1_25lookback_scan_determinismE0ELb0ELb0ES3_PKfPffZZZN2at6native31launch_logcumsumexp_cuda_kernelERKNSB_10TensorBaseESF_lENKUlvE_clEvENKUlvE0_clEvEUlffE_fEEDaPvRmT3_T4_T5_mT6_P12ihipStream_tbENKUlT_T0_E_clISt17integral_constantIbLb1EESV_IbLb0EEEEDaSR_SS_EUlSR_E0_NS1_11comp_targetILNS1_3genE9ELNS1_11target_archE1100ELNS1_3gpuE3ELNS1_3repE0EEENS1_30default_config_static_selectorELNS0_4arch9wavefront6targetE0EEEvT1_, .Lfunc_end150-_ZN7rocprim17ROCPRIM_400000_NS6detail17trampoline_kernelINS0_14default_configENS1_20scan_config_selectorIfEEZZNS1_9scan_implILNS1_25lookback_scan_determinismE0ELb0ELb0ES3_PKfPffZZZN2at6native31launch_logcumsumexp_cuda_kernelERKNSB_10TensorBaseESF_lENKUlvE_clEvENKUlvE0_clEvEUlffE_fEEDaPvRmT3_T4_T5_mT6_P12ihipStream_tbENKUlT_T0_E_clISt17integral_constantIbLb1EESV_IbLb0EEEEDaSR_SS_EUlSR_E0_NS1_11comp_targetILNS1_3genE9ELNS1_11target_archE1100ELNS1_3gpuE3ELNS1_3repE0EEENS1_30default_config_static_selectorELNS0_4arch9wavefront6targetE0EEEvT1_
                                        ; -- End function
	.set _ZN7rocprim17ROCPRIM_400000_NS6detail17trampoline_kernelINS0_14default_configENS1_20scan_config_selectorIfEEZZNS1_9scan_implILNS1_25lookback_scan_determinismE0ELb0ELb0ES3_PKfPffZZZN2at6native31launch_logcumsumexp_cuda_kernelERKNSB_10TensorBaseESF_lENKUlvE_clEvENKUlvE0_clEvEUlffE_fEEDaPvRmT3_T4_T5_mT6_P12ihipStream_tbENKUlT_T0_E_clISt17integral_constantIbLb1EESV_IbLb0EEEEDaSR_SS_EUlSR_E0_NS1_11comp_targetILNS1_3genE9ELNS1_11target_archE1100ELNS1_3gpuE3ELNS1_3repE0EEENS1_30default_config_static_selectorELNS0_4arch9wavefront6targetE0EEEvT1_.num_vgpr, 0
	.set _ZN7rocprim17ROCPRIM_400000_NS6detail17trampoline_kernelINS0_14default_configENS1_20scan_config_selectorIfEEZZNS1_9scan_implILNS1_25lookback_scan_determinismE0ELb0ELb0ES3_PKfPffZZZN2at6native31launch_logcumsumexp_cuda_kernelERKNSB_10TensorBaseESF_lENKUlvE_clEvENKUlvE0_clEvEUlffE_fEEDaPvRmT3_T4_T5_mT6_P12ihipStream_tbENKUlT_T0_E_clISt17integral_constantIbLb1EESV_IbLb0EEEEDaSR_SS_EUlSR_E0_NS1_11comp_targetILNS1_3genE9ELNS1_11target_archE1100ELNS1_3gpuE3ELNS1_3repE0EEENS1_30default_config_static_selectorELNS0_4arch9wavefront6targetE0EEEvT1_.num_agpr, 0
	.set _ZN7rocprim17ROCPRIM_400000_NS6detail17trampoline_kernelINS0_14default_configENS1_20scan_config_selectorIfEEZZNS1_9scan_implILNS1_25lookback_scan_determinismE0ELb0ELb0ES3_PKfPffZZZN2at6native31launch_logcumsumexp_cuda_kernelERKNSB_10TensorBaseESF_lENKUlvE_clEvENKUlvE0_clEvEUlffE_fEEDaPvRmT3_T4_T5_mT6_P12ihipStream_tbENKUlT_T0_E_clISt17integral_constantIbLb1EESV_IbLb0EEEEDaSR_SS_EUlSR_E0_NS1_11comp_targetILNS1_3genE9ELNS1_11target_archE1100ELNS1_3gpuE3ELNS1_3repE0EEENS1_30default_config_static_selectorELNS0_4arch9wavefront6targetE0EEEvT1_.numbered_sgpr, 0
	.set _ZN7rocprim17ROCPRIM_400000_NS6detail17trampoline_kernelINS0_14default_configENS1_20scan_config_selectorIfEEZZNS1_9scan_implILNS1_25lookback_scan_determinismE0ELb0ELb0ES3_PKfPffZZZN2at6native31launch_logcumsumexp_cuda_kernelERKNSB_10TensorBaseESF_lENKUlvE_clEvENKUlvE0_clEvEUlffE_fEEDaPvRmT3_T4_T5_mT6_P12ihipStream_tbENKUlT_T0_E_clISt17integral_constantIbLb1EESV_IbLb0EEEEDaSR_SS_EUlSR_E0_NS1_11comp_targetILNS1_3genE9ELNS1_11target_archE1100ELNS1_3gpuE3ELNS1_3repE0EEENS1_30default_config_static_selectorELNS0_4arch9wavefront6targetE0EEEvT1_.num_named_barrier, 0
	.set _ZN7rocprim17ROCPRIM_400000_NS6detail17trampoline_kernelINS0_14default_configENS1_20scan_config_selectorIfEEZZNS1_9scan_implILNS1_25lookback_scan_determinismE0ELb0ELb0ES3_PKfPffZZZN2at6native31launch_logcumsumexp_cuda_kernelERKNSB_10TensorBaseESF_lENKUlvE_clEvENKUlvE0_clEvEUlffE_fEEDaPvRmT3_T4_T5_mT6_P12ihipStream_tbENKUlT_T0_E_clISt17integral_constantIbLb1EESV_IbLb0EEEEDaSR_SS_EUlSR_E0_NS1_11comp_targetILNS1_3genE9ELNS1_11target_archE1100ELNS1_3gpuE3ELNS1_3repE0EEENS1_30default_config_static_selectorELNS0_4arch9wavefront6targetE0EEEvT1_.private_seg_size, 0
	.set _ZN7rocprim17ROCPRIM_400000_NS6detail17trampoline_kernelINS0_14default_configENS1_20scan_config_selectorIfEEZZNS1_9scan_implILNS1_25lookback_scan_determinismE0ELb0ELb0ES3_PKfPffZZZN2at6native31launch_logcumsumexp_cuda_kernelERKNSB_10TensorBaseESF_lENKUlvE_clEvENKUlvE0_clEvEUlffE_fEEDaPvRmT3_T4_T5_mT6_P12ihipStream_tbENKUlT_T0_E_clISt17integral_constantIbLb1EESV_IbLb0EEEEDaSR_SS_EUlSR_E0_NS1_11comp_targetILNS1_3genE9ELNS1_11target_archE1100ELNS1_3gpuE3ELNS1_3repE0EEENS1_30default_config_static_selectorELNS0_4arch9wavefront6targetE0EEEvT1_.uses_vcc, 0
	.set _ZN7rocprim17ROCPRIM_400000_NS6detail17trampoline_kernelINS0_14default_configENS1_20scan_config_selectorIfEEZZNS1_9scan_implILNS1_25lookback_scan_determinismE0ELb0ELb0ES3_PKfPffZZZN2at6native31launch_logcumsumexp_cuda_kernelERKNSB_10TensorBaseESF_lENKUlvE_clEvENKUlvE0_clEvEUlffE_fEEDaPvRmT3_T4_T5_mT6_P12ihipStream_tbENKUlT_T0_E_clISt17integral_constantIbLb1EESV_IbLb0EEEEDaSR_SS_EUlSR_E0_NS1_11comp_targetILNS1_3genE9ELNS1_11target_archE1100ELNS1_3gpuE3ELNS1_3repE0EEENS1_30default_config_static_selectorELNS0_4arch9wavefront6targetE0EEEvT1_.uses_flat_scratch, 0
	.set _ZN7rocprim17ROCPRIM_400000_NS6detail17trampoline_kernelINS0_14default_configENS1_20scan_config_selectorIfEEZZNS1_9scan_implILNS1_25lookback_scan_determinismE0ELb0ELb0ES3_PKfPffZZZN2at6native31launch_logcumsumexp_cuda_kernelERKNSB_10TensorBaseESF_lENKUlvE_clEvENKUlvE0_clEvEUlffE_fEEDaPvRmT3_T4_T5_mT6_P12ihipStream_tbENKUlT_T0_E_clISt17integral_constantIbLb1EESV_IbLb0EEEEDaSR_SS_EUlSR_E0_NS1_11comp_targetILNS1_3genE9ELNS1_11target_archE1100ELNS1_3gpuE3ELNS1_3repE0EEENS1_30default_config_static_selectorELNS0_4arch9wavefront6targetE0EEEvT1_.has_dyn_sized_stack, 0
	.set _ZN7rocprim17ROCPRIM_400000_NS6detail17trampoline_kernelINS0_14default_configENS1_20scan_config_selectorIfEEZZNS1_9scan_implILNS1_25lookback_scan_determinismE0ELb0ELb0ES3_PKfPffZZZN2at6native31launch_logcumsumexp_cuda_kernelERKNSB_10TensorBaseESF_lENKUlvE_clEvENKUlvE0_clEvEUlffE_fEEDaPvRmT3_T4_T5_mT6_P12ihipStream_tbENKUlT_T0_E_clISt17integral_constantIbLb1EESV_IbLb0EEEEDaSR_SS_EUlSR_E0_NS1_11comp_targetILNS1_3genE9ELNS1_11target_archE1100ELNS1_3gpuE3ELNS1_3repE0EEENS1_30default_config_static_selectorELNS0_4arch9wavefront6targetE0EEEvT1_.has_recursion, 0
	.set _ZN7rocprim17ROCPRIM_400000_NS6detail17trampoline_kernelINS0_14default_configENS1_20scan_config_selectorIfEEZZNS1_9scan_implILNS1_25lookback_scan_determinismE0ELb0ELb0ES3_PKfPffZZZN2at6native31launch_logcumsumexp_cuda_kernelERKNSB_10TensorBaseESF_lENKUlvE_clEvENKUlvE0_clEvEUlffE_fEEDaPvRmT3_T4_T5_mT6_P12ihipStream_tbENKUlT_T0_E_clISt17integral_constantIbLb1EESV_IbLb0EEEEDaSR_SS_EUlSR_E0_NS1_11comp_targetILNS1_3genE9ELNS1_11target_archE1100ELNS1_3gpuE3ELNS1_3repE0EEENS1_30default_config_static_selectorELNS0_4arch9wavefront6targetE0EEEvT1_.has_indirect_call, 0
	.section	.AMDGPU.csdata,"",@progbits
; Kernel info:
; codeLenInByte = 0
; TotalNumSgprs: 0
; NumVgprs: 0
; ScratchSize: 0
; MemoryBound: 0
; FloatMode: 240
; IeeeMode: 1
; LDSByteSize: 0 bytes/workgroup (compile time only)
; SGPRBlocks: 0
; VGPRBlocks: 0
; NumSGPRsForWavesPerEU: 1
; NumVGPRsForWavesPerEU: 1
; Occupancy: 16
; WaveLimiterHint : 0
; COMPUTE_PGM_RSRC2:SCRATCH_EN: 0
; COMPUTE_PGM_RSRC2:USER_SGPR: 2
; COMPUTE_PGM_RSRC2:TRAP_HANDLER: 0
; COMPUTE_PGM_RSRC2:TGID_X_EN: 1
; COMPUTE_PGM_RSRC2:TGID_Y_EN: 0
; COMPUTE_PGM_RSRC2:TGID_Z_EN: 0
; COMPUTE_PGM_RSRC2:TIDIG_COMP_CNT: 0
	.section	.text._ZN7rocprim17ROCPRIM_400000_NS6detail17trampoline_kernelINS0_14default_configENS1_20scan_config_selectorIfEEZZNS1_9scan_implILNS1_25lookback_scan_determinismE0ELb0ELb0ES3_PKfPffZZZN2at6native31launch_logcumsumexp_cuda_kernelERKNSB_10TensorBaseESF_lENKUlvE_clEvENKUlvE0_clEvEUlffE_fEEDaPvRmT3_T4_T5_mT6_P12ihipStream_tbENKUlT_T0_E_clISt17integral_constantIbLb1EESV_IbLb0EEEEDaSR_SS_EUlSR_E0_NS1_11comp_targetILNS1_3genE8ELNS1_11target_archE1030ELNS1_3gpuE2ELNS1_3repE0EEENS1_30default_config_static_selectorELNS0_4arch9wavefront6targetE0EEEvT1_,"axG",@progbits,_ZN7rocprim17ROCPRIM_400000_NS6detail17trampoline_kernelINS0_14default_configENS1_20scan_config_selectorIfEEZZNS1_9scan_implILNS1_25lookback_scan_determinismE0ELb0ELb0ES3_PKfPffZZZN2at6native31launch_logcumsumexp_cuda_kernelERKNSB_10TensorBaseESF_lENKUlvE_clEvENKUlvE0_clEvEUlffE_fEEDaPvRmT3_T4_T5_mT6_P12ihipStream_tbENKUlT_T0_E_clISt17integral_constantIbLb1EESV_IbLb0EEEEDaSR_SS_EUlSR_E0_NS1_11comp_targetILNS1_3genE8ELNS1_11target_archE1030ELNS1_3gpuE2ELNS1_3repE0EEENS1_30default_config_static_selectorELNS0_4arch9wavefront6targetE0EEEvT1_,comdat
	.globl	_ZN7rocprim17ROCPRIM_400000_NS6detail17trampoline_kernelINS0_14default_configENS1_20scan_config_selectorIfEEZZNS1_9scan_implILNS1_25lookback_scan_determinismE0ELb0ELb0ES3_PKfPffZZZN2at6native31launch_logcumsumexp_cuda_kernelERKNSB_10TensorBaseESF_lENKUlvE_clEvENKUlvE0_clEvEUlffE_fEEDaPvRmT3_T4_T5_mT6_P12ihipStream_tbENKUlT_T0_E_clISt17integral_constantIbLb1EESV_IbLb0EEEEDaSR_SS_EUlSR_E0_NS1_11comp_targetILNS1_3genE8ELNS1_11target_archE1030ELNS1_3gpuE2ELNS1_3repE0EEENS1_30default_config_static_selectorELNS0_4arch9wavefront6targetE0EEEvT1_ ; -- Begin function _ZN7rocprim17ROCPRIM_400000_NS6detail17trampoline_kernelINS0_14default_configENS1_20scan_config_selectorIfEEZZNS1_9scan_implILNS1_25lookback_scan_determinismE0ELb0ELb0ES3_PKfPffZZZN2at6native31launch_logcumsumexp_cuda_kernelERKNSB_10TensorBaseESF_lENKUlvE_clEvENKUlvE0_clEvEUlffE_fEEDaPvRmT3_T4_T5_mT6_P12ihipStream_tbENKUlT_T0_E_clISt17integral_constantIbLb1EESV_IbLb0EEEEDaSR_SS_EUlSR_E0_NS1_11comp_targetILNS1_3genE8ELNS1_11target_archE1030ELNS1_3gpuE2ELNS1_3repE0EEENS1_30default_config_static_selectorELNS0_4arch9wavefront6targetE0EEEvT1_
	.p2align	8
	.type	_ZN7rocprim17ROCPRIM_400000_NS6detail17trampoline_kernelINS0_14default_configENS1_20scan_config_selectorIfEEZZNS1_9scan_implILNS1_25lookback_scan_determinismE0ELb0ELb0ES3_PKfPffZZZN2at6native31launch_logcumsumexp_cuda_kernelERKNSB_10TensorBaseESF_lENKUlvE_clEvENKUlvE0_clEvEUlffE_fEEDaPvRmT3_T4_T5_mT6_P12ihipStream_tbENKUlT_T0_E_clISt17integral_constantIbLb1EESV_IbLb0EEEEDaSR_SS_EUlSR_E0_NS1_11comp_targetILNS1_3genE8ELNS1_11target_archE1030ELNS1_3gpuE2ELNS1_3repE0EEENS1_30default_config_static_selectorELNS0_4arch9wavefront6targetE0EEEvT1_,@function
_ZN7rocprim17ROCPRIM_400000_NS6detail17trampoline_kernelINS0_14default_configENS1_20scan_config_selectorIfEEZZNS1_9scan_implILNS1_25lookback_scan_determinismE0ELb0ELb0ES3_PKfPffZZZN2at6native31launch_logcumsumexp_cuda_kernelERKNSB_10TensorBaseESF_lENKUlvE_clEvENKUlvE0_clEvEUlffE_fEEDaPvRmT3_T4_T5_mT6_P12ihipStream_tbENKUlT_T0_E_clISt17integral_constantIbLb1EESV_IbLb0EEEEDaSR_SS_EUlSR_E0_NS1_11comp_targetILNS1_3genE8ELNS1_11target_archE1030ELNS1_3gpuE2ELNS1_3repE0EEENS1_30default_config_static_selectorELNS0_4arch9wavefront6targetE0EEEvT1_: ; @_ZN7rocprim17ROCPRIM_400000_NS6detail17trampoline_kernelINS0_14default_configENS1_20scan_config_selectorIfEEZZNS1_9scan_implILNS1_25lookback_scan_determinismE0ELb0ELb0ES3_PKfPffZZZN2at6native31launch_logcumsumexp_cuda_kernelERKNSB_10TensorBaseESF_lENKUlvE_clEvENKUlvE0_clEvEUlffE_fEEDaPvRmT3_T4_T5_mT6_P12ihipStream_tbENKUlT_T0_E_clISt17integral_constantIbLb1EESV_IbLb0EEEEDaSR_SS_EUlSR_E0_NS1_11comp_targetILNS1_3genE8ELNS1_11target_archE1030ELNS1_3gpuE2ELNS1_3repE0EEENS1_30default_config_static_selectorELNS0_4arch9wavefront6targetE0EEEvT1_
; %bb.0:
	.section	.rodata,"a",@progbits
	.p2align	6, 0x0
	.amdhsa_kernel _ZN7rocprim17ROCPRIM_400000_NS6detail17trampoline_kernelINS0_14default_configENS1_20scan_config_selectorIfEEZZNS1_9scan_implILNS1_25lookback_scan_determinismE0ELb0ELb0ES3_PKfPffZZZN2at6native31launch_logcumsumexp_cuda_kernelERKNSB_10TensorBaseESF_lENKUlvE_clEvENKUlvE0_clEvEUlffE_fEEDaPvRmT3_T4_T5_mT6_P12ihipStream_tbENKUlT_T0_E_clISt17integral_constantIbLb1EESV_IbLb0EEEEDaSR_SS_EUlSR_E0_NS1_11comp_targetILNS1_3genE8ELNS1_11target_archE1030ELNS1_3gpuE2ELNS1_3repE0EEENS1_30default_config_static_selectorELNS0_4arch9wavefront6targetE0EEEvT1_
		.amdhsa_group_segment_fixed_size 0
		.amdhsa_private_segment_fixed_size 0
		.amdhsa_kernarg_size 32
		.amdhsa_user_sgpr_count 2
		.amdhsa_user_sgpr_dispatch_ptr 0
		.amdhsa_user_sgpr_queue_ptr 0
		.amdhsa_user_sgpr_kernarg_segment_ptr 1
		.amdhsa_user_sgpr_dispatch_id 0
		.amdhsa_user_sgpr_private_segment_size 0
		.amdhsa_wavefront_size32 1
		.amdhsa_uses_dynamic_stack 0
		.amdhsa_enable_private_segment 0
		.amdhsa_system_sgpr_workgroup_id_x 1
		.amdhsa_system_sgpr_workgroup_id_y 0
		.amdhsa_system_sgpr_workgroup_id_z 0
		.amdhsa_system_sgpr_workgroup_info 0
		.amdhsa_system_vgpr_workitem_id 0
		.amdhsa_next_free_vgpr 1
		.amdhsa_next_free_sgpr 1
		.amdhsa_reserve_vcc 0
		.amdhsa_float_round_mode_32 0
		.amdhsa_float_round_mode_16_64 0
		.amdhsa_float_denorm_mode_32 3
		.amdhsa_float_denorm_mode_16_64 3
		.amdhsa_fp16_overflow 0
		.amdhsa_workgroup_processor_mode 1
		.amdhsa_memory_ordered 1
		.amdhsa_forward_progress 1
		.amdhsa_inst_pref_size 0
		.amdhsa_round_robin_scheduling 0
		.amdhsa_exception_fp_ieee_invalid_op 0
		.amdhsa_exception_fp_denorm_src 0
		.amdhsa_exception_fp_ieee_div_zero 0
		.amdhsa_exception_fp_ieee_overflow 0
		.amdhsa_exception_fp_ieee_underflow 0
		.amdhsa_exception_fp_ieee_inexact 0
		.amdhsa_exception_int_div_zero 0
	.end_amdhsa_kernel
	.section	.text._ZN7rocprim17ROCPRIM_400000_NS6detail17trampoline_kernelINS0_14default_configENS1_20scan_config_selectorIfEEZZNS1_9scan_implILNS1_25lookback_scan_determinismE0ELb0ELb0ES3_PKfPffZZZN2at6native31launch_logcumsumexp_cuda_kernelERKNSB_10TensorBaseESF_lENKUlvE_clEvENKUlvE0_clEvEUlffE_fEEDaPvRmT3_T4_T5_mT6_P12ihipStream_tbENKUlT_T0_E_clISt17integral_constantIbLb1EESV_IbLb0EEEEDaSR_SS_EUlSR_E0_NS1_11comp_targetILNS1_3genE8ELNS1_11target_archE1030ELNS1_3gpuE2ELNS1_3repE0EEENS1_30default_config_static_selectorELNS0_4arch9wavefront6targetE0EEEvT1_,"axG",@progbits,_ZN7rocprim17ROCPRIM_400000_NS6detail17trampoline_kernelINS0_14default_configENS1_20scan_config_selectorIfEEZZNS1_9scan_implILNS1_25lookback_scan_determinismE0ELb0ELb0ES3_PKfPffZZZN2at6native31launch_logcumsumexp_cuda_kernelERKNSB_10TensorBaseESF_lENKUlvE_clEvENKUlvE0_clEvEUlffE_fEEDaPvRmT3_T4_T5_mT6_P12ihipStream_tbENKUlT_T0_E_clISt17integral_constantIbLb1EESV_IbLb0EEEEDaSR_SS_EUlSR_E0_NS1_11comp_targetILNS1_3genE8ELNS1_11target_archE1030ELNS1_3gpuE2ELNS1_3repE0EEENS1_30default_config_static_selectorELNS0_4arch9wavefront6targetE0EEEvT1_,comdat
.Lfunc_end151:
	.size	_ZN7rocprim17ROCPRIM_400000_NS6detail17trampoline_kernelINS0_14default_configENS1_20scan_config_selectorIfEEZZNS1_9scan_implILNS1_25lookback_scan_determinismE0ELb0ELb0ES3_PKfPffZZZN2at6native31launch_logcumsumexp_cuda_kernelERKNSB_10TensorBaseESF_lENKUlvE_clEvENKUlvE0_clEvEUlffE_fEEDaPvRmT3_T4_T5_mT6_P12ihipStream_tbENKUlT_T0_E_clISt17integral_constantIbLb1EESV_IbLb0EEEEDaSR_SS_EUlSR_E0_NS1_11comp_targetILNS1_3genE8ELNS1_11target_archE1030ELNS1_3gpuE2ELNS1_3repE0EEENS1_30default_config_static_selectorELNS0_4arch9wavefront6targetE0EEEvT1_, .Lfunc_end151-_ZN7rocprim17ROCPRIM_400000_NS6detail17trampoline_kernelINS0_14default_configENS1_20scan_config_selectorIfEEZZNS1_9scan_implILNS1_25lookback_scan_determinismE0ELb0ELb0ES3_PKfPffZZZN2at6native31launch_logcumsumexp_cuda_kernelERKNSB_10TensorBaseESF_lENKUlvE_clEvENKUlvE0_clEvEUlffE_fEEDaPvRmT3_T4_T5_mT6_P12ihipStream_tbENKUlT_T0_E_clISt17integral_constantIbLb1EESV_IbLb0EEEEDaSR_SS_EUlSR_E0_NS1_11comp_targetILNS1_3genE8ELNS1_11target_archE1030ELNS1_3gpuE2ELNS1_3repE0EEENS1_30default_config_static_selectorELNS0_4arch9wavefront6targetE0EEEvT1_
                                        ; -- End function
	.set _ZN7rocprim17ROCPRIM_400000_NS6detail17trampoline_kernelINS0_14default_configENS1_20scan_config_selectorIfEEZZNS1_9scan_implILNS1_25lookback_scan_determinismE0ELb0ELb0ES3_PKfPffZZZN2at6native31launch_logcumsumexp_cuda_kernelERKNSB_10TensorBaseESF_lENKUlvE_clEvENKUlvE0_clEvEUlffE_fEEDaPvRmT3_T4_T5_mT6_P12ihipStream_tbENKUlT_T0_E_clISt17integral_constantIbLb1EESV_IbLb0EEEEDaSR_SS_EUlSR_E0_NS1_11comp_targetILNS1_3genE8ELNS1_11target_archE1030ELNS1_3gpuE2ELNS1_3repE0EEENS1_30default_config_static_selectorELNS0_4arch9wavefront6targetE0EEEvT1_.num_vgpr, 0
	.set _ZN7rocprim17ROCPRIM_400000_NS6detail17trampoline_kernelINS0_14default_configENS1_20scan_config_selectorIfEEZZNS1_9scan_implILNS1_25lookback_scan_determinismE0ELb0ELb0ES3_PKfPffZZZN2at6native31launch_logcumsumexp_cuda_kernelERKNSB_10TensorBaseESF_lENKUlvE_clEvENKUlvE0_clEvEUlffE_fEEDaPvRmT3_T4_T5_mT6_P12ihipStream_tbENKUlT_T0_E_clISt17integral_constantIbLb1EESV_IbLb0EEEEDaSR_SS_EUlSR_E0_NS1_11comp_targetILNS1_3genE8ELNS1_11target_archE1030ELNS1_3gpuE2ELNS1_3repE0EEENS1_30default_config_static_selectorELNS0_4arch9wavefront6targetE0EEEvT1_.num_agpr, 0
	.set _ZN7rocprim17ROCPRIM_400000_NS6detail17trampoline_kernelINS0_14default_configENS1_20scan_config_selectorIfEEZZNS1_9scan_implILNS1_25lookback_scan_determinismE0ELb0ELb0ES3_PKfPffZZZN2at6native31launch_logcumsumexp_cuda_kernelERKNSB_10TensorBaseESF_lENKUlvE_clEvENKUlvE0_clEvEUlffE_fEEDaPvRmT3_T4_T5_mT6_P12ihipStream_tbENKUlT_T0_E_clISt17integral_constantIbLb1EESV_IbLb0EEEEDaSR_SS_EUlSR_E0_NS1_11comp_targetILNS1_3genE8ELNS1_11target_archE1030ELNS1_3gpuE2ELNS1_3repE0EEENS1_30default_config_static_selectorELNS0_4arch9wavefront6targetE0EEEvT1_.numbered_sgpr, 0
	.set _ZN7rocprim17ROCPRIM_400000_NS6detail17trampoline_kernelINS0_14default_configENS1_20scan_config_selectorIfEEZZNS1_9scan_implILNS1_25lookback_scan_determinismE0ELb0ELb0ES3_PKfPffZZZN2at6native31launch_logcumsumexp_cuda_kernelERKNSB_10TensorBaseESF_lENKUlvE_clEvENKUlvE0_clEvEUlffE_fEEDaPvRmT3_T4_T5_mT6_P12ihipStream_tbENKUlT_T0_E_clISt17integral_constantIbLb1EESV_IbLb0EEEEDaSR_SS_EUlSR_E0_NS1_11comp_targetILNS1_3genE8ELNS1_11target_archE1030ELNS1_3gpuE2ELNS1_3repE0EEENS1_30default_config_static_selectorELNS0_4arch9wavefront6targetE0EEEvT1_.num_named_barrier, 0
	.set _ZN7rocprim17ROCPRIM_400000_NS6detail17trampoline_kernelINS0_14default_configENS1_20scan_config_selectorIfEEZZNS1_9scan_implILNS1_25lookback_scan_determinismE0ELb0ELb0ES3_PKfPffZZZN2at6native31launch_logcumsumexp_cuda_kernelERKNSB_10TensorBaseESF_lENKUlvE_clEvENKUlvE0_clEvEUlffE_fEEDaPvRmT3_T4_T5_mT6_P12ihipStream_tbENKUlT_T0_E_clISt17integral_constantIbLb1EESV_IbLb0EEEEDaSR_SS_EUlSR_E0_NS1_11comp_targetILNS1_3genE8ELNS1_11target_archE1030ELNS1_3gpuE2ELNS1_3repE0EEENS1_30default_config_static_selectorELNS0_4arch9wavefront6targetE0EEEvT1_.private_seg_size, 0
	.set _ZN7rocprim17ROCPRIM_400000_NS6detail17trampoline_kernelINS0_14default_configENS1_20scan_config_selectorIfEEZZNS1_9scan_implILNS1_25lookback_scan_determinismE0ELb0ELb0ES3_PKfPffZZZN2at6native31launch_logcumsumexp_cuda_kernelERKNSB_10TensorBaseESF_lENKUlvE_clEvENKUlvE0_clEvEUlffE_fEEDaPvRmT3_T4_T5_mT6_P12ihipStream_tbENKUlT_T0_E_clISt17integral_constantIbLb1EESV_IbLb0EEEEDaSR_SS_EUlSR_E0_NS1_11comp_targetILNS1_3genE8ELNS1_11target_archE1030ELNS1_3gpuE2ELNS1_3repE0EEENS1_30default_config_static_selectorELNS0_4arch9wavefront6targetE0EEEvT1_.uses_vcc, 0
	.set _ZN7rocprim17ROCPRIM_400000_NS6detail17trampoline_kernelINS0_14default_configENS1_20scan_config_selectorIfEEZZNS1_9scan_implILNS1_25lookback_scan_determinismE0ELb0ELb0ES3_PKfPffZZZN2at6native31launch_logcumsumexp_cuda_kernelERKNSB_10TensorBaseESF_lENKUlvE_clEvENKUlvE0_clEvEUlffE_fEEDaPvRmT3_T4_T5_mT6_P12ihipStream_tbENKUlT_T0_E_clISt17integral_constantIbLb1EESV_IbLb0EEEEDaSR_SS_EUlSR_E0_NS1_11comp_targetILNS1_3genE8ELNS1_11target_archE1030ELNS1_3gpuE2ELNS1_3repE0EEENS1_30default_config_static_selectorELNS0_4arch9wavefront6targetE0EEEvT1_.uses_flat_scratch, 0
	.set _ZN7rocprim17ROCPRIM_400000_NS6detail17trampoline_kernelINS0_14default_configENS1_20scan_config_selectorIfEEZZNS1_9scan_implILNS1_25lookback_scan_determinismE0ELb0ELb0ES3_PKfPffZZZN2at6native31launch_logcumsumexp_cuda_kernelERKNSB_10TensorBaseESF_lENKUlvE_clEvENKUlvE0_clEvEUlffE_fEEDaPvRmT3_T4_T5_mT6_P12ihipStream_tbENKUlT_T0_E_clISt17integral_constantIbLb1EESV_IbLb0EEEEDaSR_SS_EUlSR_E0_NS1_11comp_targetILNS1_3genE8ELNS1_11target_archE1030ELNS1_3gpuE2ELNS1_3repE0EEENS1_30default_config_static_selectorELNS0_4arch9wavefront6targetE0EEEvT1_.has_dyn_sized_stack, 0
	.set _ZN7rocprim17ROCPRIM_400000_NS6detail17trampoline_kernelINS0_14default_configENS1_20scan_config_selectorIfEEZZNS1_9scan_implILNS1_25lookback_scan_determinismE0ELb0ELb0ES3_PKfPffZZZN2at6native31launch_logcumsumexp_cuda_kernelERKNSB_10TensorBaseESF_lENKUlvE_clEvENKUlvE0_clEvEUlffE_fEEDaPvRmT3_T4_T5_mT6_P12ihipStream_tbENKUlT_T0_E_clISt17integral_constantIbLb1EESV_IbLb0EEEEDaSR_SS_EUlSR_E0_NS1_11comp_targetILNS1_3genE8ELNS1_11target_archE1030ELNS1_3gpuE2ELNS1_3repE0EEENS1_30default_config_static_selectorELNS0_4arch9wavefront6targetE0EEEvT1_.has_recursion, 0
	.set _ZN7rocprim17ROCPRIM_400000_NS6detail17trampoline_kernelINS0_14default_configENS1_20scan_config_selectorIfEEZZNS1_9scan_implILNS1_25lookback_scan_determinismE0ELb0ELb0ES3_PKfPffZZZN2at6native31launch_logcumsumexp_cuda_kernelERKNSB_10TensorBaseESF_lENKUlvE_clEvENKUlvE0_clEvEUlffE_fEEDaPvRmT3_T4_T5_mT6_P12ihipStream_tbENKUlT_T0_E_clISt17integral_constantIbLb1EESV_IbLb0EEEEDaSR_SS_EUlSR_E0_NS1_11comp_targetILNS1_3genE8ELNS1_11target_archE1030ELNS1_3gpuE2ELNS1_3repE0EEENS1_30default_config_static_selectorELNS0_4arch9wavefront6targetE0EEEvT1_.has_indirect_call, 0
	.section	.AMDGPU.csdata,"",@progbits
; Kernel info:
; codeLenInByte = 0
; TotalNumSgprs: 0
; NumVgprs: 0
; ScratchSize: 0
; MemoryBound: 0
; FloatMode: 240
; IeeeMode: 1
; LDSByteSize: 0 bytes/workgroup (compile time only)
; SGPRBlocks: 0
; VGPRBlocks: 0
; NumSGPRsForWavesPerEU: 1
; NumVGPRsForWavesPerEU: 1
; Occupancy: 16
; WaveLimiterHint : 0
; COMPUTE_PGM_RSRC2:SCRATCH_EN: 0
; COMPUTE_PGM_RSRC2:USER_SGPR: 2
; COMPUTE_PGM_RSRC2:TRAP_HANDLER: 0
; COMPUTE_PGM_RSRC2:TGID_X_EN: 1
; COMPUTE_PGM_RSRC2:TGID_Y_EN: 0
; COMPUTE_PGM_RSRC2:TGID_Z_EN: 0
; COMPUTE_PGM_RSRC2:TIDIG_COMP_CNT: 0
	.section	.text._ZN7rocprim17ROCPRIM_400000_NS6detail31init_lookback_scan_state_kernelINS1_19lookback_scan_stateIfLb0ELb1EEENS1_16block_id_wrapperIjLb1EEEEEvT_jT0_jPNS7_10value_typeE,"axG",@progbits,_ZN7rocprim17ROCPRIM_400000_NS6detail31init_lookback_scan_state_kernelINS1_19lookback_scan_stateIfLb0ELb1EEENS1_16block_id_wrapperIjLb1EEEEEvT_jT0_jPNS7_10value_typeE,comdat
	.protected	_ZN7rocprim17ROCPRIM_400000_NS6detail31init_lookback_scan_state_kernelINS1_19lookback_scan_stateIfLb0ELb1EEENS1_16block_id_wrapperIjLb1EEEEEvT_jT0_jPNS7_10value_typeE ; -- Begin function _ZN7rocprim17ROCPRIM_400000_NS6detail31init_lookback_scan_state_kernelINS1_19lookback_scan_stateIfLb0ELb1EEENS1_16block_id_wrapperIjLb1EEEEEvT_jT0_jPNS7_10value_typeE
	.globl	_ZN7rocprim17ROCPRIM_400000_NS6detail31init_lookback_scan_state_kernelINS1_19lookback_scan_stateIfLb0ELb1EEENS1_16block_id_wrapperIjLb1EEEEEvT_jT0_jPNS7_10value_typeE
	.p2align	8
	.type	_ZN7rocprim17ROCPRIM_400000_NS6detail31init_lookback_scan_state_kernelINS1_19lookback_scan_stateIfLb0ELb1EEENS1_16block_id_wrapperIjLb1EEEEEvT_jT0_jPNS7_10value_typeE,@function
_ZN7rocprim17ROCPRIM_400000_NS6detail31init_lookback_scan_state_kernelINS1_19lookback_scan_stateIfLb0ELb1EEENS1_16block_id_wrapperIjLb1EEEEEvT_jT0_jPNS7_10value_typeE: ; @_ZN7rocprim17ROCPRIM_400000_NS6detail31init_lookback_scan_state_kernelINS1_19lookback_scan_stateIfLb0ELb1EEENS1_16block_id_wrapperIjLb1EEEEEvT_jT0_jPNS7_10value_typeE
; %bb.0:
	s_clause 0x2
	s_load_b32 s7, s[0:1], 0x34
	s_load_b64 s[2:3], s[0:1], 0x20
	s_load_b96 s[4:6], s[0:1], 0x0
	s_wait_kmcnt 0x0
	s_and_b32 s7, s7, 0xffff
	s_cmp_eq_u64 s[2:3], 0
	v_mad_co_u64_u32 v[0:1], null, ttmp9, s7, v[0:1]
	s_cbranch_scc1 .LBB152_6
; %bb.1:
	s_load_b32 s8, s[0:1], 0x18
	s_mov_b32 s9, 0
	s_wait_kmcnt 0x0
	s_cmp_lt_u32 s8, s6
	s_cselect_b32 s7, s8, 0
	s_wait_alu 0xfffe
	v_cmp_eq_u32_e32 vcc_lo, s7, v0
	s_and_saveexec_b32 s7, vcc_lo
	s_cbranch_execz .LBB152_5
; %bb.2:
	s_add_co_i32 s8, s8, 32
	v_mov_b32_e32 v3, 0
	s_lshl_b64 s[8:9], s[8:9], 3
	s_delay_alu instid0(SALU_CYCLE_1) | instskip(SKIP_3) | instid1(VALU_DEP_1)
	s_add_nc_u64 s[8:9], s[4:5], s[8:9]
	global_load_b64 v[1:2], v3, s[8:9] scope:SCOPE_DEV
	s_wait_loadcnt 0x0
	v_and_b32_e32 v4, 0xff, v2
	v_cmp_ne_u64_e32 vcc_lo, 0, v[3:4]
	s_cbranch_vccnz .LBB152_4
.LBB152_3:                              ; =>This Inner Loop Header: Depth=1
	global_load_b64 v[1:2], v3, s[8:9] scope:SCOPE_DEV
	s_wait_loadcnt 0x0
	v_and_b32_e32 v4, 0xff, v2
	s_delay_alu instid0(VALU_DEP_1)
	v_cmp_eq_u64_e32 vcc_lo, 0, v[3:4]
	s_cbranch_vccnz .LBB152_3
.LBB152_4:
	v_mov_b32_e32 v2, 0
	global_store_b32 v2, v1, s[2:3]
.LBB152_5:
	s_wait_alu 0xfffe
	s_or_b32 exec_lo, exec_lo, s7
.LBB152_6:
	s_delay_alu instid0(SALU_CYCLE_1)
	s_mov_b32 s2, exec_lo
	v_cmpx_eq_u32_e32 0, v0
	s_cbranch_execz .LBB152_8
; %bb.7:
	s_load_b64 s[0:1], s[0:1], 0x10
	v_mov_b32_e32 v1, 0
	s_wait_kmcnt 0x0
	global_store_b32 v1, v1, s[0:1]
.LBB152_8:
	s_or_b32 exec_lo, exec_lo, s2
	s_delay_alu instid0(SALU_CYCLE_1)
	s_mov_b32 s0, exec_lo
	v_cmpx_gt_u32_e64 s6, v0
	s_cbranch_execz .LBB152_10
; %bb.9:
	v_dual_mov_b32 v2, 0 :: v_dual_add_nc_u32 v1, 32, v0
	s_delay_alu instid0(VALU_DEP_1) | instskip(SKIP_1) | instid1(VALU_DEP_2)
	v_lshlrev_b64_e32 v[3:4], 3, v[1:2]
	v_mov_b32_e32 v1, v2
	v_add_co_u32 v3, vcc_lo, s4, v3
	s_delay_alu instid0(VALU_DEP_1)
	v_add_co_ci_u32_e64 v4, null, s5, v4, vcc_lo
	global_store_b64 v[3:4], v[1:2], off
.LBB152_10:
	s_wait_alu 0xfffe
	s_or_b32 exec_lo, exec_lo, s0
	s_delay_alu instid0(SALU_CYCLE_1)
	s_mov_b32 s0, exec_lo
	v_cmpx_gt_u32_e32 32, v0
	s_cbranch_execz .LBB152_12
; %bb.11:
	v_dual_mov_b32 v1, 0 :: v_dual_mov_b32 v4, 0xff
	s_delay_alu instid0(VALU_DEP_1) | instskip(NEXT) | instid1(VALU_DEP_1)
	v_lshlrev_b64_e32 v[2:3], 3, v[0:1]
	v_add_co_u32 v5, vcc_lo, s4, v2
	s_wait_alu 0xfffd
	s_delay_alu instid0(VALU_DEP_2)
	v_add_co_ci_u32_e64 v6, null, s5, v3, vcc_lo
	v_mov_b32_e32 v3, v1
	global_store_b64 v[5:6], v[3:4], off
.LBB152_12:
	s_endpgm
	.section	.rodata,"a",@progbits
	.p2align	6, 0x0
	.amdhsa_kernel _ZN7rocprim17ROCPRIM_400000_NS6detail31init_lookback_scan_state_kernelINS1_19lookback_scan_stateIfLb0ELb1EEENS1_16block_id_wrapperIjLb1EEEEEvT_jT0_jPNS7_10value_typeE
		.amdhsa_group_segment_fixed_size 0
		.amdhsa_private_segment_fixed_size 0
		.amdhsa_kernarg_size 296
		.amdhsa_user_sgpr_count 2
		.amdhsa_user_sgpr_dispatch_ptr 0
		.amdhsa_user_sgpr_queue_ptr 0
		.amdhsa_user_sgpr_kernarg_segment_ptr 1
		.amdhsa_user_sgpr_dispatch_id 0
		.amdhsa_user_sgpr_private_segment_size 0
		.amdhsa_wavefront_size32 1
		.amdhsa_uses_dynamic_stack 0
		.amdhsa_enable_private_segment 0
		.amdhsa_system_sgpr_workgroup_id_x 1
		.amdhsa_system_sgpr_workgroup_id_y 0
		.amdhsa_system_sgpr_workgroup_id_z 0
		.amdhsa_system_sgpr_workgroup_info 0
		.amdhsa_system_vgpr_workitem_id 0
		.amdhsa_next_free_vgpr 7
		.amdhsa_next_free_sgpr 10
		.amdhsa_reserve_vcc 1
		.amdhsa_float_round_mode_32 0
		.amdhsa_float_round_mode_16_64 0
		.amdhsa_float_denorm_mode_32 3
		.amdhsa_float_denorm_mode_16_64 3
		.amdhsa_fp16_overflow 0
		.amdhsa_workgroup_processor_mode 1
		.amdhsa_memory_ordered 1
		.amdhsa_forward_progress 1
		.amdhsa_inst_pref_size 4
		.amdhsa_round_robin_scheduling 0
		.amdhsa_exception_fp_ieee_invalid_op 0
		.amdhsa_exception_fp_denorm_src 0
		.amdhsa_exception_fp_ieee_div_zero 0
		.amdhsa_exception_fp_ieee_overflow 0
		.amdhsa_exception_fp_ieee_underflow 0
		.amdhsa_exception_fp_ieee_inexact 0
		.amdhsa_exception_int_div_zero 0
	.end_amdhsa_kernel
	.section	.text._ZN7rocprim17ROCPRIM_400000_NS6detail31init_lookback_scan_state_kernelINS1_19lookback_scan_stateIfLb0ELb1EEENS1_16block_id_wrapperIjLb1EEEEEvT_jT0_jPNS7_10value_typeE,"axG",@progbits,_ZN7rocprim17ROCPRIM_400000_NS6detail31init_lookback_scan_state_kernelINS1_19lookback_scan_stateIfLb0ELb1EEENS1_16block_id_wrapperIjLb1EEEEEvT_jT0_jPNS7_10value_typeE,comdat
.Lfunc_end152:
	.size	_ZN7rocprim17ROCPRIM_400000_NS6detail31init_lookback_scan_state_kernelINS1_19lookback_scan_stateIfLb0ELb1EEENS1_16block_id_wrapperIjLb1EEEEEvT_jT0_jPNS7_10value_typeE, .Lfunc_end152-_ZN7rocprim17ROCPRIM_400000_NS6detail31init_lookback_scan_state_kernelINS1_19lookback_scan_stateIfLb0ELb1EEENS1_16block_id_wrapperIjLb1EEEEEvT_jT0_jPNS7_10value_typeE
                                        ; -- End function
	.set _ZN7rocprim17ROCPRIM_400000_NS6detail31init_lookback_scan_state_kernelINS1_19lookback_scan_stateIfLb0ELb1EEENS1_16block_id_wrapperIjLb1EEEEEvT_jT0_jPNS7_10value_typeE.num_vgpr, 7
	.set _ZN7rocprim17ROCPRIM_400000_NS6detail31init_lookback_scan_state_kernelINS1_19lookback_scan_stateIfLb0ELb1EEENS1_16block_id_wrapperIjLb1EEEEEvT_jT0_jPNS7_10value_typeE.num_agpr, 0
	.set _ZN7rocprim17ROCPRIM_400000_NS6detail31init_lookback_scan_state_kernelINS1_19lookback_scan_stateIfLb0ELb1EEENS1_16block_id_wrapperIjLb1EEEEEvT_jT0_jPNS7_10value_typeE.numbered_sgpr, 10
	.set _ZN7rocprim17ROCPRIM_400000_NS6detail31init_lookback_scan_state_kernelINS1_19lookback_scan_stateIfLb0ELb1EEENS1_16block_id_wrapperIjLb1EEEEEvT_jT0_jPNS7_10value_typeE.num_named_barrier, 0
	.set _ZN7rocprim17ROCPRIM_400000_NS6detail31init_lookback_scan_state_kernelINS1_19lookback_scan_stateIfLb0ELb1EEENS1_16block_id_wrapperIjLb1EEEEEvT_jT0_jPNS7_10value_typeE.private_seg_size, 0
	.set _ZN7rocprim17ROCPRIM_400000_NS6detail31init_lookback_scan_state_kernelINS1_19lookback_scan_stateIfLb0ELb1EEENS1_16block_id_wrapperIjLb1EEEEEvT_jT0_jPNS7_10value_typeE.uses_vcc, 1
	.set _ZN7rocprim17ROCPRIM_400000_NS6detail31init_lookback_scan_state_kernelINS1_19lookback_scan_stateIfLb0ELb1EEENS1_16block_id_wrapperIjLb1EEEEEvT_jT0_jPNS7_10value_typeE.uses_flat_scratch, 0
	.set _ZN7rocprim17ROCPRIM_400000_NS6detail31init_lookback_scan_state_kernelINS1_19lookback_scan_stateIfLb0ELb1EEENS1_16block_id_wrapperIjLb1EEEEEvT_jT0_jPNS7_10value_typeE.has_dyn_sized_stack, 0
	.set _ZN7rocprim17ROCPRIM_400000_NS6detail31init_lookback_scan_state_kernelINS1_19lookback_scan_stateIfLb0ELb1EEENS1_16block_id_wrapperIjLb1EEEEEvT_jT0_jPNS7_10value_typeE.has_recursion, 0
	.set _ZN7rocprim17ROCPRIM_400000_NS6detail31init_lookback_scan_state_kernelINS1_19lookback_scan_stateIfLb0ELb1EEENS1_16block_id_wrapperIjLb1EEEEEvT_jT0_jPNS7_10value_typeE.has_indirect_call, 0
	.section	.AMDGPU.csdata,"",@progbits
; Kernel info:
; codeLenInByte = 416
; TotalNumSgprs: 12
; NumVgprs: 7
; ScratchSize: 0
; MemoryBound: 0
; FloatMode: 240
; IeeeMode: 1
; LDSByteSize: 0 bytes/workgroup (compile time only)
; SGPRBlocks: 0
; VGPRBlocks: 0
; NumSGPRsForWavesPerEU: 12
; NumVGPRsForWavesPerEU: 7
; Occupancy: 16
; WaveLimiterHint : 0
; COMPUTE_PGM_RSRC2:SCRATCH_EN: 0
; COMPUTE_PGM_RSRC2:USER_SGPR: 2
; COMPUTE_PGM_RSRC2:TRAP_HANDLER: 0
; COMPUTE_PGM_RSRC2:TGID_X_EN: 1
; COMPUTE_PGM_RSRC2:TGID_Y_EN: 0
; COMPUTE_PGM_RSRC2:TGID_Z_EN: 0
; COMPUTE_PGM_RSRC2:TIDIG_COMP_CNT: 0
	.section	.text._ZN7rocprim17ROCPRIM_400000_NS6detail17trampoline_kernelINS0_14default_configENS1_20scan_config_selectorIfEEZZNS1_9scan_implILNS1_25lookback_scan_determinismE0ELb0ELb0ES3_PKfPffZZZN2at6native31launch_logcumsumexp_cuda_kernelERKNSB_10TensorBaseESF_lENKUlvE_clEvENKUlvE0_clEvEUlffE_fEEDaPvRmT3_T4_T5_mT6_P12ihipStream_tbENKUlT_T0_E_clISt17integral_constantIbLb0EESV_IbLb1EEEEDaSR_SS_EUlSR_E_NS1_11comp_targetILNS1_3genE0ELNS1_11target_archE4294967295ELNS1_3gpuE0ELNS1_3repE0EEENS1_30default_config_static_selectorELNS0_4arch9wavefront6targetE0EEEvT1_,"axG",@progbits,_ZN7rocprim17ROCPRIM_400000_NS6detail17trampoline_kernelINS0_14default_configENS1_20scan_config_selectorIfEEZZNS1_9scan_implILNS1_25lookback_scan_determinismE0ELb0ELb0ES3_PKfPffZZZN2at6native31launch_logcumsumexp_cuda_kernelERKNSB_10TensorBaseESF_lENKUlvE_clEvENKUlvE0_clEvEUlffE_fEEDaPvRmT3_T4_T5_mT6_P12ihipStream_tbENKUlT_T0_E_clISt17integral_constantIbLb0EESV_IbLb1EEEEDaSR_SS_EUlSR_E_NS1_11comp_targetILNS1_3genE0ELNS1_11target_archE4294967295ELNS1_3gpuE0ELNS1_3repE0EEENS1_30default_config_static_selectorELNS0_4arch9wavefront6targetE0EEEvT1_,comdat
	.globl	_ZN7rocprim17ROCPRIM_400000_NS6detail17trampoline_kernelINS0_14default_configENS1_20scan_config_selectorIfEEZZNS1_9scan_implILNS1_25lookback_scan_determinismE0ELb0ELb0ES3_PKfPffZZZN2at6native31launch_logcumsumexp_cuda_kernelERKNSB_10TensorBaseESF_lENKUlvE_clEvENKUlvE0_clEvEUlffE_fEEDaPvRmT3_T4_T5_mT6_P12ihipStream_tbENKUlT_T0_E_clISt17integral_constantIbLb0EESV_IbLb1EEEEDaSR_SS_EUlSR_E_NS1_11comp_targetILNS1_3genE0ELNS1_11target_archE4294967295ELNS1_3gpuE0ELNS1_3repE0EEENS1_30default_config_static_selectorELNS0_4arch9wavefront6targetE0EEEvT1_ ; -- Begin function _ZN7rocprim17ROCPRIM_400000_NS6detail17trampoline_kernelINS0_14default_configENS1_20scan_config_selectorIfEEZZNS1_9scan_implILNS1_25lookback_scan_determinismE0ELb0ELb0ES3_PKfPffZZZN2at6native31launch_logcumsumexp_cuda_kernelERKNSB_10TensorBaseESF_lENKUlvE_clEvENKUlvE0_clEvEUlffE_fEEDaPvRmT3_T4_T5_mT6_P12ihipStream_tbENKUlT_T0_E_clISt17integral_constantIbLb0EESV_IbLb1EEEEDaSR_SS_EUlSR_E_NS1_11comp_targetILNS1_3genE0ELNS1_11target_archE4294967295ELNS1_3gpuE0ELNS1_3repE0EEENS1_30default_config_static_selectorELNS0_4arch9wavefront6targetE0EEEvT1_
	.p2align	8
	.type	_ZN7rocprim17ROCPRIM_400000_NS6detail17trampoline_kernelINS0_14default_configENS1_20scan_config_selectorIfEEZZNS1_9scan_implILNS1_25lookback_scan_determinismE0ELb0ELb0ES3_PKfPffZZZN2at6native31launch_logcumsumexp_cuda_kernelERKNSB_10TensorBaseESF_lENKUlvE_clEvENKUlvE0_clEvEUlffE_fEEDaPvRmT3_T4_T5_mT6_P12ihipStream_tbENKUlT_T0_E_clISt17integral_constantIbLb0EESV_IbLb1EEEEDaSR_SS_EUlSR_E_NS1_11comp_targetILNS1_3genE0ELNS1_11target_archE4294967295ELNS1_3gpuE0ELNS1_3repE0EEENS1_30default_config_static_selectorELNS0_4arch9wavefront6targetE0EEEvT1_,@function
_ZN7rocprim17ROCPRIM_400000_NS6detail17trampoline_kernelINS0_14default_configENS1_20scan_config_selectorIfEEZZNS1_9scan_implILNS1_25lookback_scan_determinismE0ELb0ELb0ES3_PKfPffZZZN2at6native31launch_logcumsumexp_cuda_kernelERKNSB_10TensorBaseESF_lENKUlvE_clEvENKUlvE0_clEvEUlffE_fEEDaPvRmT3_T4_T5_mT6_P12ihipStream_tbENKUlT_T0_E_clISt17integral_constantIbLb0EESV_IbLb1EEEEDaSR_SS_EUlSR_E_NS1_11comp_targetILNS1_3genE0ELNS1_11target_archE4294967295ELNS1_3gpuE0ELNS1_3repE0EEENS1_30default_config_static_selectorELNS0_4arch9wavefront6targetE0EEEvT1_: ; @_ZN7rocprim17ROCPRIM_400000_NS6detail17trampoline_kernelINS0_14default_configENS1_20scan_config_selectorIfEEZZNS1_9scan_implILNS1_25lookback_scan_determinismE0ELb0ELb0ES3_PKfPffZZZN2at6native31launch_logcumsumexp_cuda_kernelERKNSB_10TensorBaseESF_lENKUlvE_clEvENKUlvE0_clEvEUlffE_fEEDaPvRmT3_T4_T5_mT6_P12ihipStream_tbENKUlT_T0_E_clISt17integral_constantIbLb0EESV_IbLb1EEEEDaSR_SS_EUlSR_E_NS1_11comp_targetILNS1_3genE0ELNS1_11target_archE4294967295ELNS1_3gpuE0ELNS1_3repE0EEENS1_30default_config_static_selectorELNS0_4arch9wavefront6targetE0EEEvT1_
; %bb.0:
	.section	.rodata,"a",@progbits
	.p2align	6, 0x0
	.amdhsa_kernel _ZN7rocprim17ROCPRIM_400000_NS6detail17trampoline_kernelINS0_14default_configENS1_20scan_config_selectorIfEEZZNS1_9scan_implILNS1_25lookback_scan_determinismE0ELb0ELb0ES3_PKfPffZZZN2at6native31launch_logcumsumexp_cuda_kernelERKNSB_10TensorBaseESF_lENKUlvE_clEvENKUlvE0_clEvEUlffE_fEEDaPvRmT3_T4_T5_mT6_P12ihipStream_tbENKUlT_T0_E_clISt17integral_constantIbLb0EESV_IbLb1EEEEDaSR_SS_EUlSR_E_NS1_11comp_targetILNS1_3genE0ELNS1_11target_archE4294967295ELNS1_3gpuE0ELNS1_3repE0EEENS1_30default_config_static_selectorELNS0_4arch9wavefront6targetE0EEEvT1_
		.amdhsa_group_segment_fixed_size 0
		.amdhsa_private_segment_fixed_size 0
		.amdhsa_kernarg_size 96
		.amdhsa_user_sgpr_count 2
		.amdhsa_user_sgpr_dispatch_ptr 0
		.amdhsa_user_sgpr_queue_ptr 0
		.amdhsa_user_sgpr_kernarg_segment_ptr 1
		.amdhsa_user_sgpr_dispatch_id 0
		.amdhsa_user_sgpr_private_segment_size 0
		.amdhsa_wavefront_size32 1
		.amdhsa_uses_dynamic_stack 0
		.amdhsa_enable_private_segment 0
		.amdhsa_system_sgpr_workgroup_id_x 1
		.amdhsa_system_sgpr_workgroup_id_y 0
		.amdhsa_system_sgpr_workgroup_id_z 0
		.amdhsa_system_sgpr_workgroup_info 0
		.amdhsa_system_vgpr_workitem_id 0
		.amdhsa_next_free_vgpr 1
		.amdhsa_next_free_sgpr 1
		.amdhsa_reserve_vcc 0
		.amdhsa_float_round_mode_32 0
		.amdhsa_float_round_mode_16_64 0
		.amdhsa_float_denorm_mode_32 3
		.amdhsa_float_denorm_mode_16_64 3
		.amdhsa_fp16_overflow 0
		.amdhsa_workgroup_processor_mode 1
		.amdhsa_memory_ordered 1
		.amdhsa_forward_progress 1
		.amdhsa_inst_pref_size 0
		.amdhsa_round_robin_scheduling 0
		.amdhsa_exception_fp_ieee_invalid_op 0
		.amdhsa_exception_fp_denorm_src 0
		.amdhsa_exception_fp_ieee_div_zero 0
		.amdhsa_exception_fp_ieee_overflow 0
		.amdhsa_exception_fp_ieee_underflow 0
		.amdhsa_exception_fp_ieee_inexact 0
		.amdhsa_exception_int_div_zero 0
	.end_amdhsa_kernel
	.section	.text._ZN7rocprim17ROCPRIM_400000_NS6detail17trampoline_kernelINS0_14default_configENS1_20scan_config_selectorIfEEZZNS1_9scan_implILNS1_25lookback_scan_determinismE0ELb0ELb0ES3_PKfPffZZZN2at6native31launch_logcumsumexp_cuda_kernelERKNSB_10TensorBaseESF_lENKUlvE_clEvENKUlvE0_clEvEUlffE_fEEDaPvRmT3_T4_T5_mT6_P12ihipStream_tbENKUlT_T0_E_clISt17integral_constantIbLb0EESV_IbLb1EEEEDaSR_SS_EUlSR_E_NS1_11comp_targetILNS1_3genE0ELNS1_11target_archE4294967295ELNS1_3gpuE0ELNS1_3repE0EEENS1_30default_config_static_selectorELNS0_4arch9wavefront6targetE0EEEvT1_,"axG",@progbits,_ZN7rocprim17ROCPRIM_400000_NS6detail17trampoline_kernelINS0_14default_configENS1_20scan_config_selectorIfEEZZNS1_9scan_implILNS1_25lookback_scan_determinismE0ELb0ELb0ES3_PKfPffZZZN2at6native31launch_logcumsumexp_cuda_kernelERKNSB_10TensorBaseESF_lENKUlvE_clEvENKUlvE0_clEvEUlffE_fEEDaPvRmT3_T4_T5_mT6_P12ihipStream_tbENKUlT_T0_E_clISt17integral_constantIbLb0EESV_IbLb1EEEEDaSR_SS_EUlSR_E_NS1_11comp_targetILNS1_3genE0ELNS1_11target_archE4294967295ELNS1_3gpuE0ELNS1_3repE0EEENS1_30default_config_static_selectorELNS0_4arch9wavefront6targetE0EEEvT1_,comdat
.Lfunc_end153:
	.size	_ZN7rocprim17ROCPRIM_400000_NS6detail17trampoline_kernelINS0_14default_configENS1_20scan_config_selectorIfEEZZNS1_9scan_implILNS1_25lookback_scan_determinismE0ELb0ELb0ES3_PKfPffZZZN2at6native31launch_logcumsumexp_cuda_kernelERKNSB_10TensorBaseESF_lENKUlvE_clEvENKUlvE0_clEvEUlffE_fEEDaPvRmT3_T4_T5_mT6_P12ihipStream_tbENKUlT_T0_E_clISt17integral_constantIbLb0EESV_IbLb1EEEEDaSR_SS_EUlSR_E_NS1_11comp_targetILNS1_3genE0ELNS1_11target_archE4294967295ELNS1_3gpuE0ELNS1_3repE0EEENS1_30default_config_static_selectorELNS0_4arch9wavefront6targetE0EEEvT1_, .Lfunc_end153-_ZN7rocprim17ROCPRIM_400000_NS6detail17trampoline_kernelINS0_14default_configENS1_20scan_config_selectorIfEEZZNS1_9scan_implILNS1_25lookback_scan_determinismE0ELb0ELb0ES3_PKfPffZZZN2at6native31launch_logcumsumexp_cuda_kernelERKNSB_10TensorBaseESF_lENKUlvE_clEvENKUlvE0_clEvEUlffE_fEEDaPvRmT3_T4_T5_mT6_P12ihipStream_tbENKUlT_T0_E_clISt17integral_constantIbLb0EESV_IbLb1EEEEDaSR_SS_EUlSR_E_NS1_11comp_targetILNS1_3genE0ELNS1_11target_archE4294967295ELNS1_3gpuE0ELNS1_3repE0EEENS1_30default_config_static_selectorELNS0_4arch9wavefront6targetE0EEEvT1_
                                        ; -- End function
	.set _ZN7rocprim17ROCPRIM_400000_NS6detail17trampoline_kernelINS0_14default_configENS1_20scan_config_selectorIfEEZZNS1_9scan_implILNS1_25lookback_scan_determinismE0ELb0ELb0ES3_PKfPffZZZN2at6native31launch_logcumsumexp_cuda_kernelERKNSB_10TensorBaseESF_lENKUlvE_clEvENKUlvE0_clEvEUlffE_fEEDaPvRmT3_T4_T5_mT6_P12ihipStream_tbENKUlT_T0_E_clISt17integral_constantIbLb0EESV_IbLb1EEEEDaSR_SS_EUlSR_E_NS1_11comp_targetILNS1_3genE0ELNS1_11target_archE4294967295ELNS1_3gpuE0ELNS1_3repE0EEENS1_30default_config_static_selectorELNS0_4arch9wavefront6targetE0EEEvT1_.num_vgpr, 0
	.set _ZN7rocprim17ROCPRIM_400000_NS6detail17trampoline_kernelINS0_14default_configENS1_20scan_config_selectorIfEEZZNS1_9scan_implILNS1_25lookback_scan_determinismE0ELb0ELb0ES3_PKfPffZZZN2at6native31launch_logcumsumexp_cuda_kernelERKNSB_10TensorBaseESF_lENKUlvE_clEvENKUlvE0_clEvEUlffE_fEEDaPvRmT3_T4_T5_mT6_P12ihipStream_tbENKUlT_T0_E_clISt17integral_constantIbLb0EESV_IbLb1EEEEDaSR_SS_EUlSR_E_NS1_11comp_targetILNS1_3genE0ELNS1_11target_archE4294967295ELNS1_3gpuE0ELNS1_3repE0EEENS1_30default_config_static_selectorELNS0_4arch9wavefront6targetE0EEEvT1_.num_agpr, 0
	.set _ZN7rocprim17ROCPRIM_400000_NS6detail17trampoline_kernelINS0_14default_configENS1_20scan_config_selectorIfEEZZNS1_9scan_implILNS1_25lookback_scan_determinismE0ELb0ELb0ES3_PKfPffZZZN2at6native31launch_logcumsumexp_cuda_kernelERKNSB_10TensorBaseESF_lENKUlvE_clEvENKUlvE0_clEvEUlffE_fEEDaPvRmT3_T4_T5_mT6_P12ihipStream_tbENKUlT_T0_E_clISt17integral_constantIbLb0EESV_IbLb1EEEEDaSR_SS_EUlSR_E_NS1_11comp_targetILNS1_3genE0ELNS1_11target_archE4294967295ELNS1_3gpuE0ELNS1_3repE0EEENS1_30default_config_static_selectorELNS0_4arch9wavefront6targetE0EEEvT1_.numbered_sgpr, 0
	.set _ZN7rocprim17ROCPRIM_400000_NS6detail17trampoline_kernelINS0_14default_configENS1_20scan_config_selectorIfEEZZNS1_9scan_implILNS1_25lookback_scan_determinismE0ELb0ELb0ES3_PKfPffZZZN2at6native31launch_logcumsumexp_cuda_kernelERKNSB_10TensorBaseESF_lENKUlvE_clEvENKUlvE0_clEvEUlffE_fEEDaPvRmT3_T4_T5_mT6_P12ihipStream_tbENKUlT_T0_E_clISt17integral_constantIbLb0EESV_IbLb1EEEEDaSR_SS_EUlSR_E_NS1_11comp_targetILNS1_3genE0ELNS1_11target_archE4294967295ELNS1_3gpuE0ELNS1_3repE0EEENS1_30default_config_static_selectorELNS0_4arch9wavefront6targetE0EEEvT1_.num_named_barrier, 0
	.set _ZN7rocprim17ROCPRIM_400000_NS6detail17trampoline_kernelINS0_14default_configENS1_20scan_config_selectorIfEEZZNS1_9scan_implILNS1_25lookback_scan_determinismE0ELb0ELb0ES3_PKfPffZZZN2at6native31launch_logcumsumexp_cuda_kernelERKNSB_10TensorBaseESF_lENKUlvE_clEvENKUlvE0_clEvEUlffE_fEEDaPvRmT3_T4_T5_mT6_P12ihipStream_tbENKUlT_T0_E_clISt17integral_constantIbLb0EESV_IbLb1EEEEDaSR_SS_EUlSR_E_NS1_11comp_targetILNS1_3genE0ELNS1_11target_archE4294967295ELNS1_3gpuE0ELNS1_3repE0EEENS1_30default_config_static_selectorELNS0_4arch9wavefront6targetE0EEEvT1_.private_seg_size, 0
	.set _ZN7rocprim17ROCPRIM_400000_NS6detail17trampoline_kernelINS0_14default_configENS1_20scan_config_selectorIfEEZZNS1_9scan_implILNS1_25lookback_scan_determinismE0ELb0ELb0ES3_PKfPffZZZN2at6native31launch_logcumsumexp_cuda_kernelERKNSB_10TensorBaseESF_lENKUlvE_clEvENKUlvE0_clEvEUlffE_fEEDaPvRmT3_T4_T5_mT6_P12ihipStream_tbENKUlT_T0_E_clISt17integral_constantIbLb0EESV_IbLb1EEEEDaSR_SS_EUlSR_E_NS1_11comp_targetILNS1_3genE0ELNS1_11target_archE4294967295ELNS1_3gpuE0ELNS1_3repE0EEENS1_30default_config_static_selectorELNS0_4arch9wavefront6targetE0EEEvT1_.uses_vcc, 0
	.set _ZN7rocprim17ROCPRIM_400000_NS6detail17trampoline_kernelINS0_14default_configENS1_20scan_config_selectorIfEEZZNS1_9scan_implILNS1_25lookback_scan_determinismE0ELb0ELb0ES3_PKfPffZZZN2at6native31launch_logcumsumexp_cuda_kernelERKNSB_10TensorBaseESF_lENKUlvE_clEvENKUlvE0_clEvEUlffE_fEEDaPvRmT3_T4_T5_mT6_P12ihipStream_tbENKUlT_T0_E_clISt17integral_constantIbLb0EESV_IbLb1EEEEDaSR_SS_EUlSR_E_NS1_11comp_targetILNS1_3genE0ELNS1_11target_archE4294967295ELNS1_3gpuE0ELNS1_3repE0EEENS1_30default_config_static_selectorELNS0_4arch9wavefront6targetE0EEEvT1_.uses_flat_scratch, 0
	.set _ZN7rocprim17ROCPRIM_400000_NS6detail17trampoline_kernelINS0_14default_configENS1_20scan_config_selectorIfEEZZNS1_9scan_implILNS1_25lookback_scan_determinismE0ELb0ELb0ES3_PKfPffZZZN2at6native31launch_logcumsumexp_cuda_kernelERKNSB_10TensorBaseESF_lENKUlvE_clEvENKUlvE0_clEvEUlffE_fEEDaPvRmT3_T4_T5_mT6_P12ihipStream_tbENKUlT_T0_E_clISt17integral_constantIbLb0EESV_IbLb1EEEEDaSR_SS_EUlSR_E_NS1_11comp_targetILNS1_3genE0ELNS1_11target_archE4294967295ELNS1_3gpuE0ELNS1_3repE0EEENS1_30default_config_static_selectorELNS0_4arch9wavefront6targetE0EEEvT1_.has_dyn_sized_stack, 0
	.set _ZN7rocprim17ROCPRIM_400000_NS6detail17trampoline_kernelINS0_14default_configENS1_20scan_config_selectorIfEEZZNS1_9scan_implILNS1_25lookback_scan_determinismE0ELb0ELb0ES3_PKfPffZZZN2at6native31launch_logcumsumexp_cuda_kernelERKNSB_10TensorBaseESF_lENKUlvE_clEvENKUlvE0_clEvEUlffE_fEEDaPvRmT3_T4_T5_mT6_P12ihipStream_tbENKUlT_T0_E_clISt17integral_constantIbLb0EESV_IbLb1EEEEDaSR_SS_EUlSR_E_NS1_11comp_targetILNS1_3genE0ELNS1_11target_archE4294967295ELNS1_3gpuE0ELNS1_3repE0EEENS1_30default_config_static_selectorELNS0_4arch9wavefront6targetE0EEEvT1_.has_recursion, 0
	.set _ZN7rocprim17ROCPRIM_400000_NS6detail17trampoline_kernelINS0_14default_configENS1_20scan_config_selectorIfEEZZNS1_9scan_implILNS1_25lookback_scan_determinismE0ELb0ELb0ES3_PKfPffZZZN2at6native31launch_logcumsumexp_cuda_kernelERKNSB_10TensorBaseESF_lENKUlvE_clEvENKUlvE0_clEvEUlffE_fEEDaPvRmT3_T4_T5_mT6_P12ihipStream_tbENKUlT_T0_E_clISt17integral_constantIbLb0EESV_IbLb1EEEEDaSR_SS_EUlSR_E_NS1_11comp_targetILNS1_3genE0ELNS1_11target_archE4294967295ELNS1_3gpuE0ELNS1_3repE0EEENS1_30default_config_static_selectorELNS0_4arch9wavefront6targetE0EEEvT1_.has_indirect_call, 0
	.section	.AMDGPU.csdata,"",@progbits
; Kernel info:
; codeLenInByte = 0
; TotalNumSgprs: 0
; NumVgprs: 0
; ScratchSize: 0
; MemoryBound: 0
; FloatMode: 240
; IeeeMode: 1
; LDSByteSize: 0 bytes/workgroup (compile time only)
; SGPRBlocks: 0
; VGPRBlocks: 0
; NumSGPRsForWavesPerEU: 1
; NumVGPRsForWavesPerEU: 1
; Occupancy: 16
; WaveLimiterHint : 0
; COMPUTE_PGM_RSRC2:SCRATCH_EN: 0
; COMPUTE_PGM_RSRC2:USER_SGPR: 2
; COMPUTE_PGM_RSRC2:TRAP_HANDLER: 0
; COMPUTE_PGM_RSRC2:TGID_X_EN: 1
; COMPUTE_PGM_RSRC2:TGID_Y_EN: 0
; COMPUTE_PGM_RSRC2:TGID_Z_EN: 0
; COMPUTE_PGM_RSRC2:TIDIG_COMP_CNT: 0
	.section	.text._ZN7rocprim17ROCPRIM_400000_NS6detail17trampoline_kernelINS0_14default_configENS1_20scan_config_selectorIfEEZZNS1_9scan_implILNS1_25lookback_scan_determinismE0ELb0ELb0ES3_PKfPffZZZN2at6native31launch_logcumsumexp_cuda_kernelERKNSB_10TensorBaseESF_lENKUlvE_clEvENKUlvE0_clEvEUlffE_fEEDaPvRmT3_T4_T5_mT6_P12ihipStream_tbENKUlT_T0_E_clISt17integral_constantIbLb0EESV_IbLb1EEEEDaSR_SS_EUlSR_E_NS1_11comp_targetILNS1_3genE5ELNS1_11target_archE942ELNS1_3gpuE9ELNS1_3repE0EEENS1_30default_config_static_selectorELNS0_4arch9wavefront6targetE0EEEvT1_,"axG",@progbits,_ZN7rocprim17ROCPRIM_400000_NS6detail17trampoline_kernelINS0_14default_configENS1_20scan_config_selectorIfEEZZNS1_9scan_implILNS1_25lookback_scan_determinismE0ELb0ELb0ES3_PKfPffZZZN2at6native31launch_logcumsumexp_cuda_kernelERKNSB_10TensorBaseESF_lENKUlvE_clEvENKUlvE0_clEvEUlffE_fEEDaPvRmT3_T4_T5_mT6_P12ihipStream_tbENKUlT_T0_E_clISt17integral_constantIbLb0EESV_IbLb1EEEEDaSR_SS_EUlSR_E_NS1_11comp_targetILNS1_3genE5ELNS1_11target_archE942ELNS1_3gpuE9ELNS1_3repE0EEENS1_30default_config_static_selectorELNS0_4arch9wavefront6targetE0EEEvT1_,comdat
	.globl	_ZN7rocprim17ROCPRIM_400000_NS6detail17trampoline_kernelINS0_14default_configENS1_20scan_config_selectorIfEEZZNS1_9scan_implILNS1_25lookback_scan_determinismE0ELb0ELb0ES3_PKfPffZZZN2at6native31launch_logcumsumexp_cuda_kernelERKNSB_10TensorBaseESF_lENKUlvE_clEvENKUlvE0_clEvEUlffE_fEEDaPvRmT3_T4_T5_mT6_P12ihipStream_tbENKUlT_T0_E_clISt17integral_constantIbLb0EESV_IbLb1EEEEDaSR_SS_EUlSR_E_NS1_11comp_targetILNS1_3genE5ELNS1_11target_archE942ELNS1_3gpuE9ELNS1_3repE0EEENS1_30default_config_static_selectorELNS0_4arch9wavefront6targetE0EEEvT1_ ; -- Begin function _ZN7rocprim17ROCPRIM_400000_NS6detail17trampoline_kernelINS0_14default_configENS1_20scan_config_selectorIfEEZZNS1_9scan_implILNS1_25lookback_scan_determinismE0ELb0ELb0ES3_PKfPffZZZN2at6native31launch_logcumsumexp_cuda_kernelERKNSB_10TensorBaseESF_lENKUlvE_clEvENKUlvE0_clEvEUlffE_fEEDaPvRmT3_T4_T5_mT6_P12ihipStream_tbENKUlT_T0_E_clISt17integral_constantIbLb0EESV_IbLb1EEEEDaSR_SS_EUlSR_E_NS1_11comp_targetILNS1_3genE5ELNS1_11target_archE942ELNS1_3gpuE9ELNS1_3repE0EEENS1_30default_config_static_selectorELNS0_4arch9wavefront6targetE0EEEvT1_
	.p2align	8
	.type	_ZN7rocprim17ROCPRIM_400000_NS6detail17trampoline_kernelINS0_14default_configENS1_20scan_config_selectorIfEEZZNS1_9scan_implILNS1_25lookback_scan_determinismE0ELb0ELb0ES3_PKfPffZZZN2at6native31launch_logcumsumexp_cuda_kernelERKNSB_10TensorBaseESF_lENKUlvE_clEvENKUlvE0_clEvEUlffE_fEEDaPvRmT3_T4_T5_mT6_P12ihipStream_tbENKUlT_T0_E_clISt17integral_constantIbLb0EESV_IbLb1EEEEDaSR_SS_EUlSR_E_NS1_11comp_targetILNS1_3genE5ELNS1_11target_archE942ELNS1_3gpuE9ELNS1_3repE0EEENS1_30default_config_static_selectorELNS0_4arch9wavefront6targetE0EEEvT1_,@function
_ZN7rocprim17ROCPRIM_400000_NS6detail17trampoline_kernelINS0_14default_configENS1_20scan_config_selectorIfEEZZNS1_9scan_implILNS1_25lookback_scan_determinismE0ELb0ELb0ES3_PKfPffZZZN2at6native31launch_logcumsumexp_cuda_kernelERKNSB_10TensorBaseESF_lENKUlvE_clEvENKUlvE0_clEvEUlffE_fEEDaPvRmT3_T4_T5_mT6_P12ihipStream_tbENKUlT_T0_E_clISt17integral_constantIbLb0EESV_IbLb1EEEEDaSR_SS_EUlSR_E_NS1_11comp_targetILNS1_3genE5ELNS1_11target_archE942ELNS1_3gpuE9ELNS1_3repE0EEENS1_30default_config_static_selectorELNS0_4arch9wavefront6targetE0EEEvT1_: ; @_ZN7rocprim17ROCPRIM_400000_NS6detail17trampoline_kernelINS0_14default_configENS1_20scan_config_selectorIfEEZZNS1_9scan_implILNS1_25lookback_scan_determinismE0ELb0ELb0ES3_PKfPffZZZN2at6native31launch_logcumsumexp_cuda_kernelERKNSB_10TensorBaseESF_lENKUlvE_clEvENKUlvE0_clEvEUlffE_fEEDaPvRmT3_T4_T5_mT6_P12ihipStream_tbENKUlT_T0_E_clISt17integral_constantIbLb0EESV_IbLb1EEEEDaSR_SS_EUlSR_E_NS1_11comp_targetILNS1_3genE5ELNS1_11target_archE942ELNS1_3gpuE9ELNS1_3repE0EEENS1_30default_config_static_selectorELNS0_4arch9wavefront6targetE0EEEvT1_
; %bb.0:
	.section	.rodata,"a",@progbits
	.p2align	6, 0x0
	.amdhsa_kernel _ZN7rocprim17ROCPRIM_400000_NS6detail17trampoline_kernelINS0_14default_configENS1_20scan_config_selectorIfEEZZNS1_9scan_implILNS1_25lookback_scan_determinismE0ELb0ELb0ES3_PKfPffZZZN2at6native31launch_logcumsumexp_cuda_kernelERKNSB_10TensorBaseESF_lENKUlvE_clEvENKUlvE0_clEvEUlffE_fEEDaPvRmT3_T4_T5_mT6_P12ihipStream_tbENKUlT_T0_E_clISt17integral_constantIbLb0EESV_IbLb1EEEEDaSR_SS_EUlSR_E_NS1_11comp_targetILNS1_3genE5ELNS1_11target_archE942ELNS1_3gpuE9ELNS1_3repE0EEENS1_30default_config_static_selectorELNS0_4arch9wavefront6targetE0EEEvT1_
		.amdhsa_group_segment_fixed_size 0
		.amdhsa_private_segment_fixed_size 0
		.amdhsa_kernarg_size 96
		.amdhsa_user_sgpr_count 2
		.amdhsa_user_sgpr_dispatch_ptr 0
		.amdhsa_user_sgpr_queue_ptr 0
		.amdhsa_user_sgpr_kernarg_segment_ptr 1
		.amdhsa_user_sgpr_dispatch_id 0
		.amdhsa_user_sgpr_private_segment_size 0
		.amdhsa_wavefront_size32 1
		.amdhsa_uses_dynamic_stack 0
		.amdhsa_enable_private_segment 0
		.amdhsa_system_sgpr_workgroup_id_x 1
		.amdhsa_system_sgpr_workgroup_id_y 0
		.amdhsa_system_sgpr_workgroup_id_z 0
		.amdhsa_system_sgpr_workgroup_info 0
		.amdhsa_system_vgpr_workitem_id 0
		.amdhsa_next_free_vgpr 1
		.amdhsa_next_free_sgpr 1
		.amdhsa_reserve_vcc 0
		.amdhsa_float_round_mode_32 0
		.amdhsa_float_round_mode_16_64 0
		.amdhsa_float_denorm_mode_32 3
		.amdhsa_float_denorm_mode_16_64 3
		.amdhsa_fp16_overflow 0
		.amdhsa_workgroup_processor_mode 1
		.amdhsa_memory_ordered 1
		.amdhsa_forward_progress 1
		.amdhsa_inst_pref_size 0
		.amdhsa_round_robin_scheduling 0
		.amdhsa_exception_fp_ieee_invalid_op 0
		.amdhsa_exception_fp_denorm_src 0
		.amdhsa_exception_fp_ieee_div_zero 0
		.amdhsa_exception_fp_ieee_overflow 0
		.amdhsa_exception_fp_ieee_underflow 0
		.amdhsa_exception_fp_ieee_inexact 0
		.amdhsa_exception_int_div_zero 0
	.end_amdhsa_kernel
	.section	.text._ZN7rocprim17ROCPRIM_400000_NS6detail17trampoline_kernelINS0_14default_configENS1_20scan_config_selectorIfEEZZNS1_9scan_implILNS1_25lookback_scan_determinismE0ELb0ELb0ES3_PKfPffZZZN2at6native31launch_logcumsumexp_cuda_kernelERKNSB_10TensorBaseESF_lENKUlvE_clEvENKUlvE0_clEvEUlffE_fEEDaPvRmT3_T4_T5_mT6_P12ihipStream_tbENKUlT_T0_E_clISt17integral_constantIbLb0EESV_IbLb1EEEEDaSR_SS_EUlSR_E_NS1_11comp_targetILNS1_3genE5ELNS1_11target_archE942ELNS1_3gpuE9ELNS1_3repE0EEENS1_30default_config_static_selectorELNS0_4arch9wavefront6targetE0EEEvT1_,"axG",@progbits,_ZN7rocprim17ROCPRIM_400000_NS6detail17trampoline_kernelINS0_14default_configENS1_20scan_config_selectorIfEEZZNS1_9scan_implILNS1_25lookback_scan_determinismE0ELb0ELb0ES3_PKfPffZZZN2at6native31launch_logcumsumexp_cuda_kernelERKNSB_10TensorBaseESF_lENKUlvE_clEvENKUlvE0_clEvEUlffE_fEEDaPvRmT3_T4_T5_mT6_P12ihipStream_tbENKUlT_T0_E_clISt17integral_constantIbLb0EESV_IbLb1EEEEDaSR_SS_EUlSR_E_NS1_11comp_targetILNS1_3genE5ELNS1_11target_archE942ELNS1_3gpuE9ELNS1_3repE0EEENS1_30default_config_static_selectorELNS0_4arch9wavefront6targetE0EEEvT1_,comdat
.Lfunc_end154:
	.size	_ZN7rocprim17ROCPRIM_400000_NS6detail17trampoline_kernelINS0_14default_configENS1_20scan_config_selectorIfEEZZNS1_9scan_implILNS1_25lookback_scan_determinismE0ELb0ELb0ES3_PKfPffZZZN2at6native31launch_logcumsumexp_cuda_kernelERKNSB_10TensorBaseESF_lENKUlvE_clEvENKUlvE0_clEvEUlffE_fEEDaPvRmT3_T4_T5_mT6_P12ihipStream_tbENKUlT_T0_E_clISt17integral_constantIbLb0EESV_IbLb1EEEEDaSR_SS_EUlSR_E_NS1_11comp_targetILNS1_3genE5ELNS1_11target_archE942ELNS1_3gpuE9ELNS1_3repE0EEENS1_30default_config_static_selectorELNS0_4arch9wavefront6targetE0EEEvT1_, .Lfunc_end154-_ZN7rocprim17ROCPRIM_400000_NS6detail17trampoline_kernelINS0_14default_configENS1_20scan_config_selectorIfEEZZNS1_9scan_implILNS1_25lookback_scan_determinismE0ELb0ELb0ES3_PKfPffZZZN2at6native31launch_logcumsumexp_cuda_kernelERKNSB_10TensorBaseESF_lENKUlvE_clEvENKUlvE0_clEvEUlffE_fEEDaPvRmT3_T4_T5_mT6_P12ihipStream_tbENKUlT_T0_E_clISt17integral_constantIbLb0EESV_IbLb1EEEEDaSR_SS_EUlSR_E_NS1_11comp_targetILNS1_3genE5ELNS1_11target_archE942ELNS1_3gpuE9ELNS1_3repE0EEENS1_30default_config_static_selectorELNS0_4arch9wavefront6targetE0EEEvT1_
                                        ; -- End function
	.set _ZN7rocprim17ROCPRIM_400000_NS6detail17trampoline_kernelINS0_14default_configENS1_20scan_config_selectorIfEEZZNS1_9scan_implILNS1_25lookback_scan_determinismE0ELb0ELb0ES3_PKfPffZZZN2at6native31launch_logcumsumexp_cuda_kernelERKNSB_10TensorBaseESF_lENKUlvE_clEvENKUlvE0_clEvEUlffE_fEEDaPvRmT3_T4_T5_mT6_P12ihipStream_tbENKUlT_T0_E_clISt17integral_constantIbLb0EESV_IbLb1EEEEDaSR_SS_EUlSR_E_NS1_11comp_targetILNS1_3genE5ELNS1_11target_archE942ELNS1_3gpuE9ELNS1_3repE0EEENS1_30default_config_static_selectorELNS0_4arch9wavefront6targetE0EEEvT1_.num_vgpr, 0
	.set _ZN7rocprim17ROCPRIM_400000_NS6detail17trampoline_kernelINS0_14default_configENS1_20scan_config_selectorIfEEZZNS1_9scan_implILNS1_25lookback_scan_determinismE0ELb0ELb0ES3_PKfPffZZZN2at6native31launch_logcumsumexp_cuda_kernelERKNSB_10TensorBaseESF_lENKUlvE_clEvENKUlvE0_clEvEUlffE_fEEDaPvRmT3_T4_T5_mT6_P12ihipStream_tbENKUlT_T0_E_clISt17integral_constantIbLb0EESV_IbLb1EEEEDaSR_SS_EUlSR_E_NS1_11comp_targetILNS1_3genE5ELNS1_11target_archE942ELNS1_3gpuE9ELNS1_3repE0EEENS1_30default_config_static_selectorELNS0_4arch9wavefront6targetE0EEEvT1_.num_agpr, 0
	.set _ZN7rocprim17ROCPRIM_400000_NS6detail17trampoline_kernelINS0_14default_configENS1_20scan_config_selectorIfEEZZNS1_9scan_implILNS1_25lookback_scan_determinismE0ELb0ELb0ES3_PKfPffZZZN2at6native31launch_logcumsumexp_cuda_kernelERKNSB_10TensorBaseESF_lENKUlvE_clEvENKUlvE0_clEvEUlffE_fEEDaPvRmT3_T4_T5_mT6_P12ihipStream_tbENKUlT_T0_E_clISt17integral_constantIbLb0EESV_IbLb1EEEEDaSR_SS_EUlSR_E_NS1_11comp_targetILNS1_3genE5ELNS1_11target_archE942ELNS1_3gpuE9ELNS1_3repE0EEENS1_30default_config_static_selectorELNS0_4arch9wavefront6targetE0EEEvT1_.numbered_sgpr, 0
	.set _ZN7rocprim17ROCPRIM_400000_NS6detail17trampoline_kernelINS0_14default_configENS1_20scan_config_selectorIfEEZZNS1_9scan_implILNS1_25lookback_scan_determinismE0ELb0ELb0ES3_PKfPffZZZN2at6native31launch_logcumsumexp_cuda_kernelERKNSB_10TensorBaseESF_lENKUlvE_clEvENKUlvE0_clEvEUlffE_fEEDaPvRmT3_T4_T5_mT6_P12ihipStream_tbENKUlT_T0_E_clISt17integral_constantIbLb0EESV_IbLb1EEEEDaSR_SS_EUlSR_E_NS1_11comp_targetILNS1_3genE5ELNS1_11target_archE942ELNS1_3gpuE9ELNS1_3repE0EEENS1_30default_config_static_selectorELNS0_4arch9wavefront6targetE0EEEvT1_.num_named_barrier, 0
	.set _ZN7rocprim17ROCPRIM_400000_NS6detail17trampoline_kernelINS0_14default_configENS1_20scan_config_selectorIfEEZZNS1_9scan_implILNS1_25lookback_scan_determinismE0ELb0ELb0ES3_PKfPffZZZN2at6native31launch_logcumsumexp_cuda_kernelERKNSB_10TensorBaseESF_lENKUlvE_clEvENKUlvE0_clEvEUlffE_fEEDaPvRmT3_T4_T5_mT6_P12ihipStream_tbENKUlT_T0_E_clISt17integral_constantIbLb0EESV_IbLb1EEEEDaSR_SS_EUlSR_E_NS1_11comp_targetILNS1_3genE5ELNS1_11target_archE942ELNS1_3gpuE9ELNS1_3repE0EEENS1_30default_config_static_selectorELNS0_4arch9wavefront6targetE0EEEvT1_.private_seg_size, 0
	.set _ZN7rocprim17ROCPRIM_400000_NS6detail17trampoline_kernelINS0_14default_configENS1_20scan_config_selectorIfEEZZNS1_9scan_implILNS1_25lookback_scan_determinismE0ELb0ELb0ES3_PKfPffZZZN2at6native31launch_logcumsumexp_cuda_kernelERKNSB_10TensorBaseESF_lENKUlvE_clEvENKUlvE0_clEvEUlffE_fEEDaPvRmT3_T4_T5_mT6_P12ihipStream_tbENKUlT_T0_E_clISt17integral_constantIbLb0EESV_IbLb1EEEEDaSR_SS_EUlSR_E_NS1_11comp_targetILNS1_3genE5ELNS1_11target_archE942ELNS1_3gpuE9ELNS1_3repE0EEENS1_30default_config_static_selectorELNS0_4arch9wavefront6targetE0EEEvT1_.uses_vcc, 0
	.set _ZN7rocprim17ROCPRIM_400000_NS6detail17trampoline_kernelINS0_14default_configENS1_20scan_config_selectorIfEEZZNS1_9scan_implILNS1_25lookback_scan_determinismE0ELb0ELb0ES3_PKfPffZZZN2at6native31launch_logcumsumexp_cuda_kernelERKNSB_10TensorBaseESF_lENKUlvE_clEvENKUlvE0_clEvEUlffE_fEEDaPvRmT3_T4_T5_mT6_P12ihipStream_tbENKUlT_T0_E_clISt17integral_constantIbLb0EESV_IbLb1EEEEDaSR_SS_EUlSR_E_NS1_11comp_targetILNS1_3genE5ELNS1_11target_archE942ELNS1_3gpuE9ELNS1_3repE0EEENS1_30default_config_static_selectorELNS0_4arch9wavefront6targetE0EEEvT1_.uses_flat_scratch, 0
	.set _ZN7rocprim17ROCPRIM_400000_NS6detail17trampoline_kernelINS0_14default_configENS1_20scan_config_selectorIfEEZZNS1_9scan_implILNS1_25lookback_scan_determinismE0ELb0ELb0ES3_PKfPffZZZN2at6native31launch_logcumsumexp_cuda_kernelERKNSB_10TensorBaseESF_lENKUlvE_clEvENKUlvE0_clEvEUlffE_fEEDaPvRmT3_T4_T5_mT6_P12ihipStream_tbENKUlT_T0_E_clISt17integral_constantIbLb0EESV_IbLb1EEEEDaSR_SS_EUlSR_E_NS1_11comp_targetILNS1_3genE5ELNS1_11target_archE942ELNS1_3gpuE9ELNS1_3repE0EEENS1_30default_config_static_selectorELNS0_4arch9wavefront6targetE0EEEvT1_.has_dyn_sized_stack, 0
	.set _ZN7rocprim17ROCPRIM_400000_NS6detail17trampoline_kernelINS0_14default_configENS1_20scan_config_selectorIfEEZZNS1_9scan_implILNS1_25lookback_scan_determinismE0ELb0ELb0ES3_PKfPffZZZN2at6native31launch_logcumsumexp_cuda_kernelERKNSB_10TensorBaseESF_lENKUlvE_clEvENKUlvE0_clEvEUlffE_fEEDaPvRmT3_T4_T5_mT6_P12ihipStream_tbENKUlT_T0_E_clISt17integral_constantIbLb0EESV_IbLb1EEEEDaSR_SS_EUlSR_E_NS1_11comp_targetILNS1_3genE5ELNS1_11target_archE942ELNS1_3gpuE9ELNS1_3repE0EEENS1_30default_config_static_selectorELNS0_4arch9wavefront6targetE0EEEvT1_.has_recursion, 0
	.set _ZN7rocprim17ROCPRIM_400000_NS6detail17trampoline_kernelINS0_14default_configENS1_20scan_config_selectorIfEEZZNS1_9scan_implILNS1_25lookback_scan_determinismE0ELb0ELb0ES3_PKfPffZZZN2at6native31launch_logcumsumexp_cuda_kernelERKNSB_10TensorBaseESF_lENKUlvE_clEvENKUlvE0_clEvEUlffE_fEEDaPvRmT3_T4_T5_mT6_P12ihipStream_tbENKUlT_T0_E_clISt17integral_constantIbLb0EESV_IbLb1EEEEDaSR_SS_EUlSR_E_NS1_11comp_targetILNS1_3genE5ELNS1_11target_archE942ELNS1_3gpuE9ELNS1_3repE0EEENS1_30default_config_static_selectorELNS0_4arch9wavefront6targetE0EEEvT1_.has_indirect_call, 0
	.section	.AMDGPU.csdata,"",@progbits
; Kernel info:
; codeLenInByte = 0
; TotalNumSgprs: 0
; NumVgprs: 0
; ScratchSize: 0
; MemoryBound: 0
; FloatMode: 240
; IeeeMode: 1
; LDSByteSize: 0 bytes/workgroup (compile time only)
; SGPRBlocks: 0
; VGPRBlocks: 0
; NumSGPRsForWavesPerEU: 1
; NumVGPRsForWavesPerEU: 1
; Occupancy: 16
; WaveLimiterHint : 0
; COMPUTE_PGM_RSRC2:SCRATCH_EN: 0
; COMPUTE_PGM_RSRC2:USER_SGPR: 2
; COMPUTE_PGM_RSRC2:TRAP_HANDLER: 0
; COMPUTE_PGM_RSRC2:TGID_X_EN: 1
; COMPUTE_PGM_RSRC2:TGID_Y_EN: 0
; COMPUTE_PGM_RSRC2:TGID_Z_EN: 0
; COMPUTE_PGM_RSRC2:TIDIG_COMP_CNT: 0
	.section	.text._ZN7rocprim17ROCPRIM_400000_NS6detail17trampoline_kernelINS0_14default_configENS1_20scan_config_selectorIfEEZZNS1_9scan_implILNS1_25lookback_scan_determinismE0ELb0ELb0ES3_PKfPffZZZN2at6native31launch_logcumsumexp_cuda_kernelERKNSB_10TensorBaseESF_lENKUlvE_clEvENKUlvE0_clEvEUlffE_fEEDaPvRmT3_T4_T5_mT6_P12ihipStream_tbENKUlT_T0_E_clISt17integral_constantIbLb0EESV_IbLb1EEEEDaSR_SS_EUlSR_E_NS1_11comp_targetILNS1_3genE4ELNS1_11target_archE910ELNS1_3gpuE8ELNS1_3repE0EEENS1_30default_config_static_selectorELNS0_4arch9wavefront6targetE0EEEvT1_,"axG",@progbits,_ZN7rocprim17ROCPRIM_400000_NS6detail17trampoline_kernelINS0_14default_configENS1_20scan_config_selectorIfEEZZNS1_9scan_implILNS1_25lookback_scan_determinismE0ELb0ELb0ES3_PKfPffZZZN2at6native31launch_logcumsumexp_cuda_kernelERKNSB_10TensorBaseESF_lENKUlvE_clEvENKUlvE0_clEvEUlffE_fEEDaPvRmT3_T4_T5_mT6_P12ihipStream_tbENKUlT_T0_E_clISt17integral_constantIbLb0EESV_IbLb1EEEEDaSR_SS_EUlSR_E_NS1_11comp_targetILNS1_3genE4ELNS1_11target_archE910ELNS1_3gpuE8ELNS1_3repE0EEENS1_30default_config_static_selectorELNS0_4arch9wavefront6targetE0EEEvT1_,comdat
	.globl	_ZN7rocprim17ROCPRIM_400000_NS6detail17trampoline_kernelINS0_14default_configENS1_20scan_config_selectorIfEEZZNS1_9scan_implILNS1_25lookback_scan_determinismE0ELb0ELb0ES3_PKfPffZZZN2at6native31launch_logcumsumexp_cuda_kernelERKNSB_10TensorBaseESF_lENKUlvE_clEvENKUlvE0_clEvEUlffE_fEEDaPvRmT3_T4_T5_mT6_P12ihipStream_tbENKUlT_T0_E_clISt17integral_constantIbLb0EESV_IbLb1EEEEDaSR_SS_EUlSR_E_NS1_11comp_targetILNS1_3genE4ELNS1_11target_archE910ELNS1_3gpuE8ELNS1_3repE0EEENS1_30default_config_static_selectorELNS0_4arch9wavefront6targetE0EEEvT1_ ; -- Begin function _ZN7rocprim17ROCPRIM_400000_NS6detail17trampoline_kernelINS0_14default_configENS1_20scan_config_selectorIfEEZZNS1_9scan_implILNS1_25lookback_scan_determinismE0ELb0ELb0ES3_PKfPffZZZN2at6native31launch_logcumsumexp_cuda_kernelERKNSB_10TensorBaseESF_lENKUlvE_clEvENKUlvE0_clEvEUlffE_fEEDaPvRmT3_T4_T5_mT6_P12ihipStream_tbENKUlT_T0_E_clISt17integral_constantIbLb0EESV_IbLb1EEEEDaSR_SS_EUlSR_E_NS1_11comp_targetILNS1_3genE4ELNS1_11target_archE910ELNS1_3gpuE8ELNS1_3repE0EEENS1_30default_config_static_selectorELNS0_4arch9wavefront6targetE0EEEvT1_
	.p2align	8
	.type	_ZN7rocprim17ROCPRIM_400000_NS6detail17trampoline_kernelINS0_14default_configENS1_20scan_config_selectorIfEEZZNS1_9scan_implILNS1_25lookback_scan_determinismE0ELb0ELb0ES3_PKfPffZZZN2at6native31launch_logcumsumexp_cuda_kernelERKNSB_10TensorBaseESF_lENKUlvE_clEvENKUlvE0_clEvEUlffE_fEEDaPvRmT3_T4_T5_mT6_P12ihipStream_tbENKUlT_T0_E_clISt17integral_constantIbLb0EESV_IbLb1EEEEDaSR_SS_EUlSR_E_NS1_11comp_targetILNS1_3genE4ELNS1_11target_archE910ELNS1_3gpuE8ELNS1_3repE0EEENS1_30default_config_static_selectorELNS0_4arch9wavefront6targetE0EEEvT1_,@function
_ZN7rocprim17ROCPRIM_400000_NS6detail17trampoline_kernelINS0_14default_configENS1_20scan_config_selectorIfEEZZNS1_9scan_implILNS1_25lookback_scan_determinismE0ELb0ELb0ES3_PKfPffZZZN2at6native31launch_logcumsumexp_cuda_kernelERKNSB_10TensorBaseESF_lENKUlvE_clEvENKUlvE0_clEvEUlffE_fEEDaPvRmT3_T4_T5_mT6_P12ihipStream_tbENKUlT_T0_E_clISt17integral_constantIbLb0EESV_IbLb1EEEEDaSR_SS_EUlSR_E_NS1_11comp_targetILNS1_3genE4ELNS1_11target_archE910ELNS1_3gpuE8ELNS1_3repE0EEENS1_30default_config_static_selectorELNS0_4arch9wavefront6targetE0EEEvT1_: ; @_ZN7rocprim17ROCPRIM_400000_NS6detail17trampoline_kernelINS0_14default_configENS1_20scan_config_selectorIfEEZZNS1_9scan_implILNS1_25lookback_scan_determinismE0ELb0ELb0ES3_PKfPffZZZN2at6native31launch_logcumsumexp_cuda_kernelERKNSB_10TensorBaseESF_lENKUlvE_clEvENKUlvE0_clEvEUlffE_fEEDaPvRmT3_T4_T5_mT6_P12ihipStream_tbENKUlT_T0_E_clISt17integral_constantIbLb0EESV_IbLb1EEEEDaSR_SS_EUlSR_E_NS1_11comp_targetILNS1_3genE4ELNS1_11target_archE910ELNS1_3gpuE8ELNS1_3repE0EEENS1_30default_config_static_selectorELNS0_4arch9wavefront6targetE0EEEvT1_
; %bb.0:
	.section	.rodata,"a",@progbits
	.p2align	6, 0x0
	.amdhsa_kernel _ZN7rocprim17ROCPRIM_400000_NS6detail17trampoline_kernelINS0_14default_configENS1_20scan_config_selectorIfEEZZNS1_9scan_implILNS1_25lookback_scan_determinismE0ELb0ELb0ES3_PKfPffZZZN2at6native31launch_logcumsumexp_cuda_kernelERKNSB_10TensorBaseESF_lENKUlvE_clEvENKUlvE0_clEvEUlffE_fEEDaPvRmT3_T4_T5_mT6_P12ihipStream_tbENKUlT_T0_E_clISt17integral_constantIbLb0EESV_IbLb1EEEEDaSR_SS_EUlSR_E_NS1_11comp_targetILNS1_3genE4ELNS1_11target_archE910ELNS1_3gpuE8ELNS1_3repE0EEENS1_30default_config_static_selectorELNS0_4arch9wavefront6targetE0EEEvT1_
		.amdhsa_group_segment_fixed_size 0
		.amdhsa_private_segment_fixed_size 0
		.amdhsa_kernarg_size 96
		.amdhsa_user_sgpr_count 2
		.amdhsa_user_sgpr_dispatch_ptr 0
		.amdhsa_user_sgpr_queue_ptr 0
		.amdhsa_user_sgpr_kernarg_segment_ptr 1
		.amdhsa_user_sgpr_dispatch_id 0
		.amdhsa_user_sgpr_private_segment_size 0
		.amdhsa_wavefront_size32 1
		.amdhsa_uses_dynamic_stack 0
		.amdhsa_enable_private_segment 0
		.amdhsa_system_sgpr_workgroup_id_x 1
		.amdhsa_system_sgpr_workgroup_id_y 0
		.amdhsa_system_sgpr_workgroup_id_z 0
		.amdhsa_system_sgpr_workgroup_info 0
		.amdhsa_system_vgpr_workitem_id 0
		.amdhsa_next_free_vgpr 1
		.amdhsa_next_free_sgpr 1
		.amdhsa_reserve_vcc 0
		.amdhsa_float_round_mode_32 0
		.amdhsa_float_round_mode_16_64 0
		.amdhsa_float_denorm_mode_32 3
		.amdhsa_float_denorm_mode_16_64 3
		.amdhsa_fp16_overflow 0
		.amdhsa_workgroup_processor_mode 1
		.amdhsa_memory_ordered 1
		.amdhsa_forward_progress 1
		.amdhsa_inst_pref_size 0
		.amdhsa_round_robin_scheduling 0
		.amdhsa_exception_fp_ieee_invalid_op 0
		.amdhsa_exception_fp_denorm_src 0
		.amdhsa_exception_fp_ieee_div_zero 0
		.amdhsa_exception_fp_ieee_overflow 0
		.amdhsa_exception_fp_ieee_underflow 0
		.amdhsa_exception_fp_ieee_inexact 0
		.amdhsa_exception_int_div_zero 0
	.end_amdhsa_kernel
	.section	.text._ZN7rocprim17ROCPRIM_400000_NS6detail17trampoline_kernelINS0_14default_configENS1_20scan_config_selectorIfEEZZNS1_9scan_implILNS1_25lookback_scan_determinismE0ELb0ELb0ES3_PKfPffZZZN2at6native31launch_logcumsumexp_cuda_kernelERKNSB_10TensorBaseESF_lENKUlvE_clEvENKUlvE0_clEvEUlffE_fEEDaPvRmT3_T4_T5_mT6_P12ihipStream_tbENKUlT_T0_E_clISt17integral_constantIbLb0EESV_IbLb1EEEEDaSR_SS_EUlSR_E_NS1_11comp_targetILNS1_3genE4ELNS1_11target_archE910ELNS1_3gpuE8ELNS1_3repE0EEENS1_30default_config_static_selectorELNS0_4arch9wavefront6targetE0EEEvT1_,"axG",@progbits,_ZN7rocprim17ROCPRIM_400000_NS6detail17trampoline_kernelINS0_14default_configENS1_20scan_config_selectorIfEEZZNS1_9scan_implILNS1_25lookback_scan_determinismE0ELb0ELb0ES3_PKfPffZZZN2at6native31launch_logcumsumexp_cuda_kernelERKNSB_10TensorBaseESF_lENKUlvE_clEvENKUlvE0_clEvEUlffE_fEEDaPvRmT3_T4_T5_mT6_P12ihipStream_tbENKUlT_T0_E_clISt17integral_constantIbLb0EESV_IbLb1EEEEDaSR_SS_EUlSR_E_NS1_11comp_targetILNS1_3genE4ELNS1_11target_archE910ELNS1_3gpuE8ELNS1_3repE0EEENS1_30default_config_static_selectorELNS0_4arch9wavefront6targetE0EEEvT1_,comdat
.Lfunc_end155:
	.size	_ZN7rocprim17ROCPRIM_400000_NS6detail17trampoline_kernelINS0_14default_configENS1_20scan_config_selectorIfEEZZNS1_9scan_implILNS1_25lookback_scan_determinismE0ELb0ELb0ES3_PKfPffZZZN2at6native31launch_logcumsumexp_cuda_kernelERKNSB_10TensorBaseESF_lENKUlvE_clEvENKUlvE0_clEvEUlffE_fEEDaPvRmT3_T4_T5_mT6_P12ihipStream_tbENKUlT_T0_E_clISt17integral_constantIbLb0EESV_IbLb1EEEEDaSR_SS_EUlSR_E_NS1_11comp_targetILNS1_3genE4ELNS1_11target_archE910ELNS1_3gpuE8ELNS1_3repE0EEENS1_30default_config_static_selectorELNS0_4arch9wavefront6targetE0EEEvT1_, .Lfunc_end155-_ZN7rocprim17ROCPRIM_400000_NS6detail17trampoline_kernelINS0_14default_configENS1_20scan_config_selectorIfEEZZNS1_9scan_implILNS1_25lookback_scan_determinismE0ELb0ELb0ES3_PKfPffZZZN2at6native31launch_logcumsumexp_cuda_kernelERKNSB_10TensorBaseESF_lENKUlvE_clEvENKUlvE0_clEvEUlffE_fEEDaPvRmT3_T4_T5_mT6_P12ihipStream_tbENKUlT_T0_E_clISt17integral_constantIbLb0EESV_IbLb1EEEEDaSR_SS_EUlSR_E_NS1_11comp_targetILNS1_3genE4ELNS1_11target_archE910ELNS1_3gpuE8ELNS1_3repE0EEENS1_30default_config_static_selectorELNS0_4arch9wavefront6targetE0EEEvT1_
                                        ; -- End function
	.set _ZN7rocprim17ROCPRIM_400000_NS6detail17trampoline_kernelINS0_14default_configENS1_20scan_config_selectorIfEEZZNS1_9scan_implILNS1_25lookback_scan_determinismE0ELb0ELb0ES3_PKfPffZZZN2at6native31launch_logcumsumexp_cuda_kernelERKNSB_10TensorBaseESF_lENKUlvE_clEvENKUlvE0_clEvEUlffE_fEEDaPvRmT3_T4_T5_mT6_P12ihipStream_tbENKUlT_T0_E_clISt17integral_constantIbLb0EESV_IbLb1EEEEDaSR_SS_EUlSR_E_NS1_11comp_targetILNS1_3genE4ELNS1_11target_archE910ELNS1_3gpuE8ELNS1_3repE0EEENS1_30default_config_static_selectorELNS0_4arch9wavefront6targetE0EEEvT1_.num_vgpr, 0
	.set _ZN7rocprim17ROCPRIM_400000_NS6detail17trampoline_kernelINS0_14default_configENS1_20scan_config_selectorIfEEZZNS1_9scan_implILNS1_25lookback_scan_determinismE0ELb0ELb0ES3_PKfPffZZZN2at6native31launch_logcumsumexp_cuda_kernelERKNSB_10TensorBaseESF_lENKUlvE_clEvENKUlvE0_clEvEUlffE_fEEDaPvRmT3_T4_T5_mT6_P12ihipStream_tbENKUlT_T0_E_clISt17integral_constantIbLb0EESV_IbLb1EEEEDaSR_SS_EUlSR_E_NS1_11comp_targetILNS1_3genE4ELNS1_11target_archE910ELNS1_3gpuE8ELNS1_3repE0EEENS1_30default_config_static_selectorELNS0_4arch9wavefront6targetE0EEEvT1_.num_agpr, 0
	.set _ZN7rocprim17ROCPRIM_400000_NS6detail17trampoline_kernelINS0_14default_configENS1_20scan_config_selectorIfEEZZNS1_9scan_implILNS1_25lookback_scan_determinismE0ELb0ELb0ES3_PKfPffZZZN2at6native31launch_logcumsumexp_cuda_kernelERKNSB_10TensorBaseESF_lENKUlvE_clEvENKUlvE0_clEvEUlffE_fEEDaPvRmT3_T4_T5_mT6_P12ihipStream_tbENKUlT_T0_E_clISt17integral_constantIbLb0EESV_IbLb1EEEEDaSR_SS_EUlSR_E_NS1_11comp_targetILNS1_3genE4ELNS1_11target_archE910ELNS1_3gpuE8ELNS1_3repE0EEENS1_30default_config_static_selectorELNS0_4arch9wavefront6targetE0EEEvT1_.numbered_sgpr, 0
	.set _ZN7rocprim17ROCPRIM_400000_NS6detail17trampoline_kernelINS0_14default_configENS1_20scan_config_selectorIfEEZZNS1_9scan_implILNS1_25lookback_scan_determinismE0ELb0ELb0ES3_PKfPffZZZN2at6native31launch_logcumsumexp_cuda_kernelERKNSB_10TensorBaseESF_lENKUlvE_clEvENKUlvE0_clEvEUlffE_fEEDaPvRmT3_T4_T5_mT6_P12ihipStream_tbENKUlT_T0_E_clISt17integral_constantIbLb0EESV_IbLb1EEEEDaSR_SS_EUlSR_E_NS1_11comp_targetILNS1_3genE4ELNS1_11target_archE910ELNS1_3gpuE8ELNS1_3repE0EEENS1_30default_config_static_selectorELNS0_4arch9wavefront6targetE0EEEvT1_.num_named_barrier, 0
	.set _ZN7rocprim17ROCPRIM_400000_NS6detail17trampoline_kernelINS0_14default_configENS1_20scan_config_selectorIfEEZZNS1_9scan_implILNS1_25lookback_scan_determinismE0ELb0ELb0ES3_PKfPffZZZN2at6native31launch_logcumsumexp_cuda_kernelERKNSB_10TensorBaseESF_lENKUlvE_clEvENKUlvE0_clEvEUlffE_fEEDaPvRmT3_T4_T5_mT6_P12ihipStream_tbENKUlT_T0_E_clISt17integral_constantIbLb0EESV_IbLb1EEEEDaSR_SS_EUlSR_E_NS1_11comp_targetILNS1_3genE4ELNS1_11target_archE910ELNS1_3gpuE8ELNS1_3repE0EEENS1_30default_config_static_selectorELNS0_4arch9wavefront6targetE0EEEvT1_.private_seg_size, 0
	.set _ZN7rocprim17ROCPRIM_400000_NS6detail17trampoline_kernelINS0_14default_configENS1_20scan_config_selectorIfEEZZNS1_9scan_implILNS1_25lookback_scan_determinismE0ELb0ELb0ES3_PKfPffZZZN2at6native31launch_logcumsumexp_cuda_kernelERKNSB_10TensorBaseESF_lENKUlvE_clEvENKUlvE0_clEvEUlffE_fEEDaPvRmT3_T4_T5_mT6_P12ihipStream_tbENKUlT_T0_E_clISt17integral_constantIbLb0EESV_IbLb1EEEEDaSR_SS_EUlSR_E_NS1_11comp_targetILNS1_3genE4ELNS1_11target_archE910ELNS1_3gpuE8ELNS1_3repE0EEENS1_30default_config_static_selectorELNS0_4arch9wavefront6targetE0EEEvT1_.uses_vcc, 0
	.set _ZN7rocprim17ROCPRIM_400000_NS6detail17trampoline_kernelINS0_14default_configENS1_20scan_config_selectorIfEEZZNS1_9scan_implILNS1_25lookback_scan_determinismE0ELb0ELb0ES3_PKfPffZZZN2at6native31launch_logcumsumexp_cuda_kernelERKNSB_10TensorBaseESF_lENKUlvE_clEvENKUlvE0_clEvEUlffE_fEEDaPvRmT3_T4_T5_mT6_P12ihipStream_tbENKUlT_T0_E_clISt17integral_constantIbLb0EESV_IbLb1EEEEDaSR_SS_EUlSR_E_NS1_11comp_targetILNS1_3genE4ELNS1_11target_archE910ELNS1_3gpuE8ELNS1_3repE0EEENS1_30default_config_static_selectorELNS0_4arch9wavefront6targetE0EEEvT1_.uses_flat_scratch, 0
	.set _ZN7rocprim17ROCPRIM_400000_NS6detail17trampoline_kernelINS0_14default_configENS1_20scan_config_selectorIfEEZZNS1_9scan_implILNS1_25lookback_scan_determinismE0ELb0ELb0ES3_PKfPffZZZN2at6native31launch_logcumsumexp_cuda_kernelERKNSB_10TensorBaseESF_lENKUlvE_clEvENKUlvE0_clEvEUlffE_fEEDaPvRmT3_T4_T5_mT6_P12ihipStream_tbENKUlT_T0_E_clISt17integral_constantIbLb0EESV_IbLb1EEEEDaSR_SS_EUlSR_E_NS1_11comp_targetILNS1_3genE4ELNS1_11target_archE910ELNS1_3gpuE8ELNS1_3repE0EEENS1_30default_config_static_selectorELNS0_4arch9wavefront6targetE0EEEvT1_.has_dyn_sized_stack, 0
	.set _ZN7rocprim17ROCPRIM_400000_NS6detail17trampoline_kernelINS0_14default_configENS1_20scan_config_selectorIfEEZZNS1_9scan_implILNS1_25lookback_scan_determinismE0ELb0ELb0ES3_PKfPffZZZN2at6native31launch_logcumsumexp_cuda_kernelERKNSB_10TensorBaseESF_lENKUlvE_clEvENKUlvE0_clEvEUlffE_fEEDaPvRmT3_T4_T5_mT6_P12ihipStream_tbENKUlT_T0_E_clISt17integral_constantIbLb0EESV_IbLb1EEEEDaSR_SS_EUlSR_E_NS1_11comp_targetILNS1_3genE4ELNS1_11target_archE910ELNS1_3gpuE8ELNS1_3repE0EEENS1_30default_config_static_selectorELNS0_4arch9wavefront6targetE0EEEvT1_.has_recursion, 0
	.set _ZN7rocprim17ROCPRIM_400000_NS6detail17trampoline_kernelINS0_14default_configENS1_20scan_config_selectorIfEEZZNS1_9scan_implILNS1_25lookback_scan_determinismE0ELb0ELb0ES3_PKfPffZZZN2at6native31launch_logcumsumexp_cuda_kernelERKNSB_10TensorBaseESF_lENKUlvE_clEvENKUlvE0_clEvEUlffE_fEEDaPvRmT3_T4_T5_mT6_P12ihipStream_tbENKUlT_T0_E_clISt17integral_constantIbLb0EESV_IbLb1EEEEDaSR_SS_EUlSR_E_NS1_11comp_targetILNS1_3genE4ELNS1_11target_archE910ELNS1_3gpuE8ELNS1_3repE0EEENS1_30default_config_static_selectorELNS0_4arch9wavefront6targetE0EEEvT1_.has_indirect_call, 0
	.section	.AMDGPU.csdata,"",@progbits
; Kernel info:
; codeLenInByte = 0
; TotalNumSgprs: 0
; NumVgprs: 0
; ScratchSize: 0
; MemoryBound: 0
; FloatMode: 240
; IeeeMode: 1
; LDSByteSize: 0 bytes/workgroup (compile time only)
; SGPRBlocks: 0
; VGPRBlocks: 0
; NumSGPRsForWavesPerEU: 1
; NumVGPRsForWavesPerEU: 1
; Occupancy: 16
; WaveLimiterHint : 0
; COMPUTE_PGM_RSRC2:SCRATCH_EN: 0
; COMPUTE_PGM_RSRC2:USER_SGPR: 2
; COMPUTE_PGM_RSRC2:TRAP_HANDLER: 0
; COMPUTE_PGM_RSRC2:TGID_X_EN: 1
; COMPUTE_PGM_RSRC2:TGID_Y_EN: 0
; COMPUTE_PGM_RSRC2:TGID_Z_EN: 0
; COMPUTE_PGM_RSRC2:TIDIG_COMP_CNT: 0
	.section	.text._ZN7rocprim17ROCPRIM_400000_NS6detail17trampoline_kernelINS0_14default_configENS1_20scan_config_selectorIfEEZZNS1_9scan_implILNS1_25lookback_scan_determinismE0ELb0ELb0ES3_PKfPffZZZN2at6native31launch_logcumsumexp_cuda_kernelERKNSB_10TensorBaseESF_lENKUlvE_clEvENKUlvE0_clEvEUlffE_fEEDaPvRmT3_T4_T5_mT6_P12ihipStream_tbENKUlT_T0_E_clISt17integral_constantIbLb0EESV_IbLb1EEEEDaSR_SS_EUlSR_E_NS1_11comp_targetILNS1_3genE3ELNS1_11target_archE908ELNS1_3gpuE7ELNS1_3repE0EEENS1_30default_config_static_selectorELNS0_4arch9wavefront6targetE0EEEvT1_,"axG",@progbits,_ZN7rocprim17ROCPRIM_400000_NS6detail17trampoline_kernelINS0_14default_configENS1_20scan_config_selectorIfEEZZNS1_9scan_implILNS1_25lookback_scan_determinismE0ELb0ELb0ES3_PKfPffZZZN2at6native31launch_logcumsumexp_cuda_kernelERKNSB_10TensorBaseESF_lENKUlvE_clEvENKUlvE0_clEvEUlffE_fEEDaPvRmT3_T4_T5_mT6_P12ihipStream_tbENKUlT_T0_E_clISt17integral_constantIbLb0EESV_IbLb1EEEEDaSR_SS_EUlSR_E_NS1_11comp_targetILNS1_3genE3ELNS1_11target_archE908ELNS1_3gpuE7ELNS1_3repE0EEENS1_30default_config_static_selectorELNS0_4arch9wavefront6targetE0EEEvT1_,comdat
	.globl	_ZN7rocprim17ROCPRIM_400000_NS6detail17trampoline_kernelINS0_14default_configENS1_20scan_config_selectorIfEEZZNS1_9scan_implILNS1_25lookback_scan_determinismE0ELb0ELb0ES3_PKfPffZZZN2at6native31launch_logcumsumexp_cuda_kernelERKNSB_10TensorBaseESF_lENKUlvE_clEvENKUlvE0_clEvEUlffE_fEEDaPvRmT3_T4_T5_mT6_P12ihipStream_tbENKUlT_T0_E_clISt17integral_constantIbLb0EESV_IbLb1EEEEDaSR_SS_EUlSR_E_NS1_11comp_targetILNS1_3genE3ELNS1_11target_archE908ELNS1_3gpuE7ELNS1_3repE0EEENS1_30default_config_static_selectorELNS0_4arch9wavefront6targetE0EEEvT1_ ; -- Begin function _ZN7rocprim17ROCPRIM_400000_NS6detail17trampoline_kernelINS0_14default_configENS1_20scan_config_selectorIfEEZZNS1_9scan_implILNS1_25lookback_scan_determinismE0ELb0ELb0ES3_PKfPffZZZN2at6native31launch_logcumsumexp_cuda_kernelERKNSB_10TensorBaseESF_lENKUlvE_clEvENKUlvE0_clEvEUlffE_fEEDaPvRmT3_T4_T5_mT6_P12ihipStream_tbENKUlT_T0_E_clISt17integral_constantIbLb0EESV_IbLb1EEEEDaSR_SS_EUlSR_E_NS1_11comp_targetILNS1_3genE3ELNS1_11target_archE908ELNS1_3gpuE7ELNS1_3repE0EEENS1_30default_config_static_selectorELNS0_4arch9wavefront6targetE0EEEvT1_
	.p2align	8
	.type	_ZN7rocprim17ROCPRIM_400000_NS6detail17trampoline_kernelINS0_14default_configENS1_20scan_config_selectorIfEEZZNS1_9scan_implILNS1_25lookback_scan_determinismE0ELb0ELb0ES3_PKfPffZZZN2at6native31launch_logcumsumexp_cuda_kernelERKNSB_10TensorBaseESF_lENKUlvE_clEvENKUlvE0_clEvEUlffE_fEEDaPvRmT3_T4_T5_mT6_P12ihipStream_tbENKUlT_T0_E_clISt17integral_constantIbLb0EESV_IbLb1EEEEDaSR_SS_EUlSR_E_NS1_11comp_targetILNS1_3genE3ELNS1_11target_archE908ELNS1_3gpuE7ELNS1_3repE0EEENS1_30default_config_static_selectorELNS0_4arch9wavefront6targetE0EEEvT1_,@function
_ZN7rocprim17ROCPRIM_400000_NS6detail17trampoline_kernelINS0_14default_configENS1_20scan_config_selectorIfEEZZNS1_9scan_implILNS1_25lookback_scan_determinismE0ELb0ELb0ES3_PKfPffZZZN2at6native31launch_logcumsumexp_cuda_kernelERKNSB_10TensorBaseESF_lENKUlvE_clEvENKUlvE0_clEvEUlffE_fEEDaPvRmT3_T4_T5_mT6_P12ihipStream_tbENKUlT_T0_E_clISt17integral_constantIbLb0EESV_IbLb1EEEEDaSR_SS_EUlSR_E_NS1_11comp_targetILNS1_3genE3ELNS1_11target_archE908ELNS1_3gpuE7ELNS1_3repE0EEENS1_30default_config_static_selectorELNS0_4arch9wavefront6targetE0EEEvT1_: ; @_ZN7rocprim17ROCPRIM_400000_NS6detail17trampoline_kernelINS0_14default_configENS1_20scan_config_selectorIfEEZZNS1_9scan_implILNS1_25lookback_scan_determinismE0ELb0ELb0ES3_PKfPffZZZN2at6native31launch_logcumsumexp_cuda_kernelERKNSB_10TensorBaseESF_lENKUlvE_clEvENKUlvE0_clEvEUlffE_fEEDaPvRmT3_T4_T5_mT6_P12ihipStream_tbENKUlT_T0_E_clISt17integral_constantIbLb0EESV_IbLb1EEEEDaSR_SS_EUlSR_E_NS1_11comp_targetILNS1_3genE3ELNS1_11target_archE908ELNS1_3gpuE7ELNS1_3repE0EEENS1_30default_config_static_selectorELNS0_4arch9wavefront6targetE0EEEvT1_
; %bb.0:
	.section	.rodata,"a",@progbits
	.p2align	6, 0x0
	.amdhsa_kernel _ZN7rocprim17ROCPRIM_400000_NS6detail17trampoline_kernelINS0_14default_configENS1_20scan_config_selectorIfEEZZNS1_9scan_implILNS1_25lookback_scan_determinismE0ELb0ELb0ES3_PKfPffZZZN2at6native31launch_logcumsumexp_cuda_kernelERKNSB_10TensorBaseESF_lENKUlvE_clEvENKUlvE0_clEvEUlffE_fEEDaPvRmT3_T4_T5_mT6_P12ihipStream_tbENKUlT_T0_E_clISt17integral_constantIbLb0EESV_IbLb1EEEEDaSR_SS_EUlSR_E_NS1_11comp_targetILNS1_3genE3ELNS1_11target_archE908ELNS1_3gpuE7ELNS1_3repE0EEENS1_30default_config_static_selectorELNS0_4arch9wavefront6targetE0EEEvT1_
		.amdhsa_group_segment_fixed_size 0
		.amdhsa_private_segment_fixed_size 0
		.amdhsa_kernarg_size 96
		.amdhsa_user_sgpr_count 2
		.amdhsa_user_sgpr_dispatch_ptr 0
		.amdhsa_user_sgpr_queue_ptr 0
		.amdhsa_user_sgpr_kernarg_segment_ptr 1
		.amdhsa_user_sgpr_dispatch_id 0
		.amdhsa_user_sgpr_private_segment_size 0
		.amdhsa_wavefront_size32 1
		.amdhsa_uses_dynamic_stack 0
		.amdhsa_enable_private_segment 0
		.amdhsa_system_sgpr_workgroup_id_x 1
		.amdhsa_system_sgpr_workgroup_id_y 0
		.amdhsa_system_sgpr_workgroup_id_z 0
		.amdhsa_system_sgpr_workgroup_info 0
		.amdhsa_system_vgpr_workitem_id 0
		.amdhsa_next_free_vgpr 1
		.amdhsa_next_free_sgpr 1
		.amdhsa_reserve_vcc 0
		.amdhsa_float_round_mode_32 0
		.amdhsa_float_round_mode_16_64 0
		.amdhsa_float_denorm_mode_32 3
		.amdhsa_float_denorm_mode_16_64 3
		.amdhsa_fp16_overflow 0
		.amdhsa_workgroup_processor_mode 1
		.amdhsa_memory_ordered 1
		.amdhsa_forward_progress 1
		.amdhsa_inst_pref_size 0
		.amdhsa_round_robin_scheduling 0
		.amdhsa_exception_fp_ieee_invalid_op 0
		.amdhsa_exception_fp_denorm_src 0
		.amdhsa_exception_fp_ieee_div_zero 0
		.amdhsa_exception_fp_ieee_overflow 0
		.amdhsa_exception_fp_ieee_underflow 0
		.amdhsa_exception_fp_ieee_inexact 0
		.amdhsa_exception_int_div_zero 0
	.end_amdhsa_kernel
	.section	.text._ZN7rocprim17ROCPRIM_400000_NS6detail17trampoline_kernelINS0_14default_configENS1_20scan_config_selectorIfEEZZNS1_9scan_implILNS1_25lookback_scan_determinismE0ELb0ELb0ES3_PKfPffZZZN2at6native31launch_logcumsumexp_cuda_kernelERKNSB_10TensorBaseESF_lENKUlvE_clEvENKUlvE0_clEvEUlffE_fEEDaPvRmT3_T4_T5_mT6_P12ihipStream_tbENKUlT_T0_E_clISt17integral_constantIbLb0EESV_IbLb1EEEEDaSR_SS_EUlSR_E_NS1_11comp_targetILNS1_3genE3ELNS1_11target_archE908ELNS1_3gpuE7ELNS1_3repE0EEENS1_30default_config_static_selectorELNS0_4arch9wavefront6targetE0EEEvT1_,"axG",@progbits,_ZN7rocprim17ROCPRIM_400000_NS6detail17trampoline_kernelINS0_14default_configENS1_20scan_config_selectorIfEEZZNS1_9scan_implILNS1_25lookback_scan_determinismE0ELb0ELb0ES3_PKfPffZZZN2at6native31launch_logcumsumexp_cuda_kernelERKNSB_10TensorBaseESF_lENKUlvE_clEvENKUlvE0_clEvEUlffE_fEEDaPvRmT3_T4_T5_mT6_P12ihipStream_tbENKUlT_T0_E_clISt17integral_constantIbLb0EESV_IbLb1EEEEDaSR_SS_EUlSR_E_NS1_11comp_targetILNS1_3genE3ELNS1_11target_archE908ELNS1_3gpuE7ELNS1_3repE0EEENS1_30default_config_static_selectorELNS0_4arch9wavefront6targetE0EEEvT1_,comdat
.Lfunc_end156:
	.size	_ZN7rocprim17ROCPRIM_400000_NS6detail17trampoline_kernelINS0_14default_configENS1_20scan_config_selectorIfEEZZNS1_9scan_implILNS1_25lookback_scan_determinismE0ELb0ELb0ES3_PKfPffZZZN2at6native31launch_logcumsumexp_cuda_kernelERKNSB_10TensorBaseESF_lENKUlvE_clEvENKUlvE0_clEvEUlffE_fEEDaPvRmT3_T4_T5_mT6_P12ihipStream_tbENKUlT_T0_E_clISt17integral_constantIbLb0EESV_IbLb1EEEEDaSR_SS_EUlSR_E_NS1_11comp_targetILNS1_3genE3ELNS1_11target_archE908ELNS1_3gpuE7ELNS1_3repE0EEENS1_30default_config_static_selectorELNS0_4arch9wavefront6targetE0EEEvT1_, .Lfunc_end156-_ZN7rocprim17ROCPRIM_400000_NS6detail17trampoline_kernelINS0_14default_configENS1_20scan_config_selectorIfEEZZNS1_9scan_implILNS1_25lookback_scan_determinismE0ELb0ELb0ES3_PKfPffZZZN2at6native31launch_logcumsumexp_cuda_kernelERKNSB_10TensorBaseESF_lENKUlvE_clEvENKUlvE0_clEvEUlffE_fEEDaPvRmT3_T4_T5_mT6_P12ihipStream_tbENKUlT_T0_E_clISt17integral_constantIbLb0EESV_IbLb1EEEEDaSR_SS_EUlSR_E_NS1_11comp_targetILNS1_3genE3ELNS1_11target_archE908ELNS1_3gpuE7ELNS1_3repE0EEENS1_30default_config_static_selectorELNS0_4arch9wavefront6targetE0EEEvT1_
                                        ; -- End function
	.set _ZN7rocprim17ROCPRIM_400000_NS6detail17trampoline_kernelINS0_14default_configENS1_20scan_config_selectorIfEEZZNS1_9scan_implILNS1_25lookback_scan_determinismE0ELb0ELb0ES3_PKfPffZZZN2at6native31launch_logcumsumexp_cuda_kernelERKNSB_10TensorBaseESF_lENKUlvE_clEvENKUlvE0_clEvEUlffE_fEEDaPvRmT3_T4_T5_mT6_P12ihipStream_tbENKUlT_T0_E_clISt17integral_constantIbLb0EESV_IbLb1EEEEDaSR_SS_EUlSR_E_NS1_11comp_targetILNS1_3genE3ELNS1_11target_archE908ELNS1_3gpuE7ELNS1_3repE0EEENS1_30default_config_static_selectorELNS0_4arch9wavefront6targetE0EEEvT1_.num_vgpr, 0
	.set _ZN7rocprim17ROCPRIM_400000_NS6detail17trampoline_kernelINS0_14default_configENS1_20scan_config_selectorIfEEZZNS1_9scan_implILNS1_25lookback_scan_determinismE0ELb0ELb0ES3_PKfPffZZZN2at6native31launch_logcumsumexp_cuda_kernelERKNSB_10TensorBaseESF_lENKUlvE_clEvENKUlvE0_clEvEUlffE_fEEDaPvRmT3_T4_T5_mT6_P12ihipStream_tbENKUlT_T0_E_clISt17integral_constantIbLb0EESV_IbLb1EEEEDaSR_SS_EUlSR_E_NS1_11comp_targetILNS1_3genE3ELNS1_11target_archE908ELNS1_3gpuE7ELNS1_3repE0EEENS1_30default_config_static_selectorELNS0_4arch9wavefront6targetE0EEEvT1_.num_agpr, 0
	.set _ZN7rocprim17ROCPRIM_400000_NS6detail17trampoline_kernelINS0_14default_configENS1_20scan_config_selectorIfEEZZNS1_9scan_implILNS1_25lookback_scan_determinismE0ELb0ELb0ES3_PKfPffZZZN2at6native31launch_logcumsumexp_cuda_kernelERKNSB_10TensorBaseESF_lENKUlvE_clEvENKUlvE0_clEvEUlffE_fEEDaPvRmT3_T4_T5_mT6_P12ihipStream_tbENKUlT_T0_E_clISt17integral_constantIbLb0EESV_IbLb1EEEEDaSR_SS_EUlSR_E_NS1_11comp_targetILNS1_3genE3ELNS1_11target_archE908ELNS1_3gpuE7ELNS1_3repE0EEENS1_30default_config_static_selectorELNS0_4arch9wavefront6targetE0EEEvT1_.numbered_sgpr, 0
	.set _ZN7rocprim17ROCPRIM_400000_NS6detail17trampoline_kernelINS0_14default_configENS1_20scan_config_selectorIfEEZZNS1_9scan_implILNS1_25lookback_scan_determinismE0ELb0ELb0ES3_PKfPffZZZN2at6native31launch_logcumsumexp_cuda_kernelERKNSB_10TensorBaseESF_lENKUlvE_clEvENKUlvE0_clEvEUlffE_fEEDaPvRmT3_T4_T5_mT6_P12ihipStream_tbENKUlT_T0_E_clISt17integral_constantIbLb0EESV_IbLb1EEEEDaSR_SS_EUlSR_E_NS1_11comp_targetILNS1_3genE3ELNS1_11target_archE908ELNS1_3gpuE7ELNS1_3repE0EEENS1_30default_config_static_selectorELNS0_4arch9wavefront6targetE0EEEvT1_.num_named_barrier, 0
	.set _ZN7rocprim17ROCPRIM_400000_NS6detail17trampoline_kernelINS0_14default_configENS1_20scan_config_selectorIfEEZZNS1_9scan_implILNS1_25lookback_scan_determinismE0ELb0ELb0ES3_PKfPffZZZN2at6native31launch_logcumsumexp_cuda_kernelERKNSB_10TensorBaseESF_lENKUlvE_clEvENKUlvE0_clEvEUlffE_fEEDaPvRmT3_T4_T5_mT6_P12ihipStream_tbENKUlT_T0_E_clISt17integral_constantIbLb0EESV_IbLb1EEEEDaSR_SS_EUlSR_E_NS1_11comp_targetILNS1_3genE3ELNS1_11target_archE908ELNS1_3gpuE7ELNS1_3repE0EEENS1_30default_config_static_selectorELNS0_4arch9wavefront6targetE0EEEvT1_.private_seg_size, 0
	.set _ZN7rocprim17ROCPRIM_400000_NS6detail17trampoline_kernelINS0_14default_configENS1_20scan_config_selectorIfEEZZNS1_9scan_implILNS1_25lookback_scan_determinismE0ELb0ELb0ES3_PKfPffZZZN2at6native31launch_logcumsumexp_cuda_kernelERKNSB_10TensorBaseESF_lENKUlvE_clEvENKUlvE0_clEvEUlffE_fEEDaPvRmT3_T4_T5_mT6_P12ihipStream_tbENKUlT_T0_E_clISt17integral_constantIbLb0EESV_IbLb1EEEEDaSR_SS_EUlSR_E_NS1_11comp_targetILNS1_3genE3ELNS1_11target_archE908ELNS1_3gpuE7ELNS1_3repE0EEENS1_30default_config_static_selectorELNS0_4arch9wavefront6targetE0EEEvT1_.uses_vcc, 0
	.set _ZN7rocprim17ROCPRIM_400000_NS6detail17trampoline_kernelINS0_14default_configENS1_20scan_config_selectorIfEEZZNS1_9scan_implILNS1_25lookback_scan_determinismE0ELb0ELb0ES3_PKfPffZZZN2at6native31launch_logcumsumexp_cuda_kernelERKNSB_10TensorBaseESF_lENKUlvE_clEvENKUlvE0_clEvEUlffE_fEEDaPvRmT3_T4_T5_mT6_P12ihipStream_tbENKUlT_T0_E_clISt17integral_constantIbLb0EESV_IbLb1EEEEDaSR_SS_EUlSR_E_NS1_11comp_targetILNS1_3genE3ELNS1_11target_archE908ELNS1_3gpuE7ELNS1_3repE0EEENS1_30default_config_static_selectorELNS0_4arch9wavefront6targetE0EEEvT1_.uses_flat_scratch, 0
	.set _ZN7rocprim17ROCPRIM_400000_NS6detail17trampoline_kernelINS0_14default_configENS1_20scan_config_selectorIfEEZZNS1_9scan_implILNS1_25lookback_scan_determinismE0ELb0ELb0ES3_PKfPffZZZN2at6native31launch_logcumsumexp_cuda_kernelERKNSB_10TensorBaseESF_lENKUlvE_clEvENKUlvE0_clEvEUlffE_fEEDaPvRmT3_T4_T5_mT6_P12ihipStream_tbENKUlT_T0_E_clISt17integral_constantIbLb0EESV_IbLb1EEEEDaSR_SS_EUlSR_E_NS1_11comp_targetILNS1_3genE3ELNS1_11target_archE908ELNS1_3gpuE7ELNS1_3repE0EEENS1_30default_config_static_selectorELNS0_4arch9wavefront6targetE0EEEvT1_.has_dyn_sized_stack, 0
	.set _ZN7rocprim17ROCPRIM_400000_NS6detail17trampoline_kernelINS0_14default_configENS1_20scan_config_selectorIfEEZZNS1_9scan_implILNS1_25lookback_scan_determinismE0ELb0ELb0ES3_PKfPffZZZN2at6native31launch_logcumsumexp_cuda_kernelERKNSB_10TensorBaseESF_lENKUlvE_clEvENKUlvE0_clEvEUlffE_fEEDaPvRmT3_T4_T5_mT6_P12ihipStream_tbENKUlT_T0_E_clISt17integral_constantIbLb0EESV_IbLb1EEEEDaSR_SS_EUlSR_E_NS1_11comp_targetILNS1_3genE3ELNS1_11target_archE908ELNS1_3gpuE7ELNS1_3repE0EEENS1_30default_config_static_selectorELNS0_4arch9wavefront6targetE0EEEvT1_.has_recursion, 0
	.set _ZN7rocprim17ROCPRIM_400000_NS6detail17trampoline_kernelINS0_14default_configENS1_20scan_config_selectorIfEEZZNS1_9scan_implILNS1_25lookback_scan_determinismE0ELb0ELb0ES3_PKfPffZZZN2at6native31launch_logcumsumexp_cuda_kernelERKNSB_10TensorBaseESF_lENKUlvE_clEvENKUlvE0_clEvEUlffE_fEEDaPvRmT3_T4_T5_mT6_P12ihipStream_tbENKUlT_T0_E_clISt17integral_constantIbLb0EESV_IbLb1EEEEDaSR_SS_EUlSR_E_NS1_11comp_targetILNS1_3genE3ELNS1_11target_archE908ELNS1_3gpuE7ELNS1_3repE0EEENS1_30default_config_static_selectorELNS0_4arch9wavefront6targetE0EEEvT1_.has_indirect_call, 0
	.section	.AMDGPU.csdata,"",@progbits
; Kernel info:
; codeLenInByte = 0
; TotalNumSgprs: 0
; NumVgprs: 0
; ScratchSize: 0
; MemoryBound: 0
; FloatMode: 240
; IeeeMode: 1
; LDSByteSize: 0 bytes/workgroup (compile time only)
; SGPRBlocks: 0
; VGPRBlocks: 0
; NumSGPRsForWavesPerEU: 1
; NumVGPRsForWavesPerEU: 1
; Occupancy: 16
; WaveLimiterHint : 0
; COMPUTE_PGM_RSRC2:SCRATCH_EN: 0
; COMPUTE_PGM_RSRC2:USER_SGPR: 2
; COMPUTE_PGM_RSRC2:TRAP_HANDLER: 0
; COMPUTE_PGM_RSRC2:TGID_X_EN: 1
; COMPUTE_PGM_RSRC2:TGID_Y_EN: 0
; COMPUTE_PGM_RSRC2:TGID_Z_EN: 0
; COMPUTE_PGM_RSRC2:TIDIG_COMP_CNT: 0
	.section	.text._ZN7rocprim17ROCPRIM_400000_NS6detail17trampoline_kernelINS0_14default_configENS1_20scan_config_selectorIfEEZZNS1_9scan_implILNS1_25lookback_scan_determinismE0ELb0ELb0ES3_PKfPffZZZN2at6native31launch_logcumsumexp_cuda_kernelERKNSB_10TensorBaseESF_lENKUlvE_clEvENKUlvE0_clEvEUlffE_fEEDaPvRmT3_T4_T5_mT6_P12ihipStream_tbENKUlT_T0_E_clISt17integral_constantIbLb0EESV_IbLb1EEEEDaSR_SS_EUlSR_E_NS1_11comp_targetILNS1_3genE2ELNS1_11target_archE906ELNS1_3gpuE6ELNS1_3repE0EEENS1_30default_config_static_selectorELNS0_4arch9wavefront6targetE0EEEvT1_,"axG",@progbits,_ZN7rocprim17ROCPRIM_400000_NS6detail17trampoline_kernelINS0_14default_configENS1_20scan_config_selectorIfEEZZNS1_9scan_implILNS1_25lookback_scan_determinismE0ELb0ELb0ES3_PKfPffZZZN2at6native31launch_logcumsumexp_cuda_kernelERKNSB_10TensorBaseESF_lENKUlvE_clEvENKUlvE0_clEvEUlffE_fEEDaPvRmT3_T4_T5_mT6_P12ihipStream_tbENKUlT_T0_E_clISt17integral_constantIbLb0EESV_IbLb1EEEEDaSR_SS_EUlSR_E_NS1_11comp_targetILNS1_3genE2ELNS1_11target_archE906ELNS1_3gpuE6ELNS1_3repE0EEENS1_30default_config_static_selectorELNS0_4arch9wavefront6targetE0EEEvT1_,comdat
	.globl	_ZN7rocprim17ROCPRIM_400000_NS6detail17trampoline_kernelINS0_14default_configENS1_20scan_config_selectorIfEEZZNS1_9scan_implILNS1_25lookback_scan_determinismE0ELb0ELb0ES3_PKfPffZZZN2at6native31launch_logcumsumexp_cuda_kernelERKNSB_10TensorBaseESF_lENKUlvE_clEvENKUlvE0_clEvEUlffE_fEEDaPvRmT3_T4_T5_mT6_P12ihipStream_tbENKUlT_T0_E_clISt17integral_constantIbLb0EESV_IbLb1EEEEDaSR_SS_EUlSR_E_NS1_11comp_targetILNS1_3genE2ELNS1_11target_archE906ELNS1_3gpuE6ELNS1_3repE0EEENS1_30default_config_static_selectorELNS0_4arch9wavefront6targetE0EEEvT1_ ; -- Begin function _ZN7rocprim17ROCPRIM_400000_NS6detail17trampoline_kernelINS0_14default_configENS1_20scan_config_selectorIfEEZZNS1_9scan_implILNS1_25lookback_scan_determinismE0ELb0ELb0ES3_PKfPffZZZN2at6native31launch_logcumsumexp_cuda_kernelERKNSB_10TensorBaseESF_lENKUlvE_clEvENKUlvE0_clEvEUlffE_fEEDaPvRmT3_T4_T5_mT6_P12ihipStream_tbENKUlT_T0_E_clISt17integral_constantIbLb0EESV_IbLb1EEEEDaSR_SS_EUlSR_E_NS1_11comp_targetILNS1_3genE2ELNS1_11target_archE906ELNS1_3gpuE6ELNS1_3repE0EEENS1_30default_config_static_selectorELNS0_4arch9wavefront6targetE0EEEvT1_
	.p2align	8
	.type	_ZN7rocprim17ROCPRIM_400000_NS6detail17trampoline_kernelINS0_14default_configENS1_20scan_config_selectorIfEEZZNS1_9scan_implILNS1_25lookback_scan_determinismE0ELb0ELb0ES3_PKfPffZZZN2at6native31launch_logcumsumexp_cuda_kernelERKNSB_10TensorBaseESF_lENKUlvE_clEvENKUlvE0_clEvEUlffE_fEEDaPvRmT3_T4_T5_mT6_P12ihipStream_tbENKUlT_T0_E_clISt17integral_constantIbLb0EESV_IbLb1EEEEDaSR_SS_EUlSR_E_NS1_11comp_targetILNS1_3genE2ELNS1_11target_archE906ELNS1_3gpuE6ELNS1_3repE0EEENS1_30default_config_static_selectorELNS0_4arch9wavefront6targetE0EEEvT1_,@function
_ZN7rocprim17ROCPRIM_400000_NS6detail17trampoline_kernelINS0_14default_configENS1_20scan_config_selectorIfEEZZNS1_9scan_implILNS1_25lookback_scan_determinismE0ELb0ELb0ES3_PKfPffZZZN2at6native31launch_logcumsumexp_cuda_kernelERKNSB_10TensorBaseESF_lENKUlvE_clEvENKUlvE0_clEvEUlffE_fEEDaPvRmT3_T4_T5_mT6_P12ihipStream_tbENKUlT_T0_E_clISt17integral_constantIbLb0EESV_IbLb1EEEEDaSR_SS_EUlSR_E_NS1_11comp_targetILNS1_3genE2ELNS1_11target_archE906ELNS1_3gpuE6ELNS1_3repE0EEENS1_30default_config_static_selectorELNS0_4arch9wavefront6targetE0EEEvT1_: ; @_ZN7rocprim17ROCPRIM_400000_NS6detail17trampoline_kernelINS0_14default_configENS1_20scan_config_selectorIfEEZZNS1_9scan_implILNS1_25lookback_scan_determinismE0ELb0ELb0ES3_PKfPffZZZN2at6native31launch_logcumsumexp_cuda_kernelERKNSB_10TensorBaseESF_lENKUlvE_clEvENKUlvE0_clEvEUlffE_fEEDaPvRmT3_T4_T5_mT6_P12ihipStream_tbENKUlT_T0_E_clISt17integral_constantIbLb0EESV_IbLb1EEEEDaSR_SS_EUlSR_E_NS1_11comp_targetILNS1_3genE2ELNS1_11target_archE906ELNS1_3gpuE6ELNS1_3repE0EEENS1_30default_config_static_selectorELNS0_4arch9wavefront6targetE0EEEvT1_
; %bb.0:
	.section	.rodata,"a",@progbits
	.p2align	6, 0x0
	.amdhsa_kernel _ZN7rocprim17ROCPRIM_400000_NS6detail17trampoline_kernelINS0_14default_configENS1_20scan_config_selectorIfEEZZNS1_9scan_implILNS1_25lookback_scan_determinismE0ELb0ELb0ES3_PKfPffZZZN2at6native31launch_logcumsumexp_cuda_kernelERKNSB_10TensorBaseESF_lENKUlvE_clEvENKUlvE0_clEvEUlffE_fEEDaPvRmT3_T4_T5_mT6_P12ihipStream_tbENKUlT_T0_E_clISt17integral_constantIbLb0EESV_IbLb1EEEEDaSR_SS_EUlSR_E_NS1_11comp_targetILNS1_3genE2ELNS1_11target_archE906ELNS1_3gpuE6ELNS1_3repE0EEENS1_30default_config_static_selectorELNS0_4arch9wavefront6targetE0EEEvT1_
		.amdhsa_group_segment_fixed_size 0
		.amdhsa_private_segment_fixed_size 0
		.amdhsa_kernarg_size 96
		.amdhsa_user_sgpr_count 2
		.amdhsa_user_sgpr_dispatch_ptr 0
		.amdhsa_user_sgpr_queue_ptr 0
		.amdhsa_user_sgpr_kernarg_segment_ptr 1
		.amdhsa_user_sgpr_dispatch_id 0
		.amdhsa_user_sgpr_private_segment_size 0
		.amdhsa_wavefront_size32 1
		.amdhsa_uses_dynamic_stack 0
		.amdhsa_enable_private_segment 0
		.amdhsa_system_sgpr_workgroup_id_x 1
		.amdhsa_system_sgpr_workgroup_id_y 0
		.amdhsa_system_sgpr_workgroup_id_z 0
		.amdhsa_system_sgpr_workgroup_info 0
		.amdhsa_system_vgpr_workitem_id 0
		.amdhsa_next_free_vgpr 1
		.amdhsa_next_free_sgpr 1
		.amdhsa_reserve_vcc 0
		.amdhsa_float_round_mode_32 0
		.amdhsa_float_round_mode_16_64 0
		.amdhsa_float_denorm_mode_32 3
		.amdhsa_float_denorm_mode_16_64 3
		.amdhsa_fp16_overflow 0
		.amdhsa_workgroup_processor_mode 1
		.amdhsa_memory_ordered 1
		.amdhsa_forward_progress 1
		.amdhsa_inst_pref_size 0
		.amdhsa_round_robin_scheduling 0
		.amdhsa_exception_fp_ieee_invalid_op 0
		.amdhsa_exception_fp_denorm_src 0
		.amdhsa_exception_fp_ieee_div_zero 0
		.amdhsa_exception_fp_ieee_overflow 0
		.amdhsa_exception_fp_ieee_underflow 0
		.amdhsa_exception_fp_ieee_inexact 0
		.amdhsa_exception_int_div_zero 0
	.end_amdhsa_kernel
	.section	.text._ZN7rocprim17ROCPRIM_400000_NS6detail17trampoline_kernelINS0_14default_configENS1_20scan_config_selectorIfEEZZNS1_9scan_implILNS1_25lookback_scan_determinismE0ELb0ELb0ES3_PKfPffZZZN2at6native31launch_logcumsumexp_cuda_kernelERKNSB_10TensorBaseESF_lENKUlvE_clEvENKUlvE0_clEvEUlffE_fEEDaPvRmT3_T4_T5_mT6_P12ihipStream_tbENKUlT_T0_E_clISt17integral_constantIbLb0EESV_IbLb1EEEEDaSR_SS_EUlSR_E_NS1_11comp_targetILNS1_3genE2ELNS1_11target_archE906ELNS1_3gpuE6ELNS1_3repE0EEENS1_30default_config_static_selectorELNS0_4arch9wavefront6targetE0EEEvT1_,"axG",@progbits,_ZN7rocprim17ROCPRIM_400000_NS6detail17trampoline_kernelINS0_14default_configENS1_20scan_config_selectorIfEEZZNS1_9scan_implILNS1_25lookback_scan_determinismE0ELb0ELb0ES3_PKfPffZZZN2at6native31launch_logcumsumexp_cuda_kernelERKNSB_10TensorBaseESF_lENKUlvE_clEvENKUlvE0_clEvEUlffE_fEEDaPvRmT3_T4_T5_mT6_P12ihipStream_tbENKUlT_T0_E_clISt17integral_constantIbLb0EESV_IbLb1EEEEDaSR_SS_EUlSR_E_NS1_11comp_targetILNS1_3genE2ELNS1_11target_archE906ELNS1_3gpuE6ELNS1_3repE0EEENS1_30default_config_static_selectorELNS0_4arch9wavefront6targetE0EEEvT1_,comdat
.Lfunc_end157:
	.size	_ZN7rocprim17ROCPRIM_400000_NS6detail17trampoline_kernelINS0_14default_configENS1_20scan_config_selectorIfEEZZNS1_9scan_implILNS1_25lookback_scan_determinismE0ELb0ELb0ES3_PKfPffZZZN2at6native31launch_logcumsumexp_cuda_kernelERKNSB_10TensorBaseESF_lENKUlvE_clEvENKUlvE0_clEvEUlffE_fEEDaPvRmT3_T4_T5_mT6_P12ihipStream_tbENKUlT_T0_E_clISt17integral_constantIbLb0EESV_IbLb1EEEEDaSR_SS_EUlSR_E_NS1_11comp_targetILNS1_3genE2ELNS1_11target_archE906ELNS1_3gpuE6ELNS1_3repE0EEENS1_30default_config_static_selectorELNS0_4arch9wavefront6targetE0EEEvT1_, .Lfunc_end157-_ZN7rocprim17ROCPRIM_400000_NS6detail17trampoline_kernelINS0_14default_configENS1_20scan_config_selectorIfEEZZNS1_9scan_implILNS1_25lookback_scan_determinismE0ELb0ELb0ES3_PKfPffZZZN2at6native31launch_logcumsumexp_cuda_kernelERKNSB_10TensorBaseESF_lENKUlvE_clEvENKUlvE0_clEvEUlffE_fEEDaPvRmT3_T4_T5_mT6_P12ihipStream_tbENKUlT_T0_E_clISt17integral_constantIbLb0EESV_IbLb1EEEEDaSR_SS_EUlSR_E_NS1_11comp_targetILNS1_3genE2ELNS1_11target_archE906ELNS1_3gpuE6ELNS1_3repE0EEENS1_30default_config_static_selectorELNS0_4arch9wavefront6targetE0EEEvT1_
                                        ; -- End function
	.set _ZN7rocprim17ROCPRIM_400000_NS6detail17trampoline_kernelINS0_14default_configENS1_20scan_config_selectorIfEEZZNS1_9scan_implILNS1_25lookback_scan_determinismE0ELb0ELb0ES3_PKfPffZZZN2at6native31launch_logcumsumexp_cuda_kernelERKNSB_10TensorBaseESF_lENKUlvE_clEvENKUlvE0_clEvEUlffE_fEEDaPvRmT3_T4_T5_mT6_P12ihipStream_tbENKUlT_T0_E_clISt17integral_constantIbLb0EESV_IbLb1EEEEDaSR_SS_EUlSR_E_NS1_11comp_targetILNS1_3genE2ELNS1_11target_archE906ELNS1_3gpuE6ELNS1_3repE0EEENS1_30default_config_static_selectorELNS0_4arch9wavefront6targetE0EEEvT1_.num_vgpr, 0
	.set _ZN7rocprim17ROCPRIM_400000_NS6detail17trampoline_kernelINS0_14default_configENS1_20scan_config_selectorIfEEZZNS1_9scan_implILNS1_25lookback_scan_determinismE0ELb0ELb0ES3_PKfPffZZZN2at6native31launch_logcumsumexp_cuda_kernelERKNSB_10TensorBaseESF_lENKUlvE_clEvENKUlvE0_clEvEUlffE_fEEDaPvRmT3_T4_T5_mT6_P12ihipStream_tbENKUlT_T0_E_clISt17integral_constantIbLb0EESV_IbLb1EEEEDaSR_SS_EUlSR_E_NS1_11comp_targetILNS1_3genE2ELNS1_11target_archE906ELNS1_3gpuE6ELNS1_3repE0EEENS1_30default_config_static_selectorELNS0_4arch9wavefront6targetE0EEEvT1_.num_agpr, 0
	.set _ZN7rocprim17ROCPRIM_400000_NS6detail17trampoline_kernelINS0_14default_configENS1_20scan_config_selectorIfEEZZNS1_9scan_implILNS1_25lookback_scan_determinismE0ELb0ELb0ES3_PKfPffZZZN2at6native31launch_logcumsumexp_cuda_kernelERKNSB_10TensorBaseESF_lENKUlvE_clEvENKUlvE0_clEvEUlffE_fEEDaPvRmT3_T4_T5_mT6_P12ihipStream_tbENKUlT_T0_E_clISt17integral_constantIbLb0EESV_IbLb1EEEEDaSR_SS_EUlSR_E_NS1_11comp_targetILNS1_3genE2ELNS1_11target_archE906ELNS1_3gpuE6ELNS1_3repE0EEENS1_30default_config_static_selectorELNS0_4arch9wavefront6targetE0EEEvT1_.numbered_sgpr, 0
	.set _ZN7rocprim17ROCPRIM_400000_NS6detail17trampoline_kernelINS0_14default_configENS1_20scan_config_selectorIfEEZZNS1_9scan_implILNS1_25lookback_scan_determinismE0ELb0ELb0ES3_PKfPffZZZN2at6native31launch_logcumsumexp_cuda_kernelERKNSB_10TensorBaseESF_lENKUlvE_clEvENKUlvE0_clEvEUlffE_fEEDaPvRmT3_T4_T5_mT6_P12ihipStream_tbENKUlT_T0_E_clISt17integral_constantIbLb0EESV_IbLb1EEEEDaSR_SS_EUlSR_E_NS1_11comp_targetILNS1_3genE2ELNS1_11target_archE906ELNS1_3gpuE6ELNS1_3repE0EEENS1_30default_config_static_selectorELNS0_4arch9wavefront6targetE0EEEvT1_.num_named_barrier, 0
	.set _ZN7rocprim17ROCPRIM_400000_NS6detail17trampoline_kernelINS0_14default_configENS1_20scan_config_selectorIfEEZZNS1_9scan_implILNS1_25lookback_scan_determinismE0ELb0ELb0ES3_PKfPffZZZN2at6native31launch_logcumsumexp_cuda_kernelERKNSB_10TensorBaseESF_lENKUlvE_clEvENKUlvE0_clEvEUlffE_fEEDaPvRmT3_T4_T5_mT6_P12ihipStream_tbENKUlT_T0_E_clISt17integral_constantIbLb0EESV_IbLb1EEEEDaSR_SS_EUlSR_E_NS1_11comp_targetILNS1_3genE2ELNS1_11target_archE906ELNS1_3gpuE6ELNS1_3repE0EEENS1_30default_config_static_selectorELNS0_4arch9wavefront6targetE0EEEvT1_.private_seg_size, 0
	.set _ZN7rocprim17ROCPRIM_400000_NS6detail17trampoline_kernelINS0_14default_configENS1_20scan_config_selectorIfEEZZNS1_9scan_implILNS1_25lookback_scan_determinismE0ELb0ELb0ES3_PKfPffZZZN2at6native31launch_logcumsumexp_cuda_kernelERKNSB_10TensorBaseESF_lENKUlvE_clEvENKUlvE0_clEvEUlffE_fEEDaPvRmT3_T4_T5_mT6_P12ihipStream_tbENKUlT_T0_E_clISt17integral_constantIbLb0EESV_IbLb1EEEEDaSR_SS_EUlSR_E_NS1_11comp_targetILNS1_3genE2ELNS1_11target_archE906ELNS1_3gpuE6ELNS1_3repE0EEENS1_30default_config_static_selectorELNS0_4arch9wavefront6targetE0EEEvT1_.uses_vcc, 0
	.set _ZN7rocprim17ROCPRIM_400000_NS6detail17trampoline_kernelINS0_14default_configENS1_20scan_config_selectorIfEEZZNS1_9scan_implILNS1_25lookback_scan_determinismE0ELb0ELb0ES3_PKfPffZZZN2at6native31launch_logcumsumexp_cuda_kernelERKNSB_10TensorBaseESF_lENKUlvE_clEvENKUlvE0_clEvEUlffE_fEEDaPvRmT3_T4_T5_mT6_P12ihipStream_tbENKUlT_T0_E_clISt17integral_constantIbLb0EESV_IbLb1EEEEDaSR_SS_EUlSR_E_NS1_11comp_targetILNS1_3genE2ELNS1_11target_archE906ELNS1_3gpuE6ELNS1_3repE0EEENS1_30default_config_static_selectorELNS0_4arch9wavefront6targetE0EEEvT1_.uses_flat_scratch, 0
	.set _ZN7rocprim17ROCPRIM_400000_NS6detail17trampoline_kernelINS0_14default_configENS1_20scan_config_selectorIfEEZZNS1_9scan_implILNS1_25lookback_scan_determinismE0ELb0ELb0ES3_PKfPffZZZN2at6native31launch_logcumsumexp_cuda_kernelERKNSB_10TensorBaseESF_lENKUlvE_clEvENKUlvE0_clEvEUlffE_fEEDaPvRmT3_T4_T5_mT6_P12ihipStream_tbENKUlT_T0_E_clISt17integral_constantIbLb0EESV_IbLb1EEEEDaSR_SS_EUlSR_E_NS1_11comp_targetILNS1_3genE2ELNS1_11target_archE906ELNS1_3gpuE6ELNS1_3repE0EEENS1_30default_config_static_selectorELNS0_4arch9wavefront6targetE0EEEvT1_.has_dyn_sized_stack, 0
	.set _ZN7rocprim17ROCPRIM_400000_NS6detail17trampoline_kernelINS0_14default_configENS1_20scan_config_selectorIfEEZZNS1_9scan_implILNS1_25lookback_scan_determinismE0ELb0ELb0ES3_PKfPffZZZN2at6native31launch_logcumsumexp_cuda_kernelERKNSB_10TensorBaseESF_lENKUlvE_clEvENKUlvE0_clEvEUlffE_fEEDaPvRmT3_T4_T5_mT6_P12ihipStream_tbENKUlT_T0_E_clISt17integral_constantIbLb0EESV_IbLb1EEEEDaSR_SS_EUlSR_E_NS1_11comp_targetILNS1_3genE2ELNS1_11target_archE906ELNS1_3gpuE6ELNS1_3repE0EEENS1_30default_config_static_selectorELNS0_4arch9wavefront6targetE0EEEvT1_.has_recursion, 0
	.set _ZN7rocprim17ROCPRIM_400000_NS6detail17trampoline_kernelINS0_14default_configENS1_20scan_config_selectorIfEEZZNS1_9scan_implILNS1_25lookback_scan_determinismE0ELb0ELb0ES3_PKfPffZZZN2at6native31launch_logcumsumexp_cuda_kernelERKNSB_10TensorBaseESF_lENKUlvE_clEvENKUlvE0_clEvEUlffE_fEEDaPvRmT3_T4_T5_mT6_P12ihipStream_tbENKUlT_T0_E_clISt17integral_constantIbLb0EESV_IbLb1EEEEDaSR_SS_EUlSR_E_NS1_11comp_targetILNS1_3genE2ELNS1_11target_archE906ELNS1_3gpuE6ELNS1_3repE0EEENS1_30default_config_static_selectorELNS0_4arch9wavefront6targetE0EEEvT1_.has_indirect_call, 0
	.section	.AMDGPU.csdata,"",@progbits
; Kernel info:
; codeLenInByte = 0
; TotalNumSgprs: 0
; NumVgprs: 0
; ScratchSize: 0
; MemoryBound: 0
; FloatMode: 240
; IeeeMode: 1
; LDSByteSize: 0 bytes/workgroup (compile time only)
; SGPRBlocks: 0
; VGPRBlocks: 0
; NumSGPRsForWavesPerEU: 1
; NumVGPRsForWavesPerEU: 1
; Occupancy: 16
; WaveLimiterHint : 0
; COMPUTE_PGM_RSRC2:SCRATCH_EN: 0
; COMPUTE_PGM_RSRC2:USER_SGPR: 2
; COMPUTE_PGM_RSRC2:TRAP_HANDLER: 0
; COMPUTE_PGM_RSRC2:TGID_X_EN: 1
; COMPUTE_PGM_RSRC2:TGID_Y_EN: 0
; COMPUTE_PGM_RSRC2:TGID_Z_EN: 0
; COMPUTE_PGM_RSRC2:TIDIG_COMP_CNT: 0
	.section	.text._ZN7rocprim17ROCPRIM_400000_NS6detail17trampoline_kernelINS0_14default_configENS1_20scan_config_selectorIfEEZZNS1_9scan_implILNS1_25lookback_scan_determinismE0ELb0ELb0ES3_PKfPffZZZN2at6native31launch_logcumsumexp_cuda_kernelERKNSB_10TensorBaseESF_lENKUlvE_clEvENKUlvE0_clEvEUlffE_fEEDaPvRmT3_T4_T5_mT6_P12ihipStream_tbENKUlT_T0_E_clISt17integral_constantIbLb0EESV_IbLb1EEEEDaSR_SS_EUlSR_E_NS1_11comp_targetILNS1_3genE10ELNS1_11target_archE1201ELNS1_3gpuE5ELNS1_3repE0EEENS1_30default_config_static_selectorELNS0_4arch9wavefront6targetE0EEEvT1_,"axG",@progbits,_ZN7rocprim17ROCPRIM_400000_NS6detail17trampoline_kernelINS0_14default_configENS1_20scan_config_selectorIfEEZZNS1_9scan_implILNS1_25lookback_scan_determinismE0ELb0ELb0ES3_PKfPffZZZN2at6native31launch_logcumsumexp_cuda_kernelERKNSB_10TensorBaseESF_lENKUlvE_clEvENKUlvE0_clEvEUlffE_fEEDaPvRmT3_T4_T5_mT6_P12ihipStream_tbENKUlT_T0_E_clISt17integral_constantIbLb0EESV_IbLb1EEEEDaSR_SS_EUlSR_E_NS1_11comp_targetILNS1_3genE10ELNS1_11target_archE1201ELNS1_3gpuE5ELNS1_3repE0EEENS1_30default_config_static_selectorELNS0_4arch9wavefront6targetE0EEEvT1_,comdat
	.globl	_ZN7rocprim17ROCPRIM_400000_NS6detail17trampoline_kernelINS0_14default_configENS1_20scan_config_selectorIfEEZZNS1_9scan_implILNS1_25lookback_scan_determinismE0ELb0ELb0ES3_PKfPffZZZN2at6native31launch_logcumsumexp_cuda_kernelERKNSB_10TensorBaseESF_lENKUlvE_clEvENKUlvE0_clEvEUlffE_fEEDaPvRmT3_T4_T5_mT6_P12ihipStream_tbENKUlT_T0_E_clISt17integral_constantIbLb0EESV_IbLb1EEEEDaSR_SS_EUlSR_E_NS1_11comp_targetILNS1_3genE10ELNS1_11target_archE1201ELNS1_3gpuE5ELNS1_3repE0EEENS1_30default_config_static_selectorELNS0_4arch9wavefront6targetE0EEEvT1_ ; -- Begin function _ZN7rocprim17ROCPRIM_400000_NS6detail17trampoline_kernelINS0_14default_configENS1_20scan_config_selectorIfEEZZNS1_9scan_implILNS1_25lookback_scan_determinismE0ELb0ELb0ES3_PKfPffZZZN2at6native31launch_logcumsumexp_cuda_kernelERKNSB_10TensorBaseESF_lENKUlvE_clEvENKUlvE0_clEvEUlffE_fEEDaPvRmT3_T4_T5_mT6_P12ihipStream_tbENKUlT_T0_E_clISt17integral_constantIbLb0EESV_IbLb1EEEEDaSR_SS_EUlSR_E_NS1_11comp_targetILNS1_3genE10ELNS1_11target_archE1201ELNS1_3gpuE5ELNS1_3repE0EEENS1_30default_config_static_selectorELNS0_4arch9wavefront6targetE0EEEvT1_
	.p2align	8
	.type	_ZN7rocprim17ROCPRIM_400000_NS6detail17trampoline_kernelINS0_14default_configENS1_20scan_config_selectorIfEEZZNS1_9scan_implILNS1_25lookback_scan_determinismE0ELb0ELb0ES3_PKfPffZZZN2at6native31launch_logcumsumexp_cuda_kernelERKNSB_10TensorBaseESF_lENKUlvE_clEvENKUlvE0_clEvEUlffE_fEEDaPvRmT3_T4_T5_mT6_P12ihipStream_tbENKUlT_T0_E_clISt17integral_constantIbLb0EESV_IbLb1EEEEDaSR_SS_EUlSR_E_NS1_11comp_targetILNS1_3genE10ELNS1_11target_archE1201ELNS1_3gpuE5ELNS1_3repE0EEENS1_30default_config_static_selectorELNS0_4arch9wavefront6targetE0EEEvT1_,@function
_ZN7rocprim17ROCPRIM_400000_NS6detail17trampoline_kernelINS0_14default_configENS1_20scan_config_selectorIfEEZZNS1_9scan_implILNS1_25lookback_scan_determinismE0ELb0ELb0ES3_PKfPffZZZN2at6native31launch_logcumsumexp_cuda_kernelERKNSB_10TensorBaseESF_lENKUlvE_clEvENKUlvE0_clEvEUlffE_fEEDaPvRmT3_T4_T5_mT6_P12ihipStream_tbENKUlT_T0_E_clISt17integral_constantIbLb0EESV_IbLb1EEEEDaSR_SS_EUlSR_E_NS1_11comp_targetILNS1_3genE10ELNS1_11target_archE1201ELNS1_3gpuE5ELNS1_3repE0EEENS1_30default_config_static_selectorELNS0_4arch9wavefront6targetE0EEEvT1_: ; @_ZN7rocprim17ROCPRIM_400000_NS6detail17trampoline_kernelINS0_14default_configENS1_20scan_config_selectorIfEEZZNS1_9scan_implILNS1_25lookback_scan_determinismE0ELb0ELb0ES3_PKfPffZZZN2at6native31launch_logcumsumexp_cuda_kernelERKNSB_10TensorBaseESF_lENKUlvE_clEvENKUlvE0_clEvEUlffE_fEEDaPvRmT3_T4_T5_mT6_P12ihipStream_tbENKUlT_T0_E_clISt17integral_constantIbLb0EESV_IbLb1EEEEDaSR_SS_EUlSR_E_NS1_11comp_targetILNS1_3genE10ELNS1_11target_archE1201ELNS1_3gpuE5ELNS1_3repE0EEENS1_30default_config_static_selectorELNS0_4arch9wavefront6targetE0EEEvT1_
; %bb.0:
	s_load_b64 s[28:29], s[0:1], 0x28
	v_cmp_ne_u32_e64 s2, 0, v0
	v_cmp_eq_u32_e64 s3, 0, v0
	s_and_saveexec_b32 s4, s3
	s_cbranch_execz .LBB158_4
; %bb.1:
	s_mov_b32 s6, exec_lo
	s_mov_b32 s5, exec_lo
	v_mbcnt_lo_u32_b32 v1, s6, 0
                                        ; implicit-def: $vgpr2
	s_delay_alu instid0(VALU_DEP_1)
	v_cmpx_eq_u32_e32 0, v1
	s_cbranch_execz .LBB158_3
; %bb.2:
	s_load_b64 s[8:9], s[0:1], 0x58
	s_bcnt1_i32_b32 s6, s6
	s_wait_alu 0xfffe
	v_dual_mov_b32 v2, 0 :: v_dual_mov_b32 v3, s6
	s_wait_kmcnt 0x0
	global_atomic_add_u32 v2, v2, v3, s[8:9] th:TH_ATOMIC_RETURN scope:SCOPE_DEV
.LBB158_3:
	s_or_b32 exec_lo, exec_lo, s5
	s_wait_loadcnt 0x0
	v_readfirstlane_b32 s5, v2
	s_delay_alu instid0(VALU_DEP_1)
	v_dual_mov_b32 v2, 0 :: v_dual_add_nc_u32 v1, s5, v1
	ds_store_b32 v2, v1
.LBB158_4:
	s_or_b32 exec_lo, exec_lo, s4
	v_mov_b32_e32 v1, 0
	s_clause 0x2
	s_load_b256 s[20:27], s[0:1], 0x0
	s_load_b32 s4, s[0:1], 0x30
	s_load_b256 s[12:19], s[0:1], 0x38
	s_wait_dscnt 0x0
	s_barrier_signal -1
	s_barrier_wait -1
	global_inv scope:SCOPE_SE
	ds_load_b32 v1, v1
	s_mov_b32 s7, 0
	v_lshlrev_b32_e32 v15, 2, v0
	s_mov_b32 s8, -1
	s_wait_loadcnt_dscnt 0x0
	s_barrier_signal -1
	s_barrier_wait -1
	global_inv scope:SCOPE_SE
	s_wait_kmcnt 0x0
	s_lshl_b64 s[22:23], s[22:23], 2
	s_add_co_i32 s0, s4, -1
	s_add_nc_u64 s[4:5], s[20:21], s[22:23]
	s_mul_i32 s6, s0, 0x600
	s_wait_alu 0xfffe
	s_mov_b32 s21, s7
	v_readfirstlane_b32 s11, v1
	v_cmp_ne_u32_e64 s0, s0, v1
	s_mul_i32 s20, s11, 0x600
	s_and_b32 vcc_lo, exec_lo, s0
	s_lshl_b64 s[30:31], s[20:21], 2
	s_delay_alu instid0(SALU_CYCLE_1)
	s_add_nc_u64 s[4:5], s[4:5], s[30:31]
	s_cbranch_vccz .LBB158_6
; %bb.5:
	s_clause 0x5
	global_load_b32 v1, v15, s[4:5]
	global_load_b32 v2, v15, s[4:5] offset:1024
	global_load_b32 v3, v15, s[4:5] offset:2048
	;; [unrolled: 1-line block ×5, first 2 shown]
	s_mov_b32 s8, s7
	s_wait_loadcnt 0x4
	ds_store_2addr_stride64_b32 v15, v1, v2 offset1:4
	s_wait_loadcnt 0x2
	ds_store_2addr_stride64_b32 v15, v3, v4 offset0:8 offset1:12
	s_wait_loadcnt 0x0
	ds_store_2addr_stride64_b32 v15, v5, v6 offset0:16 offset1:20
	s_wait_dscnt 0x0
	s_barrier_signal -1
	s_barrier_wait -1
.LBB158_6:
	s_sub_nc_u64 s[20:21], s[26:27], s[6:7]
	s_and_not1_b32 vcc_lo, exec_lo, s8
	v_cmp_gt_u32_e64 s1, s20, v0
	s_cbranch_vccnz .LBB158_20
; %bb.7:
	v_mov_b32_e32 v1, 0
	global_load_b32 v1, v1, s[4:5]
	s_wait_loadcnt 0x0
	v_dual_mov_b32 v2, v1 :: v_dual_mov_b32 v3, v1
	v_dual_mov_b32 v4, v1 :: v_dual_mov_b32 v5, v1
	v_mov_b32_e32 v6, v1
	s_and_saveexec_b32 s6, s1
	s_cbranch_execz .LBB158_9
; %bb.8:
	global_load_b32 v6, v15, s[4:5]
.LBB158_9:
	s_wait_alu 0xfffe
	s_or_b32 exec_lo, exec_lo, s6
	v_or_b32_e32 v7, 0x100, v0
	s_mov_b32 s1, exec_lo
	s_delay_alu instid0(VALU_DEP_1)
	v_cmpx_gt_u32_e64 s20, v7
	s_cbranch_execz .LBB158_11
; %bb.10:
	global_load_b32 v1, v15, s[4:5] offset:1024
.LBB158_11:
	s_wait_alu 0xfffe
	s_or_b32 exec_lo, exec_lo, s1
	v_or_b32_e32 v7, 0x200, v0
	s_mov_b32 s1, exec_lo
	s_delay_alu instid0(VALU_DEP_1)
	v_cmpx_gt_u32_e64 s20, v7
	s_cbranch_execz .LBB158_13
; %bb.12:
	global_load_b32 v2, v15, s[4:5] offset:2048
.LBB158_13:
	;; [unrolled: 10-line block ×5, first 2 shown]
	s_wait_alu 0xfffe
	s_or_b32 exec_lo, exec_lo, s1
	s_wait_loadcnt 0x0
	ds_store_2addr_stride64_b32 v15, v6, v1 offset1:4
	ds_store_2addr_stride64_b32 v15, v2, v4 offset0:8 offset1:12
	ds_store_2addr_stride64_b32 v15, v3, v5 offset0:16 offset1:20
	s_wait_dscnt 0x0
	s_barrier_signal -1
	s_barrier_wait -1
.LBB158_20:
	v_mul_u32_u24_e32 v16, 24, v0
	s_wait_loadcnt 0x0
	global_inv scope:SCOPE_SE
	s_cmp_lg_u32 s11, 0
	ds_load_2addr_b64 v[1:4], v16 offset1:1
	ds_load_b64 v[11:12], v16 offset:16
	s_wait_loadcnt_dscnt 0x0
	s_barrier_signal -1
	s_barrier_wait -1
	global_inv scope:SCOPE_SE
	v_cmp_u_f32_e64 s1, v2, v2
	v_max_num_f32_e32 v17, v2, v2
	s_cbranch_scc0 .LBB158_127
; %bb.21:
	v_max_num_f32_e32 v21, v1, v1
	v_cmp_u_f32_e64 s8, v1, v1
	s_delay_alu instid0(VALU_DEP_2) | instskip(SKIP_1) | instid1(VALU_DEP_2)
	v_min_num_f32_e32 v5, v21, v17
	v_max_num_f32_e32 v6, v21, v17
	v_cndmask_b32_e64 v5, v5, v1, s8
	s_delay_alu instid0(VALU_DEP_2) | instskip(SKIP_1) | instid1(VALU_DEP_2)
	v_cndmask_b32_e64 v6, v6, v1, s8
	s_wait_alu 0xf1ff
	v_cndmask_b32_e64 v7, v5, v2, s1
	s_delay_alu instid0(VALU_DEP_2) | instskip(SKIP_1) | instid1(VALU_DEP_3)
	v_cndmask_b32_e64 v6, v6, v2, s1
	v_mov_b32_e32 v5, v1
	v_cmp_class_f32_e64 s4, v7, 0x1f8
	s_delay_alu instid0(VALU_DEP_3)
	v_cmp_neq_f32_e32 vcc_lo, v7, v6
	s_wait_alu 0xfffe
	s_or_b32 s5, vcc_lo, s4
	s_wait_alu 0xfffe
	s_and_saveexec_b32 s4, s5
	s_cbranch_execz .LBB158_23
; %bb.22:
	v_sub_f32_e32 v5, v7, v6
	s_mov_b32 s5, 0x3e9b6dac
	s_delay_alu instid0(VALU_DEP_1) | instskip(SKIP_1) | instid1(VALU_DEP_2)
	v_mul_f32_e32 v7, 0x3fb8aa3b, v5
	v_cmp_ngt_f32_e32 vcc_lo, 0xc2ce8ed0, v5
	v_fma_f32 v8, 0x3fb8aa3b, v5, -v7
	v_rndne_f32_e32 v9, v7
	s_delay_alu instid0(VALU_DEP_1) | instskip(NEXT) | instid1(VALU_DEP_1)
	v_dual_fmamk_f32 v8, v5, 0x32a5705f, v8 :: v_dual_sub_f32 v7, v7, v9
	v_add_f32_e32 v7, v7, v8
	v_cvt_i32_f32_e32 v8, v9
	s_delay_alu instid0(VALU_DEP_2) | instskip(NEXT) | instid1(TRANS32_DEP_1)
	v_exp_f32_e32 v7, v7
	v_ldexp_f32 v7, v7, v8
	s_delay_alu instid0(VALU_DEP_1) | instskip(SKIP_2) | instid1(VALU_DEP_2)
	v_cndmask_b32_e32 v7, 0, v7, vcc_lo
	v_cmp_nlt_f32_e32 vcc_lo, 0x42b17218, v5
	s_wait_alu 0xfffd
	v_cndmask_b32_e32 v5, 0x7f800000, v7, vcc_lo
	s_delay_alu instid0(VALU_DEP_1) | instskip(NEXT) | instid1(VALU_DEP_1)
	v_add_f32_e32 v9, 1.0, v5
	v_cvt_f64_f32_e32 v[7:8], v9
	s_delay_alu instid0(VALU_DEP_1) | instskip(SKIP_1) | instid1(VALU_DEP_1)
	v_frexp_exp_i32_f64_e32 v7, v[7:8]
	v_frexp_mant_f32_e32 v8, v9
	v_cmp_gt_f32_e32 vcc_lo, 0x3f2aaaab, v8
	v_add_f32_e32 v8, -1.0, v9
	s_delay_alu instid0(VALU_DEP_1) | instskip(NEXT) | instid1(VALU_DEP_1)
	v_dual_sub_f32 v13, v8, v9 :: v_dual_sub_f32 v8, v5, v8
	v_add_f32_e32 v13, 1.0, v13
	s_delay_alu instid0(VALU_DEP_1) | instskip(SKIP_2) | instid1(VALU_DEP_1)
	v_add_f32_e32 v8, v8, v13
	s_wait_alu 0xfffd
	v_subrev_co_ci_u32_e64 v7, null, 0, v7, vcc_lo
	v_sub_nc_u32_e32 v10, 0, v7
	v_cvt_f32_i32_e32 v7, v7
	s_delay_alu instid0(VALU_DEP_2) | instskip(SKIP_1) | instid1(VALU_DEP_2)
	v_ldexp_f32 v9, v9, v10
	v_ldexp_f32 v8, v8, v10
	v_add_f32_e32 v14, 1.0, v9
	v_add_f32_e32 v10, -1.0, v9
	v_cmp_neq_f32_e32 vcc_lo, 0x7f800000, v5
	s_delay_alu instid0(VALU_DEP_3) | instskip(NEXT) | instid1(VALU_DEP_1)
	v_add_f32_e32 v13, -1.0, v14
	v_dual_add_f32 v18, 1.0, v10 :: v_dual_sub_f32 v13, v9, v13
	s_delay_alu instid0(VALU_DEP_1) | instskip(NEXT) | instid1(VALU_DEP_2)
	v_add_f32_e32 v13, v8, v13
	v_sub_f32_e32 v9, v9, v18
	s_delay_alu instid0(VALU_DEP_1) | instskip(NEXT) | instid1(VALU_DEP_1)
	v_add_f32_e32 v8, v8, v9
	v_add_f32_e32 v19, v10, v8
	s_delay_alu instid0(VALU_DEP_1) | instskip(SKIP_1) | instid1(VALU_DEP_2)
	v_sub_f32_e32 v10, v10, v19
	v_add_f32_e32 v18, v14, v13
	v_add_f32_e32 v8, v8, v10
	s_delay_alu instid0(VALU_DEP_2)
	v_rcp_f32_e32 v9, v18
	v_sub_f32_e32 v14, v14, v18
	s_delay_alu instid0(TRANS32_DEP_1) | instid1(VALU_DEP_1)
	v_dual_add_f32 v13, v13, v14 :: v_dual_mul_f32 v20, v19, v9
	s_delay_alu instid0(VALU_DEP_1) | instskip(NEXT) | instid1(VALU_DEP_1)
	v_mul_f32_e32 v22, v18, v20
	v_fma_f32 v14, v20, v18, -v22
	s_delay_alu instid0(VALU_DEP_1) | instskip(NEXT) | instid1(VALU_DEP_1)
	v_fmac_f32_e32 v14, v20, v13
	v_add_f32_e32 v23, v22, v14
	s_delay_alu instid0(VALU_DEP_1) | instskip(NEXT) | instid1(VALU_DEP_1)
	v_sub_f32_e32 v24, v19, v23
	v_sub_f32_e32 v19, v19, v24
	s_delay_alu instid0(VALU_DEP_1) | instskip(NEXT) | instid1(VALU_DEP_1)
	v_sub_f32_e32 v19, v19, v23
	v_add_f32_e32 v8, v8, v19
	v_sub_f32_e32 v10, v23, v22
	s_delay_alu instid0(VALU_DEP_1) | instskip(NEXT) | instid1(VALU_DEP_1)
	v_sub_f32_e32 v10, v10, v14
	v_add_f32_e32 v8, v10, v8
	s_delay_alu instid0(VALU_DEP_1) | instskip(NEXT) | instid1(VALU_DEP_1)
	v_add_f32_e32 v10, v24, v8
	v_mul_f32_e32 v14, v9, v10
	s_delay_alu instid0(VALU_DEP_1) | instskip(SKIP_1) | instid1(VALU_DEP_2)
	v_mul_f32_e32 v19, v18, v14
	v_sub_f32_e32 v23, v24, v10
	v_fma_f32 v18, v14, v18, -v19
	s_delay_alu instid0(VALU_DEP_1) | instskip(NEXT) | instid1(VALU_DEP_1)
	v_fmac_f32_e32 v18, v14, v13
	v_dual_add_f32 v13, v19, v18 :: v_dual_add_f32 v8, v8, v23
	s_delay_alu instid0(VALU_DEP_1) | instskip(NEXT) | instid1(VALU_DEP_1)
	v_dual_sub_f32 v19, v13, v19 :: v_dual_sub_f32 v22, v10, v13
	v_sub_f32_e32 v10, v10, v22
	s_delay_alu instid0(VALU_DEP_1) | instskip(NEXT) | instid1(VALU_DEP_1)
	v_dual_sub_f32 v10, v10, v13 :: v_dual_sub_f32 v13, v19, v18
	v_add_f32_e32 v8, v8, v10
	v_add_f32_e32 v10, v20, v14
	s_delay_alu instid0(VALU_DEP_2) | instskip(NEXT) | instid1(VALU_DEP_2)
	v_add_f32_e32 v8, v13, v8
	v_sub_f32_e32 v13, v10, v20
	s_delay_alu instid0(VALU_DEP_2) | instskip(NEXT) | instid1(VALU_DEP_1)
	v_add_f32_e32 v8, v22, v8
	v_dual_sub_f32 v13, v14, v13 :: v_dual_mul_f32 v8, v9, v8
	s_delay_alu instid0(VALU_DEP_1) | instskip(NEXT) | instid1(VALU_DEP_1)
	v_add_f32_e32 v8, v13, v8
	v_add_f32_e32 v9, v10, v8
	s_delay_alu instid0(VALU_DEP_1) | instskip(SKIP_1) | instid1(VALU_DEP_1)
	v_mul_f32_e32 v13, v9, v9
	s_wait_alu 0xfffe
	v_fmaak_f32 v14, s5, v13, 0x3ecc95a3
	v_mul_f32_e32 v18, v9, v13
	s_delay_alu instid0(VALU_DEP_2) | instskip(SKIP_2) | instid1(VALU_DEP_3)
	v_fmaak_f32 v13, v13, v14, 0x3f2aaada
	v_ldexp_f32 v14, v9, 1
	v_sub_f32_e32 v9, v9, v10
	v_dual_mul_f32 v13, v18, v13 :: v_dual_mul_f32 v18, 0x3f317218, v7
	s_delay_alu instid0(VALU_DEP_2) | instskip(NEXT) | instid1(VALU_DEP_2)
	v_sub_f32_e32 v8, v8, v9
	v_add_f32_e32 v10, v14, v13
	s_delay_alu instid0(VALU_DEP_2) | instskip(NEXT) | instid1(VALU_DEP_2)
	v_ldexp_f32 v8, v8, 1
	v_sub_f32_e32 v9, v10, v14
	v_fma_f32 v14, 0x3f317218, v7, -v18
	s_delay_alu instid0(VALU_DEP_2) | instskip(NEXT) | instid1(VALU_DEP_1)
	v_sub_f32_e32 v9, v13, v9
	v_dual_fmamk_f32 v7, v7, 0xb102e308, v14 :: v_dual_add_f32 v8, v8, v9
	s_delay_alu instid0(VALU_DEP_1) | instskip(NEXT) | instid1(VALU_DEP_1)
	v_add_f32_e32 v9, v18, v7
	v_sub_f32_e32 v18, v9, v18
	s_delay_alu instid0(VALU_DEP_1) | instskip(NEXT) | instid1(VALU_DEP_4)
	v_sub_f32_e32 v7, v7, v18
	v_add_f32_e32 v13, v10, v8
	s_delay_alu instid0(VALU_DEP_1) | instskip(NEXT) | instid1(VALU_DEP_1)
	v_sub_f32_e32 v10, v13, v10
	v_sub_f32_e32 v8, v8, v10
	v_add_f32_e32 v14, v9, v13
	s_delay_alu instid0(VALU_DEP_1) | instskip(NEXT) | instid1(VALU_DEP_1)
	v_sub_f32_e32 v19, v14, v9
	v_dual_sub_f32 v10, v13, v19 :: v_dual_add_f32 v13, v7, v8
	v_sub_f32_e32 v20, v14, v19
	s_delay_alu instid0(VALU_DEP_1) | instskip(NEXT) | instid1(VALU_DEP_1)
	v_sub_f32_e32 v9, v9, v20
	v_dual_add_f32 v9, v10, v9 :: v_dual_sub_f32 v10, v13, v7
	s_delay_alu instid0(VALU_DEP_1) | instskip(NEXT) | instid1(VALU_DEP_2)
	v_add_f32_e32 v9, v13, v9
	v_sub_f32_e32 v13, v13, v10
	s_delay_alu instid0(VALU_DEP_1) | instskip(NEXT) | instid1(VALU_DEP_1)
	v_dual_sub_f32 v8, v8, v10 :: v_dual_sub_f32 v7, v7, v13
	v_dual_add_f32 v18, v14, v9 :: v_dual_add_f32 v7, v8, v7
	s_delay_alu instid0(VALU_DEP_1) | instskip(NEXT) | instid1(VALU_DEP_1)
	v_sub_f32_e32 v10, v18, v14
	v_sub_f32_e32 v8, v9, v10
	s_delay_alu instid0(VALU_DEP_1) | instskip(NEXT) | instid1(VALU_DEP_1)
	v_add_f32_e32 v7, v7, v8
	v_add_f32_e32 v7, v18, v7
	s_wait_alu 0xfffd
	s_delay_alu instid0(VALU_DEP_1) | instskip(SKIP_2) | instid1(VALU_DEP_2)
	v_cndmask_b32_e32 v7, 0x7f800000, v7, vcc_lo
	v_cmp_gt_f32_e64 vcc_lo, 0x33800000, |v5|
	s_wait_alu 0xfffd
	v_cndmask_b32_e32 v5, v7, v5, vcc_lo
	s_delay_alu instid0(VALU_DEP_1)
	v_add_f32_e32 v5, v6, v5
.LBB158_23:
	s_wait_alu 0xfffe
	s_or_b32 exec_lo, exec_lo, s4
	v_max_num_f32_e32 v10, v3, v3
	s_delay_alu instid0(VALU_DEP_2) | instskip(SKIP_2) | instid1(VALU_DEP_3)
	v_max_num_f32_e32 v6, v5, v5
	v_cmp_u_f32_e32 vcc_lo, v5, v5
	v_cmp_u_f32_e64 s4, v3, v3
	v_min_num_f32_e32 v7, v6, v10
	s_wait_alu 0xfffd
	s_delay_alu instid0(VALU_DEP_1) | instskip(NEXT) | instid1(VALU_DEP_1)
	v_dual_max_num_f32 v6, v6, v10 :: v_dual_cndmask_b32 v7, v7, v5
	v_cndmask_b32_e32 v6, v6, v5, vcc_lo
	s_wait_alu 0xf1ff
	s_delay_alu instid0(VALU_DEP_2) | instskip(NEXT) | instid1(VALU_DEP_2)
	v_cndmask_b32_e64 v7, v7, v3, s4
	v_cndmask_b32_e64 v6, v6, v3, s4
	s_delay_alu instid0(VALU_DEP_2) | instskip(NEXT) | instid1(VALU_DEP_2)
	v_cmp_class_f32_e64 s5, v7, 0x1f8
	v_cmp_neq_f32_e32 vcc_lo, v7, v6
	s_or_b32 s6, vcc_lo, s5
	s_wait_alu 0xfffe
	s_and_saveexec_b32 s5, s6
	s_cbranch_execz .LBB158_25
; %bb.24:
	v_sub_f32_e32 v5, v7, v6
	s_mov_b32 s6, 0x3e9b6dac
	s_delay_alu instid0(VALU_DEP_1) | instskip(SKIP_1) | instid1(VALU_DEP_2)
	v_mul_f32_e32 v7, 0x3fb8aa3b, v5
	v_cmp_ngt_f32_e32 vcc_lo, 0xc2ce8ed0, v5
	v_fma_f32 v8, 0x3fb8aa3b, v5, -v7
	v_rndne_f32_e32 v9, v7
	s_delay_alu instid0(VALU_DEP_1) | instskip(NEXT) | instid1(VALU_DEP_1)
	v_dual_fmamk_f32 v8, v5, 0x32a5705f, v8 :: v_dual_sub_f32 v7, v7, v9
	v_add_f32_e32 v7, v7, v8
	v_cvt_i32_f32_e32 v8, v9
	s_delay_alu instid0(VALU_DEP_2) | instskip(NEXT) | instid1(TRANS32_DEP_1)
	v_exp_f32_e32 v7, v7
	v_ldexp_f32 v7, v7, v8
	s_wait_alu 0xfffd
	s_delay_alu instid0(VALU_DEP_1) | instskip(SKIP_2) | instid1(VALU_DEP_2)
	v_cndmask_b32_e32 v7, 0, v7, vcc_lo
	v_cmp_nlt_f32_e32 vcc_lo, 0x42b17218, v5
	s_wait_alu 0xfffd
	v_cndmask_b32_e32 v5, 0x7f800000, v7, vcc_lo
	s_delay_alu instid0(VALU_DEP_1) | instskip(NEXT) | instid1(VALU_DEP_1)
	v_add_f32_e32 v9, 1.0, v5
	v_cvt_f64_f32_e32 v[7:8], v9
	s_delay_alu instid0(VALU_DEP_1) | instskip(SKIP_1) | instid1(VALU_DEP_1)
	v_frexp_exp_i32_f64_e32 v7, v[7:8]
	v_frexp_mant_f32_e32 v8, v9
	v_cmp_gt_f32_e32 vcc_lo, 0x3f2aaaab, v8
	v_add_f32_e32 v8, -1.0, v9
	s_delay_alu instid0(VALU_DEP_1) | instskip(NEXT) | instid1(VALU_DEP_1)
	v_sub_f32_e32 v14, v8, v9
	v_add_f32_e32 v14, 1.0, v14
	s_wait_alu 0xfffd
	v_subrev_co_ci_u32_e64 v7, null, 0, v7, vcc_lo
	s_delay_alu instid0(VALU_DEP_1) | instskip(SKIP_1) | instid1(VALU_DEP_2)
	v_sub_nc_u32_e32 v13, 0, v7
	v_cvt_f32_i32_e32 v7, v7
	v_ldexp_f32 v9, v9, v13
	s_delay_alu instid0(VALU_DEP_1) | instskip(SKIP_2) | instid1(VALU_DEP_2)
	v_add_f32_e32 v18, 1.0, v9
	v_sub_f32_e32 v8, v5, v8
	v_cmp_neq_f32_e32 vcc_lo, 0x7f800000, v5
	v_add_f32_e32 v8, v8, v14
	s_delay_alu instid0(VALU_DEP_4) | instskip(NEXT) | instid1(VALU_DEP_2)
	v_add_f32_e32 v14, -1.0, v18
	v_ldexp_f32 v8, v8, v13
	s_delay_alu instid0(VALU_DEP_2) | instskip(NEXT) | instid1(VALU_DEP_1)
	v_dual_add_f32 v13, -1.0, v9 :: v_dual_sub_f32 v14, v9, v14
	v_dual_add_f32 v19, 1.0, v13 :: v_dual_add_f32 v14, v8, v14
	s_delay_alu instid0(VALU_DEP_1) | instskip(NEXT) | instid1(VALU_DEP_1)
	v_sub_f32_e32 v9, v9, v19
	v_dual_add_f32 v19, v18, v14 :: v_dual_add_f32 v8, v8, v9
	s_delay_alu instid0(VALU_DEP_1) | instskip(NEXT) | instid1(VALU_DEP_1)
	v_rcp_f32_e32 v9, v19
	v_add_f32_e32 v20, v13, v8
	s_delay_alu instid0(TRANS32_DEP_1) | instid1(VALU_DEP_1)
	v_mul_f32_e32 v22, v20, v9
	s_delay_alu instid0(VALU_DEP_1) | instskip(NEXT) | instid1(VALU_DEP_1)
	v_dual_mul_f32 v23, v19, v22 :: v_dual_sub_f32 v18, v18, v19
	v_dual_sub_f32 v13, v13, v20 :: v_dual_add_f32 v14, v14, v18
	s_delay_alu instid0(VALU_DEP_2) | instskip(NEXT) | instid1(VALU_DEP_2)
	v_fma_f32 v18, v22, v19, -v23
	v_add_f32_e32 v8, v8, v13
	s_delay_alu instid0(VALU_DEP_2) | instskip(NEXT) | instid1(VALU_DEP_1)
	v_fmac_f32_e32 v18, v22, v14
	v_add_f32_e32 v24, v23, v18
	s_delay_alu instid0(VALU_DEP_1) | instskip(SKIP_1) | instid1(VALU_DEP_1)
	v_sub_f32_e32 v25, v20, v24
	v_sub_f32_e32 v13, v24, v23
	v_dual_sub_f32 v20, v20, v25 :: v_dual_sub_f32 v13, v13, v18
	s_delay_alu instid0(VALU_DEP_1) | instskip(NEXT) | instid1(VALU_DEP_1)
	v_sub_f32_e32 v20, v20, v24
	v_add_f32_e32 v8, v8, v20
	s_delay_alu instid0(VALU_DEP_1) | instskip(NEXT) | instid1(VALU_DEP_1)
	v_add_f32_e32 v8, v13, v8
	v_add_f32_e32 v13, v25, v8
	s_delay_alu instid0(VALU_DEP_1) | instskip(SKIP_1) | instid1(VALU_DEP_2)
	v_mul_f32_e32 v18, v9, v13
	v_sub_f32_e32 v24, v25, v13
	v_mul_f32_e32 v20, v19, v18
	s_delay_alu instid0(VALU_DEP_2) | instskip(NEXT) | instid1(VALU_DEP_2)
	v_add_f32_e32 v8, v8, v24
	v_fma_f32 v19, v18, v19, -v20
	s_delay_alu instid0(VALU_DEP_1) | instskip(NEXT) | instid1(VALU_DEP_1)
	v_fmac_f32_e32 v19, v18, v14
	v_add_f32_e32 v14, v20, v19
	s_delay_alu instid0(VALU_DEP_1) | instskip(NEXT) | instid1(VALU_DEP_1)
	v_dual_sub_f32 v23, v13, v14 :: v_dual_sub_f32 v20, v14, v20
	v_sub_f32_e32 v13, v13, v23
	s_delay_alu instid0(VALU_DEP_1) | instskip(NEXT) | instid1(VALU_DEP_1)
	v_dual_sub_f32 v13, v13, v14 :: v_dual_sub_f32 v14, v20, v19
	v_dual_add_f32 v8, v8, v13 :: v_dual_add_f32 v13, v22, v18
	s_delay_alu instid0(VALU_DEP_1) | instskip(NEXT) | instid1(VALU_DEP_2)
	v_add_f32_e32 v8, v14, v8
	v_sub_f32_e32 v14, v13, v22
	s_delay_alu instid0(VALU_DEP_2) | instskip(NEXT) | instid1(VALU_DEP_2)
	v_add_f32_e32 v8, v23, v8
	v_sub_f32_e32 v14, v18, v14
	s_delay_alu instid0(VALU_DEP_2) | instskip(NEXT) | instid1(VALU_DEP_1)
	v_mul_f32_e32 v8, v9, v8
	v_add_f32_e32 v8, v14, v8
	s_delay_alu instid0(VALU_DEP_1) | instskip(NEXT) | instid1(VALU_DEP_1)
	v_add_f32_e32 v9, v13, v8
	v_mul_f32_e32 v14, v9, v9
	s_wait_alu 0xfffe
	s_delay_alu instid0(VALU_DEP_1) | instskip(SKIP_1) | instid1(VALU_DEP_2)
	v_fmaak_f32 v18, s6, v14, 0x3ecc95a3
	v_mul_f32_e32 v19, v9, v14
	v_fmaak_f32 v14, v14, v18, 0x3f2aaada
	v_ldexp_f32 v18, v9, 1
	s_delay_alu instid0(VALU_DEP_2) | instskip(NEXT) | instid1(VALU_DEP_1)
	v_dual_sub_f32 v9, v9, v13 :: v_dual_mul_f32 v14, v19, v14
	v_dual_mul_f32 v19, 0x3f317218, v7 :: v_dual_sub_f32 v8, v8, v9
	s_delay_alu instid0(VALU_DEP_2) | instskip(NEXT) | instid1(VALU_DEP_2)
	v_add_f32_e32 v13, v18, v14
	v_ldexp_f32 v8, v8, 1
	s_delay_alu instid0(VALU_DEP_2) | instskip(NEXT) | instid1(VALU_DEP_4)
	v_sub_f32_e32 v9, v13, v18
	v_fma_f32 v18, 0x3f317218, v7, -v19
	s_delay_alu instid0(VALU_DEP_2) | instskip(NEXT) | instid1(VALU_DEP_1)
	v_sub_f32_e32 v9, v14, v9
	v_dual_fmamk_f32 v7, v7, 0xb102e308, v18 :: v_dual_add_f32 v8, v8, v9
	s_delay_alu instid0(VALU_DEP_1) | instskip(NEXT) | instid1(VALU_DEP_1)
	v_dual_add_f32 v9, v19, v7 :: v_dual_add_f32 v14, v13, v8
	v_sub_f32_e32 v19, v9, v19
	s_delay_alu instid0(VALU_DEP_2) | instskip(NEXT) | instid1(VALU_DEP_1)
	v_dual_add_f32 v18, v9, v14 :: v_dual_sub_f32 v13, v14, v13
	v_dual_sub_f32 v7, v7, v19 :: v_dual_sub_f32 v20, v18, v9
	s_delay_alu instid0(VALU_DEP_2) | instskip(NEXT) | instid1(VALU_DEP_2)
	v_sub_f32_e32 v8, v8, v13
	v_sub_f32_e32 v22, v18, v20
	;; [unrolled: 1-line block ×3, first 2 shown]
	s_delay_alu instid0(VALU_DEP_2) | instskip(NEXT) | instid1(VALU_DEP_1)
	v_dual_add_f32 v14, v7, v8 :: v_dual_sub_f32 v9, v9, v22
	v_add_f32_e32 v9, v13, v9
	s_delay_alu instid0(VALU_DEP_2) | instskip(NEXT) | instid1(VALU_DEP_2)
	v_sub_f32_e32 v13, v14, v7
	v_add_f32_e32 v9, v14, v9
	s_delay_alu instid0(VALU_DEP_2) | instskip(SKIP_1) | instid1(VALU_DEP_3)
	v_sub_f32_e32 v14, v14, v13
	v_sub_f32_e32 v8, v8, v13
	v_add_f32_e32 v19, v18, v9
	s_delay_alu instid0(VALU_DEP_3) | instskip(NEXT) | instid1(VALU_DEP_2)
	v_sub_f32_e32 v7, v7, v14
	v_sub_f32_e32 v13, v19, v18
	s_delay_alu instid0(VALU_DEP_1) | instskip(NEXT) | instid1(VALU_DEP_1)
	v_dual_add_f32 v7, v8, v7 :: v_dual_sub_f32 v8, v9, v13
	v_add_f32_e32 v7, v7, v8
	s_delay_alu instid0(VALU_DEP_1) | instskip(SKIP_1) | instid1(VALU_DEP_1)
	v_add_f32_e32 v7, v19, v7
	s_wait_alu 0xfffd
	v_cndmask_b32_e32 v7, 0x7f800000, v7, vcc_lo
	v_cmp_gt_f32_e64 vcc_lo, 0x33800000, |v5|
	s_wait_alu 0xfffd
	s_delay_alu instid0(VALU_DEP_2) | instskip(NEXT) | instid1(VALU_DEP_1)
	v_cndmask_b32_e32 v5, v7, v5, vcc_lo
	v_add_f32_e32 v5, v6, v5
.LBB158_25:
	s_wait_alu 0xfffe
	s_or_b32 exec_lo, exec_lo, s5
	s_delay_alu instid0(VALU_DEP_1) | instskip(SKIP_3) | instid1(VALU_DEP_2)
	v_max_num_f32_e32 v6, v5, v5
	v_cmp_u_f32_e32 vcc_lo, v5, v5
	v_max_num_f32_e32 v18, v4, v4
	v_cmp_u_f32_e64 s5, v4, v4
	v_min_num_f32_e32 v7, v6, v18
	s_wait_alu 0xfffd
	s_delay_alu instid0(VALU_DEP_1) | instskip(SKIP_1) | instid1(VALU_DEP_1)
	v_dual_cndmask_b32 v7, v7, v5 :: v_dual_max_num_f32 v6, v6, v18
	s_wait_alu 0xf1ff
	v_cndmask_b32_e64 v7, v7, v4, s5
	s_delay_alu instid0(VALU_DEP_2) | instskip(NEXT) | instid1(VALU_DEP_2)
	v_cndmask_b32_e32 v6, v6, v5, vcc_lo
	v_cmp_class_f32_e64 s6, v7, 0x1f8
	s_delay_alu instid0(VALU_DEP_2) | instskip(NEXT) | instid1(VALU_DEP_1)
	v_cndmask_b32_e64 v6, v6, v4, s5
	v_cmp_neq_f32_e32 vcc_lo, v7, v6
	s_or_b32 s7, vcc_lo, s6
	s_wait_alu 0xfffe
	s_and_saveexec_b32 s6, s7
	s_cbranch_execz .LBB158_27
; %bb.26:
	v_sub_f32_e32 v5, v7, v6
	s_mov_b32 s7, 0x3e9b6dac
	s_delay_alu instid0(VALU_DEP_1) | instskip(SKIP_1) | instid1(VALU_DEP_2)
	v_mul_f32_e32 v7, 0x3fb8aa3b, v5
	v_cmp_ngt_f32_e32 vcc_lo, 0xc2ce8ed0, v5
	v_fma_f32 v8, 0x3fb8aa3b, v5, -v7
	v_rndne_f32_e32 v9, v7
	s_delay_alu instid0(VALU_DEP_1) | instskip(NEXT) | instid1(VALU_DEP_1)
	v_dual_fmamk_f32 v8, v5, 0x32a5705f, v8 :: v_dual_sub_f32 v7, v7, v9
	v_add_f32_e32 v7, v7, v8
	v_cvt_i32_f32_e32 v8, v9
	s_delay_alu instid0(VALU_DEP_2) | instskip(NEXT) | instid1(TRANS32_DEP_1)
	v_exp_f32_e32 v7, v7
	v_ldexp_f32 v7, v7, v8
	s_wait_alu 0xfffd
	s_delay_alu instid0(VALU_DEP_1) | instskip(SKIP_2) | instid1(VALU_DEP_2)
	v_cndmask_b32_e32 v7, 0, v7, vcc_lo
	v_cmp_nlt_f32_e32 vcc_lo, 0x42b17218, v5
	s_wait_alu 0xfffd
	v_cndmask_b32_e32 v5, 0x7f800000, v7, vcc_lo
	s_delay_alu instid0(VALU_DEP_1) | instskip(NEXT) | instid1(VALU_DEP_1)
	v_add_f32_e32 v9, 1.0, v5
	v_cvt_f64_f32_e32 v[7:8], v9
	s_delay_alu instid0(VALU_DEP_1) | instskip(SKIP_1) | instid1(VALU_DEP_1)
	v_frexp_exp_i32_f64_e32 v7, v[7:8]
	v_frexp_mant_f32_e32 v8, v9
	v_cmp_gt_f32_e32 vcc_lo, 0x3f2aaaab, v8
	v_add_f32_e32 v8, -1.0, v9
	s_delay_alu instid0(VALU_DEP_1) | instskip(SKIP_1) | instid1(VALU_DEP_2)
	v_sub_f32_e32 v14, v8, v9
	v_sub_f32_e32 v8, v5, v8
	v_add_f32_e32 v14, 1.0, v14
	s_delay_alu instid0(VALU_DEP_1) | instskip(SKIP_3) | instid1(VALU_DEP_2)
	v_add_f32_e32 v8, v8, v14
	s_wait_alu 0xfffd
	v_subrev_co_ci_u32_e64 v7, null, 0, v7, vcc_lo
	v_cmp_neq_f32_e32 vcc_lo, 0x7f800000, v5
	v_sub_nc_u32_e32 v13, 0, v7
	v_cvt_f32_i32_e32 v7, v7
	s_delay_alu instid0(VALU_DEP_2) | instskip(SKIP_1) | instid1(VALU_DEP_2)
	v_ldexp_f32 v9, v9, v13
	v_ldexp_f32 v8, v8, v13
	v_add_f32_e32 v19, 1.0, v9
	s_delay_alu instid0(VALU_DEP_1) | instskip(NEXT) | instid1(VALU_DEP_1)
	v_add_f32_e32 v14, -1.0, v19
	v_dual_sub_f32 v14, v9, v14 :: v_dual_add_f32 v13, -1.0, v9
	s_delay_alu instid0(VALU_DEP_1) | instskip(NEXT) | instid1(VALU_DEP_2)
	v_add_f32_e32 v14, v8, v14
	v_add_f32_e32 v20, 1.0, v13
	s_delay_alu instid0(VALU_DEP_1) | instskip(NEXT) | instid1(VALU_DEP_1)
	v_dual_sub_f32 v9, v9, v20 :: v_dual_add_f32 v20, v19, v14
	v_dual_add_f32 v8, v8, v9 :: v_dual_sub_f32 v19, v19, v20
	v_rcp_f32_e32 v9, v20
	s_delay_alu instid0(VALU_DEP_1)
	v_add_f32_e32 v22, v13, v8
	s_delay_alu instid0(TRANS32_DEP_1) | instid1(VALU_DEP_1)
	v_mul_f32_e32 v23, v22, v9
	s_delay_alu instid0(VALU_DEP_1) | instskip(SKIP_1) | instid1(VALU_DEP_2)
	v_mul_f32_e32 v24, v20, v23
	v_add_f32_e32 v14, v14, v19
	v_fma_f32 v19, v23, v20, -v24
	s_delay_alu instid0(VALU_DEP_1) | instskip(NEXT) | instid1(VALU_DEP_1)
	v_fmac_f32_e32 v19, v23, v14
	v_add_f32_e32 v25, v24, v19
	v_sub_f32_e32 v13, v13, v22
	s_delay_alu instid0(VALU_DEP_1) | instskip(NEXT) | instid1(VALU_DEP_1)
	v_dual_add_f32 v8, v8, v13 :: v_dual_sub_f32 v13, v25, v24
	v_dual_sub_f32 v26, v22, v25 :: v_dual_sub_f32 v13, v13, v19
	s_delay_alu instid0(VALU_DEP_1) | instskip(NEXT) | instid1(VALU_DEP_1)
	v_sub_f32_e32 v22, v22, v26
	v_sub_f32_e32 v22, v22, v25
	s_delay_alu instid0(VALU_DEP_1) | instskip(NEXT) | instid1(VALU_DEP_1)
	v_add_f32_e32 v8, v8, v22
	v_add_f32_e32 v8, v13, v8
	s_delay_alu instid0(VALU_DEP_1) | instskip(NEXT) | instid1(VALU_DEP_1)
	v_add_f32_e32 v13, v26, v8
	v_mul_f32_e32 v19, v9, v13
	s_delay_alu instid0(VALU_DEP_1) | instskip(NEXT) | instid1(VALU_DEP_1)
	v_dual_mul_f32 v22, v20, v19 :: v_dual_sub_f32 v25, v26, v13
	v_fma_f32 v20, v19, v20, -v22
	s_delay_alu instid0(VALU_DEP_2) | instskip(NEXT) | instid1(VALU_DEP_2)
	v_add_f32_e32 v8, v8, v25
	v_fmac_f32_e32 v20, v19, v14
	s_delay_alu instid0(VALU_DEP_1) | instskip(NEXT) | instid1(VALU_DEP_1)
	v_add_f32_e32 v14, v22, v20
	v_sub_f32_e32 v24, v13, v14
	s_delay_alu instid0(VALU_DEP_1) | instskip(NEXT) | instid1(VALU_DEP_1)
	v_sub_f32_e32 v13, v13, v24
	v_sub_f32_e32 v13, v13, v14
	s_delay_alu instid0(VALU_DEP_1) | instskip(SKIP_1) | instid1(VALU_DEP_1)
	v_dual_add_f32 v8, v8, v13 :: v_dual_add_f32 v13, v23, v19
	v_sub_f32_e32 v22, v14, v22
	v_sub_f32_e32 v14, v22, v20
	s_delay_alu instid0(VALU_DEP_1) | instskip(NEXT) | instid1(VALU_DEP_4)
	v_add_f32_e32 v8, v14, v8
	v_sub_f32_e32 v14, v13, v23
	s_delay_alu instid0(VALU_DEP_2) | instskip(NEXT) | instid1(VALU_DEP_2)
	v_add_f32_e32 v8, v24, v8
	v_sub_f32_e32 v14, v19, v14
	s_delay_alu instid0(VALU_DEP_2) | instskip(NEXT) | instid1(VALU_DEP_1)
	v_mul_f32_e32 v8, v9, v8
	v_add_f32_e32 v8, v14, v8
	s_delay_alu instid0(VALU_DEP_1) | instskip(NEXT) | instid1(VALU_DEP_1)
	v_add_f32_e32 v9, v13, v8
	v_mul_f32_e32 v14, v9, v9
	s_wait_alu 0xfffe
	s_delay_alu instid0(VALU_DEP_1) | instskip(SKIP_1) | instid1(VALU_DEP_2)
	v_fmaak_f32 v19, s7, v14, 0x3ecc95a3
	v_mul_f32_e32 v20, v9, v14
	v_fmaak_f32 v14, v14, v19, 0x3f2aaada
	v_ldexp_f32 v19, v9, 1
	s_delay_alu instid0(VALU_DEP_2) | instskip(NEXT) | instid1(VALU_DEP_1)
	v_dual_sub_f32 v9, v9, v13 :: v_dual_mul_f32 v14, v20, v14
	v_dual_sub_f32 v8, v8, v9 :: v_dual_add_f32 v13, v19, v14
	s_delay_alu instid0(VALU_DEP_1) | instskip(NEXT) | instid1(VALU_DEP_2)
	v_ldexp_f32 v8, v8, 1
	v_sub_f32_e32 v9, v13, v19
	s_delay_alu instid0(VALU_DEP_1) | instskip(NEXT) | instid1(VALU_DEP_1)
	v_sub_f32_e32 v9, v14, v9
	v_add_f32_e32 v8, v8, v9
	s_delay_alu instid0(VALU_DEP_1) | instskip(NEXT) | instid1(VALU_DEP_1)
	v_add_f32_e32 v14, v13, v8
	v_dual_mul_f32 v20, 0x3f317218, v7 :: v_dual_sub_f32 v13, v14, v13
	s_delay_alu instid0(VALU_DEP_1) | instskip(NEXT) | instid1(VALU_DEP_1)
	v_fma_f32 v19, 0x3f317218, v7, -v20
	v_dual_sub_f32 v8, v8, v13 :: v_dual_fmamk_f32 v7, v7, 0xb102e308, v19
	s_delay_alu instid0(VALU_DEP_1) | instskip(NEXT) | instid1(VALU_DEP_1)
	v_add_f32_e32 v9, v20, v7
	v_add_f32_e32 v19, v9, v14
	s_delay_alu instid0(VALU_DEP_1) | instskip(NEXT) | instid1(VALU_DEP_1)
	v_sub_f32_e32 v22, v19, v9
	v_sub_f32_e32 v23, v19, v22
	v_dual_sub_f32 v13, v14, v22 :: v_dual_sub_f32 v20, v9, v20
	s_delay_alu instid0(VALU_DEP_2) | instskip(NEXT) | instid1(VALU_DEP_2)
	v_sub_f32_e32 v9, v9, v23
	v_sub_f32_e32 v7, v7, v20
	s_delay_alu instid0(VALU_DEP_1) | instskip(NEXT) | instid1(VALU_DEP_1)
	v_dual_add_f32 v9, v13, v9 :: v_dual_add_f32 v14, v7, v8
	v_sub_f32_e32 v13, v14, v7
	s_delay_alu instid0(VALU_DEP_2) | instskip(NEXT) | instid1(VALU_DEP_2)
	v_add_f32_e32 v9, v14, v9
	v_sub_f32_e32 v14, v14, v13
	s_delay_alu instid0(VALU_DEP_2) | instskip(NEXT) | instid1(VALU_DEP_2)
	v_add_f32_e32 v20, v19, v9
	v_dual_sub_f32 v8, v8, v13 :: v_dual_sub_f32 v7, v7, v14
	s_delay_alu instid0(VALU_DEP_2) | instskip(NEXT) | instid1(VALU_DEP_1)
	v_sub_f32_e32 v13, v20, v19
	v_dual_add_f32 v7, v8, v7 :: v_dual_sub_f32 v8, v9, v13
	s_delay_alu instid0(VALU_DEP_1) | instskip(NEXT) | instid1(VALU_DEP_1)
	v_add_f32_e32 v7, v7, v8
	v_add_f32_e32 v7, v20, v7
	s_wait_alu 0xfffd
	s_delay_alu instid0(VALU_DEP_1) | instskip(SKIP_2) | instid1(VALU_DEP_2)
	v_cndmask_b32_e32 v7, 0x7f800000, v7, vcc_lo
	v_cmp_gt_f32_e64 vcc_lo, 0x33800000, |v5|
	s_wait_alu 0xfffd
	v_cndmask_b32_e32 v5, v7, v5, vcc_lo
	s_delay_alu instid0(VALU_DEP_1)
	v_add_f32_e32 v5, v6, v5
.LBB158_27:
	s_wait_alu 0xfffe
	s_or_b32 exec_lo, exec_lo, s6
	s_delay_alu instid0(VALU_DEP_1) | instskip(SKIP_2) | instid1(VALU_DEP_3)
	v_dual_max_num_f32 v19, v11, v11 :: v_dual_max_num_f32 v6, v5, v5
	v_cmp_u_f32_e32 vcc_lo, v5, v5
	v_cmp_u_f32_e64 s6, v11, v11
	v_min_num_f32_e32 v7, v6, v19
	s_wait_alu 0xfffd
	s_delay_alu instid0(VALU_DEP_1) | instskip(NEXT) | instid1(VALU_DEP_1)
	v_dual_max_num_f32 v6, v6, v19 :: v_dual_cndmask_b32 v7, v7, v5
	v_cndmask_b32_e32 v6, v6, v5, vcc_lo
	s_wait_alu 0xf1ff
	s_delay_alu instid0(VALU_DEP_2) | instskip(NEXT) | instid1(VALU_DEP_2)
	v_cndmask_b32_e64 v7, v7, v11, s6
	v_cndmask_b32_e64 v6, v6, v11, s6
	s_delay_alu instid0(VALU_DEP_2) | instskip(NEXT) | instid1(VALU_DEP_2)
	v_cmp_class_f32_e64 s7, v7, 0x1f8
	v_cmp_neq_f32_e32 vcc_lo, v7, v6
	s_or_b32 s9, vcc_lo, s7
	s_wait_alu 0xfffe
	s_and_saveexec_b32 s7, s9
	s_cbranch_execz .LBB158_29
; %bb.28:
	v_sub_f32_e32 v5, v7, v6
	s_mov_b32 s9, 0x3e9b6dac
	s_delay_alu instid0(VALU_DEP_1) | instskip(SKIP_1) | instid1(VALU_DEP_2)
	v_mul_f32_e32 v7, 0x3fb8aa3b, v5
	v_cmp_ngt_f32_e32 vcc_lo, 0xc2ce8ed0, v5
	v_fma_f32 v8, 0x3fb8aa3b, v5, -v7
	v_rndne_f32_e32 v9, v7
	s_delay_alu instid0(VALU_DEP_1) | instskip(NEXT) | instid1(VALU_DEP_1)
	v_dual_fmamk_f32 v8, v5, 0x32a5705f, v8 :: v_dual_sub_f32 v7, v7, v9
	v_add_f32_e32 v7, v7, v8
	v_cvt_i32_f32_e32 v8, v9
	s_delay_alu instid0(VALU_DEP_2) | instskip(NEXT) | instid1(TRANS32_DEP_1)
	v_exp_f32_e32 v7, v7
	v_ldexp_f32 v7, v7, v8
	s_wait_alu 0xfffd
	s_delay_alu instid0(VALU_DEP_1) | instskip(SKIP_2) | instid1(VALU_DEP_2)
	v_cndmask_b32_e32 v7, 0, v7, vcc_lo
	v_cmp_nlt_f32_e32 vcc_lo, 0x42b17218, v5
	s_wait_alu 0xfffd
	v_cndmask_b32_e32 v5, 0x7f800000, v7, vcc_lo
	s_delay_alu instid0(VALU_DEP_1) | instskip(NEXT) | instid1(VALU_DEP_1)
	v_add_f32_e32 v9, 1.0, v5
	v_cvt_f64_f32_e32 v[7:8], v9
	s_delay_alu instid0(VALU_DEP_1) | instskip(SKIP_1) | instid1(VALU_DEP_1)
	v_frexp_exp_i32_f64_e32 v7, v[7:8]
	v_frexp_mant_f32_e32 v8, v9
	v_cmp_gt_f32_e32 vcc_lo, 0x3f2aaaab, v8
	v_add_f32_e32 v8, -1.0, v9
	s_delay_alu instid0(VALU_DEP_1) | instskip(NEXT) | instid1(VALU_DEP_1)
	v_sub_f32_e32 v14, v8, v9
	v_add_f32_e32 v14, 1.0, v14
	s_wait_alu 0xfffd
	v_subrev_co_ci_u32_e64 v7, null, 0, v7, vcc_lo
	s_delay_alu instid0(VALU_DEP_1) | instskip(SKIP_1) | instid1(VALU_DEP_2)
	v_sub_nc_u32_e32 v13, 0, v7
	v_cvt_f32_i32_e32 v7, v7
	v_ldexp_f32 v9, v9, v13
	s_delay_alu instid0(VALU_DEP_1) | instskip(SKIP_2) | instid1(VALU_DEP_2)
	v_add_f32_e32 v20, 1.0, v9
	v_sub_f32_e32 v8, v5, v8
	v_cmp_neq_f32_e32 vcc_lo, 0x7f800000, v5
	v_add_f32_e32 v8, v8, v14
	s_delay_alu instid0(VALU_DEP_4) | instskip(NEXT) | instid1(VALU_DEP_2)
	v_add_f32_e32 v14, -1.0, v20
	v_ldexp_f32 v8, v8, v13
	s_delay_alu instid0(VALU_DEP_2) | instskip(NEXT) | instid1(VALU_DEP_1)
	v_dual_add_f32 v13, -1.0, v9 :: v_dual_sub_f32 v14, v9, v14
	v_add_f32_e32 v22, 1.0, v13
	s_delay_alu instid0(VALU_DEP_2) | instskip(NEXT) | instid1(VALU_DEP_2)
	v_add_f32_e32 v14, v8, v14
	v_sub_f32_e32 v9, v9, v22
	s_delay_alu instid0(VALU_DEP_1) | instskip(NEXT) | instid1(VALU_DEP_1)
	v_add_f32_e32 v8, v8, v9
	v_add_f32_e32 v23, v13, v8
	s_delay_alu instid0(VALU_DEP_1) | instskip(NEXT) | instid1(VALU_DEP_1)
	v_dual_sub_f32 v13, v13, v23 :: v_dual_add_f32 v22, v20, v14
	v_rcp_f32_e32 v9, v22
	s_delay_alu instid0(TRANS32_DEP_1) | instskip(NEXT) | instid1(VALU_DEP_1)
	v_mul_f32_e32 v24, v23, v9
	v_dual_mul_f32 v25, v22, v24 :: v_dual_sub_f32 v20, v20, v22
	s_delay_alu instid0(VALU_DEP_1) | instskip(NEXT) | instid1(VALU_DEP_2)
	v_add_f32_e32 v14, v14, v20
	v_fma_f32 v20, v24, v22, -v25
	s_delay_alu instid0(VALU_DEP_1) | instskip(NEXT) | instid1(VALU_DEP_1)
	v_fmac_f32_e32 v20, v24, v14
	v_add_f32_e32 v26, v25, v20
	s_delay_alu instid0(VALU_DEP_1) | instskip(NEXT) | instid1(VALU_DEP_1)
	v_sub_f32_e32 v27, v23, v26
	v_dual_sub_f32 v23, v23, v27 :: v_dual_add_f32 v8, v8, v13
	v_sub_f32_e32 v13, v26, v25
	s_delay_alu instid0(VALU_DEP_2) | instskip(NEXT) | instid1(VALU_DEP_1)
	v_sub_f32_e32 v23, v23, v26
	v_dual_sub_f32 v13, v13, v20 :: v_dual_add_f32 v8, v8, v23
	s_delay_alu instid0(VALU_DEP_1) | instskip(NEXT) | instid1(VALU_DEP_1)
	v_add_f32_e32 v8, v13, v8
	v_add_f32_e32 v13, v27, v8
	s_delay_alu instid0(VALU_DEP_1) | instskip(NEXT) | instid1(VALU_DEP_1)
	v_mul_f32_e32 v20, v9, v13
	v_dual_sub_f32 v26, v27, v13 :: v_dual_mul_f32 v23, v22, v20
	s_delay_alu instid0(VALU_DEP_1) | instskip(NEXT) | instid1(VALU_DEP_2)
	v_add_f32_e32 v8, v8, v26
	v_fma_f32 v22, v20, v22, -v23
	s_delay_alu instid0(VALU_DEP_1) | instskip(NEXT) | instid1(VALU_DEP_1)
	v_fmac_f32_e32 v22, v20, v14
	v_add_f32_e32 v14, v23, v22
	s_delay_alu instid0(VALU_DEP_1) | instskip(NEXT) | instid1(VALU_DEP_1)
	v_sub_f32_e32 v25, v13, v14
	v_sub_f32_e32 v13, v13, v25
	s_delay_alu instid0(VALU_DEP_1) | instskip(NEXT) | instid1(VALU_DEP_1)
	v_sub_f32_e32 v13, v13, v14
	v_add_f32_e32 v8, v8, v13
	v_add_f32_e32 v13, v24, v20
	v_sub_f32_e32 v23, v14, v23
	s_delay_alu instid0(VALU_DEP_1) | instskip(NEXT) | instid1(VALU_DEP_1)
	v_sub_f32_e32 v14, v23, v22
	v_add_f32_e32 v8, v14, v8
	s_delay_alu instid0(VALU_DEP_4) | instskip(NEXT) | instid1(VALU_DEP_2)
	v_sub_f32_e32 v14, v13, v24
	v_add_f32_e32 v8, v25, v8
	s_delay_alu instid0(VALU_DEP_2) | instskip(NEXT) | instid1(VALU_DEP_2)
	v_sub_f32_e32 v14, v20, v14
	v_mul_f32_e32 v8, v9, v8
	s_delay_alu instid0(VALU_DEP_1) | instskip(NEXT) | instid1(VALU_DEP_1)
	v_add_f32_e32 v8, v14, v8
	v_add_f32_e32 v9, v13, v8
	s_delay_alu instid0(VALU_DEP_1) | instskip(SKIP_1) | instid1(VALU_DEP_1)
	v_mul_f32_e32 v14, v9, v9
	s_wait_alu 0xfffe
	v_fmaak_f32 v20, s9, v14, 0x3ecc95a3
	v_mul_f32_e32 v22, v9, v14
	s_delay_alu instid0(VALU_DEP_2) | instskip(SKIP_1) | instid1(VALU_DEP_2)
	v_fmaak_f32 v14, v14, v20, 0x3f2aaada
	v_ldexp_f32 v20, v9, 1
	v_dual_sub_f32 v9, v9, v13 :: v_dual_mul_f32 v14, v22, v14
	v_mul_f32_e32 v22, 0x3f317218, v7
	s_delay_alu instid0(VALU_DEP_2) | instskip(NEXT) | instid1(VALU_DEP_3)
	v_sub_f32_e32 v8, v8, v9
	v_add_f32_e32 v13, v20, v14
	s_delay_alu instid0(VALU_DEP_2) | instskip(NEXT) | instid1(VALU_DEP_2)
	v_ldexp_f32 v8, v8, 1
	v_sub_f32_e32 v9, v13, v20
	v_fma_f32 v20, 0x3f317218, v7, -v22
	s_delay_alu instid0(VALU_DEP_2) | instskip(NEXT) | instid1(VALU_DEP_1)
	v_sub_f32_e32 v9, v14, v9
	v_dual_fmamk_f32 v7, v7, 0xb102e308, v20 :: v_dual_add_f32 v8, v8, v9
	s_delay_alu instid0(VALU_DEP_1) | instskip(NEXT) | instid1(VALU_DEP_1)
	v_dual_add_f32 v9, v22, v7 :: v_dual_add_f32 v14, v13, v8
	v_sub_f32_e32 v22, v9, v22
	s_delay_alu instid0(VALU_DEP_2) | instskip(NEXT) | instid1(VALU_DEP_2)
	v_dual_add_f32 v20, v9, v14 :: v_dual_sub_f32 v13, v14, v13
	v_sub_f32_e32 v7, v7, v22
	s_delay_alu instid0(VALU_DEP_2) | instskip(NEXT) | instid1(VALU_DEP_3)
	v_sub_f32_e32 v23, v20, v9
	v_sub_f32_e32 v8, v8, v13
	s_delay_alu instid0(VALU_DEP_2) | instskip(NEXT) | instid1(VALU_DEP_2)
	v_sub_f32_e32 v24, v20, v23
	v_dual_sub_f32 v13, v14, v23 :: v_dual_add_f32 v14, v7, v8
	s_delay_alu instid0(VALU_DEP_2) | instskip(NEXT) | instid1(VALU_DEP_1)
	v_sub_f32_e32 v9, v9, v24
	v_add_f32_e32 v9, v13, v9
	s_delay_alu instid0(VALU_DEP_3) | instskip(NEXT) | instid1(VALU_DEP_2)
	v_sub_f32_e32 v13, v14, v7
	v_add_f32_e32 v9, v14, v9
	s_delay_alu instid0(VALU_DEP_2) | instskip(SKIP_1) | instid1(VALU_DEP_2)
	v_sub_f32_e32 v14, v14, v13
	v_sub_f32_e32 v8, v8, v13
	v_dual_add_f32 v22, v20, v9 :: v_dual_sub_f32 v7, v7, v14
	s_delay_alu instid0(VALU_DEP_1) | instskip(NEXT) | instid1(VALU_DEP_1)
	v_sub_f32_e32 v13, v22, v20
	v_dual_add_f32 v7, v8, v7 :: v_dual_sub_f32 v8, v9, v13
	s_delay_alu instid0(VALU_DEP_1) | instskip(NEXT) | instid1(VALU_DEP_1)
	v_add_f32_e32 v7, v7, v8
	v_add_f32_e32 v7, v22, v7
	s_wait_alu 0xfffd
	s_delay_alu instid0(VALU_DEP_1) | instskip(SKIP_2) | instid1(VALU_DEP_2)
	v_cndmask_b32_e32 v7, 0x7f800000, v7, vcc_lo
	v_cmp_gt_f32_e64 vcc_lo, 0x33800000, |v5|
	s_wait_alu 0xfffd
	v_cndmask_b32_e32 v5, v7, v5, vcc_lo
	s_delay_alu instid0(VALU_DEP_1)
	v_add_f32_e32 v5, v6, v5
.LBB158_29:
	s_wait_alu 0xfffe
	s_or_b32 exec_lo, exec_lo, s7
	s_delay_alu instid0(VALU_DEP_1) | instskip(SKIP_3) | instid1(VALU_DEP_2)
	v_max_num_f32_e32 v6, v5, v5
	v_cmp_u_f32_e32 vcc_lo, v5, v5
	v_max_num_f32_e32 v20, v12, v12
	v_cmp_u_f32_e64 s7, v12, v12
	v_min_num_f32_e32 v7, v6, v20
	s_wait_alu 0xfffd
	s_delay_alu instid0(VALU_DEP_1) | instskip(SKIP_1) | instid1(VALU_DEP_1)
	v_dual_cndmask_b32 v7, v7, v5 :: v_dual_max_num_f32 v6, v6, v20
	s_wait_alu 0xf1ff
	v_cndmask_b32_e64 v7, v7, v12, s7
	s_delay_alu instid0(VALU_DEP_2) | instskip(NEXT) | instid1(VALU_DEP_2)
	v_cndmask_b32_e32 v6, v6, v5, vcc_lo
	v_cmp_class_f32_e64 s9, v7, 0x1f8
	s_delay_alu instid0(VALU_DEP_2) | instskip(NEXT) | instid1(VALU_DEP_1)
	v_cndmask_b32_e64 v6, v6, v12, s7
	v_cmp_neq_f32_e32 vcc_lo, v7, v6
	s_or_b32 s10, vcc_lo, s9
	s_delay_alu instid0(SALU_CYCLE_1)
	s_and_saveexec_b32 s9, s10
	s_cbranch_execz .LBB158_31
; %bb.30:
	v_sub_f32_e32 v5, v7, v6
	s_mov_b32 s10, 0x3e9b6dac
	s_delay_alu instid0(VALU_DEP_1) | instskip(SKIP_1) | instid1(VALU_DEP_2)
	v_mul_f32_e32 v7, 0x3fb8aa3b, v5
	v_cmp_ngt_f32_e32 vcc_lo, 0xc2ce8ed0, v5
	v_fma_f32 v8, 0x3fb8aa3b, v5, -v7
	v_rndne_f32_e32 v9, v7
	s_delay_alu instid0(VALU_DEP_1) | instskip(NEXT) | instid1(VALU_DEP_1)
	v_dual_fmamk_f32 v8, v5, 0x32a5705f, v8 :: v_dual_sub_f32 v7, v7, v9
	v_add_f32_e32 v7, v7, v8
	v_cvt_i32_f32_e32 v8, v9
	s_delay_alu instid0(VALU_DEP_2) | instskip(NEXT) | instid1(TRANS32_DEP_1)
	v_exp_f32_e32 v7, v7
	v_ldexp_f32 v7, v7, v8
	s_wait_alu 0xfffd
	s_delay_alu instid0(VALU_DEP_1) | instskip(SKIP_2) | instid1(VALU_DEP_2)
	v_cndmask_b32_e32 v7, 0, v7, vcc_lo
	v_cmp_nlt_f32_e32 vcc_lo, 0x42b17218, v5
	s_wait_alu 0xfffd
	v_cndmask_b32_e32 v5, 0x7f800000, v7, vcc_lo
	s_delay_alu instid0(VALU_DEP_1) | instskip(NEXT) | instid1(VALU_DEP_1)
	v_add_f32_e32 v9, 1.0, v5
	v_cvt_f64_f32_e32 v[7:8], v9
	s_delay_alu instid0(VALU_DEP_1) | instskip(SKIP_1) | instid1(VALU_DEP_1)
	v_frexp_exp_i32_f64_e32 v7, v[7:8]
	v_frexp_mant_f32_e32 v8, v9
	v_cmp_gt_f32_e32 vcc_lo, 0x3f2aaaab, v8
	v_add_f32_e32 v8, -1.0, v9
	s_delay_alu instid0(VALU_DEP_1) | instskip(NEXT) | instid1(VALU_DEP_1)
	v_sub_f32_e32 v14, v8, v9
	v_add_f32_e32 v14, 1.0, v14
	s_wait_alu 0xfffd
	v_subrev_co_ci_u32_e64 v7, null, 0, v7, vcc_lo
	s_delay_alu instid0(VALU_DEP_1) | instskip(SKIP_1) | instid1(VALU_DEP_2)
	v_sub_nc_u32_e32 v13, 0, v7
	v_cvt_f32_i32_e32 v7, v7
	v_ldexp_f32 v9, v9, v13
	s_delay_alu instid0(VALU_DEP_1) | instskip(SKIP_2) | instid1(VALU_DEP_2)
	v_add_f32_e32 v22, 1.0, v9
	v_sub_f32_e32 v8, v5, v8
	v_cmp_neq_f32_e32 vcc_lo, 0x7f800000, v5
	v_add_f32_e32 v8, v8, v14
	s_delay_alu instid0(VALU_DEP_4) | instskip(NEXT) | instid1(VALU_DEP_2)
	v_add_f32_e32 v14, -1.0, v22
	v_ldexp_f32 v8, v8, v13
	s_delay_alu instid0(VALU_DEP_2) | instskip(NEXT) | instid1(VALU_DEP_1)
	v_dual_add_f32 v13, -1.0, v9 :: v_dual_sub_f32 v14, v9, v14
	v_dual_add_f32 v23, 1.0, v13 :: v_dual_add_f32 v14, v8, v14
	s_delay_alu instid0(VALU_DEP_1) | instskip(NEXT) | instid1(VALU_DEP_1)
	v_sub_f32_e32 v9, v9, v23
	v_dual_add_f32 v23, v22, v14 :: v_dual_add_f32 v8, v8, v9
	s_delay_alu instid0(VALU_DEP_1) | instskip(SKIP_1) | instid1(VALU_DEP_2)
	v_rcp_f32_e32 v9, v23
	v_sub_f32_e32 v22, v22, v23
	v_add_f32_e32 v24, v13, v8
	s_delay_alu instid0(TRANS32_DEP_1) | instid1(VALU_DEP_1)
	v_dual_add_f32 v14, v14, v22 :: v_dual_mul_f32 v25, v24, v9
	s_delay_alu instid0(VALU_DEP_1) | instskip(NEXT) | instid1(VALU_DEP_1)
	v_mul_f32_e32 v26, v23, v25
	v_fma_f32 v22, v25, v23, -v26
	s_delay_alu instid0(VALU_DEP_1) | instskip(NEXT) | instid1(VALU_DEP_1)
	v_fmac_f32_e32 v22, v25, v14
	v_add_f32_e32 v27, v26, v22
	s_delay_alu instid0(VALU_DEP_1) | instskip(NEXT) | instid1(VALU_DEP_1)
	v_dual_sub_f32 v13, v13, v24 :: v_dual_sub_f32 v28, v24, v27
	v_dual_add_f32 v8, v8, v13 :: v_dual_sub_f32 v13, v27, v26
	s_delay_alu instid0(VALU_DEP_1) | instskip(NEXT) | instid1(VALU_DEP_1)
	v_dual_sub_f32 v24, v24, v28 :: v_dual_sub_f32 v13, v13, v22
	v_sub_f32_e32 v24, v24, v27
	s_delay_alu instid0(VALU_DEP_1) | instskip(NEXT) | instid1(VALU_DEP_1)
	v_add_f32_e32 v8, v8, v24
	v_add_f32_e32 v8, v13, v8
	s_delay_alu instid0(VALU_DEP_1) | instskip(NEXT) | instid1(VALU_DEP_1)
	v_add_f32_e32 v13, v28, v8
	v_mul_f32_e32 v22, v9, v13
	s_delay_alu instid0(VALU_DEP_1) | instskip(NEXT) | instid1(VALU_DEP_1)
	v_dual_sub_f32 v27, v28, v13 :: v_dual_mul_f32 v24, v23, v22
	v_add_f32_e32 v8, v8, v27
	s_delay_alu instid0(VALU_DEP_2) | instskip(NEXT) | instid1(VALU_DEP_1)
	v_fma_f32 v23, v22, v23, -v24
	v_fmac_f32_e32 v23, v22, v14
	s_delay_alu instid0(VALU_DEP_1) | instskip(NEXT) | instid1(VALU_DEP_1)
	v_add_f32_e32 v14, v24, v23
	v_sub_f32_e32 v26, v13, v14
	s_delay_alu instid0(VALU_DEP_1) | instskip(NEXT) | instid1(VALU_DEP_1)
	v_sub_f32_e32 v13, v13, v26
	v_sub_f32_e32 v13, v13, v14
	s_delay_alu instid0(VALU_DEP_1) | instskip(SKIP_1) | instid1(VALU_DEP_1)
	v_dual_add_f32 v8, v8, v13 :: v_dual_add_f32 v13, v25, v22
	v_sub_f32_e32 v24, v14, v24
	v_sub_f32_e32 v14, v24, v23
	s_delay_alu instid0(VALU_DEP_1) | instskip(NEXT) | instid1(VALU_DEP_4)
	v_add_f32_e32 v8, v14, v8
	v_sub_f32_e32 v14, v13, v25
	s_delay_alu instid0(VALU_DEP_2) | instskip(NEXT) | instid1(VALU_DEP_2)
	v_add_f32_e32 v8, v26, v8
	v_sub_f32_e32 v14, v22, v14
	s_delay_alu instid0(VALU_DEP_2) | instskip(NEXT) | instid1(VALU_DEP_1)
	v_mul_f32_e32 v8, v9, v8
	v_add_f32_e32 v8, v14, v8
	s_delay_alu instid0(VALU_DEP_1) | instskip(NEXT) | instid1(VALU_DEP_1)
	v_add_f32_e32 v9, v13, v8
	v_mul_f32_e32 v14, v9, v9
	s_delay_alu instid0(VALU_DEP_1) | instskip(SKIP_1) | instid1(VALU_DEP_2)
	v_fmaak_f32 v22, s10, v14, 0x3ecc95a3
	v_mul_f32_e32 v23, v9, v14
	v_fmaak_f32 v14, v14, v22, 0x3f2aaada
	v_ldexp_f32 v22, v9, 1
	s_delay_alu instid0(VALU_DEP_2) | instskip(NEXT) | instid1(VALU_DEP_1)
	v_dual_sub_f32 v9, v9, v13 :: v_dual_mul_f32 v14, v23, v14
	v_dual_mul_f32 v23, 0x3f317218, v7 :: v_dual_sub_f32 v8, v8, v9
	s_delay_alu instid0(VALU_DEP_2) | instskip(NEXT) | instid1(VALU_DEP_2)
	v_add_f32_e32 v13, v22, v14
	v_ldexp_f32 v8, v8, 1
	s_delay_alu instid0(VALU_DEP_2) | instskip(NEXT) | instid1(VALU_DEP_4)
	v_sub_f32_e32 v9, v13, v22
	v_fma_f32 v22, 0x3f317218, v7, -v23
	s_delay_alu instid0(VALU_DEP_2) | instskip(NEXT) | instid1(VALU_DEP_1)
	v_sub_f32_e32 v9, v14, v9
	v_dual_fmamk_f32 v7, v7, 0xb102e308, v22 :: v_dual_add_f32 v8, v8, v9
	s_delay_alu instid0(VALU_DEP_1) | instskip(NEXT) | instid1(VALU_DEP_1)
	v_dual_add_f32 v9, v23, v7 :: v_dual_add_f32 v14, v13, v8
	v_sub_f32_e32 v23, v9, v23
	s_delay_alu instid0(VALU_DEP_2) | instskip(NEXT) | instid1(VALU_DEP_1)
	v_dual_add_f32 v22, v9, v14 :: v_dual_sub_f32 v13, v14, v13
	v_dual_sub_f32 v7, v7, v23 :: v_dual_sub_f32 v24, v22, v9
	s_delay_alu instid0(VALU_DEP_1) | instskip(SKIP_1) | instid1(VALU_DEP_2)
	v_dual_sub_f32 v8, v8, v13 :: v_dual_sub_f32 v25, v22, v24
	v_sub_f32_e32 v13, v14, v24
	v_dual_add_f32 v14, v7, v8 :: v_dual_sub_f32 v9, v9, v25
	s_delay_alu instid0(VALU_DEP_1) | instskip(NEXT) | instid1(VALU_DEP_2)
	v_add_f32_e32 v9, v13, v9
	v_sub_f32_e32 v13, v14, v7
	s_delay_alu instid0(VALU_DEP_2) | instskip(NEXT) | instid1(VALU_DEP_2)
	v_add_f32_e32 v9, v14, v9
	v_sub_f32_e32 v14, v14, v13
	v_sub_f32_e32 v8, v8, v13
	s_delay_alu instid0(VALU_DEP_3) | instskip(NEXT) | instid1(VALU_DEP_3)
	v_add_f32_e32 v23, v22, v9
	v_sub_f32_e32 v7, v7, v14
	s_delay_alu instid0(VALU_DEP_2) | instskip(NEXT) | instid1(VALU_DEP_1)
	v_sub_f32_e32 v13, v23, v22
	v_dual_add_f32 v7, v8, v7 :: v_dual_sub_f32 v8, v9, v13
	s_delay_alu instid0(VALU_DEP_1) | instskip(NEXT) | instid1(VALU_DEP_1)
	v_add_f32_e32 v7, v7, v8
	v_add_f32_e32 v7, v23, v7
	s_wait_alu 0xfffd
	s_delay_alu instid0(VALU_DEP_1) | instskip(SKIP_2) | instid1(VALU_DEP_2)
	v_cndmask_b32_e32 v7, 0x7f800000, v7, vcc_lo
	v_cmp_gt_f32_e64 vcc_lo, 0x33800000, |v5|
	s_wait_alu 0xfffd
	v_cndmask_b32_e32 v5, v7, v5, vcc_lo
	s_delay_alu instid0(VALU_DEP_1)
	v_add_f32_e32 v5, v6, v5
.LBB158_31:
	s_wait_alu 0xfffe
	s_or_b32 exec_lo, exec_lo, s9
	v_mbcnt_lo_u32_b32 v22, -1, 0
	s_delay_alu instid0(VALU_DEP_2) | instskip(SKIP_1) | instid1(VALU_DEP_2)
	v_mov_b32_dpp v7, v5 row_shr:1 row_mask:0xf bank_mask:0xf
	s_mov_b32 s9, exec_lo
	v_and_b32_e32 v6, 15, v22
	s_delay_alu instid0(VALU_DEP_1)
	v_cmpx_ne_u32_e32 0, v6
	s_cbranch_execz .LBB158_35
; %bb.32:
	v_dual_max_num_f32 v8, v5, v5 :: v_dual_max_num_f32 v9, v7, v7
	v_cmp_u_f32_e32 vcc_lo, v7, v7
	s_delay_alu instid0(VALU_DEP_2) | instskip(SKIP_2) | instid1(VALU_DEP_2)
	v_min_num_f32_e32 v13, v9, v8
	v_max_num_f32_e32 v8, v9, v8
	s_wait_alu 0xfffd
	v_cndmask_b32_e32 v9, v13, v7, vcc_lo
	s_delay_alu instid0(VALU_DEP_2) | instskip(SKIP_2) | instid1(VALU_DEP_3)
	v_cndmask_b32_e32 v13, v8, v7, vcc_lo
	v_cmp_u_f32_e32 vcc_lo, v5, v5
	s_wait_alu 0xfffd
	v_cndmask_b32_e32 v8, v9, v5, vcc_lo
	s_delay_alu instid0(VALU_DEP_3) | instskip(NEXT) | instid1(VALU_DEP_2)
	v_cndmask_b32_e32 v5, v13, v5, vcc_lo
	v_cmp_class_f32_e64 s10, v8, 0x1f8
	s_delay_alu instid0(VALU_DEP_2) | instskip(SKIP_1) | instid1(SALU_CYCLE_1)
	v_cmp_neq_f32_e32 vcc_lo, v8, v5
	s_or_b32 s26, vcc_lo, s10
	s_and_saveexec_b32 s10, s26
	s_cbranch_execz .LBB158_34
; %bb.33:
	v_sub_f32_e32 v7, v8, v5
	s_mov_b32 s26, 0x3e9b6dac
	s_delay_alu instid0(VALU_DEP_1) | instskip(SKIP_1) | instid1(VALU_DEP_2)
	v_mul_f32_e32 v8, 0x3fb8aa3b, v7
	v_cmp_ngt_f32_e32 vcc_lo, 0xc2ce8ed0, v7
	v_fma_f32 v9, 0x3fb8aa3b, v7, -v8
	v_rndne_f32_e32 v13, v8
	s_delay_alu instid0(VALU_DEP_1) | instskip(NEXT) | instid1(VALU_DEP_1)
	v_dual_fmamk_f32 v9, v7, 0x32a5705f, v9 :: v_dual_sub_f32 v8, v8, v13
	v_add_f32_e32 v8, v8, v9
	v_cvt_i32_f32_e32 v9, v13
	s_delay_alu instid0(VALU_DEP_2) | instskip(NEXT) | instid1(TRANS32_DEP_1)
	v_exp_f32_e32 v8, v8
	v_ldexp_f32 v8, v8, v9
	s_wait_alu 0xfffd
	s_delay_alu instid0(VALU_DEP_1) | instskip(SKIP_2) | instid1(VALU_DEP_2)
	v_cndmask_b32_e32 v8, 0, v8, vcc_lo
	v_cmp_nlt_f32_e32 vcc_lo, 0x42b17218, v7
	s_wait_alu 0xfffd
	v_cndmask_b32_e32 v9, 0x7f800000, v8, vcc_lo
	s_delay_alu instid0(VALU_DEP_1) | instskip(NEXT) | instid1(VALU_DEP_1)
	v_add_f32_e32 v13, 1.0, v9
	v_cvt_f64_f32_e32 v[7:8], v13
	s_delay_alu instid0(VALU_DEP_1) | instskip(SKIP_1) | instid1(VALU_DEP_1)
	v_frexp_exp_i32_f64_e32 v7, v[7:8]
	v_frexp_mant_f32_e32 v8, v13
	v_cmp_gt_f32_e32 vcc_lo, 0x3f2aaaab, v8
	v_add_f32_e32 v8, -1.0, v13
	s_delay_alu instid0(VALU_DEP_1) | instskip(NEXT) | instid1(VALU_DEP_1)
	v_dual_sub_f32 v23, v8, v13 :: v_dual_sub_f32 v8, v9, v8
	v_add_f32_e32 v23, 1.0, v23
	s_wait_alu 0xfffd
	v_subrev_co_ci_u32_e64 v7, null, 0, v7, vcc_lo
	v_cmp_neq_f32_e32 vcc_lo, 0x7f800000, v9
	s_delay_alu instid0(VALU_DEP_2) | instskip(SKIP_1) | instid1(VALU_DEP_2)
	v_sub_nc_u32_e32 v14, 0, v7
	v_cvt_f32_i32_e32 v7, v7
	v_ldexp_f32 v13, v13, v14
	s_delay_alu instid0(VALU_DEP_1) | instskip(NEXT) | instid1(VALU_DEP_1)
	v_add_f32_e32 v24, 1.0, v13
	v_dual_add_f32 v8, v8, v23 :: v_dual_add_f32 v23, -1.0, v24
	s_delay_alu instid0(VALU_DEP_1) | instskip(NEXT) | instid1(VALU_DEP_2)
	v_ldexp_f32 v8, v8, v14
	v_dual_sub_f32 v23, v13, v23 :: v_dual_add_f32 v14, -1.0, v13
	s_delay_alu instid0(VALU_DEP_1) | instskip(NEXT) | instid1(VALU_DEP_2)
	v_add_f32_e32 v23, v8, v23
	v_add_f32_e32 v25, 1.0, v14
	s_delay_alu instid0(VALU_DEP_1) | instskip(NEXT) | instid1(VALU_DEP_1)
	v_sub_f32_e32 v13, v13, v25
	v_add_f32_e32 v8, v8, v13
	s_delay_alu instid0(VALU_DEP_1) | instskip(NEXT) | instid1(VALU_DEP_1)
	v_dual_add_f32 v26, v14, v8 :: v_dual_add_f32 v25, v24, v23
	v_sub_f32_e32 v14, v14, v26
	s_delay_alu instid0(VALU_DEP_2) | instskip(SKIP_1) | instid1(VALU_DEP_1)
	v_rcp_f32_e32 v13, v25
	v_sub_f32_e32 v24, v24, v25
	v_dual_add_f32 v8, v8, v14 :: v_dual_add_f32 v23, v23, v24
	s_delay_alu instid0(TRANS32_DEP_1) | instskip(NEXT) | instid1(VALU_DEP_1)
	v_mul_f32_e32 v27, v26, v13
	v_mul_f32_e32 v28, v25, v27
	s_delay_alu instid0(VALU_DEP_1) | instskip(NEXT) | instid1(VALU_DEP_1)
	v_fma_f32 v24, v27, v25, -v28
	v_fmac_f32_e32 v24, v27, v23
	s_delay_alu instid0(VALU_DEP_1) | instskip(NEXT) | instid1(VALU_DEP_1)
	v_add_f32_e32 v29, v28, v24
	v_sub_f32_e32 v30, v26, v29
	s_delay_alu instid0(VALU_DEP_1) | instskip(SKIP_1) | instid1(VALU_DEP_2)
	v_sub_f32_e32 v26, v26, v30
	v_sub_f32_e32 v14, v29, v28
	;; [unrolled: 1-line block ×3, first 2 shown]
	s_delay_alu instid0(VALU_DEP_2) | instskip(NEXT) | instid1(VALU_DEP_2)
	v_sub_f32_e32 v14, v14, v24
	v_add_f32_e32 v8, v8, v26
	s_delay_alu instid0(VALU_DEP_1) | instskip(NEXT) | instid1(VALU_DEP_1)
	v_add_f32_e32 v8, v14, v8
	v_add_f32_e32 v14, v30, v8
	s_delay_alu instid0(VALU_DEP_1) | instskip(NEXT) | instid1(VALU_DEP_1)
	v_mul_f32_e32 v24, v13, v14
	v_dual_sub_f32 v29, v30, v14 :: v_dual_mul_f32 v26, v25, v24
	s_delay_alu instid0(VALU_DEP_1) | instskip(NEXT) | instid1(VALU_DEP_2)
	v_add_f32_e32 v8, v8, v29
	v_fma_f32 v25, v24, v25, -v26
	s_delay_alu instid0(VALU_DEP_1) | instskip(NEXT) | instid1(VALU_DEP_1)
	v_fmac_f32_e32 v25, v24, v23
	v_add_f32_e32 v23, v26, v25
	s_delay_alu instid0(VALU_DEP_1) | instskip(SKIP_1) | instid1(VALU_DEP_2)
	v_sub_f32_e32 v28, v14, v23
	v_sub_f32_e32 v26, v23, v26
	v_sub_f32_e32 v14, v14, v28
	s_delay_alu instid0(VALU_DEP_1) | instskip(NEXT) | instid1(VALU_DEP_1)
	v_sub_f32_e32 v14, v14, v23
	v_dual_sub_f32 v23, v26, v25 :: v_dual_add_f32 v8, v8, v14
	v_add_f32_e32 v14, v27, v24
	s_delay_alu instid0(VALU_DEP_1) | instskip(NEXT) | instid1(VALU_DEP_1)
	v_dual_add_f32 v8, v23, v8 :: v_dual_sub_f32 v23, v14, v27
	v_add_f32_e32 v8, v28, v8
	s_delay_alu instid0(VALU_DEP_1) | instskip(NEXT) | instid1(VALU_DEP_1)
	v_dual_sub_f32 v23, v24, v23 :: v_dual_mul_f32 v8, v13, v8
	v_add_f32_e32 v8, v23, v8
	s_delay_alu instid0(VALU_DEP_1) | instskip(NEXT) | instid1(VALU_DEP_1)
	v_add_f32_e32 v13, v14, v8
	v_mul_f32_e32 v23, v13, v13
	s_delay_alu instid0(VALU_DEP_1) | instskip(SKIP_1) | instid1(VALU_DEP_2)
	v_fmaak_f32 v24, s26, v23, 0x3ecc95a3
	v_mul_f32_e32 v25, v13, v23
	v_fmaak_f32 v23, v23, v24, 0x3f2aaada
	v_ldexp_f32 v24, v13, 1
	v_sub_f32_e32 v13, v13, v14
	s_delay_alu instid0(VALU_DEP_3) | instskip(NEXT) | instid1(VALU_DEP_2)
	v_mul_f32_e32 v23, v25, v23
	v_dual_mul_f32 v25, 0x3f317218, v7 :: v_dual_sub_f32 v8, v8, v13
	s_delay_alu instid0(VALU_DEP_2) | instskip(NEXT) | instid1(VALU_DEP_2)
	v_add_f32_e32 v14, v24, v23
	v_ldexp_f32 v8, v8, 1
	s_delay_alu instid0(VALU_DEP_2) | instskip(NEXT) | instid1(VALU_DEP_4)
	v_sub_f32_e32 v13, v14, v24
	v_fma_f32 v24, 0x3f317218, v7, -v25
	s_delay_alu instid0(VALU_DEP_2) | instskip(NEXT) | instid1(VALU_DEP_1)
	v_sub_f32_e32 v13, v23, v13
	v_dual_fmamk_f32 v7, v7, 0xb102e308, v24 :: v_dual_add_f32 v8, v8, v13
	s_delay_alu instid0(VALU_DEP_1) | instskip(NEXT) | instid1(VALU_DEP_2)
	v_add_f32_e32 v13, v25, v7
	v_add_f32_e32 v23, v14, v8
	s_delay_alu instid0(VALU_DEP_2) | instskip(NEXT) | instid1(VALU_DEP_2)
	v_sub_f32_e32 v25, v13, v25
	v_add_f32_e32 v24, v13, v23
	v_sub_f32_e32 v14, v23, v14
	s_delay_alu instid0(VALU_DEP_3) | instskip(NEXT) | instid1(VALU_DEP_3)
	v_sub_f32_e32 v7, v7, v25
	v_sub_f32_e32 v26, v24, v13
	s_delay_alu instid0(VALU_DEP_3) | instskip(NEXT) | instid1(VALU_DEP_2)
	v_sub_f32_e32 v8, v8, v14
	v_sub_f32_e32 v27, v24, v26
	;; [unrolled: 1-line block ×3, first 2 shown]
	s_delay_alu instid0(VALU_DEP_3) | instskip(NEXT) | instid1(VALU_DEP_3)
	v_add_f32_e32 v23, v7, v8
	v_sub_f32_e32 v13, v13, v27
	s_delay_alu instid0(VALU_DEP_1) | instskip(NEXT) | instid1(VALU_DEP_1)
	v_dual_add_f32 v13, v14, v13 :: v_dual_sub_f32 v14, v23, v7
	v_add_f32_e32 v13, v23, v13
	s_delay_alu instid0(VALU_DEP_2) | instskip(SKIP_1) | instid1(VALU_DEP_3)
	v_sub_f32_e32 v23, v23, v14
	v_sub_f32_e32 v8, v8, v14
	v_add_f32_e32 v25, v24, v13
	s_delay_alu instid0(VALU_DEP_1) | instskip(NEXT) | instid1(VALU_DEP_1)
	v_dual_sub_f32 v7, v7, v23 :: v_dual_sub_f32 v14, v25, v24
	v_dual_add_f32 v7, v8, v7 :: v_dual_sub_f32 v8, v13, v14
	s_delay_alu instid0(VALU_DEP_1) | instskip(NEXT) | instid1(VALU_DEP_1)
	v_add_f32_e32 v7, v7, v8
	v_add_f32_e32 v7, v25, v7
	s_wait_alu 0xfffd
	s_delay_alu instid0(VALU_DEP_1) | instskip(SKIP_2) | instid1(VALU_DEP_2)
	v_cndmask_b32_e32 v7, 0x7f800000, v7, vcc_lo
	v_cmp_gt_f32_e64 vcc_lo, 0x33800000, |v9|
	s_wait_alu 0xfffd
	v_cndmask_b32_e32 v7, v7, v9, vcc_lo
	s_delay_alu instid0(VALU_DEP_1)
	v_add_f32_e32 v7, v5, v7
.LBB158_34:
	s_wait_alu 0xfffe
	s_or_b32 exec_lo, exec_lo, s10
	s_delay_alu instid0(VALU_DEP_1)
	v_mov_b32_e32 v5, v7
.LBB158_35:
	s_wait_alu 0xfffe
	s_or_b32 exec_lo, exec_lo, s9
	s_delay_alu instid0(VALU_DEP_1)
	v_mov_b32_dpp v7, v5 row_shr:2 row_mask:0xf bank_mask:0xf
	s_mov_b32 s9, exec_lo
	v_cmpx_lt_u32_e32 1, v6
	s_cbranch_execz .LBB158_39
; %bb.36:
	s_delay_alu instid0(VALU_DEP_2) | instskip(SKIP_1) | instid1(VALU_DEP_2)
	v_dual_max_num_f32 v8, v5, v5 :: v_dual_max_num_f32 v9, v7, v7
	v_cmp_u_f32_e32 vcc_lo, v7, v7
	v_min_num_f32_e32 v13, v9, v8
	v_max_num_f32_e32 v8, v9, v8
	s_wait_alu 0xfffd
	s_delay_alu instid0(VALU_DEP_2) | instskip(NEXT) | instid1(VALU_DEP_2)
	v_cndmask_b32_e32 v9, v13, v7, vcc_lo
	v_cndmask_b32_e32 v13, v8, v7, vcc_lo
	v_cmp_u_f32_e32 vcc_lo, v5, v5
	s_wait_alu 0xfffd
	s_delay_alu instid0(VALU_DEP_3) | instskip(NEXT) | instid1(VALU_DEP_3)
	v_cndmask_b32_e32 v8, v9, v5, vcc_lo
	v_cndmask_b32_e32 v5, v13, v5, vcc_lo
	s_delay_alu instid0(VALU_DEP_2) | instskip(NEXT) | instid1(VALU_DEP_2)
	v_cmp_class_f32_e64 s10, v8, 0x1f8
	v_cmp_neq_f32_e32 vcc_lo, v8, v5
	s_or_b32 s26, vcc_lo, s10
	s_wait_alu 0xfffe
	s_and_saveexec_b32 s10, s26
	s_cbranch_execz .LBB158_38
; %bb.37:
	v_sub_f32_e32 v7, v8, v5
	s_mov_b32 s26, 0x3e9b6dac
	s_delay_alu instid0(VALU_DEP_1) | instskip(SKIP_1) | instid1(VALU_DEP_2)
	v_mul_f32_e32 v8, 0x3fb8aa3b, v7
	v_cmp_ngt_f32_e32 vcc_lo, 0xc2ce8ed0, v7
	v_fma_f32 v9, 0x3fb8aa3b, v7, -v8
	v_rndne_f32_e32 v13, v8
	s_delay_alu instid0(VALU_DEP_1) | instskip(NEXT) | instid1(VALU_DEP_1)
	v_dual_fmamk_f32 v9, v7, 0x32a5705f, v9 :: v_dual_sub_f32 v8, v8, v13
	v_add_f32_e32 v8, v8, v9
	v_cvt_i32_f32_e32 v9, v13
	s_delay_alu instid0(VALU_DEP_2) | instskip(NEXT) | instid1(TRANS32_DEP_1)
	v_exp_f32_e32 v8, v8
	v_ldexp_f32 v8, v8, v9
	s_wait_alu 0xfffd
	s_delay_alu instid0(VALU_DEP_1) | instskip(SKIP_2) | instid1(VALU_DEP_2)
	v_cndmask_b32_e32 v8, 0, v8, vcc_lo
	v_cmp_nlt_f32_e32 vcc_lo, 0x42b17218, v7
	s_wait_alu 0xfffd
	v_cndmask_b32_e32 v9, 0x7f800000, v8, vcc_lo
	s_delay_alu instid0(VALU_DEP_1) | instskip(NEXT) | instid1(VALU_DEP_1)
	v_add_f32_e32 v13, 1.0, v9
	v_cvt_f64_f32_e32 v[7:8], v13
	s_delay_alu instid0(VALU_DEP_1) | instskip(SKIP_1) | instid1(VALU_DEP_1)
	v_frexp_exp_i32_f64_e32 v7, v[7:8]
	v_frexp_mant_f32_e32 v8, v13
	v_cmp_gt_f32_e32 vcc_lo, 0x3f2aaaab, v8
	v_add_f32_e32 v8, -1.0, v13
	s_delay_alu instid0(VALU_DEP_1) | instskip(NEXT) | instid1(VALU_DEP_1)
	v_dual_sub_f32 v23, v8, v13 :: v_dual_sub_f32 v8, v9, v8
	v_add_f32_e32 v23, 1.0, v23
	s_wait_alu 0xfffd
	v_subrev_co_ci_u32_e64 v7, null, 0, v7, vcc_lo
	v_cmp_neq_f32_e32 vcc_lo, 0x7f800000, v9
	s_delay_alu instid0(VALU_DEP_2) | instskip(SKIP_1) | instid1(VALU_DEP_2)
	v_sub_nc_u32_e32 v14, 0, v7
	v_cvt_f32_i32_e32 v7, v7
	v_ldexp_f32 v13, v13, v14
	s_delay_alu instid0(VALU_DEP_1) | instskip(NEXT) | instid1(VALU_DEP_1)
	v_add_f32_e32 v24, 1.0, v13
	v_dual_add_f32 v8, v8, v23 :: v_dual_add_f32 v23, -1.0, v24
	s_delay_alu instid0(VALU_DEP_1) | instskip(NEXT) | instid1(VALU_DEP_2)
	v_ldexp_f32 v8, v8, v14
	v_dual_sub_f32 v23, v13, v23 :: v_dual_add_f32 v14, -1.0, v13
	s_delay_alu instid0(VALU_DEP_1) | instskip(NEXT) | instid1(VALU_DEP_2)
	v_add_f32_e32 v23, v8, v23
	v_add_f32_e32 v25, 1.0, v14
	s_delay_alu instid0(VALU_DEP_1) | instskip(NEXT) | instid1(VALU_DEP_1)
	v_sub_f32_e32 v13, v13, v25
	v_add_f32_e32 v8, v8, v13
	s_delay_alu instid0(VALU_DEP_1) | instskip(NEXT) | instid1(VALU_DEP_1)
	v_dual_add_f32 v26, v14, v8 :: v_dual_add_f32 v25, v24, v23
	v_sub_f32_e32 v14, v14, v26
	s_delay_alu instid0(VALU_DEP_2) | instskip(SKIP_1) | instid1(VALU_DEP_1)
	v_rcp_f32_e32 v13, v25
	v_sub_f32_e32 v24, v24, v25
	v_dual_add_f32 v8, v8, v14 :: v_dual_add_f32 v23, v23, v24
	s_delay_alu instid0(TRANS32_DEP_1) | instskip(NEXT) | instid1(VALU_DEP_1)
	v_mul_f32_e32 v27, v26, v13
	v_mul_f32_e32 v28, v25, v27
	s_delay_alu instid0(VALU_DEP_1) | instskip(NEXT) | instid1(VALU_DEP_1)
	v_fma_f32 v24, v27, v25, -v28
	v_fmac_f32_e32 v24, v27, v23
	s_delay_alu instid0(VALU_DEP_1) | instskip(NEXT) | instid1(VALU_DEP_1)
	v_add_f32_e32 v29, v28, v24
	v_sub_f32_e32 v30, v26, v29
	s_delay_alu instid0(VALU_DEP_1) | instskip(SKIP_1) | instid1(VALU_DEP_2)
	v_sub_f32_e32 v26, v26, v30
	v_sub_f32_e32 v14, v29, v28
	;; [unrolled: 1-line block ×3, first 2 shown]
	s_delay_alu instid0(VALU_DEP_2) | instskip(NEXT) | instid1(VALU_DEP_2)
	v_sub_f32_e32 v14, v14, v24
	v_add_f32_e32 v8, v8, v26
	s_delay_alu instid0(VALU_DEP_1) | instskip(NEXT) | instid1(VALU_DEP_1)
	v_add_f32_e32 v8, v14, v8
	v_add_f32_e32 v14, v30, v8
	s_delay_alu instid0(VALU_DEP_1) | instskip(NEXT) | instid1(VALU_DEP_1)
	v_mul_f32_e32 v24, v13, v14
	v_dual_sub_f32 v29, v30, v14 :: v_dual_mul_f32 v26, v25, v24
	s_delay_alu instid0(VALU_DEP_1) | instskip(NEXT) | instid1(VALU_DEP_2)
	v_add_f32_e32 v8, v8, v29
	v_fma_f32 v25, v24, v25, -v26
	s_delay_alu instid0(VALU_DEP_1) | instskip(NEXT) | instid1(VALU_DEP_1)
	v_fmac_f32_e32 v25, v24, v23
	v_add_f32_e32 v23, v26, v25
	s_delay_alu instid0(VALU_DEP_1) | instskip(SKIP_1) | instid1(VALU_DEP_2)
	v_sub_f32_e32 v28, v14, v23
	v_sub_f32_e32 v26, v23, v26
	v_sub_f32_e32 v14, v14, v28
	s_delay_alu instid0(VALU_DEP_1) | instskip(NEXT) | instid1(VALU_DEP_1)
	v_sub_f32_e32 v14, v14, v23
	v_dual_sub_f32 v23, v26, v25 :: v_dual_add_f32 v8, v8, v14
	v_add_f32_e32 v14, v27, v24
	s_delay_alu instid0(VALU_DEP_1) | instskip(NEXT) | instid1(VALU_DEP_1)
	v_dual_add_f32 v8, v23, v8 :: v_dual_sub_f32 v23, v14, v27
	v_add_f32_e32 v8, v28, v8
	s_delay_alu instid0(VALU_DEP_1) | instskip(NEXT) | instid1(VALU_DEP_1)
	v_dual_sub_f32 v23, v24, v23 :: v_dual_mul_f32 v8, v13, v8
	v_add_f32_e32 v8, v23, v8
	s_delay_alu instid0(VALU_DEP_1) | instskip(NEXT) | instid1(VALU_DEP_1)
	v_add_f32_e32 v13, v14, v8
	v_mul_f32_e32 v23, v13, v13
	s_wait_alu 0xfffe
	s_delay_alu instid0(VALU_DEP_1) | instskip(SKIP_1) | instid1(VALU_DEP_2)
	v_fmaak_f32 v24, s26, v23, 0x3ecc95a3
	v_mul_f32_e32 v25, v13, v23
	v_fmaak_f32 v23, v23, v24, 0x3f2aaada
	v_ldexp_f32 v24, v13, 1
	v_sub_f32_e32 v13, v13, v14
	s_delay_alu instid0(VALU_DEP_3) | instskip(NEXT) | instid1(VALU_DEP_2)
	v_mul_f32_e32 v23, v25, v23
	v_dual_mul_f32 v25, 0x3f317218, v7 :: v_dual_sub_f32 v8, v8, v13
	s_delay_alu instid0(VALU_DEP_2) | instskip(NEXT) | instid1(VALU_DEP_2)
	v_add_f32_e32 v14, v24, v23
	v_ldexp_f32 v8, v8, 1
	s_delay_alu instid0(VALU_DEP_2) | instskip(NEXT) | instid1(VALU_DEP_4)
	v_sub_f32_e32 v13, v14, v24
	v_fma_f32 v24, 0x3f317218, v7, -v25
	s_delay_alu instid0(VALU_DEP_2) | instskip(NEXT) | instid1(VALU_DEP_1)
	v_sub_f32_e32 v13, v23, v13
	v_dual_fmamk_f32 v7, v7, 0xb102e308, v24 :: v_dual_add_f32 v8, v8, v13
	s_delay_alu instid0(VALU_DEP_1) | instskip(NEXT) | instid1(VALU_DEP_2)
	v_add_f32_e32 v13, v25, v7
	v_add_f32_e32 v23, v14, v8
	s_delay_alu instid0(VALU_DEP_2) | instskip(NEXT) | instid1(VALU_DEP_2)
	v_sub_f32_e32 v25, v13, v25
	v_add_f32_e32 v24, v13, v23
	v_sub_f32_e32 v14, v23, v14
	s_delay_alu instid0(VALU_DEP_3) | instskip(NEXT) | instid1(VALU_DEP_3)
	v_sub_f32_e32 v7, v7, v25
	v_sub_f32_e32 v26, v24, v13
	s_delay_alu instid0(VALU_DEP_3) | instskip(NEXT) | instid1(VALU_DEP_2)
	v_sub_f32_e32 v8, v8, v14
	v_sub_f32_e32 v27, v24, v26
	v_sub_f32_e32 v14, v23, v26
	s_delay_alu instid0(VALU_DEP_3) | instskip(NEXT) | instid1(VALU_DEP_3)
	v_add_f32_e32 v23, v7, v8
	v_sub_f32_e32 v13, v13, v27
	s_delay_alu instid0(VALU_DEP_1) | instskip(NEXT) | instid1(VALU_DEP_1)
	v_dual_add_f32 v13, v14, v13 :: v_dual_sub_f32 v14, v23, v7
	v_add_f32_e32 v13, v23, v13
	s_delay_alu instid0(VALU_DEP_2) | instskip(SKIP_1) | instid1(VALU_DEP_3)
	v_sub_f32_e32 v23, v23, v14
	v_sub_f32_e32 v8, v8, v14
	v_add_f32_e32 v25, v24, v13
	s_delay_alu instid0(VALU_DEP_1) | instskip(NEXT) | instid1(VALU_DEP_1)
	v_dual_sub_f32 v7, v7, v23 :: v_dual_sub_f32 v14, v25, v24
	v_dual_add_f32 v7, v8, v7 :: v_dual_sub_f32 v8, v13, v14
	s_delay_alu instid0(VALU_DEP_1) | instskip(NEXT) | instid1(VALU_DEP_1)
	v_add_f32_e32 v7, v7, v8
	v_add_f32_e32 v7, v25, v7
	s_wait_alu 0xfffd
	s_delay_alu instid0(VALU_DEP_1) | instskip(SKIP_2) | instid1(VALU_DEP_2)
	v_cndmask_b32_e32 v7, 0x7f800000, v7, vcc_lo
	v_cmp_gt_f32_e64 vcc_lo, 0x33800000, |v9|
	s_wait_alu 0xfffd
	v_cndmask_b32_e32 v7, v7, v9, vcc_lo
	s_delay_alu instid0(VALU_DEP_1)
	v_add_f32_e32 v7, v5, v7
.LBB158_38:
	s_wait_alu 0xfffe
	s_or_b32 exec_lo, exec_lo, s10
	s_delay_alu instid0(VALU_DEP_1)
	v_mov_b32_e32 v5, v7
.LBB158_39:
	s_wait_alu 0xfffe
	s_or_b32 exec_lo, exec_lo, s9
	s_delay_alu instid0(VALU_DEP_1)
	v_mov_b32_dpp v7, v5 row_shr:4 row_mask:0xf bank_mask:0xf
	s_mov_b32 s9, exec_lo
	v_cmpx_lt_u32_e32 3, v6
	s_cbranch_execz .LBB158_43
; %bb.40:
	s_delay_alu instid0(VALU_DEP_2) | instskip(SKIP_1) | instid1(VALU_DEP_2)
	v_dual_max_num_f32 v8, v5, v5 :: v_dual_max_num_f32 v9, v7, v7
	v_cmp_u_f32_e32 vcc_lo, v7, v7
	v_min_num_f32_e32 v13, v9, v8
	v_max_num_f32_e32 v8, v9, v8
	s_wait_alu 0xfffd
	s_delay_alu instid0(VALU_DEP_2) | instskip(NEXT) | instid1(VALU_DEP_2)
	v_cndmask_b32_e32 v9, v13, v7, vcc_lo
	v_cndmask_b32_e32 v13, v8, v7, vcc_lo
	v_cmp_u_f32_e32 vcc_lo, v5, v5
	s_wait_alu 0xfffd
	s_delay_alu instid0(VALU_DEP_3) | instskip(NEXT) | instid1(VALU_DEP_3)
	v_cndmask_b32_e32 v8, v9, v5, vcc_lo
	v_cndmask_b32_e32 v5, v13, v5, vcc_lo
	s_delay_alu instid0(VALU_DEP_2) | instskip(NEXT) | instid1(VALU_DEP_2)
	v_cmp_class_f32_e64 s10, v8, 0x1f8
	v_cmp_neq_f32_e32 vcc_lo, v8, v5
	s_or_b32 s26, vcc_lo, s10
	s_wait_alu 0xfffe
	s_and_saveexec_b32 s10, s26
	s_cbranch_execz .LBB158_42
; %bb.41:
	v_sub_f32_e32 v7, v8, v5
	s_mov_b32 s26, 0x3e9b6dac
	s_delay_alu instid0(VALU_DEP_1) | instskip(SKIP_1) | instid1(VALU_DEP_2)
	v_mul_f32_e32 v8, 0x3fb8aa3b, v7
	v_cmp_ngt_f32_e32 vcc_lo, 0xc2ce8ed0, v7
	v_fma_f32 v9, 0x3fb8aa3b, v7, -v8
	v_rndne_f32_e32 v13, v8
	s_delay_alu instid0(VALU_DEP_1) | instskip(NEXT) | instid1(VALU_DEP_1)
	v_dual_fmamk_f32 v9, v7, 0x32a5705f, v9 :: v_dual_sub_f32 v8, v8, v13
	v_add_f32_e32 v8, v8, v9
	v_cvt_i32_f32_e32 v9, v13
	s_delay_alu instid0(VALU_DEP_2) | instskip(NEXT) | instid1(TRANS32_DEP_1)
	v_exp_f32_e32 v8, v8
	v_ldexp_f32 v8, v8, v9
	s_wait_alu 0xfffd
	s_delay_alu instid0(VALU_DEP_1) | instskip(SKIP_2) | instid1(VALU_DEP_2)
	v_cndmask_b32_e32 v8, 0, v8, vcc_lo
	v_cmp_nlt_f32_e32 vcc_lo, 0x42b17218, v7
	s_wait_alu 0xfffd
	v_cndmask_b32_e32 v9, 0x7f800000, v8, vcc_lo
	s_delay_alu instid0(VALU_DEP_1) | instskip(NEXT) | instid1(VALU_DEP_1)
	v_add_f32_e32 v13, 1.0, v9
	v_cvt_f64_f32_e32 v[7:8], v13
	s_delay_alu instid0(VALU_DEP_1) | instskip(SKIP_1) | instid1(VALU_DEP_1)
	v_frexp_exp_i32_f64_e32 v7, v[7:8]
	v_frexp_mant_f32_e32 v8, v13
	v_cmp_gt_f32_e32 vcc_lo, 0x3f2aaaab, v8
	v_add_f32_e32 v8, -1.0, v13
	s_delay_alu instid0(VALU_DEP_1) | instskip(NEXT) | instid1(VALU_DEP_1)
	v_dual_sub_f32 v23, v8, v13 :: v_dual_sub_f32 v8, v9, v8
	v_add_f32_e32 v23, 1.0, v23
	s_wait_alu 0xfffd
	v_subrev_co_ci_u32_e64 v7, null, 0, v7, vcc_lo
	v_cmp_neq_f32_e32 vcc_lo, 0x7f800000, v9
	s_delay_alu instid0(VALU_DEP_2) | instskip(SKIP_1) | instid1(VALU_DEP_2)
	v_sub_nc_u32_e32 v14, 0, v7
	v_cvt_f32_i32_e32 v7, v7
	v_ldexp_f32 v13, v13, v14
	s_delay_alu instid0(VALU_DEP_1) | instskip(NEXT) | instid1(VALU_DEP_1)
	v_add_f32_e32 v24, 1.0, v13
	v_dual_add_f32 v8, v8, v23 :: v_dual_add_f32 v23, -1.0, v24
	s_delay_alu instid0(VALU_DEP_1) | instskip(NEXT) | instid1(VALU_DEP_2)
	v_ldexp_f32 v8, v8, v14
	v_dual_sub_f32 v23, v13, v23 :: v_dual_add_f32 v14, -1.0, v13
	s_delay_alu instid0(VALU_DEP_1) | instskip(NEXT) | instid1(VALU_DEP_2)
	v_add_f32_e32 v23, v8, v23
	v_add_f32_e32 v25, 1.0, v14
	s_delay_alu instid0(VALU_DEP_1) | instskip(NEXT) | instid1(VALU_DEP_1)
	v_sub_f32_e32 v13, v13, v25
	v_add_f32_e32 v8, v8, v13
	s_delay_alu instid0(VALU_DEP_1) | instskip(NEXT) | instid1(VALU_DEP_1)
	v_dual_add_f32 v26, v14, v8 :: v_dual_add_f32 v25, v24, v23
	v_sub_f32_e32 v14, v14, v26
	s_delay_alu instid0(VALU_DEP_2) | instskip(SKIP_1) | instid1(VALU_DEP_1)
	v_rcp_f32_e32 v13, v25
	v_sub_f32_e32 v24, v24, v25
	v_dual_add_f32 v8, v8, v14 :: v_dual_add_f32 v23, v23, v24
	s_delay_alu instid0(TRANS32_DEP_1) | instskip(NEXT) | instid1(VALU_DEP_1)
	v_mul_f32_e32 v27, v26, v13
	v_mul_f32_e32 v28, v25, v27
	s_delay_alu instid0(VALU_DEP_1) | instskip(NEXT) | instid1(VALU_DEP_1)
	v_fma_f32 v24, v27, v25, -v28
	v_fmac_f32_e32 v24, v27, v23
	s_delay_alu instid0(VALU_DEP_1) | instskip(NEXT) | instid1(VALU_DEP_1)
	v_add_f32_e32 v29, v28, v24
	v_sub_f32_e32 v30, v26, v29
	s_delay_alu instid0(VALU_DEP_1) | instskip(SKIP_1) | instid1(VALU_DEP_2)
	v_sub_f32_e32 v26, v26, v30
	v_sub_f32_e32 v14, v29, v28
	;; [unrolled: 1-line block ×3, first 2 shown]
	s_delay_alu instid0(VALU_DEP_2) | instskip(NEXT) | instid1(VALU_DEP_2)
	v_sub_f32_e32 v14, v14, v24
	v_add_f32_e32 v8, v8, v26
	s_delay_alu instid0(VALU_DEP_1) | instskip(NEXT) | instid1(VALU_DEP_1)
	v_add_f32_e32 v8, v14, v8
	v_add_f32_e32 v14, v30, v8
	s_delay_alu instid0(VALU_DEP_1) | instskip(NEXT) | instid1(VALU_DEP_1)
	v_mul_f32_e32 v24, v13, v14
	v_dual_sub_f32 v29, v30, v14 :: v_dual_mul_f32 v26, v25, v24
	s_delay_alu instid0(VALU_DEP_1) | instskip(NEXT) | instid1(VALU_DEP_2)
	v_add_f32_e32 v8, v8, v29
	v_fma_f32 v25, v24, v25, -v26
	s_delay_alu instid0(VALU_DEP_1) | instskip(NEXT) | instid1(VALU_DEP_1)
	v_fmac_f32_e32 v25, v24, v23
	v_add_f32_e32 v23, v26, v25
	s_delay_alu instid0(VALU_DEP_1) | instskip(SKIP_1) | instid1(VALU_DEP_2)
	v_sub_f32_e32 v28, v14, v23
	v_sub_f32_e32 v26, v23, v26
	;; [unrolled: 1-line block ×3, first 2 shown]
	s_delay_alu instid0(VALU_DEP_1) | instskip(NEXT) | instid1(VALU_DEP_1)
	v_sub_f32_e32 v14, v14, v23
	v_dual_sub_f32 v23, v26, v25 :: v_dual_add_f32 v8, v8, v14
	v_add_f32_e32 v14, v27, v24
	s_delay_alu instid0(VALU_DEP_1) | instskip(NEXT) | instid1(VALU_DEP_1)
	v_dual_add_f32 v8, v23, v8 :: v_dual_sub_f32 v23, v14, v27
	v_add_f32_e32 v8, v28, v8
	s_delay_alu instid0(VALU_DEP_1) | instskip(NEXT) | instid1(VALU_DEP_1)
	v_dual_sub_f32 v23, v24, v23 :: v_dual_mul_f32 v8, v13, v8
	v_add_f32_e32 v8, v23, v8
	s_delay_alu instid0(VALU_DEP_1) | instskip(NEXT) | instid1(VALU_DEP_1)
	v_add_f32_e32 v13, v14, v8
	v_mul_f32_e32 v23, v13, v13
	s_wait_alu 0xfffe
	s_delay_alu instid0(VALU_DEP_1) | instskip(SKIP_1) | instid1(VALU_DEP_2)
	v_fmaak_f32 v24, s26, v23, 0x3ecc95a3
	v_mul_f32_e32 v25, v13, v23
	v_fmaak_f32 v23, v23, v24, 0x3f2aaada
	v_ldexp_f32 v24, v13, 1
	v_sub_f32_e32 v13, v13, v14
	s_delay_alu instid0(VALU_DEP_3) | instskip(NEXT) | instid1(VALU_DEP_2)
	v_mul_f32_e32 v23, v25, v23
	v_dual_mul_f32 v25, 0x3f317218, v7 :: v_dual_sub_f32 v8, v8, v13
	s_delay_alu instid0(VALU_DEP_2) | instskip(NEXT) | instid1(VALU_DEP_2)
	v_add_f32_e32 v14, v24, v23
	v_ldexp_f32 v8, v8, 1
	s_delay_alu instid0(VALU_DEP_2) | instskip(NEXT) | instid1(VALU_DEP_4)
	v_sub_f32_e32 v13, v14, v24
	v_fma_f32 v24, 0x3f317218, v7, -v25
	s_delay_alu instid0(VALU_DEP_2) | instskip(NEXT) | instid1(VALU_DEP_1)
	v_sub_f32_e32 v13, v23, v13
	v_dual_fmamk_f32 v7, v7, 0xb102e308, v24 :: v_dual_add_f32 v8, v8, v13
	s_delay_alu instid0(VALU_DEP_1) | instskip(NEXT) | instid1(VALU_DEP_2)
	v_add_f32_e32 v13, v25, v7
	v_add_f32_e32 v23, v14, v8
	s_delay_alu instid0(VALU_DEP_2) | instskip(NEXT) | instid1(VALU_DEP_2)
	v_sub_f32_e32 v25, v13, v25
	v_add_f32_e32 v24, v13, v23
	v_sub_f32_e32 v14, v23, v14
	s_delay_alu instid0(VALU_DEP_3) | instskip(NEXT) | instid1(VALU_DEP_3)
	v_sub_f32_e32 v7, v7, v25
	v_sub_f32_e32 v26, v24, v13
	s_delay_alu instid0(VALU_DEP_3) | instskip(NEXT) | instid1(VALU_DEP_2)
	v_sub_f32_e32 v8, v8, v14
	v_sub_f32_e32 v27, v24, v26
	;; [unrolled: 1-line block ×3, first 2 shown]
	s_delay_alu instid0(VALU_DEP_3) | instskip(NEXT) | instid1(VALU_DEP_3)
	v_add_f32_e32 v23, v7, v8
	v_sub_f32_e32 v13, v13, v27
	s_delay_alu instid0(VALU_DEP_1) | instskip(NEXT) | instid1(VALU_DEP_1)
	v_dual_add_f32 v13, v14, v13 :: v_dual_sub_f32 v14, v23, v7
	v_add_f32_e32 v13, v23, v13
	s_delay_alu instid0(VALU_DEP_2) | instskip(SKIP_1) | instid1(VALU_DEP_3)
	v_sub_f32_e32 v23, v23, v14
	v_sub_f32_e32 v8, v8, v14
	v_add_f32_e32 v25, v24, v13
	s_delay_alu instid0(VALU_DEP_1) | instskip(NEXT) | instid1(VALU_DEP_1)
	v_dual_sub_f32 v7, v7, v23 :: v_dual_sub_f32 v14, v25, v24
	v_dual_add_f32 v7, v8, v7 :: v_dual_sub_f32 v8, v13, v14
	s_delay_alu instid0(VALU_DEP_1) | instskip(NEXT) | instid1(VALU_DEP_1)
	v_add_f32_e32 v7, v7, v8
	v_add_f32_e32 v7, v25, v7
	s_wait_alu 0xfffd
	s_delay_alu instid0(VALU_DEP_1) | instskip(SKIP_2) | instid1(VALU_DEP_2)
	v_cndmask_b32_e32 v7, 0x7f800000, v7, vcc_lo
	v_cmp_gt_f32_e64 vcc_lo, 0x33800000, |v9|
	s_wait_alu 0xfffd
	v_cndmask_b32_e32 v7, v7, v9, vcc_lo
	s_delay_alu instid0(VALU_DEP_1)
	v_add_f32_e32 v7, v5, v7
.LBB158_42:
	s_wait_alu 0xfffe
	s_or_b32 exec_lo, exec_lo, s10
	s_delay_alu instid0(VALU_DEP_1)
	v_mov_b32_e32 v5, v7
.LBB158_43:
	s_wait_alu 0xfffe
	s_or_b32 exec_lo, exec_lo, s9
	s_delay_alu instid0(VALU_DEP_1)
	v_mov_b32_dpp v7, v5 row_shr:8 row_mask:0xf bank_mask:0xf
	s_mov_b32 s9, exec_lo
	v_cmpx_lt_u32_e32 7, v6
	s_cbranch_execz .LBB158_47
; %bb.44:
	v_max_num_f32_e32 v6, v5, v5
	v_max_num_f32_e32 v8, v7, v7
	v_cmp_u_f32_e32 vcc_lo, v7, v7
	s_delay_alu instid0(VALU_DEP_2) | instskip(SKIP_2) | instid1(VALU_DEP_2)
	v_min_num_f32_e32 v9, v8, v6
	v_max_num_f32_e32 v6, v8, v6
	s_wait_alu 0xfffd
	v_cndmask_b32_e32 v8, v9, v7, vcc_lo
	s_delay_alu instid0(VALU_DEP_2) | instskip(SKIP_2) | instid1(VALU_DEP_3)
	v_cndmask_b32_e32 v9, v6, v7, vcc_lo
	v_cmp_u_f32_e32 vcc_lo, v5, v5
	s_wait_alu 0xfffd
	v_cndmask_b32_e32 v6, v8, v5, vcc_lo
	s_delay_alu instid0(VALU_DEP_3) | instskip(NEXT) | instid1(VALU_DEP_2)
	v_cndmask_b32_e32 v5, v9, v5, vcc_lo
	v_cmp_class_f32_e64 s10, v6, 0x1f8
	s_delay_alu instid0(VALU_DEP_2)
	v_cmp_neq_f32_e32 vcc_lo, v6, v5
	s_or_b32 s26, vcc_lo, s10
	s_wait_alu 0xfffe
	s_and_saveexec_b32 s10, s26
	s_cbranch_execz .LBB158_46
; %bb.45:
	v_sub_f32_e32 v6, v6, v5
	s_mov_b32 s26, 0x3e9b6dac
	s_delay_alu instid0(VALU_DEP_1) | instskip(NEXT) | instid1(VALU_DEP_1)
	v_mul_f32_e32 v7, 0x3fb8aa3b, v6
	v_fma_f32 v8, 0x3fb8aa3b, v6, -v7
	v_rndne_f32_e32 v9, v7
	s_delay_alu instid0(VALU_DEP_1) | instskip(NEXT) | instid1(VALU_DEP_1)
	v_dual_fmamk_f32 v8, v6, 0x32a5705f, v8 :: v_dual_sub_f32 v7, v7, v9
	v_add_f32_e32 v7, v7, v8
	v_cvt_i32_f32_e32 v8, v9
	v_cmp_ngt_f32_e32 vcc_lo, 0xc2ce8ed0, v6
	s_delay_alu instid0(VALU_DEP_3) | instskip(NEXT) | instid1(TRANS32_DEP_1)
	v_exp_f32_e32 v7, v7
	v_ldexp_f32 v7, v7, v8
	s_wait_alu 0xfffd
	s_delay_alu instid0(VALU_DEP_1) | instskip(SKIP_2) | instid1(VALU_DEP_2)
	v_cndmask_b32_e32 v7, 0, v7, vcc_lo
	v_cmp_nlt_f32_e32 vcc_lo, 0x42b17218, v6
	s_wait_alu 0xfffd
	v_cndmask_b32_e32 v8, 0x7f800000, v7, vcc_lo
	s_delay_alu instid0(VALU_DEP_1) | instskip(NEXT) | instid1(VALU_DEP_1)
	v_add_f32_e32 v9, 1.0, v8
	v_cvt_f64_f32_e32 v[6:7], v9
	s_delay_alu instid0(VALU_DEP_1) | instskip(SKIP_1) | instid1(VALU_DEP_1)
	v_frexp_exp_i32_f64_e32 v6, v[6:7]
	v_frexp_mant_f32_e32 v7, v9
	v_cmp_gt_f32_e32 vcc_lo, 0x3f2aaaab, v7
	v_add_f32_e32 v7, -1.0, v9
	s_delay_alu instid0(VALU_DEP_1) | instskip(NEXT) | instid1(VALU_DEP_1)
	v_dual_sub_f32 v14, v7, v9 :: v_dual_sub_f32 v7, v8, v7
	v_add_f32_e32 v14, 1.0, v14
	s_delay_alu instid0(VALU_DEP_1) | instskip(SKIP_3) | instid1(VALU_DEP_2)
	v_add_f32_e32 v7, v7, v14
	s_wait_alu 0xfffd
	v_subrev_co_ci_u32_e64 v6, null, 0, v6, vcc_lo
	v_cmp_neq_f32_e32 vcc_lo, 0x7f800000, v8
	v_sub_nc_u32_e32 v13, 0, v6
	v_cvt_f32_i32_e32 v6, v6
	s_delay_alu instid0(VALU_DEP_2) | instskip(SKIP_1) | instid1(VALU_DEP_2)
	v_ldexp_f32 v9, v9, v13
	v_ldexp_f32 v7, v7, v13
	v_add_f32_e32 v23, 1.0, v9
	s_delay_alu instid0(VALU_DEP_1) | instskip(NEXT) | instid1(VALU_DEP_1)
	v_add_f32_e32 v14, -1.0, v23
	v_dual_sub_f32 v14, v9, v14 :: v_dual_add_f32 v13, -1.0, v9
	s_delay_alu instid0(VALU_DEP_1) | instskip(NEXT) | instid1(VALU_DEP_2)
	v_add_f32_e32 v14, v7, v14
	v_add_f32_e32 v24, 1.0, v13
	s_delay_alu instid0(VALU_DEP_1) | instskip(NEXT) | instid1(VALU_DEP_1)
	v_dual_sub_f32 v9, v9, v24 :: v_dual_add_f32 v24, v23, v14
	v_sub_f32_e32 v23, v23, v24
	s_delay_alu instid0(VALU_DEP_2) | instskip(SKIP_1) | instid1(VALU_DEP_2)
	v_add_f32_e32 v7, v7, v9
	v_rcp_f32_e32 v9, v24
	v_add_f32_e32 v14, v14, v23
	s_delay_alu instid0(VALU_DEP_2) | instskip(NEXT) | instid1(VALU_DEP_1)
	v_add_f32_e32 v25, v13, v7
	v_sub_f32_e32 v13, v13, v25
	s_delay_alu instid0(TRANS32_DEP_1) | instskip(NEXT) | instid1(VALU_DEP_2)
	v_mul_f32_e32 v26, v25, v9
	v_add_f32_e32 v7, v7, v13
	s_delay_alu instid0(VALU_DEP_2) | instskip(NEXT) | instid1(VALU_DEP_1)
	v_mul_f32_e32 v27, v24, v26
	v_fma_f32 v23, v26, v24, -v27
	s_delay_alu instid0(VALU_DEP_1) | instskip(NEXT) | instid1(VALU_DEP_1)
	v_fmac_f32_e32 v23, v26, v14
	v_add_f32_e32 v28, v27, v23
	s_delay_alu instid0(VALU_DEP_1) | instskip(SKIP_1) | instid1(VALU_DEP_2)
	v_sub_f32_e32 v29, v25, v28
	v_sub_f32_e32 v13, v28, v27
	;; [unrolled: 1-line block ×3, first 2 shown]
	s_delay_alu instid0(VALU_DEP_2) | instskip(NEXT) | instid1(VALU_DEP_2)
	v_sub_f32_e32 v13, v13, v23
	v_sub_f32_e32 v25, v25, v28
	s_delay_alu instid0(VALU_DEP_1) | instskip(NEXT) | instid1(VALU_DEP_1)
	v_add_f32_e32 v7, v7, v25
	v_add_f32_e32 v7, v13, v7
	s_delay_alu instid0(VALU_DEP_1) | instskip(NEXT) | instid1(VALU_DEP_1)
	v_add_f32_e32 v13, v29, v7
	v_mul_f32_e32 v23, v9, v13
	s_delay_alu instid0(VALU_DEP_1) | instskip(NEXT) | instid1(VALU_DEP_1)
	v_dual_sub_f32 v28, v29, v13 :: v_dual_mul_f32 v25, v24, v23
	v_add_f32_e32 v7, v7, v28
	s_delay_alu instid0(VALU_DEP_2) | instskip(NEXT) | instid1(VALU_DEP_1)
	v_fma_f32 v24, v23, v24, -v25
	v_fmac_f32_e32 v24, v23, v14
	s_delay_alu instid0(VALU_DEP_1) | instskip(NEXT) | instid1(VALU_DEP_1)
	v_add_f32_e32 v14, v25, v24
	v_sub_f32_e32 v27, v13, v14
	v_sub_f32_e32 v25, v14, v25
	s_delay_alu instid0(VALU_DEP_2) | instskip(NEXT) | instid1(VALU_DEP_1)
	v_sub_f32_e32 v13, v13, v27
	v_sub_f32_e32 v13, v13, v14
	s_delay_alu instid0(VALU_DEP_1) | instskip(SKIP_1) | instid1(VALU_DEP_1)
	v_dual_sub_f32 v14, v25, v24 :: v_dual_add_f32 v7, v7, v13
	v_add_f32_e32 v13, v26, v23
	v_dual_add_f32 v7, v14, v7 :: v_dual_sub_f32 v14, v13, v26
	s_delay_alu instid0(VALU_DEP_1) | instskip(NEXT) | instid1(VALU_DEP_1)
	v_add_f32_e32 v7, v27, v7
	v_dual_sub_f32 v14, v23, v14 :: v_dual_mul_f32 v7, v9, v7
	s_delay_alu instid0(VALU_DEP_1) | instskip(NEXT) | instid1(VALU_DEP_1)
	v_add_f32_e32 v7, v14, v7
	v_add_f32_e32 v9, v13, v7
	s_delay_alu instid0(VALU_DEP_1) | instskip(SKIP_1) | instid1(VALU_DEP_1)
	v_mul_f32_e32 v14, v9, v9
	s_wait_alu 0xfffe
	v_fmaak_f32 v23, s26, v14, 0x3ecc95a3
	v_mul_f32_e32 v24, v9, v14
	s_delay_alu instid0(VALU_DEP_2) | instskip(SKIP_1) | instid1(VALU_DEP_2)
	v_fmaak_f32 v14, v14, v23, 0x3f2aaada
	v_ldexp_f32 v23, v9, 1
	v_dual_sub_f32 v9, v9, v13 :: v_dual_mul_f32 v14, v24, v14
	s_delay_alu instid0(VALU_DEP_1) | instskip(NEXT) | instid1(VALU_DEP_2)
	v_dual_mul_f32 v24, 0x3f317218, v6 :: v_dual_sub_f32 v7, v7, v9
	v_add_f32_e32 v13, v23, v14
	s_delay_alu instid0(VALU_DEP_2) | instskip(NEXT) | instid1(VALU_DEP_2)
	v_ldexp_f32 v7, v7, 1
	v_sub_f32_e32 v9, v13, v23
	s_delay_alu instid0(VALU_DEP_4) | instskip(NEXT) | instid1(VALU_DEP_2)
	v_fma_f32 v23, 0x3f317218, v6, -v24
	v_sub_f32_e32 v9, v14, v9
	s_delay_alu instid0(VALU_DEP_1) | instskip(NEXT) | instid1(VALU_DEP_1)
	v_dual_fmamk_f32 v6, v6, 0xb102e308, v23 :: v_dual_add_f32 v7, v7, v9
	v_dual_add_f32 v9, v24, v6 :: v_dual_add_f32 v14, v13, v7
	s_delay_alu instid0(VALU_DEP_1) | instskip(NEXT) | instid1(VALU_DEP_2)
	v_sub_f32_e32 v24, v9, v24
	v_add_f32_e32 v23, v9, v14
	v_sub_f32_e32 v13, v14, v13
	s_delay_alu instid0(VALU_DEP_2) | instskip(NEXT) | instid1(VALU_DEP_2)
	v_dual_sub_f32 v6, v6, v24 :: v_dual_sub_f32 v25, v23, v9
	v_sub_f32_e32 v7, v7, v13
	s_delay_alu instid0(VALU_DEP_2) | instskip(SKIP_1) | instid1(VALU_DEP_2)
	v_sub_f32_e32 v26, v23, v25
	v_sub_f32_e32 v13, v14, v25
	v_dual_add_f32 v14, v6, v7 :: v_dual_sub_f32 v9, v9, v26
	s_delay_alu instid0(VALU_DEP_1) | instskip(NEXT) | instid1(VALU_DEP_2)
	v_add_f32_e32 v9, v13, v9
	v_sub_f32_e32 v13, v14, v6
	s_delay_alu instid0(VALU_DEP_2) | instskip(NEXT) | instid1(VALU_DEP_2)
	v_add_f32_e32 v9, v14, v9
	v_sub_f32_e32 v14, v14, v13
	v_sub_f32_e32 v7, v7, v13
	s_delay_alu instid0(VALU_DEP_3) | instskip(NEXT) | instid1(VALU_DEP_1)
	v_add_f32_e32 v24, v23, v9
	v_dual_sub_f32 v6, v6, v14 :: v_dual_sub_f32 v13, v24, v23
	s_delay_alu instid0(VALU_DEP_1) | instskip(NEXT) | instid1(VALU_DEP_1)
	v_dual_add_f32 v6, v7, v6 :: v_dual_sub_f32 v7, v9, v13
	v_add_f32_e32 v6, v6, v7
	s_delay_alu instid0(VALU_DEP_1) | instskip(SKIP_1) | instid1(VALU_DEP_1)
	v_add_f32_e32 v6, v24, v6
	s_wait_alu 0xfffd
	v_cndmask_b32_e32 v6, 0x7f800000, v6, vcc_lo
	v_cmp_gt_f32_e64 vcc_lo, 0x33800000, |v8|
	s_wait_alu 0xfffd
	s_delay_alu instid0(VALU_DEP_2) | instskip(NEXT) | instid1(VALU_DEP_1)
	v_cndmask_b32_e32 v6, v6, v8, vcc_lo
	v_add_f32_e32 v7, v5, v6
.LBB158_46:
	s_wait_alu 0xfffe
	s_or_b32 exec_lo, exec_lo, s10
	s_delay_alu instid0(VALU_DEP_1)
	v_mov_b32_e32 v5, v7
.LBB158_47:
	s_wait_alu 0xfffe
	s_or_b32 exec_lo, exec_lo, s9
	ds_swizzle_b32 v6, v5 offset:swizzle(BROADCAST,32,15)
	v_and_b32_e32 v7, 16, v22
	s_mov_b32 s9, exec_lo
	s_delay_alu instid0(VALU_DEP_1)
	v_cmpx_ne_u32_e32 0, v7
	s_cbranch_execz .LBB158_51
; %bb.48:
	s_wait_dscnt 0x0
	v_dual_max_num_f32 v7, v5, v5 :: v_dual_max_num_f32 v8, v6, v6
	v_cmp_u_f32_e32 vcc_lo, v6, v6
	s_delay_alu instid0(VALU_DEP_2) | instskip(SKIP_1) | instid1(VALU_DEP_1)
	v_min_num_f32_e32 v9, v8, v7
	s_wait_alu 0xfffd
	v_dual_max_num_f32 v7, v8, v7 :: v_dual_cndmask_b32 v8, v9, v6
	s_delay_alu instid0(VALU_DEP_1) | instskip(SKIP_2) | instid1(VALU_DEP_3)
	v_cndmask_b32_e32 v9, v7, v6, vcc_lo
	v_cmp_u_f32_e32 vcc_lo, v5, v5
	s_wait_alu 0xfffd
	v_cndmask_b32_e32 v7, v8, v5, vcc_lo
	s_delay_alu instid0(VALU_DEP_3) | instskip(NEXT) | instid1(VALU_DEP_2)
	v_cndmask_b32_e32 v5, v9, v5, vcc_lo
	v_cmp_class_f32_e64 s10, v7, 0x1f8
	s_delay_alu instid0(VALU_DEP_2)
	v_cmp_neq_f32_e32 vcc_lo, v7, v5
	s_or_b32 s26, vcc_lo, s10
	s_wait_alu 0xfffe
	s_and_saveexec_b32 s10, s26
	s_cbranch_execz .LBB158_50
; %bb.49:
	v_sub_f32_e32 v6, v7, v5
	s_mov_b32 s26, 0x3e9b6dac
	s_delay_alu instid0(VALU_DEP_1) | instskip(SKIP_1) | instid1(VALU_DEP_2)
	v_mul_f32_e32 v7, 0x3fb8aa3b, v6
	v_cmp_ngt_f32_e32 vcc_lo, 0xc2ce8ed0, v6
	v_fma_f32 v8, 0x3fb8aa3b, v6, -v7
	v_rndne_f32_e32 v9, v7
	s_delay_alu instid0(VALU_DEP_1) | instskip(NEXT) | instid1(VALU_DEP_1)
	v_dual_fmamk_f32 v8, v6, 0x32a5705f, v8 :: v_dual_sub_f32 v7, v7, v9
	v_add_f32_e32 v7, v7, v8
	v_cvt_i32_f32_e32 v8, v9
	s_delay_alu instid0(VALU_DEP_2) | instskip(NEXT) | instid1(TRANS32_DEP_1)
	v_exp_f32_e32 v7, v7
	v_ldexp_f32 v7, v7, v8
	s_wait_alu 0xfffd
	s_delay_alu instid0(VALU_DEP_1) | instskip(SKIP_2) | instid1(VALU_DEP_2)
	v_cndmask_b32_e32 v7, 0, v7, vcc_lo
	v_cmp_nlt_f32_e32 vcc_lo, 0x42b17218, v6
	s_wait_alu 0xfffd
	v_cndmask_b32_e32 v8, 0x7f800000, v7, vcc_lo
	s_delay_alu instid0(VALU_DEP_1) | instskip(NEXT) | instid1(VALU_DEP_1)
	v_add_f32_e32 v9, 1.0, v8
	v_cvt_f64_f32_e32 v[6:7], v9
	s_delay_alu instid0(VALU_DEP_1) | instskip(SKIP_1) | instid1(VALU_DEP_1)
	v_frexp_exp_i32_f64_e32 v6, v[6:7]
	v_frexp_mant_f32_e32 v7, v9
	v_cmp_gt_f32_e32 vcc_lo, 0x3f2aaaab, v7
	v_add_f32_e32 v7, -1.0, v9
	s_delay_alu instid0(VALU_DEP_1) | instskip(NEXT) | instid1(VALU_DEP_1)
	v_dual_sub_f32 v14, v7, v9 :: v_dual_sub_f32 v7, v8, v7
	v_add_f32_e32 v14, 1.0, v14
	s_delay_alu instid0(VALU_DEP_1) | instskip(SKIP_3) | instid1(VALU_DEP_2)
	v_add_f32_e32 v7, v7, v14
	s_wait_alu 0xfffd
	v_subrev_co_ci_u32_e64 v6, null, 0, v6, vcc_lo
	v_cmp_neq_f32_e32 vcc_lo, 0x7f800000, v8
	v_sub_nc_u32_e32 v13, 0, v6
	v_cvt_f32_i32_e32 v6, v6
	s_delay_alu instid0(VALU_DEP_2) | instskip(SKIP_1) | instid1(VALU_DEP_2)
	v_ldexp_f32 v9, v9, v13
	v_ldexp_f32 v7, v7, v13
	v_add_f32_e32 v23, 1.0, v9
	s_delay_alu instid0(VALU_DEP_1) | instskip(NEXT) | instid1(VALU_DEP_1)
	v_add_f32_e32 v14, -1.0, v23
	v_dual_sub_f32 v14, v9, v14 :: v_dual_add_f32 v13, -1.0, v9
	s_delay_alu instid0(VALU_DEP_1) | instskip(NEXT) | instid1(VALU_DEP_2)
	v_add_f32_e32 v14, v7, v14
	v_add_f32_e32 v24, 1.0, v13
	s_delay_alu instid0(VALU_DEP_1) | instskip(NEXT) | instid1(VALU_DEP_1)
	v_dual_sub_f32 v9, v9, v24 :: v_dual_add_f32 v24, v23, v14
	v_sub_f32_e32 v23, v23, v24
	s_delay_alu instid0(VALU_DEP_2) | instskip(SKIP_1) | instid1(VALU_DEP_2)
	v_add_f32_e32 v7, v7, v9
	v_rcp_f32_e32 v9, v24
	v_add_f32_e32 v14, v14, v23
	s_delay_alu instid0(VALU_DEP_2) | instskip(NEXT) | instid1(VALU_DEP_1)
	v_add_f32_e32 v25, v13, v7
	v_sub_f32_e32 v13, v13, v25
	s_delay_alu instid0(TRANS32_DEP_1) | instskip(NEXT) | instid1(VALU_DEP_2)
	v_mul_f32_e32 v26, v25, v9
	v_add_f32_e32 v7, v7, v13
	s_delay_alu instid0(VALU_DEP_2) | instskip(NEXT) | instid1(VALU_DEP_1)
	v_mul_f32_e32 v27, v24, v26
	v_fma_f32 v23, v26, v24, -v27
	s_delay_alu instid0(VALU_DEP_1) | instskip(NEXT) | instid1(VALU_DEP_1)
	v_fmac_f32_e32 v23, v26, v14
	v_add_f32_e32 v28, v27, v23
	s_delay_alu instid0(VALU_DEP_1) | instskip(SKIP_1) | instid1(VALU_DEP_2)
	v_sub_f32_e32 v29, v25, v28
	v_sub_f32_e32 v13, v28, v27
	;; [unrolled: 1-line block ×3, first 2 shown]
	s_delay_alu instid0(VALU_DEP_2) | instskip(NEXT) | instid1(VALU_DEP_2)
	v_sub_f32_e32 v13, v13, v23
	v_sub_f32_e32 v25, v25, v28
	s_delay_alu instid0(VALU_DEP_1) | instskip(NEXT) | instid1(VALU_DEP_1)
	v_add_f32_e32 v7, v7, v25
	v_add_f32_e32 v7, v13, v7
	s_delay_alu instid0(VALU_DEP_1) | instskip(NEXT) | instid1(VALU_DEP_1)
	v_add_f32_e32 v13, v29, v7
	v_mul_f32_e32 v23, v9, v13
	s_delay_alu instid0(VALU_DEP_1) | instskip(NEXT) | instid1(VALU_DEP_1)
	v_dual_sub_f32 v28, v29, v13 :: v_dual_mul_f32 v25, v24, v23
	v_add_f32_e32 v7, v7, v28
	s_delay_alu instid0(VALU_DEP_2) | instskip(NEXT) | instid1(VALU_DEP_1)
	v_fma_f32 v24, v23, v24, -v25
	v_fmac_f32_e32 v24, v23, v14
	s_delay_alu instid0(VALU_DEP_1) | instskip(NEXT) | instid1(VALU_DEP_1)
	v_add_f32_e32 v14, v25, v24
	v_sub_f32_e32 v27, v13, v14
	v_sub_f32_e32 v25, v14, v25
	s_delay_alu instid0(VALU_DEP_2) | instskip(NEXT) | instid1(VALU_DEP_1)
	v_sub_f32_e32 v13, v13, v27
	v_sub_f32_e32 v13, v13, v14
	s_delay_alu instid0(VALU_DEP_1) | instskip(SKIP_1) | instid1(VALU_DEP_1)
	v_dual_sub_f32 v14, v25, v24 :: v_dual_add_f32 v7, v7, v13
	v_add_f32_e32 v13, v26, v23
	v_dual_add_f32 v7, v14, v7 :: v_dual_sub_f32 v14, v13, v26
	s_delay_alu instid0(VALU_DEP_1) | instskip(NEXT) | instid1(VALU_DEP_1)
	v_add_f32_e32 v7, v27, v7
	v_dual_sub_f32 v14, v23, v14 :: v_dual_mul_f32 v7, v9, v7
	s_delay_alu instid0(VALU_DEP_1) | instskip(NEXT) | instid1(VALU_DEP_1)
	v_add_f32_e32 v7, v14, v7
	v_add_f32_e32 v9, v13, v7
	s_delay_alu instid0(VALU_DEP_1) | instskip(SKIP_1) | instid1(VALU_DEP_1)
	v_mul_f32_e32 v14, v9, v9
	s_wait_alu 0xfffe
	v_fmaak_f32 v23, s26, v14, 0x3ecc95a3
	v_mul_f32_e32 v24, v9, v14
	s_delay_alu instid0(VALU_DEP_2) | instskip(SKIP_1) | instid1(VALU_DEP_2)
	v_fmaak_f32 v14, v14, v23, 0x3f2aaada
	v_ldexp_f32 v23, v9, 1
	v_dual_sub_f32 v9, v9, v13 :: v_dual_mul_f32 v14, v24, v14
	s_delay_alu instid0(VALU_DEP_1) | instskip(NEXT) | instid1(VALU_DEP_2)
	v_dual_mul_f32 v24, 0x3f317218, v6 :: v_dual_sub_f32 v7, v7, v9
	v_add_f32_e32 v13, v23, v14
	s_delay_alu instid0(VALU_DEP_2) | instskip(NEXT) | instid1(VALU_DEP_2)
	v_ldexp_f32 v7, v7, 1
	v_sub_f32_e32 v9, v13, v23
	s_delay_alu instid0(VALU_DEP_4) | instskip(NEXT) | instid1(VALU_DEP_2)
	v_fma_f32 v23, 0x3f317218, v6, -v24
	v_sub_f32_e32 v9, v14, v9
	s_delay_alu instid0(VALU_DEP_1) | instskip(NEXT) | instid1(VALU_DEP_1)
	v_dual_fmamk_f32 v6, v6, 0xb102e308, v23 :: v_dual_add_f32 v7, v7, v9
	v_dual_add_f32 v9, v24, v6 :: v_dual_add_f32 v14, v13, v7
	s_delay_alu instid0(VALU_DEP_1) | instskip(NEXT) | instid1(VALU_DEP_2)
	v_sub_f32_e32 v24, v9, v24
	v_add_f32_e32 v23, v9, v14
	v_sub_f32_e32 v13, v14, v13
	s_delay_alu instid0(VALU_DEP_2) | instskip(NEXT) | instid1(VALU_DEP_2)
	v_dual_sub_f32 v6, v6, v24 :: v_dual_sub_f32 v25, v23, v9
	v_sub_f32_e32 v7, v7, v13
	s_delay_alu instid0(VALU_DEP_2) | instskip(SKIP_1) | instid1(VALU_DEP_2)
	v_sub_f32_e32 v26, v23, v25
	v_sub_f32_e32 v13, v14, v25
	v_dual_add_f32 v14, v6, v7 :: v_dual_sub_f32 v9, v9, v26
	s_delay_alu instid0(VALU_DEP_1) | instskip(NEXT) | instid1(VALU_DEP_2)
	v_add_f32_e32 v9, v13, v9
	v_sub_f32_e32 v13, v14, v6
	s_delay_alu instid0(VALU_DEP_2) | instskip(NEXT) | instid1(VALU_DEP_2)
	v_add_f32_e32 v9, v14, v9
	v_sub_f32_e32 v14, v14, v13
	v_sub_f32_e32 v7, v7, v13
	s_delay_alu instid0(VALU_DEP_3) | instskip(NEXT) | instid1(VALU_DEP_1)
	v_add_f32_e32 v24, v23, v9
	v_dual_sub_f32 v6, v6, v14 :: v_dual_sub_f32 v13, v24, v23
	s_delay_alu instid0(VALU_DEP_1) | instskip(NEXT) | instid1(VALU_DEP_1)
	v_dual_add_f32 v6, v7, v6 :: v_dual_sub_f32 v7, v9, v13
	v_add_f32_e32 v6, v6, v7
	s_delay_alu instid0(VALU_DEP_1) | instskip(SKIP_1) | instid1(VALU_DEP_1)
	v_add_f32_e32 v6, v24, v6
	s_wait_alu 0xfffd
	v_cndmask_b32_e32 v6, 0x7f800000, v6, vcc_lo
	v_cmp_gt_f32_e64 vcc_lo, 0x33800000, |v8|
	s_wait_alu 0xfffd
	s_delay_alu instid0(VALU_DEP_2) | instskip(NEXT) | instid1(VALU_DEP_1)
	v_cndmask_b32_e32 v6, v6, v8, vcc_lo
	v_add_f32_e32 v6, v5, v6
.LBB158_50:
	s_wait_alu 0xfffe
	s_or_b32 exec_lo, exec_lo, s10
	s_delay_alu instid0(VALU_DEP_1)
	v_mov_b32_e32 v5, v6
.LBB158_51:
	s_wait_alu 0xfffe
	s_or_b32 exec_lo, exec_lo, s9
	v_or_b32_e32 v7, 31, v0
	s_wait_dscnt 0x0
	v_lshrrev_b32_e32 v6, 5, v0
	s_mov_b32 s9, exec_lo
	s_delay_alu instid0(VALU_DEP_2)
	v_cmpx_eq_u32_e64 v0, v7
; %bb.52:
	s_delay_alu instid0(VALU_DEP_2)
	v_lshlrev_b32_e32 v7, 2, v6
	ds_store_b32 v7, v5
; %bb.53:
	s_wait_alu 0xfffe
	s_or_b32 exec_lo, exec_lo, s9
	s_delay_alu instid0(SALU_CYCLE_1)
	s_mov_b32 s9, exec_lo
	s_wait_loadcnt_dscnt 0x0
	s_barrier_signal -1
	s_barrier_wait -1
	global_inv scope:SCOPE_SE
	v_cmpx_gt_u32_e32 8, v0
	s_cbranch_execz .LBB158_67
; %bb.54:
	ds_load_b32 v8, v15
	v_and_b32_e32 v7, 7, v22
	s_mov_b32 s10, exec_lo
	s_wait_dscnt 0x0
	v_mov_b32_dpp v9, v8 row_shr:1 row_mask:0xf bank_mask:0xf
	s_delay_alu instid0(VALU_DEP_2)
	v_cmpx_ne_u32_e32 0, v7
	s_cbranch_execz .LBB158_58
; %bb.55:
	s_delay_alu instid0(VALU_DEP_2) | instskip(SKIP_1) | instid1(VALU_DEP_2)
	v_dual_max_num_f32 v13, v8, v8 :: v_dual_max_num_f32 v14, v9, v9
	v_cmp_u_f32_e32 vcc_lo, v9, v9
	v_min_num_f32_e32 v23, v14, v13
	v_max_num_f32_e32 v13, v14, v13
	s_wait_alu 0xfffd
	s_delay_alu instid0(VALU_DEP_2) | instskip(NEXT) | instid1(VALU_DEP_2)
	v_cndmask_b32_e32 v14, v23, v9, vcc_lo
	v_cndmask_b32_e32 v23, v13, v9, vcc_lo
	v_cmp_u_f32_e32 vcc_lo, v8, v8
	s_wait_alu 0xfffd
	s_delay_alu instid0(VALU_DEP_3) | instskip(NEXT) | instid1(VALU_DEP_3)
	v_cndmask_b32_e32 v13, v14, v8, vcc_lo
	v_cndmask_b32_e32 v8, v23, v8, vcc_lo
	s_delay_alu instid0(VALU_DEP_2) | instskip(NEXT) | instid1(VALU_DEP_2)
	v_cmp_class_f32_e64 s26, v13, 0x1f8
	v_cmp_neq_f32_e32 vcc_lo, v13, v8
	s_or_b32 s27, vcc_lo, s26
	s_wait_alu 0xfffe
	s_and_saveexec_b32 s26, s27
	s_cbranch_execz .LBB158_57
; %bb.56:
	v_sub_f32_e32 v9, v13, v8
	s_mov_b32 s27, 0x3e9b6dac
	s_delay_alu instid0(VALU_DEP_1) | instskip(SKIP_1) | instid1(VALU_DEP_2)
	v_mul_f32_e32 v13, 0x3fb8aa3b, v9
	v_cmp_ngt_f32_e32 vcc_lo, 0xc2ce8ed0, v9
	v_fma_f32 v14, 0x3fb8aa3b, v9, -v13
	v_rndne_f32_e32 v23, v13
	s_delay_alu instid0(VALU_DEP_2) | instskip(NEXT) | instid1(VALU_DEP_2)
	v_fmamk_f32 v14, v9, 0x32a5705f, v14
	v_sub_f32_e32 v13, v13, v23
	s_delay_alu instid0(VALU_DEP_1) | instskip(SKIP_1) | instid1(VALU_DEP_2)
	v_add_f32_e32 v13, v13, v14
	v_cvt_i32_f32_e32 v14, v23
	v_exp_f32_e32 v13, v13
	s_delay_alu instid0(TRANS32_DEP_1) | instskip(SKIP_1) | instid1(VALU_DEP_1)
	v_ldexp_f32 v13, v13, v14
	s_wait_alu 0xfffd
	v_cndmask_b32_e32 v13, 0, v13, vcc_lo
	v_cmp_nlt_f32_e32 vcc_lo, 0x42b17218, v9
	s_wait_alu 0xfffd
	s_delay_alu instid0(VALU_DEP_2) | instskip(NEXT) | instid1(VALU_DEP_1)
	v_cndmask_b32_e32 v9, 0x7f800000, v13, vcc_lo
	v_add_f32_e32 v23, 1.0, v9
	s_delay_alu instid0(VALU_DEP_1) | instskip(NEXT) | instid1(VALU_DEP_1)
	v_cvt_f64_f32_e32 v[13:14], v23
	v_frexp_exp_i32_f64_e32 v13, v[13:14]
	v_frexp_mant_f32_e32 v14, v23
	s_delay_alu instid0(VALU_DEP_1) | instskip(SKIP_1) | instid1(VALU_DEP_1)
	v_cmp_gt_f32_e32 vcc_lo, 0x3f2aaaab, v14
	v_add_f32_e32 v14, -1.0, v23
	v_dual_sub_f32 v25, v14, v23 :: v_dual_sub_f32 v14, v9, v14
	s_delay_alu instid0(VALU_DEP_1) | instskip(NEXT) | instid1(VALU_DEP_1)
	v_add_f32_e32 v25, 1.0, v25
	v_add_f32_e32 v14, v14, v25
	s_wait_alu 0xfffd
	v_subrev_co_ci_u32_e64 v13, null, 0, v13, vcc_lo
	s_delay_alu instid0(VALU_DEP_1) | instskip(SKIP_1) | instid1(VALU_DEP_2)
	v_sub_nc_u32_e32 v24, 0, v13
	v_cvt_f32_i32_e32 v13, v13
	v_ldexp_f32 v23, v23, v24
	v_ldexp_f32 v14, v14, v24
	s_delay_alu instid0(VALU_DEP_2) | instskip(SKIP_2) | instid1(VALU_DEP_3)
	v_add_f32_e32 v26, 1.0, v23
	v_add_f32_e32 v24, -1.0, v23
	v_cmp_neq_f32_e32 vcc_lo, 0x7f800000, v9
	v_add_f32_e32 v25, -1.0, v26
	s_delay_alu instid0(VALU_DEP_3) | instskip(NEXT) | instid1(VALU_DEP_2)
	v_add_f32_e32 v27, 1.0, v24
	v_sub_f32_e32 v25, v23, v25
	s_delay_alu instid0(VALU_DEP_2) | instskip(NEXT) | instid1(VALU_DEP_2)
	v_sub_f32_e32 v23, v23, v27
	v_add_f32_e32 v25, v14, v25
	s_delay_alu instid0(VALU_DEP_2) | instskip(NEXT) | instid1(VALU_DEP_1)
	v_add_f32_e32 v14, v14, v23
	v_add_f32_e32 v28, v24, v14
	s_delay_alu instid0(VALU_DEP_1) | instskip(NEXT) | instid1(VALU_DEP_1)
	v_dual_sub_f32 v24, v24, v28 :: v_dual_add_f32 v27, v26, v25
	v_add_f32_e32 v14, v14, v24
	s_delay_alu instid0(VALU_DEP_2) | instskip(SKIP_1) | instid1(VALU_DEP_1)
	v_rcp_f32_e32 v23, v27
	v_sub_f32_e32 v26, v26, v27
	v_add_f32_e32 v25, v25, v26
	s_delay_alu instid0(TRANS32_DEP_1) | instskip(NEXT) | instid1(VALU_DEP_1)
	v_mul_f32_e32 v29, v28, v23
	v_mul_f32_e32 v30, v27, v29
	s_delay_alu instid0(VALU_DEP_1) | instskip(NEXT) | instid1(VALU_DEP_1)
	v_fma_f32 v26, v29, v27, -v30
	v_fmac_f32_e32 v26, v29, v25
	s_delay_alu instid0(VALU_DEP_1) | instskip(NEXT) | instid1(VALU_DEP_1)
	v_add_f32_e32 v31, v30, v26
	v_sub_f32_e32 v32, v28, v31
	v_sub_f32_e32 v24, v31, v30
	s_delay_alu instid0(VALU_DEP_2) | instskip(NEXT) | instid1(VALU_DEP_1)
	v_sub_f32_e32 v28, v28, v32
	v_sub_f32_e32 v28, v28, v31
	s_delay_alu instid0(VALU_DEP_3) | instskip(NEXT) | instid1(VALU_DEP_2)
	v_sub_f32_e32 v24, v24, v26
	v_add_f32_e32 v14, v14, v28
	s_delay_alu instid0(VALU_DEP_1) | instskip(NEXT) | instid1(VALU_DEP_1)
	v_add_f32_e32 v14, v24, v14
	v_add_f32_e32 v24, v32, v14
	s_delay_alu instid0(VALU_DEP_1) | instskip(NEXT) | instid1(VALU_DEP_1)
	v_mul_f32_e32 v26, v23, v24
	v_dual_sub_f32 v31, v32, v24 :: v_dual_mul_f32 v28, v27, v26
	s_delay_alu instid0(VALU_DEP_1) | instskip(NEXT) | instid1(VALU_DEP_2)
	v_add_f32_e32 v14, v14, v31
	v_fma_f32 v27, v26, v27, -v28
	s_delay_alu instid0(VALU_DEP_1) | instskip(NEXT) | instid1(VALU_DEP_1)
	v_fmac_f32_e32 v27, v26, v25
	v_add_f32_e32 v25, v28, v27
	s_delay_alu instid0(VALU_DEP_1) | instskip(NEXT) | instid1(VALU_DEP_1)
	v_sub_f32_e32 v30, v24, v25
	v_sub_f32_e32 v24, v24, v30
	s_delay_alu instid0(VALU_DEP_1) | instskip(NEXT) | instid1(VALU_DEP_1)
	v_sub_f32_e32 v24, v24, v25
	v_add_f32_e32 v14, v14, v24
	v_add_f32_e32 v24, v29, v26
	v_sub_f32_e32 v28, v25, v28
	s_delay_alu instid0(VALU_DEP_1) | instskip(NEXT) | instid1(VALU_DEP_1)
	v_sub_f32_e32 v25, v28, v27
	v_dual_add_f32 v14, v25, v14 :: v_dual_sub_f32 v25, v24, v29
	s_delay_alu instid0(VALU_DEP_1) | instskip(NEXT) | instid1(VALU_DEP_1)
	v_add_f32_e32 v14, v30, v14
	v_dual_sub_f32 v25, v26, v25 :: v_dual_mul_f32 v14, v23, v14
	s_delay_alu instid0(VALU_DEP_1) | instskip(NEXT) | instid1(VALU_DEP_1)
	v_add_f32_e32 v14, v25, v14
	v_add_f32_e32 v23, v24, v14
	s_delay_alu instid0(VALU_DEP_1) | instskip(SKIP_1) | instid1(VALU_DEP_1)
	v_mul_f32_e32 v25, v23, v23
	s_wait_alu 0xfffe
	v_fmaak_f32 v26, s27, v25, 0x3ecc95a3
	v_mul_f32_e32 v27, v23, v25
	s_delay_alu instid0(VALU_DEP_2) | instskip(SKIP_1) | instid1(VALU_DEP_2)
	v_fmaak_f32 v25, v25, v26, 0x3f2aaada
	v_ldexp_f32 v26, v23, 1
	v_mul_f32_e32 v25, v27, v25
	v_mul_f32_e32 v27, 0x3f317218, v13
	s_delay_alu instid0(VALU_DEP_2) | instskip(NEXT) | instid1(VALU_DEP_1)
	v_dual_sub_f32 v23, v23, v24 :: v_dual_add_f32 v24, v26, v25
	v_dual_sub_f32 v14, v14, v23 :: v_dual_sub_f32 v23, v24, v26
	s_delay_alu instid0(VALU_DEP_3) | instskip(NEXT) | instid1(VALU_DEP_2)
	v_fma_f32 v26, 0x3f317218, v13, -v27
	v_ldexp_f32 v14, v14, 1
	s_delay_alu instid0(VALU_DEP_3) | instskip(NEXT) | instid1(VALU_DEP_1)
	v_sub_f32_e32 v23, v25, v23
	v_dual_fmamk_f32 v13, v13, 0xb102e308, v26 :: v_dual_add_f32 v14, v14, v23
	s_delay_alu instid0(VALU_DEP_1) | instskip(NEXT) | instid1(VALU_DEP_1)
	v_add_f32_e32 v23, v27, v13
	v_sub_f32_e32 v27, v23, v27
	s_delay_alu instid0(VALU_DEP_3) | instskip(NEXT) | instid1(VALU_DEP_1)
	v_add_f32_e32 v25, v24, v14
	v_dual_sub_f32 v13, v13, v27 :: v_dual_add_f32 v26, v23, v25
	v_sub_f32_e32 v24, v25, v24
	s_delay_alu instid0(VALU_DEP_2) | instskip(NEXT) | instid1(VALU_DEP_1)
	v_sub_f32_e32 v28, v26, v23
	v_sub_f32_e32 v29, v26, v28
	s_delay_alu instid0(VALU_DEP_1) | instskip(SKIP_1) | instid1(VALU_DEP_1)
	v_dual_sub_f32 v23, v23, v29 :: v_dual_sub_f32 v14, v14, v24
	v_sub_f32_e32 v24, v25, v28
	v_add_f32_e32 v23, v24, v23
	s_delay_alu instid0(VALU_DEP_3) | instskip(NEXT) | instid1(VALU_DEP_1)
	v_add_f32_e32 v25, v13, v14
	v_sub_f32_e32 v24, v25, v13
	s_delay_alu instid0(VALU_DEP_1) | instskip(NEXT) | instid1(VALU_DEP_1)
	v_dual_add_f32 v23, v25, v23 :: v_dual_sub_f32 v14, v14, v24
	v_add_f32_e32 v27, v26, v23
	s_delay_alu instid0(VALU_DEP_1) | instskip(NEXT) | instid1(VALU_DEP_1)
	v_dual_sub_f32 v25, v25, v24 :: v_dual_sub_f32 v24, v27, v26
	v_sub_f32_e32 v13, v13, v25
	s_delay_alu instid0(VALU_DEP_1) | instskip(NEXT) | instid1(VALU_DEP_1)
	v_dual_add_f32 v13, v14, v13 :: v_dual_sub_f32 v14, v23, v24
	v_add_f32_e32 v13, v13, v14
	s_delay_alu instid0(VALU_DEP_1) | instskip(SKIP_1) | instid1(VALU_DEP_1)
	v_add_f32_e32 v13, v27, v13
	s_wait_alu 0xfffd
	v_cndmask_b32_e32 v13, 0x7f800000, v13, vcc_lo
	v_cmp_gt_f32_e64 vcc_lo, 0x33800000, |v9|
	s_wait_alu 0xfffd
	s_delay_alu instid0(VALU_DEP_2) | instskip(NEXT) | instid1(VALU_DEP_1)
	v_cndmask_b32_e32 v9, v13, v9, vcc_lo
	v_add_f32_e32 v9, v8, v9
.LBB158_57:
	s_wait_alu 0xfffe
	s_or_b32 exec_lo, exec_lo, s26
	s_delay_alu instid0(VALU_DEP_1)
	v_mov_b32_e32 v8, v9
.LBB158_58:
	s_wait_alu 0xfffe
	s_or_b32 exec_lo, exec_lo, s10
	s_delay_alu instid0(VALU_DEP_1)
	v_mov_b32_dpp v9, v8 row_shr:2 row_mask:0xf bank_mask:0xf
	s_mov_b32 s10, exec_lo
	v_cmpx_lt_u32_e32 1, v7
	s_cbranch_execz .LBB158_62
; %bb.59:
	s_delay_alu instid0(VALU_DEP_2) | instskip(SKIP_1) | instid1(VALU_DEP_2)
	v_dual_max_num_f32 v13, v8, v8 :: v_dual_max_num_f32 v14, v9, v9
	v_cmp_u_f32_e32 vcc_lo, v9, v9
	v_min_num_f32_e32 v23, v14, v13
	v_max_num_f32_e32 v13, v14, v13
	s_wait_alu 0xfffd
	s_delay_alu instid0(VALU_DEP_2) | instskip(NEXT) | instid1(VALU_DEP_2)
	v_cndmask_b32_e32 v14, v23, v9, vcc_lo
	v_cndmask_b32_e32 v23, v13, v9, vcc_lo
	v_cmp_u_f32_e32 vcc_lo, v8, v8
	s_wait_alu 0xfffd
	s_delay_alu instid0(VALU_DEP_3) | instskip(NEXT) | instid1(VALU_DEP_3)
	v_cndmask_b32_e32 v13, v14, v8, vcc_lo
	v_cndmask_b32_e32 v8, v23, v8, vcc_lo
	s_delay_alu instid0(VALU_DEP_2) | instskip(NEXT) | instid1(VALU_DEP_2)
	v_cmp_class_f32_e64 s26, v13, 0x1f8
	v_cmp_neq_f32_e32 vcc_lo, v13, v8
	s_or_b32 s27, vcc_lo, s26
	s_wait_alu 0xfffe
	s_and_saveexec_b32 s26, s27
	s_cbranch_execz .LBB158_61
; %bb.60:
	v_sub_f32_e32 v9, v13, v8
	s_mov_b32 s27, 0x3e9b6dac
	s_delay_alu instid0(VALU_DEP_1) | instskip(SKIP_1) | instid1(VALU_DEP_2)
	v_mul_f32_e32 v13, 0x3fb8aa3b, v9
	v_cmp_ngt_f32_e32 vcc_lo, 0xc2ce8ed0, v9
	v_fma_f32 v14, 0x3fb8aa3b, v9, -v13
	v_rndne_f32_e32 v23, v13
	s_delay_alu instid0(VALU_DEP_2) | instskip(NEXT) | instid1(VALU_DEP_2)
	v_fmamk_f32 v14, v9, 0x32a5705f, v14
	v_sub_f32_e32 v13, v13, v23
	s_delay_alu instid0(VALU_DEP_1) | instskip(SKIP_1) | instid1(VALU_DEP_2)
	v_add_f32_e32 v13, v13, v14
	v_cvt_i32_f32_e32 v14, v23
	v_exp_f32_e32 v13, v13
	s_delay_alu instid0(TRANS32_DEP_1) | instskip(SKIP_1) | instid1(VALU_DEP_1)
	v_ldexp_f32 v13, v13, v14
	s_wait_alu 0xfffd
	v_cndmask_b32_e32 v13, 0, v13, vcc_lo
	v_cmp_nlt_f32_e32 vcc_lo, 0x42b17218, v9
	s_wait_alu 0xfffd
	s_delay_alu instid0(VALU_DEP_2) | instskip(NEXT) | instid1(VALU_DEP_1)
	v_cndmask_b32_e32 v9, 0x7f800000, v13, vcc_lo
	v_add_f32_e32 v23, 1.0, v9
	s_delay_alu instid0(VALU_DEP_1) | instskip(NEXT) | instid1(VALU_DEP_1)
	v_cvt_f64_f32_e32 v[13:14], v23
	v_frexp_exp_i32_f64_e32 v13, v[13:14]
	v_frexp_mant_f32_e32 v14, v23
	s_delay_alu instid0(VALU_DEP_1) | instskip(SKIP_1) | instid1(VALU_DEP_1)
	v_cmp_gt_f32_e32 vcc_lo, 0x3f2aaaab, v14
	v_add_f32_e32 v14, -1.0, v23
	v_dual_sub_f32 v25, v14, v23 :: v_dual_sub_f32 v14, v9, v14
	s_delay_alu instid0(VALU_DEP_1) | instskip(NEXT) | instid1(VALU_DEP_1)
	v_add_f32_e32 v25, 1.0, v25
	v_add_f32_e32 v14, v14, v25
	s_wait_alu 0xfffd
	v_subrev_co_ci_u32_e64 v13, null, 0, v13, vcc_lo
	s_delay_alu instid0(VALU_DEP_1) | instskip(SKIP_1) | instid1(VALU_DEP_2)
	v_sub_nc_u32_e32 v24, 0, v13
	v_cvt_f32_i32_e32 v13, v13
	v_ldexp_f32 v23, v23, v24
	v_ldexp_f32 v14, v14, v24
	s_delay_alu instid0(VALU_DEP_2) | instskip(SKIP_2) | instid1(VALU_DEP_3)
	v_add_f32_e32 v26, 1.0, v23
	v_add_f32_e32 v24, -1.0, v23
	v_cmp_neq_f32_e32 vcc_lo, 0x7f800000, v9
	v_add_f32_e32 v25, -1.0, v26
	s_delay_alu instid0(VALU_DEP_3) | instskip(NEXT) | instid1(VALU_DEP_2)
	v_add_f32_e32 v27, 1.0, v24
	v_sub_f32_e32 v25, v23, v25
	s_delay_alu instid0(VALU_DEP_2) | instskip(NEXT) | instid1(VALU_DEP_2)
	v_sub_f32_e32 v23, v23, v27
	v_add_f32_e32 v25, v14, v25
	s_delay_alu instid0(VALU_DEP_2) | instskip(NEXT) | instid1(VALU_DEP_1)
	v_add_f32_e32 v14, v14, v23
	v_add_f32_e32 v28, v24, v14
	s_delay_alu instid0(VALU_DEP_1) | instskip(NEXT) | instid1(VALU_DEP_1)
	v_dual_sub_f32 v24, v24, v28 :: v_dual_add_f32 v27, v26, v25
	v_add_f32_e32 v14, v14, v24
	s_delay_alu instid0(VALU_DEP_2) | instskip(SKIP_1) | instid1(VALU_DEP_1)
	v_rcp_f32_e32 v23, v27
	v_sub_f32_e32 v26, v26, v27
	v_add_f32_e32 v25, v25, v26
	s_delay_alu instid0(TRANS32_DEP_1) | instskip(NEXT) | instid1(VALU_DEP_1)
	v_mul_f32_e32 v29, v28, v23
	v_mul_f32_e32 v30, v27, v29
	s_delay_alu instid0(VALU_DEP_1) | instskip(NEXT) | instid1(VALU_DEP_1)
	v_fma_f32 v26, v29, v27, -v30
	v_fmac_f32_e32 v26, v29, v25
	s_delay_alu instid0(VALU_DEP_1) | instskip(NEXT) | instid1(VALU_DEP_1)
	v_add_f32_e32 v31, v30, v26
	v_sub_f32_e32 v32, v28, v31
	v_sub_f32_e32 v24, v31, v30
	s_delay_alu instid0(VALU_DEP_2) | instskip(NEXT) | instid1(VALU_DEP_1)
	v_sub_f32_e32 v28, v28, v32
	v_sub_f32_e32 v28, v28, v31
	s_delay_alu instid0(VALU_DEP_3) | instskip(NEXT) | instid1(VALU_DEP_2)
	v_sub_f32_e32 v24, v24, v26
	v_add_f32_e32 v14, v14, v28
	s_delay_alu instid0(VALU_DEP_1) | instskip(NEXT) | instid1(VALU_DEP_1)
	v_add_f32_e32 v14, v24, v14
	v_add_f32_e32 v24, v32, v14
	s_delay_alu instid0(VALU_DEP_1) | instskip(NEXT) | instid1(VALU_DEP_1)
	v_mul_f32_e32 v26, v23, v24
	v_dual_sub_f32 v31, v32, v24 :: v_dual_mul_f32 v28, v27, v26
	s_delay_alu instid0(VALU_DEP_1) | instskip(NEXT) | instid1(VALU_DEP_2)
	v_add_f32_e32 v14, v14, v31
	v_fma_f32 v27, v26, v27, -v28
	s_delay_alu instid0(VALU_DEP_1) | instskip(NEXT) | instid1(VALU_DEP_1)
	v_fmac_f32_e32 v27, v26, v25
	v_add_f32_e32 v25, v28, v27
	s_delay_alu instid0(VALU_DEP_1) | instskip(NEXT) | instid1(VALU_DEP_1)
	v_sub_f32_e32 v30, v24, v25
	v_sub_f32_e32 v24, v24, v30
	s_delay_alu instid0(VALU_DEP_1) | instskip(NEXT) | instid1(VALU_DEP_1)
	v_sub_f32_e32 v24, v24, v25
	v_add_f32_e32 v14, v14, v24
	v_add_f32_e32 v24, v29, v26
	v_sub_f32_e32 v28, v25, v28
	s_delay_alu instid0(VALU_DEP_1) | instskip(NEXT) | instid1(VALU_DEP_1)
	v_sub_f32_e32 v25, v28, v27
	v_dual_add_f32 v14, v25, v14 :: v_dual_sub_f32 v25, v24, v29
	s_delay_alu instid0(VALU_DEP_1) | instskip(NEXT) | instid1(VALU_DEP_1)
	v_add_f32_e32 v14, v30, v14
	v_dual_sub_f32 v25, v26, v25 :: v_dual_mul_f32 v14, v23, v14
	s_delay_alu instid0(VALU_DEP_1) | instskip(NEXT) | instid1(VALU_DEP_1)
	v_add_f32_e32 v14, v25, v14
	v_add_f32_e32 v23, v24, v14
	s_delay_alu instid0(VALU_DEP_1) | instskip(SKIP_1) | instid1(VALU_DEP_1)
	v_mul_f32_e32 v25, v23, v23
	s_wait_alu 0xfffe
	v_fmaak_f32 v26, s27, v25, 0x3ecc95a3
	v_mul_f32_e32 v27, v23, v25
	s_delay_alu instid0(VALU_DEP_2) | instskip(SKIP_1) | instid1(VALU_DEP_2)
	v_fmaak_f32 v25, v25, v26, 0x3f2aaada
	v_ldexp_f32 v26, v23, 1
	v_mul_f32_e32 v25, v27, v25
	v_mul_f32_e32 v27, 0x3f317218, v13
	s_delay_alu instid0(VALU_DEP_2) | instskip(NEXT) | instid1(VALU_DEP_1)
	v_dual_sub_f32 v23, v23, v24 :: v_dual_add_f32 v24, v26, v25
	v_dual_sub_f32 v14, v14, v23 :: v_dual_sub_f32 v23, v24, v26
	s_delay_alu instid0(VALU_DEP_3) | instskip(NEXT) | instid1(VALU_DEP_2)
	v_fma_f32 v26, 0x3f317218, v13, -v27
	v_ldexp_f32 v14, v14, 1
	s_delay_alu instid0(VALU_DEP_3) | instskip(NEXT) | instid1(VALU_DEP_1)
	v_sub_f32_e32 v23, v25, v23
	v_dual_fmamk_f32 v13, v13, 0xb102e308, v26 :: v_dual_add_f32 v14, v14, v23
	s_delay_alu instid0(VALU_DEP_1) | instskip(NEXT) | instid1(VALU_DEP_1)
	v_add_f32_e32 v23, v27, v13
	v_sub_f32_e32 v27, v23, v27
	s_delay_alu instid0(VALU_DEP_3) | instskip(NEXT) | instid1(VALU_DEP_1)
	v_add_f32_e32 v25, v24, v14
	v_dual_sub_f32 v13, v13, v27 :: v_dual_add_f32 v26, v23, v25
	v_sub_f32_e32 v24, v25, v24
	s_delay_alu instid0(VALU_DEP_2) | instskip(NEXT) | instid1(VALU_DEP_1)
	v_sub_f32_e32 v28, v26, v23
	v_sub_f32_e32 v29, v26, v28
	s_delay_alu instid0(VALU_DEP_1) | instskip(SKIP_1) | instid1(VALU_DEP_1)
	v_dual_sub_f32 v23, v23, v29 :: v_dual_sub_f32 v14, v14, v24
	v_sub_f32_e32 v24, v25, v28
	v_add_f32_e32 v23, v24, v23
	s_delay_alu instid0(VALU_DEP_3) | instskip(NEXT) | instid1(VALU_DEP_1)
	v_add_f32_e32 v25, v13, v14
	v_sub_f32_e32 v24, v25, v13
	s_delay_alu instid0(VALU_DEP_1) | instskip(NEXT) | instid1(VALU_DEP_1)
	v_dual_add_f32 v23, v25, v23 :: v_dual_sub_f32 v14, v14, v24
	v_add_f32_e32 v27, v26, v23
	s_delay_alu instid0(VALU_DEP_1) | instskip(NEXT) | instid1(VALU_DEP_1)
	v_dual_sub_f32 v25, v25, v24 :: v_dual_sub_f32 v24, v27, v26
	v_sub_f32_e32 v13, v13, v25
	s_delay_alu instid0(VALU_DEP_1) | instskip(NEXT) | instid1(VALU_DEP_1)
	v_dual_add_f32 v13, v14, v13 :: v_dual_sub_f32 v14, v23, v24
	v_add_f32_e32 v13, v13, v14
	s_delay_alu instid0(VALU_DEP_1) | instskip(SKIP_1) | instid1(VALU_DEP_1)
	v_add_f32_e32 v13, v27, v13
	s_wait_alu 0xfffd
	v_cndmask_b32_e32 v13, 0x7f800000, v13, vcc_lo
	v_cmp_gt_f32_e64 vcc_lo, 0x33800000, |v9|
	s_wait_alu 0xfffd
	s_delay_alu instid0(VALU_DEP_2) | instskip(NEXT) | instid1(VALU_DEP_1)
	v_cndmask_b32_e32 v9, v13, v9, vcc_lo
	v_add_f32_e32 v9, v8, v9
.LBB158_61:
	s_wait_alu 0xfffe
	s_or_b32 exec_lo, exec_lo, s26
	s_delay_alu instid0(VALU_DEP_1)
	v_mov_b32_e32 v8, v9
.LBB158_62:
	s_wait_alu 0xfffe
	s_or_b32 exec_lo, exec_lo, s10
	s_delay_alu instid0(VALU_DEP_1)
	v_mov_b32_dpp v9, v8 row_shr:4 row_mask:0xf bank_mask:0xf
	s_mov_b32 s10, exec_lo
	v_cmpx_lt_u32_e32 3, v7
	s_cbranch_execz .LBB158_66
; %bb.63:
	v_max_num_f32_e32 v7, v8, v8
	v_max_num_f32_e32 v13, v9, v9
	v_cmp_u_f32_e32 vcc_lo, v9, v9
	s_delay_alu instid0(VALU_DEP_2) | instskip(SKIP_2) | instid1(VALU_DEP_1)
	v_min_num_f32_e32 v14, v13, v7
	v_max_num_f32_e32 v7, v13, v7
	s_wait_alu 0xfffd
	v_cndmask_b32_e32 v7, v7, v9, vcc_lo
	s_delay_alu instid0(VALU_DEP_3) | instskip(SKIP_2) | instid1(VALU_DEP_2)
	v_cndmask_b32_e32 v13, v14, v9, vcc_lo
	v_cmp_u_f32_e32 vcc_lo, v8, v8
	s_wait_alu 0xfffd
	v_cndmask_b32_e32 v13, v13, v8, vcc_lo
	v_cndmask_b32_e32 v7, v7, v8, vcc_lo
	s_delay_alu instid0(VALU_DEP_2) | instskip(NEXT) | instid1(VALU_DEP_2)
	v_cmp_class_f32_e64 s26, v13, 0x1f8
	v_cmp_neq_f32_e32 vcc_lo, v13, v7
	s_or_b32 s27, vcc_lo, s26
	s_wait_alu 0xfffe
	s_and_saveexec_b32 s26, s27
	s_cbranch_execz .LBB158_65
; %bb.64:
	v_sub_f32_e32 v8, v13, v7
	s_mov_b32 s27, 0x3e9b6dac
	s_delay_alu instid0(VALU_DEP_1) | instskip(SKIP_1) | instid1(VALU_DEP_2)
	v_mul_f32_e32 v9, 0x3fb8aa3b, v8
	v_cmp_ngt_f32_e32 vcc_lo, 0xc2ce8ed0, v8
	v_fma_f32 v13, 0x3fb8aa3b, v8, -v9
	v_rndne_f32_e32 v14, v9
	s_delay_alu instid0(VALU_DEP_2) | instskip(NEXT) | instid1(VALU_DEP_2)
	v_fmamk_f32 v13, v8, 0x32a5705f, v13
	v_sub_f32_e32 v9, v9, v14
	s_delay_alu instid0(VALU_DEP_1) | instskip(SKIP_1) | instid1(VALU_DEP_2)
	v_add_f32_e32 v9, v9, v13
	v_cvt_i32_f32_e32 v13, v14
	v_exp_f32_e32 v9, v9
	s_delay_alu instid0(TRANS32_DEP_1) | instskip(SKIP_1) | instid1(VALU_DEP_1)
	v_ldexp_f32 v9, v9, v13
	s_wait_alu 0xfffd
	v_cndmask_b32_e32 v9, 0, v9, vcc_lo
	v_cmp_nlt_f32_e32 vcc_lo, 0x42b17218, v8
	s_wait_alu 0xfffd
	s_delay_alu instid0(VALU_DEP_2) | instskip(NEXT) | instid1(VALU_DEP_1)
	v_cndmask_b32_e32 v13, 0x7f800000, v9, vcc_lo
	v_add_f32_e32 v14, 1.0, v13
	s_delay_alu instid0(VALU_DEP_1) | instskip(NEXT) | instid1(VALU_DEP_1)
	v_cvt_f64_f32_e32 v[8:9], v14
	v_frexp_exp_i32_f64_e32 v8, v[8:9]
	v_frexp_mant_f32_e32 v9, v14
	s_delay_alu instid0(VALU_DEP_1) | instskip(SKIP_1) | instid1(VALU_DEP_1)
	v_cmp_gt_f32_e32 vcc_lo, 0x3f2aaaab, v9
	v_add_f32_e32 v9, -1.0, v14
	v_sub_f32_e32 v24, v9, v14
	s_delay_alu instid0(VALU_DEP_1) | instskip(SKIP_2) | instid1(VALU_DEP_1)
	v_add_f32_e32 v24, 1.0, v24
	s_wait_alu 0xfffd
	v_subrev_co_ci_u32_e64 v8, null, 0, v8, vcc_lo
	v_sub_nc_u32_e32 v23, 0, v8
	v_cvt_f32_i32_e32 v8, v8
	s_delay_alu instid0(VALU_DEP_2) | instskip(SKIP_1) | instid1(VALU_DEP_1)
	v_ldexp_f32 v14, v14, v23
	v_sub_f32_e32 v9, v13, v9
	v_add_f32_e32 v9, v9, v24
	s_delay_alu instid0(VALU_DEP_1) | instskip(NEXT) | instid1(VALU_DEP_4)
	v_ldexp_f32 v9, v9, v23
	v_add_f32_e32 v25, 1.0, v14
	s_delay_alu instid0(VALU_DEP_1) | instskip(NEXT) | instid1(VALU_DEP_1)
	v_add_f32_e32 v24, -1.0, v25
	v_sub_f32_e32 v24, v14, v24
	s_delay_alu instid0(VALU_DEP_1) | instskip(NEXT) | instid1(VALU_DEP_1)
	v_dual_add_f32 v24, v9, v24 :: v_dual_add_f32 v23, -1.0, v14
	v_add_f32_e32 v26, 1.0, v23
	v_cmp_neq_f32_e32 vcc_lo, 0x7f800000, v13
	s_delay_alu instid0(VALU_DEP_2) | instskip(NEXT) | instid1(VALU_DEP_4)
	v_sub_f32_e32 v14, v14, v26
	v_add_f32_e32 v26, v25, v24
	s_delay_alu instid0(VALU_DEP_1) | instskip(NEXT) | instid1(VALU_DEP_3)
	v_sub_f32_e32 v25, v25, v26
	v_add_f32_e32 v9, v9, v14
	v_rcp_f32_e32 v14, v26
	s_delay_alu instid0(VALU_DEP_2) | instskip(NEXT) | instid1(VALU_DEP_2)
	v_add_f32_e32 v24, v24, v25
	v_add_f32_e32 v27, v23, v9
	s_delay_alu instid0(VALU_DEP_1)
	v_sub_f32_e32 v23, v23, v27
	s_delay_alu instid0(TRANS32_DEP_1) | instid1(VALU_DEP_1)
	v_dual_mul_f32 v28, v27, v14 :: v_dual_add_f32 v9, v9, v23
	s_delay_alu instid0(VALU_DEP_1) | instskip(NEXT) | instid1(VALU_DEP_1)
	v_mul_f32_e32 v29, v26, v28
	v_fma_f32 v25, v28, v26, -v29
	s_delay_alu instid0(VALU_DEP_1) | instskip(NEXT) | instid1(VALU_DEP_1)
	v_fmac_f32_e32 v25, v28, v24
	v_add_f32_e32 v30, v29, v25
	s_delay_alu instid0(VALU_DEP_1) | instskip(SKIP_1) | instid1(VALU_DEP_2)
	v_sub_f32_e32 v31, v27, v30
	v_sub_f32_e32 v23, v30, v29
	;; [unrolled: 1-line block ×3, first 2 shown]
	s_delay_alu instid0(VALU_DEP_2) | instskip(NEXT) | instid1(VALU_DEP_2)
	v_sub_f32_e32 v23, v23, v25
	v_sub_f32_e32 v27, v27, v30
	s_delay_alu instid0(VALU_DEP_1) | instskip(NEXT) | instid1(VALU_DEP_1)
	v_add_f32_e32 v9, v9, v27
	v_add_f32_e32 v9, v23, v9
	s_delay_alu instid0(VALU_DEP_1) | instskip(NEXT) | instid1(VALU_DEP_1)
	v_add_f32_e32 v23, v31, v9
	v_mul_f32_e32 v25, v14, v23
	s_delay_alu instid0(VALU_DEP_1) | instskip(NEXT) | instid1(VALU_DEP_1)
	v_dual_sub_f32 v30, v31, v23 :: v_dual_mul_f32 v27, v26, v25
	v_add_f32_e32 v9, v9, v30
	s_delay_alu instid0(VALU_DEP_2) | instskip(NEXT) | instid1(VALU_DEP_1)
	v_fma_f32 v26, v25, v26, -v27
	v_fmac_f32_e32 v26, v25, v24
	s_delay_alu instid0(VALU_DEP_1) | instskip(NEXT) | instid1(VALU_DEP_1)
	v_add_f32_e32 v24, v27, v26
	v_sub_f32_e32 v29, v23, v24
	v_sub_f32_e32 v27, v24, v27
	s_delay_alu instid0(VALU_DEP_2) | instskip(NEXT) | instid1(VALU_DEP_1)
	v_sub_f32_e32 v23, v23, v29
	v_sub_f32_e32 v23, v23, v24
	s_delay_alu instid0(VALU_DEP_1) | instskip(SKIP_1) | instid1(VALU_DEP_1)
	v_dual_sub_f32 v24, v27, v26 :: v_dual_add_f32 v9, v9, v23
	v_add_f32_e32 v23, v28, v25
	v_dual_add_f32 v9, v24, v9 :: v_dual_sub_f32 v24, v23, v28
	s_delay_alu instid0(VALU_DEP_1) | instskip(NEXT) | instid1(VALU_DEP_1)
	v_add_f32_e32 v9, v29, v9
	v_dual_sub_f32 v24, v25, v24 :: v_dual_mul_f32 v9, v14, v9
	s_delay_alu instid0(VALU_DEP_1) | instskip(NEXT) | instid1(VALU_DEP_1)
	v_add_f32_e32 v9, v24, v9
	v_add_f32_e32 v14, v23, v9
	s_delay_alu instid0(VALU_DEP_1) | instskip(SKIP_1) | instid1(VALU_DEP_1)
	v_mul_f32_e32 v24, v14, v14
	s_wait_alu 0xfffe
	v_fmaak_f32 v25, s27, v24, 0x3ecc95a3
	v_mul_f32_e32 v26, v14, v24
	s_delay_alu instid0(VALU_DEP_2) | instskip(SKIP_2) | instid1(VALU_DEP_3)
	v_fmaak_f32 v24, v24, v25, 0x3f2aaada
	v_ldexp_f32 v25, v14, 1
	v_sub_f32_e32 v14, v14, v23
	v_mul_f32_e32 v24, v26, v24
	s_delay_alu instid0(VALU_DEP_2) | instskip(NEXT) | instid1(VALU_DEP_2)
	v_dual_mul_f32 v26, 0x3f317218, v8 :: v_dual_sub_f32 v9, v9, v14
	v_add_f32_e32 v23, v25, v24
	s_delay_alu instid0(VALU_DEP_2) | instskip(NEXT) | instid1(VALU_DEP_2)
	v_ldexp_f32 v9, v9, 1
	v_sub_f32_e32 v14, v23, v25
	s_delay_alu instid0(VALU_DEP_4) | instskip(NEXT) | instid1(VALU_DEP_2)
	v_fma_f32 v25, 0x3f317218, v8, -v26
	v_sub_f32_e32 v14, v24, v14
	s_delay_alu instid0(VALU_DEP_1) | instskip(NEXT) | instid1(VALU_DEP_1)
	v_dual_fmamk_f32 v8, v8, 0xb102e308, v25 :: v_dual_add_f32 v9, v9, v14
	v_add_f32_e32 v14, v26, v8
	s_delay_alu instid0(VALU_DEP_2) | instskip(NEXT) | instid1(VALU_DEP_2)
	v_add_f32_e32 v24, v23, v9
	v_sub_f32_e32 v26, v14, v26
	s_delay_alu instid0(VALU_DEP_2) | instskip(SKIP_1) | instid1(VALU_DEP_3)
	v_add_f32_e32 v25, v14, v24
	v_sub_f32_e32 v23, v24, v23
	v_sub_f32_e32 v8, v8, v26
	s_delay_alu instid0(VALU_DEP_3) | instskip(NEXT) | instid1(VALU_DEP_3)
	v_sub_f32_e32 v27, v25, v14
	v_sub_f32_e32 v9, v9, v23
	s_delay_alu instid0(VALU_DEP_2) | instskip(SKIP_1) | instid1(VALU_DEP_3)
	v_sub_f32_e32 v28, v25, v27
	v_sub_f32_e32 v23, v24, v27
	v_add_f32_e32 v24, v8, v9
	s_delay_alu instid0(VALU_DEP_3) | instskip(NEXT) | instid1(VALU_DEP_1)
	v_sub_f32_e32 v14, v14, v28
	v_dual_add_f32 v14, v23, v14 :: v_dual_sub_f32 v23, v24, v8
	s_delay_alu instid0(VALU_DEP_1) | instskip(NEXT) | instid1(VALU_DEP_2)
	v_add_f32_e32 v14, v24, v14
	v_sub_f32_e32 v24, v24, v23
	v_sub_f32_e32 v9, v9, v23
	s_delay_alu instid0(VALU_DEP_3) | instskip(NEXT) | instid1(VALU_DEP_1)
	v_add_f32_e32 v26, v25, v14
	v_dual_sub_f32 v8, v8, v24 :: v_dual_sub_f32 v23, v26, v25
	s_delay_alu instid0(VALU_DEP_1) | instskip(NEXT) | instid1(VALU_DEP_1)
	v_dual_add_f32 v8, v9, v8 :: v_dual_sub_f32 v9, v14, v23
	v_add_f32_e32 v8, v8, v9
	s_delay_alu instid0(VALU_DEP_1) | instskip(SKIP_1) | instid1(VALU_DEP_1)
	v_add_f32_e32 v8, v26, v8
	s_wait_alu 0xfffd
	v_cndmask_b32_e32 v8, 0x7f800000, v8, vcc_lo
	v_cmp_gt_f32_e64 vcc_lo, 0x33800000, |v13|
	s_wait_alu 0xfffd
	s_delay_alu instid0(VALU_DEP_2) | instskip(NEXT) | instid1(VALU_DEP_1)
	v_cndmask_b32_e32 v8, v8, v13, vcc_lo
	v_add_f32_e32 v9, v7, v8
.LBB158_65:
	s_wait_alu 0xfffe
	s_or_b32 exec_lo, exec_lo, s26
	s_delay_alu instid0(VALU_DEP_1)
	v_mov_b32_e32 v8, v9
.LBB158_66:
	s_wait_alu 0xfffe
	s_or_b32 exec_lo, exec_lo, s10
	ds_store_b32 v15, v8
.LBB158_67:
	s_wait_alu 0xfffe
	s_or_b32 exec_lo, exec_lo, s9
	s_delay_alu instid0(SALU_CYCLE_1)
	s_mov_b32 s10, exec_lo
	v_cmp_gt_u32_e32 vcc_lo, 32, v0
	s_wait_loadcnt_dscnt 0x0
	s_barrier_signal -1
	s_barrier_wait -1
	global_inv scope:SCOPE_SE
                                        ; implicit-def: $vgpr23
	v_cmpx_lt_u32_e32 31, v0
	s_cbranch_execz .LBB158_71
; %bb.68:
	v_lshl_add_u32 v6, v6, 2, -4
	ds_load_b32 v23, v6
	s_wait_dscnt 0x0
	v_dual_max_num_f32 v6, v5, v5 :: v_dual_max_num_f32 v7, v23, v23
	v_cmp_u_f32_e64 s9, v23, v23
	s_delay_alu instid0(VALU_DEP_2) | instskip(SKIP_2) | instid1(VALU_DEP_2)
	v_min_num_f32_e32 v8, v7, v6
	v_max_num_f32_e32 v6, v7, v6
	s_wait_alu 0xf1ff
	v_cndmask_b32_e64 v7, v8, v23, s9
	s_delay_alu instid0(VALU_DEP_2) | instskip(SKIP_2) | instid1(VALU_DEP_1)
	v_cndmask_b32_e64 v6, v6, v23, s9
	v_cmp_u_f32_e64 s9, v5, v5
	s_wait_alu 0xf1ff
	v_cndmask_b32_e64 v7, v7, v5, s9
	s_delay_alu instid0(VALU_DEP_3) | instskip(SKIP_1) | instid1(VALU_DEP_3)
	v_cndmask_b32_e64 v6, v6, v5, s9
	v_mov_b32_e32 v5, v23
	v_cmp_class_f32_e64 s26, v7, 0x1f8
	s_delay_alu instid0(VALU_DEP_3)
	v_cmp_neq_f32_e64 s9, v7, v6
	s_or_b32 s9, s9, s26
	s_wait_alu 0xfffe
	s_and_saveexec_b32 s26, s9
	s_cbranch_execz .LBB158_70
; %bb.69:
	v_sub_f32_e32 v5, v7, v6
	s_delay_alu instid0(VALU_DEP_1) | instskip(SKIP_1) | instid1(VALU_DEP_2)
	v_mul_f32_e32 v7, 0x3fb8aa3b, v5
	v_cmp_ngt_f32_e64 s9, 0xc2ce8ed0, v5
	v_fma_f32 v8, 0x3fb8aa3b, v5, -v7
	v_rndne_f32_e32 v9, v7
	s_delay_alu instid0(VALU_DEP_1) | instskip(NEXT) | instid1(VALU_DEP_1)
	v_dual_fmamk_f32 v8, v5, 0x32a5705f, v8 :: v_dual_sub_f32 v7, v7, v9
	v_add_f32_e32 v7, v7, v8
	v_cvt_i32_f32_e32 v8, v9
	s_delay_alu instid0(VALU_DEP_2) | instskip(NEXT) | instid1(TRANS32_DEP_1)
	v_exp_f32_e32 v7, v7
	v_ldexp_f32 v7, v7, v8
	s_wait_alu 0xf1ff
	s_delay_alu instid0(VALU_DEP_1) | instskip(SKIP_2) | instid1(VALU_DEP_1)
	v_cndmask_b32_e64 v7, 0, v7, s9
	v_cmp_nlt_f32_e64 s9, 0x42b17218, v5
	s_wait_alu 0xf1ff
	v_cndmask_b32_e64 v5, 0x7f800000, v7, s9
	s_delay_alu instid0(VALU_DEP_1) | instskip(NEXT) | instid1(VALU_DEP_1)
	v_add_f32_e32 v9, 1.0, v5
	v_cvt_f64_f32_e32 v[7:8], v9
	s_delay_alu instid0(VALU_DEP_1) | instskip(SKIP_1) | instid1(VALU_DEP_1)
	v_frexp_exp_i32_f64_e32 v7, v[7:8]
	v_frexp_mant_f32_e32 v8, v9
	v_cmp_gt_f32_e64 s9, 0x3f2aaaab, v8
	v_add_f32_e32 v8, -1.0, v9
	s_delay_alu instid0(VALU_DEP_1) | instskip(SKIP_1) | instid1(VALU_DEP_2)
	v_sub_f32_e32 v14, v8, v9
	v_sub_f32_e32 v8, v5, v8
	v_add_f32_e32 v14, 1.0, v14
	s_wait_alu 0xf1ff
	v_subrev_co_ci_u32_e64 v7, null, 0, v7, s9
	s_mov_b32 s9, 0x3e9b6dac
	v_sub_nc_u32_e32 v13, 0, v7
	v_cvt_f32_i32_e32 v7, v7
	s_delay_alu instid0(VALU_DEP_2) | instskip(SKIP_1) | instid1(VALU_DEP_1)
	v_ldexp_f32 v9, v9, v13
	v_add_f32_e32 v8, v8, v14
	v_ldexp_f32 v8, v8, v13
	s_delay_alu instid0(VALU_DEP_3) | instskip(SKIP_1) | instid1(VALU_DEP_1)
	v_add_f32_e32 v13, -1.0, v9
	v_add_f32_e32 v24, 1.0, v9
	v_dual_add_f32 v25, 1.0, v13 :: v_dual_add_f32 v14, -1.0, v24
	s_delay_alu instid0(VALU_DEP_1) | instskip(NEXT) | instid1(VALU_DEP_1)
	v_sub_f32_e32 v14, v9, v14
	v_dual_sub_f32 v9, v9, v25 :: v_dual_add_f32 v14, v8, v14
	s_delay_alu instid0(VALU_DEP_1) | instskip(NEXT) | instid1(VALU_DEP_1)
	v_add_f32_e32 v8, v8, v9
	v_add_f32_e32 v26, v13, v8
	s_delay_alu instid0(VALU_DEP_1) | instskip(NEXT) | instid1(VALU_DEP_4)
	v_sub_f32_e32 v13, v13, v26
	v_add_f32_e32 v25, v24, v14
	s_delay_alu instid0(VALU_DEP_2) | instskip(NEXT) | instid1(VALU_DEP_2)
	v_add_f32_e32 v8, v8, v13
	v_sub_f32_e32 v24, v24, v25
	s_delay_alu instid0(VALU_DEP_1) | instskip(SKIP_1) | instid1(TRANS32_DEP_1)
	v_add_f32_e32 v14, v14, v24
	v_rcp_f32_e32 v9, v25
	v_mul_f32_e32 v27, v26, v9
	s_delay_alu instid0(VALU_DEP_1) | instskip(NEXT) | instid1(VALU_DEP_1)
	v_mul_f32_e32 v28, v25, v27
	v_fma_f32 v24, v27, v25, -v28
	s_delay_alu instid0(VALU_DEP_1) | instskip(NEXT) | instid1(VALU_DEP_1)
	v_fmac_f32_e32 v24, v27, v14
	v_add_f32_e32 v29, v28, v24
	s_delay_alu instid0(VALU_DEP_1) | instskip(NEXT) | instid1(VALU_DEP_1)
	v_sub_f32_e32 v30, v26, v29
	v_dual_sub_f32 v26, v26, v30 :: v_dual_sub_f32 v13, v29, v28
	s_delay_alu instid0(VALU_DEP_1) | instskip(NEXT) | instid1(VALU_DEP_1)
	v_dual_sub_f32 v26, v26, v29 :: v_dual_sub_f32 v13, v13, v24
	v_add_f32_e32 v8, v8, v26
	s_delay_alu instid0(VALU_DEP_1) | instskip(NEXT) | instid1(VALU_DEP_1)
	v_add_f32_e32 v8, v13, v8
	v_add_f32_e32 v13, v30, v8
	s_delay_alu instid0(VALU_DEP_1) | instskip(NEXT) | instid1(VALU_DEP_1)
	v_mul_f32_e32 v24, v9, v13
	v_dual_sub_f32 v29, v30, v13 :: v_dual_mul_f32 v26, v25, v24
	s_delay_alu instid0(VALU_DEP_1) | instskip(NEXT) | instid1(VALU_DEP_2)
	v_add_f32_e32 v8, v8, v29
	v_fma_f32 v25, v24, v25, -v26
	s_delay_alu instid0(VALU_DEP_1) | instskip(NEXT) | instid1(VALU_DEP_1)
	v_fmac_f32_e32 v25, v24, v14
	v_add_f32_e32 v14, v26, v25
	s_delay_alu instid0(VALU_DEP_1) | instskip(NEXT) | instid1(VALU_DEP_1)
	v_sub_f32_e32 v28, v13, v14
	v_dual_sub_f32 v26, v14, v26 :: v_dual_sub_f32 v13, v13, v28
	s_delay_alu instid0(VALU_DEP_1) | instskip(NEXT) | instid1(VALU_DEP_1)
	v_dual_sub_f32 v13, v13, v14 :: v_dual_sub_f32 v14, v26, v25
	v_dual_add_f32 v8, v8, v13 :: v_dual_add_f32 v13, v27, v24
	s_delay_alu instid0(VALU_DEP_1) | instskip(NEXT) | instid1(VALU_DEP_2)
	v_add_f32_e32 v8, v14, v8
	v_sub_f32_e32 v14, v13, v27
	s_delay_alu instid0(VALU_DEP_2) | instskip(NEXT) | instid1(VALU_DEP_2)
	v_add_f32_e32 v8, v28, v8
	v_sub_f32_e32 v14, v24, v14
	s_delay_alu instid0(VALU_DEP_2) | instskip(NEXT) | instid1(VALU_DEP_1)
	v_mul_f32_e32 v8, v9, v8
	v_add_f32_e32 v8, v14, v8
	s_delay_alu instid0(VALU_DEP_1) | instskip(NEXT) | instid1(VALU_DEP_1)
	v_add_f32_e32 v9, v13, v8
	v_mul_f32_e32 v14, v9, v9
	s_wait_alu 0xfffe
	s_delay_alu instid0(VALU_DEP_1) | instskip(SKIP_2) | instid1(VALU_DEP_3)
	v_fmaak_f32 v24, s9, v14, 0x3ecc95a3
	v_mul_f32_e32 v25, v9, v14
	v_cmp_neq_f32_e64 s9, 0x7f800000, v5
	v_fmaak_f32 v14, v14, v24, 0x3f2aaada
	v_ldexp_f32 v24, v9, 1
	v_sub_f32_e32 v9, v9, v13
	s_delay_alu instid0(VALU_DEP_3) | instskip(NEXT) | instid1(VALU_DEP_2)
	v_dual_mul_f32 v14, v25, v14 :: v_dual_mul_f32 v25, 0x3f317218, v7
	v_sub_f32_e32 v8, v8, v9
	s_delay_alu instid0(VALU_DEP_2) | instskip(NEXT) | instid1(VALU_DEP_2)
	v_add_f32_e32 v13, v24, v14
	v_ldexp_f32 v8, v8, 1
	s_delay_alu instid0(VALU_DEP_2) | instskip(SKIP_1) | instid1(VALU_DEP_2)
	v_sub_f32_e32 v9, v13, v24
	v_fma_f32 v24, 0x3f317218, v7, -v25
	v_sub_f32_e32 v9, v14, v9
	s_delay_alu instid0(VALU_DEP_1) | instskip(NEXT) | instid1(VALU_DEP_1)
	v_dual_fmamk_f32 v7, v7, 0xb102e308, v24 :: v_dual_add_f32 v8, v8, v9
	v_add_f32_e32 v9, v25, v7
	s_delay_alu instid0(VALU_DEP_2) | instskip(NEXT) | instid1(VALU_DEP_2)
	v_add_f32_e32 v14, v13, v8
	v_sub_f32_e32 v25, v9, v25
	s_delay_alu instid0(VALU_DEP_2) | instskip(NEXT) | instid1(VALU_DEP_2)
	v_dual_add_f32 v24, v9, v14 :: v_dual_sub_f32 v13, v14, v13
	v_sub_f32_e32 v7, v7, v25
	s_delay_alu instid0(VALU_DEP_2) | instskip(NEXT) | instid1(VALU_DEP_3)
	v_sub_f32_e32 v26, v24, v9
	v_sub_f32_e32 v8, v8, v13
	s_delay_alu instid0(VALU_DEP_2) | instskip(NEXT) | instid1(VALU_DEP_2)
	v_sub_f32_e32 v27, v24, v26
	v_dual_sub_f32 v13, v14, v26 :: v_dual_add_f32 v14, v7, v8
	s_delay_alu instid0(VALU_DEP_2) | instskip(NEXT) | instid1(VALU_DEP_1)
	v_sub_f32_e32 v9, v9, v27
	v_add_f32_e32 v9, v13, v9
	s_delay_alu instid0(VALU_DEP_3) | instskip(NEXT) | instid1(VALU_DEP_2)
	v_sub_f32_e32 v13, v14, v7
	v_add_f32_e32 v9, v14, v9
	s_delay_alu instid0(VALU_DEP_2) | instskip(SKIP_1) | instid1(VALU_DEP_3)
	v_sub_f32_e32 v14, v14, v13
	v_sub_f32_e32 v8, v8, v13
	v_add_f32_e32 v25, v24, v9
	s_delay_alu instid0(VALU_DEP_3) | instskip(NEXT) | instid1(VALU_DEP_2)
	v_sub_f32_e32 v7, v7, v14
	v_sub_f32_e32 v13, v25, v24
	s_delay_alu instid0(VALU_DEP_1) | instskip(NEXT) | instid1(VALU_DEP_1)
	v_dual_add_f32 v7, v8, v7 :: v_dual_sub_f32 v8, v9, v13
	v_add_f32_e32 v7, v7, v8
	s_delay_alu instid0(VALU_DEP_1) | instskip(SKIP_1) | instid1(VALU_DEP_1)
	v_add_f32_e32 v7, v25, v7
	s_wait_alu 0xf1ff
	v_cndmask_b32_e64 v7, 0x7f800000, v7, s9
	v_cmp_gt_f32_e64 s9, 0x33800000, |v5|
	s_wait_alu 0xf1ff
	s_delay_alu instid0(VALU_DEP_1) | instskip(NEXT) | instid1(VALU_DEP_1)
	v_cndmask_b32_e64 v5, v7, v5, s9
	v_add_f32_e32 v5, v6, v5
.LBB158_70:
	s_wait_alu 0xfffe
	s_or_b32 exec_lo, exec_lo, s26
.LBB158_71:
	s_wait_alu 0xfffe
	s_or_b32 exec_lo, exec_lo, s10
	v_sub_co_u32 v6, s9, v22, 1
	s_delay_alu instid0(VALU_DEP_1) | instskip(SKIP_1) | instid1(VALU_DEP_1)
	v_cmp_gt_i32_e64 s10, 0, v6
	s_wait_alu 0xf1ff
	v_cndmask_b32_e64 v6, v6, v22, s10
	s_delay_alu instid0(VALU_DEP_1)
	v_lshlrev_b32_e32 v6, 2, v6
	ds_bpermute_b32 v24, v6, v5
	s_and_saveexec_b32 s10, vcc_lo
	s_cbranch_execz .LBB158_134
; %bb.72:
	v_mov_b32_e32 v8, 0
	ds_load_b32 v5, v8 offset:28
	s_and_saveexec_b32 s26, s9
	s_cbranch_execz .LBB158_74
; %bb.73:
	s_add_co_i32 s34, s11, 32
	s_mov_b32 s35, 0
	v_mov_b32_e32 v6, 1
	s_lshl_b64 s[34:35], s[34:35], 3
	s_delay_alu instid0(SALU_CYCLE_1)
	s_add_nc_u64 s[34:35], s[28:29], s[34:35]
	s_wait_dscnt 0x0
	global_store_b64 v8, v[5:6], s[34:35] scope:SCOPE_DEV
.LBB158_74:
	s_wait_alu 0xfffe
	s_or_b32 exec_lo, exec_lo, s26
	v_xad_u32 v6, v22, -1, s11
	s_mov_b32 s27, 0
	s_mov_b32 s26, exec_lo
	s_delay_alu instid0(VALU_DEP_1) | instskip(NEXT) | instid1(VALU_DEP_1)
	v_add_nc_u32_e32 v7, 32, v6
	v_lshlrev_b64_e32 v[7:8], 3, v[7:8]
	s_delay_alu instid0(VALU_DEP_1) | instskip(SKIP_1) | instid1(VALU_DEP_2)
	v_add_co_u32 v13, vcc_lo, s28, v7
	s_wait_alu 0xfffd
	v_add_co_ci_u32_e64 v14, null, s29, v8, vcc_lo
	global_load_b64 v[8:9], v[13:14], off scope:SCOPE_DEV
	s_wait_loadcnt 0x0
	v_and_b32_e32 v7, 0xff, v9
	s_delay_alu instid0(VALU_DEP_1)
	v_cmpx_eq_u16_e32 0, v7
	s_cbranch_execz .LBB158_77
.LBB158_75:                             ; =>This Inner Loop Header: Depth=1
	global_load_b64 v[8:9], v[13:14], off scope:SCOPE_DEV
	s_wait_loadcnt 0x0
	v_and_b32_e32 v7, 0xff, v9
	s_delay_alu instid0(VALU_DEP_1)
	v_cmp_ne_u16_e32 vcc_lo, 0, v7
	s_wait_alu 0xfffe
	s_or_b32 s27, vcc_lo, s27
	s_wait_alu 0xfffe
	s_and_not1_b32 exec_lo, exec_lo, s27
	s_cbranch_execnz .LBB158_75
; %bb.76:
	s_or_b32 exec_lo, exec_lo, s27
.LBB158_77:
	s_wait_alu 0xfffe
	s_or_b32 exec_lo, exec_lo, s26
	v_cmp_ne_u32_e32 vcc_lo, 31, v22
	v_dual_mov_b32 v14, v8 :: v_dual_and_b32 v13, 0xff, v9
	v_lshlrev_b32_e64 v26, v22, -1
	s_mov_b32 s26, exec_lo
	s_wait_alu 0xfffd
	v_add_co_ci_u32_e64 v7, null, 0, v22, vcc_lo
	v_cmp_eq_u16_e32 vcc_lo, 2, v13
	s_delay_alu instid0(VALU_DEP_2) | instskip(SKIP_4) | instid1(VALU_DEP_1)
	v_lshlrev_b32_e32 v25, 2, v7
	s_wait_alu 0xfffd
	v_and_or_b32 v7, vcc_lo, v26, 0x80000000
	ds_bpermute_b32 v13, v25, v8
	v_ctz_i32_b32_e32 v7, v7
	v_cmpx_lt_u32_e64 v22, v7
	s_cbranch_execz .LBB158_81
; %bb.78:
	s_wait_dscnt 0x0
	v_dual_max_num_f32 v14, v8, v8 :: v_dual_max_num_f32 v27, v13, v13
	v_cmp_u_f32_e32 vcc_lo, v13, v13
	s_delay_alu instid0(VALU_DEP_2) | instskip(SKIP_1) | instid1(VALU_DEP_1)
	v_min_num_f32_e32 v28, v27, v14
	s_wait_alu 0xfffd
	v_dual_max_num_f32 v14, v27, v14 :: v_dual_cndmask_b32 v27, v28, v13
	s_delay_alu instid0(VALU_DEP_1) | instskip(SKIP_2) | instid1(VALU_DEP_3)
	v_cndmask_b32_e32 v28, v14, v13, vcc_lo
	v_cmp_u_f32_e32 vcc_lo, v8, v8
	s_wait_alu 0xfffd
	v_cndmask_b32_e32 v14, v27, v8, vcc_lo
	s_delay_alu instid0(VALU_DEP_3) | instskip(NEXT) | instid1(VALU_DEP_2)
	v_cndmask_b32_e32 v8, v28, v8, vcc_lo
	v_cmp_class_f32_e64 s27, v14, 0x1f8
	s_delay_alu instid0(VALU_DEP_2) | instskip(SKIP_1) | instid1(SALU_CYCLE_1)
	v_cmp_neq_f32_e32 vcc_lo, v14, v8
	s_or_b32 s33, vcc_lo, s27
	s_and_saveexec_b32 s27, s33
	s_cbranch_execz .LBB158_80
; %bb.79:
	v_sub_f32_e32 v13, v14, v8
	s_mov_b32 s33, 0x3e9b6dac
	s_delay_alu instid0(VALU_DEP_1) | instskip(SKIP_1) | instid1(VALU_DEP_2)
	v_mul_f32_e32 v14, 0x3fb8aa3b, v13
	v_cmp_ngt_f32_e32 vcc_lo, 0xc2ce8ed0, v13
	v_fma_f32 v27, 0x3fb8aa3b, v13, -v14
	v_rndne_f32_e32 v28, v14
	s_delay_alu instid0(VALU_DEP_1) | instskip(NEXT) | instid1(VALU_DEP_1)
	v_dual_fmamk_f32 v27, v13, 0x32a5705f, v27 :: v_dual_sub_f32 v14, v14, v28
	v_add_f32_e32 v14, v14, v27
	v_cvt_i32_f32_e32 v27, v28
	s_delay_alu instid0(VALU_DEP_2) | instskip(NEXT) | instid1(TRANS32_DEP_1)
	v_exp_f32_e32 v14, v14
	v_ldexp_f32 v14, v14, v27
	s_wait_alu 0xfffd
	s_delay_alu instid0(VALU_DEP_1) | instskip(SKIP_2) | instid1(VALU_DEP_2)
	v_cndmask_b32_e32 v14, 0, v14, vcc_lo
	v_cmp_nlt_f32_e32 vcc_lo, 0x42b17218, v13
	s_wait_alu 0xfffd
	v_cndmask_b32_e32 v27, 0x7f800000, v14, vcc_lo
	s_delay_alu instid0(VALU_DEP_1) | instskip(NEXT) | instid1(VALU_DEP_1)
	v_add_f32_e32 v28, 1.0, v27
	v_cvt_f64_f32_e32 v[13:14], v28
	s_delay_alu instid0(VALU_DEP_1) | instskip(SKIP_1) | instid1(VALU_DEP_1)
	v_frexp_exp_i32_f64_e32 v13, v[13:14]
	v_frexp_mant_f32_e32 v14, v28
	v_cmp_gt_f32_e32 vcc_lo, 0x3f2aaaab, v14
	v_add_f32_e32 v14, -1.0, v28
	s_delay_alu instid0(VALU_DEP_1) | instskip(SKIP_4) | instid1(VALU_DEP_2)
	v_sub_f32_e32 v30, v14, v28
	v_sub_f32_e32 v14, v27, v14
	s_wait_alu 0xfffd
	v_subrev_co_ci_u32_e64 v13, null, 0, v13, vcc_lo
	v_cmp_neq_f32_e32 vcc_lo, 0x7f800000, v27
	v_sub_nc_u32_e32 v29, 0, v13
	v_cvt_f32_i32_e32 v13, v13
	s_delay_alu instid0(VALU_DEP_2) | instskip(NEXT) | instid1(VALU_DEP_1)
	v_ldexp_f32 v28, v28, v29
	v_dual_add_f32 v31, 1.0, v28 :: v_dual_add_f32 v30, 1.0, v30
	s_delay_alu instid0(VALU_DEP_1) | instskip(NEXT) | instid1(VALU_DEP_2)
	v_add_f32_e32 v14, v14, v30
	v_add_f32_e32 v30, -1.0, v31
	s_delay_alu instid0(VALU_DEP_2) | instskip(NEXT) | instid1(VALU_DEP_2)
	v_ldexp_f32 v14, v14, v29
	v_dual_add_f32 v29, -1.0, v28 :: v_dual_sub_f32 v30, v28, v30
	s_delay_alu instid0(VALU_DEP_1) | instskip(NEXT) | instid1(VALU_DEP_2)
	v_add_f32_e32 v32, 1.0, v29
	v_add_f32_e32 v30, v14, v30
	s_delay_alu instid0(VALU_DEP_2) | instskip(NEXT) | instid1(VALU_DEP_2)
	v_sub_f32_e32 v28, v28, v32
	v_add_f32_e32 v32, v31, v30
	s_delay_alu instid0(VALU_DEP_2) | instskip(NEXT) | instid1(VALU_DEP_2)
	v_add_f32_e32 v14, v14, v28
	v_rcp_f32_e32 v28, v32
	v_sub_f32_e32 v31, v31, v32
	s_delay_alu instid0(VALU_DEP_1) | instskip(NEXT) | instid1(VALU_DEP_1)
	v_dual_add_f32 v33, v29, v14 :: v_dual_add_f32 v30, v30, v31
	v_sub_f32_e32 v29, v29, v33
	s_delay_alu instid0(TRANS32_DEP_1) | instskip(NEXT) | instid1(VALU_DEP_1)
	v_mul_f32_e32 v34, v33, v28
	v_dual_add_f32 v14, v14, v29 :: v_dual_mul_f32 v35, v32, v34
	s_delay_alu instid0(VALU_DEP_1) | instskip(NEXT) | instid1(VALU_DEP_1)
	v_fma_f32 v31, v34, v32, -v35
	v_fmac_f32_e32 v31, v34, v30
	s_delay_alu instid0(VALU_DEP_1) | instskip(NEXT) | instid1(VALU_DEP_1)
	v_add_f32_e32 v36, v35, v31
	v_sub_f32_e32 v37, v33, v36
	v_sub_f32_e32 v29, v36, v35
	s_delay_alu instid0(VALU_DEP_2) | instskip(NEXT) | instid1(VALU_DEP_2)
	v_sub_f32_e32 v33, v33, v37
	v_sub_f32_e32 v29, v29, v31
	s_delay_alu instid0(VALU_DEP_2) | instskip(NEXT) | instid1(VALU_DEP_1)
	v_sub_f32_e32 v33, v33, v36
	v_add_f32_e32 v14, v14, v33
	s_delay_alu instid0(VALU_DEP_1) | instskip(NEXT) | instid1(VALU_DEP_1)
	v_add_f32_e32 v14, v29, v14
	v_add_f32_e32 v29, v37, v14
	s_delay_alu instid0(VALU_DEP_1) | instskip(NEXT) | instid1(VALU_DEP_1)
	v_mul_f32_e32 v31, v28, v29
	v_dual_sub_f32 v36, v37, v29 :: v_dual_mul_f32 v33, v32, v31
	s_delay_alu instid0(VALU_DEP_1) | instskip(NEXT) | instid1(VALU_DEP_2)
	v_add_f32_e32 v14, v14, v36
	v_fma_f32 v32, v31, v32, -v33
	s_delay_alu instid0(VALU_DEP_1) | instskip(NEXT) | instid1(VALU_DEP_1)
	v_fmac_f32_e32 v32, v31, v30
	v_add_f32_e32 v30, v33, v32
	s_delay_alu instid0(VALU_DEP_1) | instskip(SKIP_1) | instid1(VALU_DEP_2)
	v_sub_f32_e32 v35, v29, v30
	v_sub_f32_e32 v33, v30, v33
	;; [unrolled: 1-line block ×3, first 2 shown]
	s_delay_alu instid0(VALU_DEP_1) | instskip(NEXT) | instid1(VALU_DEP_3)
	v_sub_f32_e32 v29, v29, v30
	v_sub_f32_e32 v30, v33, v32
	s_delay_alu instid0(VALU_DEP_2) | instskip(SKIP_1) | instid1(VALU_DEP_2)
	v_add_f32_e32 v14, v14, v29
	v_add_f32_e32 v29, v34, v31
	;; [unrolled: 1-line block ×3, first 2 shown]
	s_delay_alu instid0(VALU_DEP_2) | instskip(NEXT) | instid1(VALU_DEP_2)
	v_sub_f32_e32 v30, v29, v34
	v_add_f32_e32 v14, v35, v14
	s_delay_alu instid0(VALU_DEP_2) | instskip(NEXT) | instid1(VALU_DEP_2)
	v_sub_f32_e32 v30, v31, v30
	v_mul_f32_e32 v14, v28, v14
	s_delay_alu instid0(VALU_DEP_1) | instskip(NEXT) | instid1(VALU_DEP_1)
	v_add_f32_e32 v14, v30, v14
	v_add_f32_e32 v28, v29, v14
	s_delay_alu instid0(VALU_DEP_1) | instskip(NEXT) | instid1(VALU_DEP_1)
	v_mul_f32_e32 v30, v28, v28
	v_fmaak_f32 v31, s33, v30, 0x3ecc95a3
	v_mul_f32_e32 v32, v28, v30
	s_delay_alu instid0(VALU_DEP_2) | instskip(SKIP_2) | instid1(VALU_DEP_3)
	v_fmaak_f32 v30, v30, v31, 0x3f2aaada
	v_ldexp_f32 v31, v28, 1
	v_sub_f32_e32 v28, v28, v29
	v_mul_f32_e32 v30, v32, v30
	v_mul_f32_e32 v32, 0x3f317218, v13
	s_delay_alu instid0(VALU_DEP_2) | instskip(NEXT) | instid1(VALU_DEP_1)
	v_dual_sub_f32 v14, v14, v28 :: v_dual_add_f32 v29, v31, v30
	v_ldexp_f32 v14, v14, 1
	s_delay_alu instid0(VALU_DEP_2) | instskip(NEXT) | instid1(VALU_DEP_4)
	v_sub_f32_e32 v28, v29, v31
	v_fma_f32 v31, 0x3f317218, v13, -v32
	s_delay_alu instid0(VALU_DEP_1) | instskip(NEXT) | instid1(VALU_DEP_1)
	v_dual_sub_f32 v28, v30, v28 :: v_dual_fmamk_f32 v13, v13, 0xb102e308, v31
	v_add_f32_e32 v14, v14, v28
	s_delay_alu instid0(VALU_DEP_2) | instskip(NEXT) | instid1(VALU_DEP_2)
	v_add_f32_e32 v28, v32, v13
	v_add_f32_e32 v30, v29, v14
	s_delay_alu instid0(VALU_DEP_2) | instskip(NEXT) | instid1(VALU_DEP_2)
	v_sub_f32_e32 v32, v28, v32
	v_add_f32_e32 v31, v28, v30
	v_sub_f32_e32 v29, v30, v29
	s_delay_alu instid0(VALU_DEP_3) | instskip(NEXT) | instid1(VALU_DEP_2)
	v_sub_f32_e32 v13, v13, v32
	v_dual_sub_f32 v33, v31, v28 :: v_dual_sub_f32 v14, v14, v29
	s_delay_alu instid0(VALU_DEP_1) | instskip(NEXT) | instid1(VALU_DEP_2)
	v_sub_f32_e32 v34, v31, v33
	v_dual_sub_f32 v29, v30, v33 :: v_dual_add_f32 v30, v13, v14
	s_delay_alu instid0(VALU_DEP_2) | instskip(NEXT) | instid1(VALU_DEP_1)
	v_sub_f32_e32 v28, v28, v34
	v_dual_add_f32 v28, v29, v28 :: v_dual_sub_f32 v29, v30, v13
	s_delay_alu instid0(VALU_DEP_1) | instskip(NEXT) | instid1(VALU_DEP_2)
	v_add_f32_e32 v28, v30, v28
	v_sub_f32_e32 v30, v30, v29
	v_sub_f32_e32 v14, v14, v29
	s_delay_alu instid0(VALU_DEP_2) | instskip(NEXT) | instid1(VALU_DEP_1)
	v_dual_add_f32 v32, v31, v28 :: v_dual_sub_f32 v13, v13, v30
	v_sub_f32_e32 v29, v32, v31
	s_delay_alu instid0(VALU_DEP_2) | instskip(NEXT) | instid1(VALU_DEP_2)
	v_add_f32_e32 v13, v14, v13
	v_sub_f32_e32 v14, v28, v29
	s_delay_alu instid0(VALU_DEP_1) | instskip(NEXT) | instid1(VALU_DEP_1)
	v_add_f32_e32 v13, v13, v14
	v_add_f32_e32 v13, v32, v13
	s_wait_alu 0xfffd
	s_delay_alu instid0(VALU_DEP_1) | instskip(SKIP_2) | instid1(VALU_DEP_2)
	v_cndmask_b32_e32 v13, 0x7f800000, v13, vcc_lo
	v_cmp_gt_f32_e64 vcc_lo, 0x33800000, |v27|
	s_wait_alu 0xfffd
	v_cndmask_b32_e32 v13, v13, v27, vcc_lo
	s_delay_alu instid0(VALU_DEP_1)
	v_add_f32_e32 v13, v8, v13
.LBB158_80:
	s_wait_alu 0xfffe
	s_or_b32 exec_lo, exec_lo, s27
	s_delay_alu instid0(VALU_DEP_1)
	v_mov_b32_e32 v8, v13
	v_mov_b32_e32 v14, v13
.LBB158_81:
	s_wait_alu 0xfffe
	s_or_b32 exec_lo, exec_lo, s26
	v_cmp_gt_u32_e32 vcc_lo, 30, v22
	v_add_nc_u32_e32 v28, 2, v22
	s_mov_b32 s26, exec_lo
	s_wait_dscnt 0x0
	s_wait_alu 0xfffd
	v_cndmask_b32_e64 v13, 0, 2, vcc_lo
	s_delay_alu instid0(VALU_DEP_1)
	v_add_lshl_u32 v27, v13, v22, 2
	ds_bpermute_b32 v13, v27, v8
	v_cmpx_le_u32_e64 v28, v7
	s_cbranch_execz .LBB158_85
; %bb.82:
	s_wait_dscnt 0x0
	v_dual_max_num_f32 v8, v14, v14 :: v_dual_max_num_f32 v29, v13, v13
	v_cmp_u_f32_e32 vcc_lo, v13, v13
	s_delay_alu instid0(VALU_DEP_2) | instskip(SKIP_1) | instid1(VALU_DEP_1)
	v_min_num_f32_e32 v30, v29, v8
	s_wait_alu 0xfffd
	v_dual_max_num_f32 v8, v29, v8 :: v_dual_cndmask_b32 v29, v30, v13
	s_delay_alu instid0(VALU_DEP_1) | instskip(SKIP_2) | instid1(VALU_DEP_3)
	v_cndmask_b32_e32 v8, v8, v13, vcc_lo
	v_cmp_u_f32_e32 vcc_lo, v14, v14
	s_wait_alu 0xfffd
	v_cndmask_b32_e32 v29, v29, v14, vcc_lo
	s_delay_alu instid0(VALU_DEP_3) | instskip(NEXT) | instid1(VALU_DEP_2)
	v_cndmask_b32_e32 v8, v8, v14, vcc_lo
	v_cmp_class_f32_e64 s27, v29, 0x1f8
	s_delay_alu instid0(VALU_DEP_2)
	v_cmp_neq_f32_e32 vcc_lo, v29, v8
	s_or_b32 s33, vcc_lo, s27
	s_wait_alu 0xfffe
	s_and_saveexec_b32 s27, s33
	s_cbranch_execz .LBB158_84
; %bb.83:
	v_sub_f32_e32 v13, v29, v8
	s_mov_b32 s33, 0x3e9b6dac
	s_delay_alu instid0(VALU_DEP_1) | instskip(NEXT) | instid1(VALU_DEP_1)
	v_mul_f32_e32 v14, 0x3fb8aa3b, v13
	v_fma_f32 v29, 0x3fb8aa3b, v13, -v14
	v_rndne_f32_e32 v30, v14
	s_delay_alu instid0(VALU_DEP_1) | instskip(SKIP_1) | instid1(VALU_DEP_4)
	v_sub_f32_e32 v14, v14, v30
	v_cmp_ngt_f32_e32 vcc_lo, 0xc2ce8ed0, v13
	v_fmamk_f32 v29, v13, 0x32a5705f, v29
	s_delay_alu instid0(VALU_DEP_1) | instskip(SKIP_1) | instid1(VALU_DEP_2)
	v_add_f32_e32 v14, v14, v29
	v_cvt_i32_f32_e32 v29, v30
	v_exp_f32_e32 v14, v14
	s_delay_alu instid0(TRANS32_DEP_1) | instskip(SKIP_1) | instid1(VALU_DEP_1)
	v_ldexp_f32 v14, v14, v29
	s_wait_alu 0xfffd
	v_cndmask_b32_e32 v14, 0, v14, vcc_lo
	v_cmp_nlt_f32_e32 vcc_lo, 0x42b17218, v13
	s_wait_alu 0xfffd
	s_delay_alu instid0(VALU_DEP_2) | instskip(NEXT) | instid1(VALU_DEP_1)
	v_cndmask_b32_e32 v29, 0x7f800000, v14, vcc_lo
	v_add_f32_e32 v30, 1.0, v29
	s_delay_alu instid0(VALU_DEP_1) | instskip(NEXT) | instid1(VALU_DEP_1)
	v_cvt_f64_f32_e32 v[13:14], v30
	v_frexp_exp_i32_f64_e32 v13, v[13:14]
	v_frexp_mant_f32_e32 v14, v30
	s_delay_alu instid0(VALU_DEP_1) | instskip(SKIP_1) | instid1(VALU_DEP_1)
	v_cmp_gt_f32_e32 vcc_lo, 0x3f2aaaab, v14
	v_add_f32_e32 v14, -1.0, v30
	v_sub_f32_e32 v32, v14, v30
	s_delay_alu instid0(VALU_DEP_1) | instskip(SKIP_4) | instid1(VALU_DEP_2)
	v_add_f32_e32 v32, 1.0, v32
	v_sub_f32_e32 v14, v29, v14
	s_wait_alu 0xfffd
	v_subrev_co_ci_u32_e64 v13, null, 0, v13, vcc_lo
	v_cmp_neq_f32_e32 vcc_lo, 0x7f800000, v29
	v_sub_nc_u32_e32 v31, 0, v13
	v_cvt_f32_i32_e32 v13, v13
	s_delay_alu instid0(VALU_DEP_2) | instskip(NEXT) | instid1(VALU_DEP_1)
	v_ldexp_f32 v30, v30, v31
	v_dual_add_f32 v33, 1.0, v30 :: v_dual_add_f32 v14, v14, v32
	s_delay_alu instid0(VALU_DEP_1) | instskip(NEXT) | instid1(VALU_DEP_2)
	v_add_f32_e32 v32, -1.0, v33
	v_ldexp_f32 v14, v14, v31
	s_delay_alu instid0(VALU_DEP_2) | instskip(NEXT) | instid1(VALU_DEP_1)
	v_dual_add_f32 v31, -1.0, v30 :: v_dual_sub_f32 v32, v30, v32
	v_add_f32_e32 v34, 1.0, v31
	s_delay_alu instid0(VALU_DEP_2) | instskip(NEXT) | instid1(VALU_DEP_2)
	v_add_f32_e32 v32, v14, v32
	v_sub_f32_e32 v30, v30, v34
	s_delay_alu instid0(VALU_DEP_2) | instskip(NEXT) | instid1(VALU_DEP_2)
	v_add_f32_e32 v34, v33, v32
	v_add_f32_e32 v14, v14, v30
	s_delay_alu instid0(VALU_DEP_2) | instskip(SKIP_1) | instid1(VALU_DEP_1)
	v_rcp_f32_e32 v30, v34
	v_sub_f32_e32 v33, v33, v34
	v_dual_add_f32 v35, v31, v14 :: v_dual_add_f32 v32, v32, v33
	s_delay_alu instid0(VALU_DEP_1) | instskip(NEXT) | instid1(TRANS32_DEP_1)
	v_sub_f32_e32 v31, v31, v35
	v_mul_f32_e32 v36, v35, v30
	s_delay_alu instid0(VALU_DEP_2) | instskip(NEXT) | instid1(VALU_DEP_2)
	v_add_f32_e32 v14, v14, v31
	v_mul_f32_e32 v37, v34, v36
	s_delay_alu instid0(VALU_DEP_1) | instskip(NEXT) | instid1(VALU_DEP_1)
	v_fma_f32 v33, v36, v34, -v37
	v_fmac_f32_e32 v33, v36, v32
	s_delay_alu instid0(VALU_DEP_1) | instskip(NEXT) | instid1(VALU_DEP_1)
	v_add_f32_e32 v38, v37, v33
	v_sub_f32_e32 v39, v35, v38
	v_sub_f32_e32 v31, v38, v37
	s_delay_alu instid0(VALU_DEP_2) | instskip(NEXT) | instid1(VALU_DEP_2)
	v_sub_f32_e32 v35, v35, v39
	v_sub_f32_e32 v31, v31, v33
	s_delay_alu instid0(VALU_DEP_2) | instskip(NEXT) | instid1(VALU_DEP_1)
	v_sub_f32_e32 v35, v35, v38
	v_add_f32_e32 v14, v14, v35
	s_delay_alu instid0(VALU_DEP_1) | instskip(NEXT) | instid1(VALU_DEP_1)
	v_add_f32_e32 v14, v31, v14
	v_add_f32_e32 v31, v39, v14
	s_delay_alu instid0(VALU_DEP_1) | instskip(NEXT) | instid1(VALU_DEP_1)
	v_mul_f32_e32 v33, v30, v31
	v_dual_sub_f32 v38, v39, v31 :: v_dual_mul_f32 v35, v34, v33
	s_delay_alu instid0(VALU_DEP_1) | instskip(NEXT) | instid1(VALU_DEP_2)
	v_add_f32_e32 v14, v14, v38
	v_fma_f32 v34, v33, v34, -v35
	s_delay_alu instid0(VALU_DEP_1) | instskip(NEXT) | instid1(VALU_DEP_1)
	v_fmac_f32_e32 v34, v33, v32
	v_add_f32_e32 v32, v35, v34
	s_delay_alu instid0(VALU_DEP_1) | instskip(SKIP_1) | instid1(VALU_DEP_2)
	v_sub_f32_e32 v37, v31, v32
	v_sub_f32_e32 v35, v32, v35
	;; [unrolled: 1-line block ×3, first 2 shown]
	s_delay_alu instid0(VALU_DEP_1) | instskip(NEXT) | instid1(VALU_DEP_1)
	v_sub_f32_e32 v31, v31, v32
	v_dual_add_f32 v14, v14, v31 :: v_dual_add_f32 v31, v36, v33
	s_delay_alu instid0(VALU_DEP_4) | instskip(NEXT) | instid1(VALU_DEP_1)
	v_sub_f32_e32 v32, v35, v34
	v_add_f32_e32 v14, v32, v14
	s_delay_alu instid0(VALU_DEP_3) | instskip(NEXT) | instid1(VALU_DEP_2)
	v_sub_f32_e32 v32, v31, v36
	v_add_f32_e32 v14, v37, v14
	s_delay_alu instid0(VALU_DEP_2) | instskip(NEXT) | instid1(VALU_DEP_2)
	v_sub_f32_e32 v32, v33, v32
	v_mul_f32_e32 v14, v30, v14
	s_delay_alu instid0(VALU_DEP_1) | instskip(NEXT) | instid1(VALU_DEP_1)
	v_add_f32_e32 v14, v32, v14
	v_add_f32_e32 v30, v31, v14
	s_delay_alu instid0(VALU_DEP_1) | instskip(SKIP_1) | instid1(VALU_DEP_1)
	v_mul_f32_e32 v32, v30, v30
	s_wait_alu 0xfffe
	v_fmaak_f32 v33, s33, v32, 0x3ecc95a3
	v_mul_f32_e32 v34, v30, v32
	s_delay_alu instid0(VALU_DEP_2) | instskip(SKIP_2) | instid1(VALU_DEP_3)
	v_fmaak_f32 v32, v32, v33, 0x3f2aaada
	v_ldexp_f32 v33, v30, 1
	v_sub_f32_e32 v30, v30, v31
	v_mul_f32_e32 v32, v34, v32
	v_mul_f32_e32 v34, 0x3f317218, v13
	s_delay_alu instid0(VALU_DEP_2) | instskip(NEXT) | instid1(VALU_DEP_1)
	v_dual_sub_f32 v14, v14, v30 :: v_dual_add_f32 v31, v33, v32
	v_ldexp_f32 v14, v14, 1
	s_delay_alu instid0(VALU_DEP_2) | instskip(NEXT) | instid1(VALU_DEP_4)
	v_sub_f32_e32 v30, v31, v33
	v_fma_f32 v33, 0x3f317218, v13, -v34
	s_delay_alu instid0(VALU_DEP_1) | instskip(NEXT) | instid1(VALU_DEP_1)
	v_dual_sub_f32 v30, v32, v30 :: v_dual_fmamk_f32 v13, v13, 0xb102e308, v33
	v_add_f32_e32 v14, v14, v30
	s_delay_alu instid0(VALU_DEP_2) | instskip(NEXT) | instid1(VALU_DEP_2)
	v_add_f32_e32 v30, v34, v13
	v_add_f32_e32 v32, v31, v14
	s_delay_alu instid0(VALU_DEP_2) | instskip(NEXT) | instid1(VALU_DEP_2)
	v_sub_f32_e32 v34, v30, v34
	v_add_f32_e32 v33, v30, v32
	v_sub_f32_e32 v31, v32, v31
	s_delay_alu instid0(VALU_DEP_3) | instskip(NEXT) | instid1(VALU_DEP_2)
	v_sub_f32_e32 v13, v13, v34
	v_dual_sub_f32 v35, v33, v30 :: v_dual_sub_f32 v14, v14, v31
	s_delay_alu instid0(VALU_DEP_1) | instskip(NEXT) | instid1(VALU_DEP_2)
	v_sub_f32_e32 v36, v33, v35
	v_dual_sub_f32 v31, v32, v35 :: v_dual_add_f32 v32, v13, v14
	s_delay_alu instid0(VALU_DEP_2) | instskip(NEXT) | instid1(VALU_DEP_1)
	v_sub_f32_e32 v30, v30, v36
	v_dual_add_f32 v30, v31, v30 :: v_dual_sub_f32 v31, v32, v13
	s_delay_alu instid0(VALU_DEP_1) | instskip(NEXT) | instid1(VALU_DEP_2)
	v_add_f32_e32 v30, v32, v30
	v_sub_f32_e32 v32, v32, v31
	v_sub_f32_e32 v14, v14, v31
	s_delay_alu instid0(VALU_DEP_3) | instskip(NEXT) | instid1(VALU_DEP_3)
	v_add_f32_e32 v34, v33, v30
	v_sub_f32_e32 v13, v13, v32
	s_delay_alu instid0(VALU_DEP_2) | instskip(NEXT) | instid1(VALU_DEP_2)
	v_sub_f32_e32 v31, v34, v33
	v_add_f32_e32 v13, v14, v13
	s_delay_alu instid0(VALU_DEP_2) | instskip(NEXT) | instid1(VALU_DEP_1)
	v_sub_f32_e32 v14, v30, v31
	v_add_f32_e32 v13, v13, v14
	s_delay_alu instid0(VALU_DEP_1) | instskip(SKIP_1) | instid1(VALU_DEP_1)
	v_add_f32_e32 v13, v34, v13
	s_wait_alu 0xfffd
	v_cndmask_b32_e32 v13, 0x7f800000, v13, vcc_lo
	v_cmp_gt_f32_e64 vcc_lo, 0x33800000, |v29|
	s_wait_alu 0xfffd
	s_delay_alu instid0(VALU_DEP_2) | instskip(NEXT) | instid1(VALU_DEP_1)
	v_cndmask_b32_e32 v13, v13, v29, vcc_lo
	v_add_f32_e32 v13, v8, v13
.LBB158_84:
	s_wait_alu 0xfffe
	s_or_b32 exec_lo, exec_lo, s27
	s_delay_alu instid0(VALU_DEP_1)
	v_mov_b32_e32 v8, v13
	v_mov_b32_e32 v14, v13
.LBB158_85:
	s_wait_alu 0xfffe
	s_or_b32 exec_lo, exec_lo, s26
	v_cmp_gt_u32_e32 vcc_lo, 28, v22
	v_add_nc_u32_e32 v30, 4, v22
	s_mov_b32 s26, exec_lo
	s_wait_dscnt 0x0
	s_wait_alu 0xfffd
	v_cndmask_b32_e64 v13, 0, 4, vcc_lo
	s_delay_alu instid0(VALU_DEP_1)
	v_add_lshl_u32 v29, v13, v22, 2
	ds_bpermute_b32 v13, v29, v8
	v_cmpx_le_u32_e64 v30, v7
	s_cbranch_execz .LBB158_89
; %bb.86:
	s_wait_dscnt 0x0
	v_dual_max_num_f32 v8, v14, v14 :: v_dual_max_num_f32 v31, v13, v13
	v_cmp_u_f32_e32 vcc_lo, v13, v13
	s_delay_alu instid0(VALU_DEP_2) | instskip(SKIP_1) | instid1(VALU_DEP_1)
	v_min_num_f32_e32 v32, v31, v8
	s_wait_alu 0xfffd
	v_dual_max_num_f32 v8, v31, v8 :: v_dual_cndmask_b32 v31, v32, v13
	s_delay_alu instid0(VALU_DEP_1) | instskip(SKIP_2) | instid1(VALU_DEP_3)
	v_cndmask_b32_e32 v8, v8, v13, vcc_lo
	v_cmp_u_f32_e32 vcc_lo, v14, v14
	s_wait_alu 0xfffd
	v_cndmask_b32_e32 v31, v31, v14, vcc_lo
	s_delay_alu instid0(VALU_DEP_3) | instskip(NEXT) | instid1(VALU_DEP_2)
	v_cndmask_b32_e32 v8, v8, v14, vcc_lo
	v_cmp_class_f32_e64 s27, v31, 0x1f8
	s_delay_alu instid0(VALU_DEP_2)
	v_cmp_neq_f32_e32 vcc_lo, v31, v8
	s_or_b32 s33, vcc_lo, s27
	s_wait_alu 0xfffe
	s_and_saveexec_b32 s27, s33
	s_cbranch_execz .LBB158_88
; %bb.87:
	v_sub_f32_e32 v13, v31, v8
	s_mov_b32 s33, 0x3e9b6dac
	s_delay_alu instid0(VALU_DEP_1) | instskip(NEXT) | instid1(VALU_DEP_1)
	v_mul_f32_e32 v14, 0x3fb8aa3b, v13
	v_fma_f32 v31, 0x3fb8aa3b, v13, -v14
	v_rndne_f32_e32 v32, v14
	s_delay_alu instid0(VALU_DEP_1) | instskip(NEXT) | instid1(VALU_DEP_1)
	v_dual_fmamk_f32 v31, v13, 0x32a5705f, v31 :: v_dual_sub_f32 v14, v14, v32
	v_add_f32_e32 v14, v14, v31
	v_cvt_i32_f32_e32 v31, v32
	v_cmp_ngt_f32_e32 vcc_lo, 0xc2ce8ed0, v13
	s_delay_alu instid0(VALU_DEP_3) | instskip(NEXT) | instid1(TRANS32_DEP_1)
	v_exp_f32_e32 v14, v14
	v_ldexp_f32 v14, v14, v31
	s_wait_alu 0xfffd
	s_delay_alu instid0(VALU_DEP_1) | instskip(SKIP_2) | instid1(VALU_DEP_2)
	v_cndmask_b32_e32 v14, 0, v14, vcc_lo
	v_cmp_nlt_f32_e32 vcc_lo, 0x42b17218, v13
	s_wait_alu 0xfffd
	v_cndmask_b32_e32 v31, 0x7f800000, v14, vcc_lo
	s_delay_alu instid0(VALU_DEP_1) | instskip(NEXT) | instid1(VALU_DEP_1)
	v_add_f32_e32 v32, 1.0, v31
	v_cvt_f64_f32_e32 v[13:14], v32
	s_delay_alu instid0(VALU_DEP_1) | instskip(SKIP_1) | instid1(VALU_DEP_1)
	v_frexp_exp_i32_f64_e32 v13, v[13:14]
	v_frexp_mant_f32_e32 v14, v32
	v_cmp_gt_f32_e32 vcc_lo, 0x3f2aaaab, v14
	v_add_f32_e32 v14, -1.0, v32
	s_delay_alu instid0(VALU_DEP_1) | instskip(SKIP_4) | instid1(VALU_DEP_2)
	v_sub_f32_e32 v34, v14, v32
	v_sub_f32_e32 v14, v31, v14
	s_wait_alu 0xfffd
	v_subrev_co_ci_u32_e64 v13, null, 0, v13, vcc_lo
	v_cmp_neq_f32_e32 vcc_lo, 0x7f800000, v31
	v_sub_nc_u32_e32 v33, 0, v13
	v_cvt_f32_i32_e32 v13, v13
	s_delay_alu instid0(VALU_DEP_2) | instskip(NEXT) | instid1(VALU_DEP_1)
	v_ldexp_f32 v32, v32, v33
	v_dual_add_f32 v35, 1.0, v32 :: v_dual_add_f32 v34, 1.0, v34
	s_delay_alu instid0(VALU_DEP_1) | instskip(NEXT) | instid1(VALU_DEP_2)
	v_add_f32_e32 v14, v14, v34
	v_add_f32_e32 v34, -1.0, v35
	s_delay_alu instid0(VALU_DEP_2) | instskip(NEXT) | instid1(VALU_DEP_2)
	v_ldexp_f32 v14, v14, v33
	v_dual_add_f32 v33, -1.0, v32 :: v_dual_sub_f32 v34, v32, v34
	s_delay_alu instid0(VALU_DEP_1) | instskip(NEXT) | instid1(VALU_DEP_2)
	v_add_f32_e32 v36, 1.0, v33
	v_add_f32_e32 v34, v14, v34
	s_delay_alu instid0(VALU_DEP_2) | instskip(NEXT) | instid1(VALU_DEP_2)
	v_sub_f32_e32 v32, v32, v36
	v_add_f32_e32 v36, v35, v34
	s_delay_alu instid0(VALU_DEP_2) | instskip(NEXT) | instid1(VALU_DEP_2)
	v_add_f32_e32 v14, v14, v32
	v_rcp_f32_e32 v32, v36
	v_sub_f32_e32 v35, v35, v36
	s_delay_alu instid0(VALU_DEP_1) | instskip(NEXT) | instid1(VALU_DEP_1)
	v_dual_add_f32 v37, v33, v14 :: v_dual_add_f32 v34, v34, v35
	v_sub_f32_e32 v33, v33, v37
	s_delay_alu instid0(TRANS32_DEP_1) | instskip(NEXT) | instid1(VALU_DEP_1)
	v_mul_f32_e32 v38, v37, v32
	v_dual_add_f32 v14, v14, v33 :: v_dual_mul_f32 v39, v36, v38
	s_delay_alu instid0(VALU_DEP_1) | instskip(NEXT) | instid1(VALU_DEP_1)
	v_fma_f32 v35, v38, v36, -v39
	v_fmac_f32_e32 v35, v38, v34
	s_delay_alu instid0(VALU_DEP_1) | instskip(NEXT) | instid1(VALU_DEP_1)
	v_add_f32_e32 v40, v39, v35
	v_sub_f32_e32 v41, v37, v40
	v_sub_f32_e32 v33, v40, v39
	s_delay_alu instid0(VALU_DEP_2) | instskip(NEXT) | instid1(VALU_DEP_2)
	v_sub_f32_e32 v37, v37, v41
	v_sub_f32_e32 v33, v33, v35
	s_delay_alu instid0(VALU_DEP_2) | instskip(NEXT) | instid1(VALU_DEP_1)
	v_sub_f32_e32 v37, v37, v40
	v_add_f32_e32 v14, v14, v37
	s_delay_alu instid0(VALU_DEP_1) | instskip(NEXT) | instid1(VALU_DEP_1)
	v_add_f32_e32 v14, v33, v14
	v_add_f32_e32 v33, v41, v14
	s_delay_alu instid0(VALU_DEP_1) | instskip(NEXT) | instid1(VALU_DEP_1)
	v_mul_f32_e32 v35, v32, v33
	v_dual_sub_f32 v40, v41, v33 :: v_dual_mul_f32 v37, v36, v35
	s_delay_alu instid0(VALU_DEP_1) | instskip(NEXT) | instid1(VALU_DEP_2)
	v_add_f32_e32 v14, v14, v40
	v_fma_f32 v36, v35, v36, -v37
	s_delay_alu instid0(VALU_DEP_1) | instskip(NEXT) | instid1(VALU_DEP_1)
	v_fmac_f32_e32 v36, v35, v34
	v_add_f32_e32 v34, v37, v36
	s_delay_alu instid0(VALU_DEP_1) | instskip(SKIP_1) | instid1(VALU_DEP_2)
	v_sub_f32_e32 v39, v33, v34
	v_sub_f32_e32 v37, v34, v37
	;; [unrolled: 1-line block ×3, first 2 shown]
	s_delay_alu instid0(VALU_DEP_1) | instskip(NEXT) | instid1(VALU_DEP_3)
	v_sub_f32_e32 v33, v33, v34
	v_sub_f32_e32 v34, v37, v36
	s_delay_alu instid0(VALU_DEP_2) | instskip(SKIP_1) | instid1(VALU_DEP_2)
	v_add_f32_e32 v14, v14, v33
	v_add_f32_e32 v33, v38, v35
	;; [unrolled: 1-line block ×3, first 2 shown]
	s_delay_alu instid0(VALU_DEP_2) | instskip(NEXT) | instid1(VALU_DEP_2)
	v_sub_f32_e32 v34, v33, v38
	v_add_f32_e32 v14, v39, v14
	s_delay_alu instid0(VALU_DEP_2) | instskip(NEXT) | instid1(VALU_DEP_2)
	v_sub_f32_e32 v34, v35, v34
	v_mul_f32_e32 v14, v32, v14
	s_delay_alu instid0(VALU_DEP_1) | instskip(NEXT) | instid1(VALU_DEP_1)
	v_add_f32_e32 v14, v34, v14
	v_add_f32_e32 v32, v33, v14
	s_delay_alu instid0(VALU_DEP_1) | instskip(SKIP_1) | instid1(VALU_DEP_1)
	v_mul_f32_e32 v34, v32, v32
	s_wait_alu 0xfffe
	v_fmaak_f32 v35, s33, v34, 0x3ecc95a3
	v_mul_f32_e32 v36, v32, v34
	s_delay_alu instid0(VALU_DEP_2) | instskip(SKIP_2) | instid1(VALU_DEP_3)
	v_fmaak_f32 v34, v34, v35, 0x3f2aaada
	v_ldexp_f32 v35, v32, 1
	v_sub_f32_e32 v32, v32, v33
	v_mul_f32_e32 v34, v36, v34
	v_mul_f32_e32 v36, 0x3f317218, v13
	s_delay_alu instid0(VALU_DEP_2) | instskip(NEXT) | instid1(VALU_DEP_1)
	v_dual_sub_f32 v14, v14, v32 :: v_dual_add_f32 v33, v35, v34
	v_ldexp_f32 v14, v14, 1
	s_delay_alu instid0(VALU_DEP_2) | instskip(NEXT) | instid1(VALU_DEP_4)
	v_sub_f32_e32 v32, v33, v35
	v_fma_f32 v35, 0x3f317218, v13, -v36
	s_delay_alu instid0(VALU_DEP_1) | instskip(NEXT) | instid1(VALU_DEP_1)
	v_dual_sub_f32 v32, v34, v32 :: v_dual_fmamk_f32 v13, v13, 0xb102e308, v35
	v_add_f32_e32 v14, v14, v32
	s_delay_alu instid0(VALU_DEP_2) | instskip(NEXT) | instid1(VALU_DEP_2)
	v_add_f32_e32 v32, v36, v13
	v_add_f32_e32 v34, v33, v14
	s_delay_alu instid0(VALU_DEP_2) | instskip(NEXT) | instid1(VALU_DEP_2)
	v_sub_f32_e32 v36, v32, v36
	v_add_f32_e32 v35, v32, v34
	v_sub_f32_e32 v33, v34, v33
	s_delay_alu instid0(VALU_DEP_3) | instskip(NEXT) | instid1(VALU_DEP_2)
	v_sub_f32_e32 v13, v13, v36
	v_dual_sub_f32 v37, v35, v32 :: v_dual_sub_f32 v14, v14, v33
	s_delay_alu instid0(VALU_DEP_1) | instskip(NEXT) | instid1(VALU_DEP_2)
	v_sub_f32_e32 v38, v35, v37
	v_dual_sub_f32 v33, v34, v37 :: v_dual_add_f32 v34, v13, v14
	s_delay_alu instid0(VALU_DEP_2) | instskip(NEXT) | instid1(VALU_DEP_1)
	v_sub_f32_e32 v32, v32, v38
	v_dual_add_f32 v32, v33, v32 :: v_dual_sub_f32 v33, v34, v13
	s_delay_alu instid0(VALU_DEP_1) | instskip(NEXT) | instid1(VALU_DEP_2)
	v_add_f32_e32 v32, v34, v32
	v_sub_f32_e32 v34, v34, v33
	v_sub_f32_e32 v14, v14, v33
	s_delay_alu instid0(VALU_DEP_2) | instskip(NEXT) | instid1(VALU_DEP_1)
	v_dual_add_f32 v36, v35, v32 :: v_dual_sub_f32 v13, v13, v34
	v_sub_f32_e32 v33, v36, v35
	s_delay_alu instid0(VALU_DEP_2) | instskip(NEXT) | instid1(VALU_DEP_2)
	v_add_f32_e32 v13, v14, v13
	v_sub_f32_e32 v14, v32, v33
	s_delay_alu instid0(VALU_DEP_1) | instskip(NEXT) | instid1(VALU_DEP_1)
	v_add_f32_e32 v13, v13, v14
	v_add_f32_e32 v13, v36, v13
	s_wait_alu 0xfffd
	s_delay_alu instid0(VALU_DEP_1) | instskip(SKIP_2) | instid1(VALU_DEP_2)
	v_cndmask_b32_e32 v13, 0x7f800000, v13, vcc_lo
	v_cmp_gt_f32_e64 vcc_lo, 0x33800000, |v31|
	s_wait_alu 0xfffd
	v_cndmask_b32_e32 v13, v13, v31, vcc_lo
	s_delay_alu instid0(VALU_DEP_1)
	v_add_f32_e32 v13, v8, v13
.LBB158_88:
	s_wait_alu 0xfffe
	s_or_b32 exec_lo, exec_lo, s27
	s_delay_alu instid0(VALU_DEP_1)
	v_mov_b32_e32 v8, v13
	v_mov_b32_e32 v14, v13
.LBB158_89:
	s_wait_alu 0xfffe
	s_or_b32 exec_lo, exec_lo, s26
	v_cmp_gt_u32_e32 vcc_lo, 24, v22
	v_add_nc_u32_e32 v32, 8, v22
	s_mov_b32 s26, exec_lo
	s_wait_dscnt 0x0
	s_wait_alu 0xfffd
	v_cndmask_b32_e64 v13, 0, 8, vcc_lo
	s_delay_alu instid0(VALU_DEP_1)
	v_add_lshl_u32 v31, v13, v22, 2
	ds_bpermute_b32 v13, v31, v8
	v_cmpx_le_u32_e64 v32, v7
	s_cbranch_execz .LBB158_93
; %bb.90:
	s_wait_dscnt 0x0
	v_dual_max_num_f32 v8, v14, v14 :: v_dual_max_num_f32 v33, v13, v13
	v_cmp_u_f32_e32 vcc_lo, v13, v13
	s_delay_alu instid0(VALU_DEP_2) | instskip(SKIP_1) | instid1(VALU_DEP_1)
	v_min_num_f32_e32 v34, v33, v8
	s_wait_alu 0xfffd
	v_dual_max_num_f32 v8, v33, v8 :: v_dual_cndmask_b32 v33, v34, v13
	s_delay_alu instid0(VALU_DEP_1) | instskip(SKIP_2) | instid1(VALU_DEP_3)
	v_cndmask_b32_e32 v8, v8, v13, vcc_lo
	v_cmp_u_f32_e32 vcc_lo, v14, v14
	s_wait_alu 0xfffd
	v_cndmask_b32_e32 v33, v33, v14, vcc_lo
	s_delay_alu instid0(VALU_DEP_3) | instskip(NEXT) | instid1(VALU_DEP_2)
	v_cndmask_b32_e32 v8, v8, v14, vcc_lo
	v_cmp_class_f32_e64 s27, v33, 0x1f8
	s_delay_alu instid0(VALU_DEP_2)
	v_cmp_neq_f32_e32 vcc_lo, v33, v8
	s_or_b32 s33, vcc_lo, s27
	s_wait_alu 0xfffe
	s_and_saveexec_b32 s27, s33
	s_cbranch_execz .LBB158_92
; %bb.91:
	v_sub_f32_e32 v13, v33, v8
	s_mov_b32 s33, 0x3e9b6dac
	s_delay_alu instid0(VALU_DEP_1) | instskip(NEXT) | instid1(VALU_DEP_1)
	v_mul_f32_e32 v14, 0x3fb8aa3b, v13
	v_fma_f32 v33, 0x3fb8aa3b, v13, -v14
	v_rndne_f32_e32 v34, v14
	s_delay_alu instid0(VALU_DEP_1) | instskip(SKIP_1) | instid1(VALU_DEP_4)
	v_sub_f32_e32 v14, v14, v34
	v_cmp_ngt_f32_e32 vcc_lo, 0xc2ce8ed0, v13
	v_fmamk_f32 v33, v13, 0x32a5705f, v33
	s_delay_alu instid0(VALU_DEP_1) | instskip(SKIP_1) | instid1(VALU_DEP_2)
	v_add_f32_e32 v14, v14, v33
	v_cvt_i32_f32_e32 v33, v34
	v_exp_f32_e32 v14, v14
	s_delay_alu instid0(TRANS32_DEP_1) | instskip(SKIP_1) | instid1(VALU_DEP_1)
	v_ldexp_f32 v14, v14, v33
	s_wait_alu 0xfffd
	v_cndmask_b32_e32 v14, 0, v14, vcc_lo
	v_cmp_nlt_f32_e32 vcc_lo, 0x42b17218, v13
	s_wait_alu 0xfffd
	s_delay_alu instid0(VALU_DEP_2) | instskip(NEXT) | instid1(VALU_DEP_1)
	v_cndmask_b32_e32 v33, 0x7f800000, v14, vcc_lo
	v_add_f32_e32 v34, 1.0, v33
	s_delay_alu instid0(VALU_DEP_1) | instskip(NEXT) | instid1(VALU_DEP_1)
	v_cvt_f64_f32_e32 v[13:14], v34
	v_frexp_exp_i32_f64_e32 v13, v[13:14]
	v_frexp_mant_f32_e32 v14, v34
	s_delay_alu instid0(VALU_DEP_1) | instskip(SKIP_1) | instid1(VALU_DEP_1)
	v_cmp_gt_f32_e32 vcc_lo, 0x3f2aaaab, v14
	v_add_f32_e32 v14, -1.0, v34
	v_sub_f32_e32 v36, v14, v34
	s_delay_alu instid0(VALU_DEP_1) | instskip(SKIP_4) | instid1(VALU_DEP_2)
	v_add_f32_e32 v36, 1.0, v36
	v_sub_f32_e32 v14, v33, v14
	s_wait_alu 0xfffd
	v_subrev_co_ci_u32_e64 v13, null, 0, v13, vcc_lo
	v_cmp_neq_f32_e32 vcc_lo, 0x7f800000, v33
	v_sub_nc_u32_e32 v35, 0, v13
	v_cvt_f32_i32_e32 v13, v13
	s_delay_alu instid0(VALU_DEP_2) | instskip(NEXT) | instid1(VALU_DEP_1)
	v_ldexp_f32 v34, v34, v35
	v_dual_add_f32 v37, 1.0, v34 :: v_dual_add_f32 v14, v14, v36
	s_delay_alu instid0(VALU_DEP_1) | instskip(NEXT) | instid1(VALU_DEP_2)
	v_add_f32_e32 v36, -1.0, v37
	v_ldexp_f32 v14, v14, v35
	s_delay_alu instid0(VALU_DEP_2) | instskip(NEXT) | instid1(VALU_DEP_1)
	v_dual_add_f32 v35, -1.0, v34 :: v_dual_sub_f32 v36, v34, v36
	v_add_f32_e32 v38, 1.0, v35
	s_delay_alu instid0(VALU_DEP_2) | instskip(NEXT) | instid1(VALU_DEP_2)
	v_add_f32_e32 v36, v14, v36
	v_sub_f32_e32 v34, v34, v38
	s_delay_alu instid0(VALU_DEP_2) | instskip(NEXT) | instid1(VALU_DEP_2)
	v_add_f32_e32 v38, v37, v36
	v_add_f32_e32 v14, v14, v34
	s_delay_alu instid0(VALU_DEP_2) | instskip(SKIP_1) | instid1(VALU_DEP_1)
	v_rcp_f32_e32 v34, v38
	v_sub_f32_e32 v37, v37, v38
	v_dual_add_f32 v39, v35, v14 :: v_dual_add_f32 v36, v36, v37
	s_delay_alu instid0(VALU_DEP_1) | instskip(NEXT) | instid1(TRANS32_DEP_1)
	v_sub_f32_e32 v35, v35, v39
	v_mul_f32_e32 v40, v39, v34
	s_delay_alu instid0(VALU_DEP_2) | instskip(NEXT) | instid1(VALU_DEP_2)
	v_add_f32_e32 v14, v14, v35
	v_mul_f32_e32 v41, v38, v40
	s_delay_alu instid0(VALU_DEP_1) | instskip(NEXT) | instid1(VALU_DEP_1)
	v_fma_f32 v37, v40, v38, -v41
	v_fmac_f32_e32 v37, v40, v36
	s_delay_alu instid0(VALU_DEP_1) | instskip(NEXT) | instid1(VALU_DEP_1)
	v_add_f32_e32 v42, v41, v37
	v_sub_f32_e32 v43, v39, v42
	v_sub_f32_e32 v35, v42, v41
	s_delay_alu instid0(VALU_DEP_2) | instskip(NEXT) | instid1(VALU_DEP_2)
	v_sub_f32_e32 v39, v39, v43
	v_sub_f32_e32 v35, v35, v37
	s_delay_alu instid0(VALU_DEP_2) | instskip(NEXT) | instid1(VALU_DEP_1)
	v_sub_f32_e32 v39, v39, v42
	v_add_f32_e32 v14, v14, v39
	s_delay_alu instid0(VALU_DEP_1) | instskip(NEXT) | instid1(VALU_DEP_1)
	v_add_f32_e32 v14, v35, v14
	v_add_f32_e32 v35, v43, v14
	s_delay_alu instid0(VALU_DEP_1) | instskip(NEXT) | instid1(VALU_DEP_1)
	v_mul_f32_e32 v37, v34, v35
	v_dual_sub_f32 v42, v43, v35 :: v_dual_mul_f32 v39, v38, v37
	s_delay_alu instid0(VALU_DEP_1) | instskip(NEXT) | instid1(VALU_DEP_2)
	v_add_f32_e32 v14, v14, v42
	v_fma_f32 v38, v37, v38, -v39
	s_delay_alu instid0(VALU_DEP_1) | instskip(NEXT) | instid1(VALU_DEP_1)
	v_fmac_f32_e32 v38, v37, v36
	v_add_f32_e32 v36, v39, v38
	s_delay_alu instid0(VALU_DEP_1) | instskip(SKIP_1) | instid1(VALU_DEP_2)
	v_sub_f32_e32 v41, v35, v36
	v_sub_f32_e32 v39, v36, v39
	v_sub_f32_e32 v35, v35, v41
	s_delay_alu instid0(VALU_DEP_1) | instskip(NEXT) | instid1(VALU_DEP_1)
	v_sub_f32_e32 v35, v35, v36
	v_dual_add_f32 v14, v14, v35 :: v_dual_add_f32 v35, v40, v37
	s_delay_alu instid0(VALU_DEP_4) | instskip(NEXT) | instid1(VALU_DEP_1)
	v_sub_f32_e32 v36, v39, v38
	v_add_f32_e32 v14, v36, v14
	s_delay_alu instid0(VALU_DEP_3) | instskip(NEXT) | instid1(VALU_DEP_2)
	v_sub_f32_e32 v36, v35, v40
	v_add_f32_e32 v14, v41, v14
	s_delay_alu instid0(VALU_DEP_2) | instskip(NEXT) | instid1(VALU_DEP_2)
	v_sub_f32_e32 v36, v37, v36
	v_mul_f32_e32 v14, v34, v14
	s_delay_alu instid0(VALU_DEP_1) | instskip(NEXT) | instid1(VALU_DEP_1)
	v_add_f32_e32 v14, v36, v14
	v_add_f32_e32 v34, v35, v14
	s_delay_alu instid0(VALU_DEP_1) | instskip(SKIP_1) | instid1(VALU_DEP_1)
	v_mul_f32_e32 v36, v34, v34
	s_wait_alu 0xfffe
	v_fmaak_f32 v37, s33, v36, 0x3ecc95a3
	v_mul_f32_e32 v38, v34, v36
	s_delay_alu instid0(VALU_DEP_2) | instskip(SKIP_2) | instid1(VALU_DEP_3)
	v_fmaak_f32 v36, v36, v37, 0x3f2aaada
	v_ldexp_f32 v37, v34, 1
	v_sub_f32_e32 v34, v34, v35
	v_mul_f32_e32 v36, v38, v36
	v_mul_f32_e32 v38, 0x3f317218, v13
	s_delay_alu instid0(VALU_DEP_2) | instskip(NEXT) | instid1(VALU_DEP_1)
	v_dual_sub_f32 v14, v14, v34 :: v_dual_add_f32 v35, v37, v36
	v_ldexp_f32 v14, v14, 1
	s_delay_alu instid0(VALU_DEP_2) | instskip(NEXT) | instid1(VALU_DEP_4)
	v_sub_f32_e32 v34, v35, v37
	v_fma_f32 v37, 0x3f317218, v13, -v38
	s_delay_alu instid0(VALU_DEP_1) | instskip(NEXT) | instid1(VALU_DEP_1)
	v_dual_sub_f32 v34, v36, v34 :: v_dual_fmamk_f32 v13, v13, 0xb102e308, v37
	v_add_f32_e32 v14, v14, v34
	s_delay_alu instid0(VALU_DEP_2) | instskip(NEXT) | instid1(VALU_DEP_2)
	v_add_f32_e32 v34, v38, v13
	v_add_f32_e32 v36, v35, v14
	s_delay_alu instid0(VALU_DEP_2) | instskip(NEXT) | instid1(VALU_DEP_2)
	v_sub_f32_e32 v38, v34, v38
	v_add_f32_e32 v37, v34, v36
	v_sub_f32_e32 v35, v36, v35
	s_delay_alu instid0(VALU_DEP_3) | instskip(NEXT) | instid1(VALU_DEP_2)
	v_sub_f32_e32 v13, v13, v38
	v_dual_sub_f32 v39, v37, v34 :: v_dual_sub_f32 v14, v14, v35
	s_delay_alu instid0(VALU_DEP_1) | instskip(NEXT) | instid1(VALU_DEP_2)
	v_sub_f32_e32 v40, v37, v39
	v_dual_sub_f32 v35, v36, v39 :: v_dual_add_f32 v36, v13, v14
	s_delay_alu instid0(VALU_DEP_2) | instskip(NEXT) | instid1(VALU_DEP_1)
	v_sub_f32_e32 v34, v34, v40
	v_dual_add_f32 v34, v35, v34 :: v_dual_sub_f32 v35, v36, v13
	s_delay_alu instid0(VALU_DEP_1) | instskip(NEXT) | instid1(VALU_DEP_2)
	v_add_f32_e32 v34, v36, v34
	v_sub_f32_e32 v36, v36, v35
	v_sub_f32_e32 v14, v14, v35
	s_delay_alu instid0(VALU_DEP_3) | instskip(NEXT) | instid1(VALU_DEP_3)
	v_add_f32_e32 v38, v37, v34
	v_sub_f32_e32 v13, v13, v36
	s_delay_alu instid0(VALU_DEP_2) | instskip(NEXT) | instid1(VALU_DEP_2)
	v_sub_f32_e32 v35, v38, v37
	v_add_f32_e32 v13, v14, v13
	s_delay_alu instid0(VALU_DEP_2) | instskip(NEXT) | instid1(VALU_DEP_1)
	v_sub_f32_e32 v14, v34, v35
	v_add_f32_e32 v13, v13, v14
	s_delay_alu instid0(VALU_DEP_1) | instskip(SKIP_1) | instid1(VALU_DEP_1)
	v_add_f32_e32 v13, v38, v13
	s_wait_alu 0xfffd
	v_cndmask_b32_e32 v13, 0x7f800000, v13, vcc_lo
	v_cmp_gt_f32_e64 vcc_lo, 0x33800000, |v33|
	s_wait_alu 0xfffd
	s_delay_alu instid0(VALU_DEP_2) | instskip(NEXT) | instid1(VALU_DEP_1)
	v_cndmask_b32_e32 v13, v13, v33, vcc_lo
	v_add_f32_e32 v13, v8, v13
.LBB158_92:
	s_wait_alu 0xfffe
	s_or_b32 exec_lo, exec_lo, s27
	s_delay_alu instid0(VALU_DEP_1)
	v_mov_b32_e32 v8, v13
	v_mov_b32_e32 v14, v13
.LBB158_93:
	s_wait_alu 0xfffe
	s_or_b32 exec_lo, exec_lo, s26
	v_lshl_or_b32 v34, v22, 2, 64
	v_add_nc_u32_e32 v35, 16, v22
	s_mov_b32 s26, exec_lo
	ds_bpermute_b32 v8, v34, v8
	v_cmpx_le_u32_e64 v35, v7
	s_cbranch_execz .LBB158_97
; %bb.94:
	v_max_num_f32_e32 v7, v14, v14
	s_wait_dscnt 0x0
	v_max_num_f32_e32 v13, v8, v8
	v_cmp_u_f32_e32 vcc_lo, v8, v8
	s_delay_alu instid0(VALU_DEP_2) | instskip(SKIP_2) | instid1(VALU_DEP_2)
	v_min_num_f32_e32 v33, v13, v7
	v_max_num_f32_e32 v7, v13, v7
	s_wait_alu 0xfffd
	v_cndmask_b32_e32 v13, v33, v8, vcc_lo
	s_delay_alu instid0(VALU_DEP_2) | instskip(SKIP_2) | instid1(VALU_DEP_3)
	v_cndmask_b32_e32 v7, v7, v8, vcc_lo
	v_cmp_u_f32_e32 vcc_lo, v14, v14
	s_wait_alu 0xfffd
	v_cndmask_b32_e32 v13, v13, v14, vcc_lo
	s_delay_alu instid0(VALU_DEP_3) | instskip(NEXT) | instid1(VALU_DEP_2)
	v_cndmask_b32_e32 v7, v7, v14, vcc_lo
	v_cmp_class_f32_e64 s27, v13, 0x1f8
	s_delay_alu instid0(VALU_DEP_2)
	v_cmp_neq_f32_e32 vcc_lo, v13, v7
	s_or_b32 s33, vcc_lo, s27
	s_wait_alu 0xfffe
	s_and_saveexec_b32 s27, s33
	s_cbranch_execz .LBB158_96
; %bb.95:
	v_sub_f32_e32 v8, v13, v7
	s_mov_b32 s33, 0x3e9b6dac
	s_delay_alu instid0(VALU_DEP_1) | instskip(SKIP_1) | instid1(VALU_DEP_2)
	v_mul_f32_e32 v13, 0x3fb8aa3b, v8
	v_cmp_ngt_f32_e32 vcc_lo, 0xc2ce8ed0, v8
	v_fma_f32 v14, 0x3fb8aa3b, v8, -v13
	v_rndne_f32_e32 v33, v13
	s_delay_alu instid0(VALU_DEP_1) | instskip(NEXT) | instid1(VALU_DEP_1)
	v_dual_fmamk_f32 v14, v8, 0x32a5705f, v14 :: v_dual_sub_f32 v13, v13, v33
	v_add_f32_e32 v13, v13, v14
	v_cvt_i32_f32_e32 v14, v33
	s_delay_alu instid0(VALU_DEP_2) | instskip(NEXT) | instid1(TRANS32_DEP_1)
	v_exp_f32_e32 v13, v13
	v_ldexp_f32 v13, v13, v14
	s_wait_alu 0xfffd
	s_delay_alu instid0(VALU_DEP_1) | instskip(SKIP_2) | instid1(VALU_DEP_2)
	v_cndmask_b32_e32 v13, 0, v13, vcc_lo
	v_cmp_nlt_f32_e32 vcc_lo, 0x42b17218, v8
	s_wait_alu 0xfffd
	v_cndmask_b32_e32 v8, 0x7f800000, v13, vcc_lo
	s_delay_alu instid0(VALU_DEP_1) | instskip(NEXT) | instid1(VALU_DEP_1)
	v_add_f32_e32 v33, 1.0, v8
	v_cvt_f64_f32_e32 v[13:14], v33
	s_delay_alu instid0(VALU_DEP_1) | instskip(SKIP_1) | instid1(VALU_DEP_1)
	v_frexp_exp_i32_f64_e32 v13, v[13:14]
	v_frexp_mant_f32_e32 v14, v33
	v_cmp_gt_f32_e32 vcc_lo, 0x3f2aaaab, v14
	v_add_f32_e32 v14, -1.0, v33
	s_delay_alu instid0(VALU_DEP_1) | instskip(SKIP_2) | instid1(VALU_DEP_1)
	v_dual_sub_f32 v37, v14, v33 :: v_dual_sub_f32 v14, v8, v14
	s_wait_alu 0xfffd
	v_subrev_co_ci_u32_e64 v13, null, 0, v13, vcc_lo
	v_sub_nc_u32_e32 v36, 0, v13
	v_cvt_f32_i32_e32 v13, v13
	s_delay_alu instid0(VALU_DEP_2) | instskip(NEXT) | instid1(VALU_DEP_1)
	v_ldexp_f32 v33, v33, v36
	v_add_f32_e32 v38, 1.0, v33
	v_add_f32_e32 v37, 1.0, v37
	s_delay_alu instid0(VALU_DEP_1) | instskip(SKIP_1) | instid1(VALU_DEP_2)
	v_dual_add_f32 v14, v14, v37 :: v_dual_add_f32 v37, -1.0, v38
	v_cmp_neq_f32_e32 vcc_lo, 0x7f800000, v8
	v_ldexp_f32 v14, v14, v36
	v_add_f32_e32 v36, -1.0, v33
	s_delay_alu instid0(VALU_DEP_4) | instskip(NEXT) | instid1(VALU_DEP_2)
	v_sub_f32_e32 v37, v33, v37
	v_add_f32_e32 v39, 1.0, v36
	s_delay_alu instid0(VALU_DEP_1) | instskip(NEXT) | instid1(VALU_DEP_3)
	v_sub_f32_e32 v33, v33, v39
	v_add_f32_e32 v37, v14, v37
	s_delay_alu instid0(VALU_DEP_2) | instskip(NEXT) | instid1(VALU_DEP_1)
	v_add_f32_e32 v14, v14, v33
	v_add_f32_e32 v40, v36, v14
	s_delay_alu instid0(VALU_DEP_1) | instskip(NEXT) | instid1(VALU_DEP_1)
	v_dual_sub_f32 v36, v36, v40 :: v_dual_add_f32 v39, v38, v37
	v_rcp_f32_e32 v33, v39
	v_sub_f32_e32 v38, v38, v39
	s_delay_alu instid0(VALU_DEP_1) | instskip(NEXT) | instid1(TRANS32_DEP_1)
	v_dual_add_f32 v37, v37, v38 :: v_dual_add_f32 v14, v14, v36
	v_mul_f32_e32 v41, v40, v33
	s_delay_alu instid0(VALU_DEP_1) | instskip(NEXT) | instid1(VALU_DEP_1)
	v_mul_f32_e32 v42, v39, v41
	v_fma_f32 v38, v41, v39, -v42
	s_delay_alu instid0(VALU_DEP_1) | instskip(NEXT) | instid1(VALU_DEP_1)
	v_fmac_f32_e32 v38, v41, v37
	v_add_f32_e32 v43, v42, v38
	s_delay_alu instid0(VALU_DEP_1) | instskip(SKIP_1) | instid1(VALU_DEP_2)
	v_sub_f32_e32 v44, v40, v43
	v_sub_f32_e32 v36, v43, v42
	v_sub_f32_e32 v40, v40, v44
	s_delay_alu instid0(VALU_DEP_2) | instskip(NEXT) | instid1(VALU_DEP_2)
	v_sub_f32_e32 v36, v36, v38
	v_sub_f32_e32 v40, v40, v43
	s_delay_alu instid0(VALU_DEP_1) | instskip(NEXT) | instid1(VALU_DEP_1)
	v_add_f32_e32 v14, v14, v40
	v_add_f32_e32 v14, v36, v14
	s_delay_alu instid0(VALU_DEP_1) | instskip(NEXT) | instid1(VALU_DEP_1)
	v_add_f32_e32 v36, v44, v14
	v_mul_f32_e32 v38, v33, v36
	s_delay_alu instid0(VALU_DEP_1) | instskip(NEXT) | instid1(VALU_DEP_1)
	v_dual_sub_f32 v43, v44, v36 :: v_dual_mul_f32 v40, v39, v38
	v_add_f32_e32 v14, v14, v43
	s_delay_alu instid0(VALU_DEP_2) | instskip(NEXT) | instid1(VALU_DEP_1)
	v_fma_f32 v39, v38, v39, -v40
	v_fmac_f32_e32 v39, v38, v37
	s_delay_alu instid0(VALU_DEP_1) | instskip(NEXT) | instid1(VALU_DEP_1)
	v_add_f32_e32 v37, v40, v39
	v_sub_f32_e32 v42, v36, v37
	s_delay_alu instid0(VALU_DEP_1) | instskip(NEXT) | instid1(VALU_DEP_1)
	v_sub_f32_e32 v36, v36, v42
	v_sub_f32_e32 v36, v36, v37
	s_delay_alu instid0(VALU_DEP_1) | instskip(SKIP_2) | instid1(VALU_DEP_1)
	v_add_f32_e32 v14, v14, v36
	v_add_f32_e32 v36, v41, v38
	v_sub_f32_e32 v40, v37, v40
	v_sub_f32_e32 v37, v40, v39
	s_delay_alu instid0(VALU_DEP_1) | instskip(NEXT) | instid1(VALU_DEP_1)
	v_dual_add_f32 v14, v37, v14 :: v_dual_sub_f32 v37, v36, v41
	v_add_f32_e32 v14, v42, v14
	s_delay_alu instid0(VALU_DEP_1) | instskip(NEXT) | instid1(VALU_DEP_1)
	v_dual_sub_f32 v37, v38, v37 :: v_dual_mul_f32 v14, v33, v14
	v_add_f32_e32 v14, v37, v14
	s_delay_alu instid0(VALU_DEP_1) | instskip(NEXT) | instid1(VALU_DEP_1)
	v_add_f32_e32 v33, v36, v14
	v_mul_f32_e32 v37, v33, v33
	s_wait_alu 0xfffe
	s_delay_alu instid0(VALU_DEP_1) | instskip(SKIP_1) | instid1(VALU_DEP_2)
	v_fmaak_f32 v38, s33, v37, 0x3ecc95a3
	v_mul_f32_e32 v39, v33, v37
	v_fmaak_f32 v37, v37, v38, 0x3f2aaada
	v_ldexp_f32 v38, v33, 1
	v_sub_f32_e32 v33, v33, v36
	s_delay_alu instid0(VALU_DEP_3) | instskip(SKIP_1) | instid1(VALU_DEP_3)
	v_mul_f32_e32 v37, v39, v37
	v_mul_f32_e32 v39, 0x3f317218, v13
	v_sub_f32_e32 v14, v14, v33
	s_delay_alu instid0(VALU_DEP_3) | instskip(NEXT) | instid1(VALU_DEP_2)
	v_add_f32_e32 v36, v38, v37
	v_ldexp_f32 v14, v14, 1
	s_delay_alu instid0(VALU_DEP_2) | instskip(SKIP_1) | instid1(VALU_DEP_2)
	v_sub_f32_e32 v33, v36, v38
	v_fma_f32 v38, 0x3f317218, v13, -v39
	v_sub_f32_e32 v33, v37, v33
	s_delay_alu instid0(VALU_DEP_1) | instskip(NEXT) | instid1(VALU_DEP_1)
	v_dual_fmamk_f32 v13, v13, 0xb102e308, v38 :: v_dual_add_f32 v14, v14, v33
	v_add_f32_e32 v33, v39, v13
	s_delay_alu instid0(VALU_DEP_1) | instskip(NEXT) | instid1(VALU_DEP_3)
	v_sub_f32_e32 v39, v33, v39
	v_add_f32_e32 v37, v36, v14
	s_delay_alu instid0(VALU_DEP_2) | instskip(NEXT) | instid1(VALU_DEP_2)
	v_sub_f32_e32 v13, v13, v39
	v_add_f32_e32 v38, v33, v37
	v_sub_f32_e32 v36, v37, v36
	s_delay_alu instid0(VALU_DEP_1) | instskip(NEXT) | instid1(VALU_DEP_3)
	v_sub_f32_e32 v14, v14, v36
	v_sub_f32_e32 v40, v38, v33
	s_delay_alu instid0(VALU_DEP_1) | instskip(NEXT) | instid1(VALU_DEP_3)
	v_sub_f32_e32 v36, v37, v40
	v_add_f32_e32 v37, v13, v14
	v_sub_f32_e32 v41, v38, v40
	s_delay_alu instid0(VALU_DEP_1) | instskip(NEXT) | instid1(VALU_DEP_1)
	v_sub_f32_e32 v33, v33, v41
	v_add_f32_e32 v33, v36, v33
	s_delay_alu instid0(VALU_DEP_4) | instskip(NEXT) | instid1(VALU_DEP_1)
	v_sub_f32_e32 v36, v37, v13
	v_dual_add_f32 v33, v37, v33 :: v_dual_sub_f32 v14, v14, v36
	v_sub_f32_e32 v37, v37, v36
	s_delay_alu instid0(VALU_DEP_2) | instskip(NEXT) | instid1(VALU_DEP_1)
	v_add_f32_e32 v39, v38, v33
	v_dual_sub_f32 v13, v13, v37 :: v_dual_sub_f32 v36, v39, v38
	s_delay_alu instid0(VALU_DEP_1) | instskip(NEXT) | instid1(VALU_DEP_1)
	v_dual_add_f32 v13, v14, v13 :: v_dual_sub_f32 v14, v33, v36
	v_add_f32_e32 v13, v13, v14
	s_delay_alu instid0(VALU_DEP_1) | instskip(SKIP_1) | instid1(VALU_DEP_1)
	v_add_f32_e32 v13, v39, v13
	s_wait_alu 0xfffd
	v_cndmask_b32_e32 v13, 0x7f800000, v13, vcc_lo
	v_cmp_gt_f32_e64 vcc_lo, 0x33800000, |v8|
	s_wait_alu 0xfffd
	s_delay_alu instid0(VALU_DEP_2) | instskip(NEXT) | instid1(VALU_DEP_1)
	v_cndmask_b32_e32 v8, v13, v8, vcc_lo
	v_add_f32_e32 v8, v7, v8
.LBB158_96:
	s_wait_alu 0xfffe
	s_or_b32 exec_lo, exec_lo, s27
	s_delay_alu instid0(VALU_DEP_1)
	v_mov_b32_e32 v14, v8
.LBB158_97:
	s_wait_alu 0xfffe
	s_or_b32 exec_lo, exec_lo, s26
	v_mov_b32_e32 v7, 0
	s_mov_b32 s26, 0x3e9b6dac
	s_branch .LBB158_100
.LBB158_98:                             ;   in Loop: Header=BB158_100 Depth=1
	s_wait_alu 0xfffe
	s_or_b32 exec_lo, exec_lo, s27
	v_subrev_nc_u32_e32 v6, 32, v6
	s_mov_b32 s27, 0
.LBB158_99:                             ;   in Loop: Header=BB158_100 Depth=1
	s_wait_alu 0xfffe
	s_and_b32 vcc_lo, exec_lo, s27
	s_wait_alu 0xfffe
	s_cbranch_vccnz .LBB158_128
.LBB158_100:                            ; =>This Loop Header: Depth=1
                                        ;     Child Loop BB158_103 Depth 2
	s_wait_dscnt 0x0
	v_dual_mov_b32 v33, v14 :: v_dual_and_b32 v8, 0xff, v9
	s_mov_b32 s27, -1
                                        ; implicit-def: $vgpr14
                                        ; implicit-def: $vgpr9
	s_delay_alu instid0(VALU_DEP_1)
	v_cmp_ne_u16_e32 vcc_lo, 2, v8
	s_cmp_lg_u32 vcc_lo, exec_lo
	s_cbranch_scc1 .LBB158_99
; %bb.101:                              ;   in Loop: Header=BB158_100 Depth=1
	v_lshlrev_b64_e32 v[8:9], 3, v[6:7]
	s_mov_b32 s27, exec_lo
	s_delay_alu instid0(VALU_DEP_1) | instskip(SKIP_1) | instid1(VALU_DEP_2)
	v_add_co_u32 v13, vcc_lo, s28, v8
	s_wait_alu 0xfffd
	v_add_co_ci_u32_e64 v14, null, s29, v9, vcc_lo
	global_load_b64 v[8:9], v[13:14], off scope:SCOPE_DEV
	s_wait_loadcnt 0x0
	v_and_b32_e32 v36, 0xff, v9
	s_delay_alu instid0(VALU_DEP_1)
	v_cmpx_eq_u16_e32 0, v36
	s_cbranch_execz .LBB158_105
; %bb.102:                              ;   in Loop: Header=BB158_100 Depth=1
	s_mov_b32 s33, 0
.LBB158_103:                            ;   Parent Loop BB158_100 Depth=1
                                        ; =>  This Inner Loop Header: Depth=2
	global_load_b64 v[8:9], v[13:14], off scope:SCOPE_DEV
	s_wait_loadcnt 0x0
	v_and_b32_e32 v36, 0xff, v9
	s_delay_alu instid0(VALU_DEP_1)
	v_cmp_ne_u16_e32 vcc_lo, 0, v36
	s_wait_alu 0xfffe
	s_or_b32 s33, vcc_lo, s33
	s_wait_alu 0xfffe
	s_and_not1_b32 exec_lo, exec_lo, s33
	s_cbranch_execnz .LBB158_103
; %bb.104:                              ;   in Loop: Header=BB158_100 Depth=1
	s_or_b32 exec_lo, exec_lo, s33
.LBB158_105:                            ;   in Loop: Header=BB158_100 Depth=1
	s_wait_alu 0xfffe
	s_or_b32 exec_lo, exec_lo, s27
	v_dual_mov_b32 v14, v8 :: v_dual_and_b32 v13, 0xff, v9
	ds_bpermute_b32 v36, v25, v8
	s_mov_b32 s27, exec_lo
	v_cmp_eq_u16_e32 vcc_lo, 2, v13
	s_wait_alu 0xfffd
	v_and_or_b32 v13, vcc_lo, v26, 0x80000000
	s_delay_alu instid0(VALU_DEP_1) | instskip(NEXT) | instid1(VALU_DEP_1)
	v_ctz_i32_b32_e32 v13, v13
	v_cmpx_lt_u32_e64 v22, v13
	s_cbranch_execz .LBB158_109
; %bb.106:                              ;   in Loop: Header=BB158_100 Depth=1
	v_max_num_f32_e32 v14, v8, v8
	s_wait_dscnt 0x0
	v_max_num_f32_e32 v37, v36, v36
	v_cmp_u_f32_e32 vcc_lo, v36, v36
	s_delay_alu instid0(VALU_DEP_2) | instskip(SKIP_1) | instid1(VALU_DEP_1)
	v_min_num_f32_e32 v38, v37, v14
	s_wait_alu 0xfffd
	v_dual_max_num_f32 v14, v37, v14 :: v_dual_cndmask_b32 v37, v38, v36
	s_delay_alu instid0(VALU_DEP_1) | instskip(SKIP_2) | instid1(VALU_DEP_3)
	v_cndmask_b32_e32 v38, v14, v36, vcc_lo
	v_cmp_u_f32_e32 vcc_lo, v8, v8
	s_wait_alu 0xfffd
	v_cndmask_b32_e32 v14, v37, v8, vcc_lo
	s_delay_alu instid0(VALU_DEP_3) | instskip(NEXT) | instid1(VALU_DEP_2)
	v_cndmask_b32_e32 v8, v38, v8, vcc_lo
	v_cmp_class_f32_e64 s33, v14, 0x1f8
	s_delay_alu instid0(VALU_DEP_2) | instskip(SKIP_1) | instid1(SALU_CYCLE_1)
	v_cmp_neq_f32_e32 vcc_lo, v14, v8
	s_or_b32 s34, vcc_lo, s33
	s_and_saveexec_b32 s33, s34
	s_cbranch_execz .LBB158_108
; %bb.107:                              ;   in Loop: Header=BB158_100 Depth=1
	v_sub_f32_e32 v14, v14, v8
	s_delay_alu instid0(VALU_DEP_1) | instskip(SKIP_1) | instid1(VALU_DEP_2)
	v_mul_f32_e32 v36, 0x3fb8aa3b, v14
	v_cmp_ngt_f32_e32 vcc_lo, 0xc2ce8ed0, v14
	v_fma_f32 v37, 0x3fb8aa3b, v14, -v36
	v_rndne_f32_e32 v38, v36
	s_delay_alu instid0(VALU_DEP_2) | instskip(NEXT) | instid1(VALU_DEP_2)
	v_fmac_f32_e32 v37, 0x32a5705f, v14
	v_sub_f32_e32 v36, v36, v38
	s_delay_alu instid0(VALU_DEP_1) | instskip(SKIP_1) | instid1(VALU_DEP_2)
	v_add_f32_e32 v36, v36, v37
	v_cvt_i32_f32_e32 v37, v38
	v_exp_f32_e32 v36, v36
	s_delay_alu instid0(TRANS32_DEP_1) | instskip(SKIP_1) | instid1(VALU_DEP_1)
	v_ldexp_f32 v36, v36, v37
	s_wait_alu 0xfffd
	v_cndmask_b32_e32 v36, 0, v36, vcc_lo
	v_cmp_nlt_f32_e32 vcc_lo, 0x42b17218, v14
	s_wait_alu 0xfffd
	s_delay_alu instid0(VALU_DEP_2) | instskip(NEXT) | instid1(VALU_DEP_1)
	v_cndmask_b32_e32 v14, 0x7f800000, v36, vcc_lo
	v_add_f32_e32 v38, 1.0, v14
	s_delay_alu instid0(VALU_DEP_1) | instskip(NEXT) | instid1(VALU_DEP_1)
	v_cvt_f64_f32_e32 v[36:37], v38
	v_frexp_exp_i32_f64_e32 v36, v[36:37]
	v_frexp_mant_f32_e32 v37, v38
	s_delay_alu instid0(VALU_DEP_1) | instskip(SKIP_1) | instid1(VALU_DEP_1)
	v_cmp_gt_f32_e32 vcc_lo, 0x3f2aaaab, v37
	v_add_f32_e32 v37, -1.0, v38
	v_dual_sub_f32 v40, v37, v38 :: v_dual_sub_f32 v37, v14, v37
	s_delay_alu instid0(VALU_DEP_1) | instskip(NEXT) | instid1(VALU_DEP_1)
	v_add_f32_e32 v40, 1.0, v40
	v_add_f32_e32 v37, v37, v40
	s_wait_alu 0xfffd
	v_subrev_co_ci_u32_e64 v36, null, 0, v36, vcc_lo
	s_delay_alu instid0(VALU_DEP_1) | instskip(SKIP_1) | instid1(VALU_DEP_2)
	v_sub_nc_u32_e32 v39, 0, v36
	v_cvt_f32_i32_e32 v36, v36
	v_ldexp_f32 v38, v38, v39
	v_ldexp_f32 v37, v37, v39
	s_delay_alu instid0(VALU_DEP_2) | instskip(SKIP_2) | instid1(VALU_DEP_3)
	v_add_f32_e32 v41, 1.0, v38
	v_add_f32_e32 v39, -1.0, v38
	v_cmp_neq_f32_e32 vcc_lo, 0x7f800000, v14
	v_add_f32_e32 v40, -1.0, v41
	s_delay_alu instid0(VALU_DEP_3) | instskip(NEXT) | instid1(VALU_DEP_2)
	v_add_f32_e32 v42, 1.0, v39
	v_sub_f32_e32 v40, v38, v40
	s_delay_alu instid0(VALU_DEP_2) | instskip(NEXT) | instid1(VALU_DEP_2)
	v_sub_f32_e32 v38, v38, v42
	v_add_f32_e32 v40, v37, v40
	s_delay_alu instid0(VALU_DEP_2) | instskip(NEXT) | instid1(VALU_DEP_1)
	v_add_f32_e32 v37, v37, v38
	v_add_f32_e32 v43, v39, v37
	s_delay_alu instid0(VALU_DEP_1) | instskip(NEXT) | instid1(VALU_DEP_1)
	v_dual_sub_f32 v39, v39, v43 :: v_dual_add_f32 v42, v41, v40
	v_add_f32_e32 v37, v37, v39
	s_delay_alu instid0(VALU_DEP_2) | instskip(SKIP_1) | instid1(VALU_DEP_1)
	v_rcp_f32_e32 v38, v42
	v_sub_f32_e32 v41, v41, v42
	v_add_f32_e32 v40, v40, v41
	s_delay_alu instid0(TRANS32_DEP_1) | instskip(NEXT) | instid1(VALU_DEP_1)
	v_mul_f32_e32 v44, v43, v38
	v_mul_f32_e32 v45, v42, v44
	s_delay_alu instid0(VALU_DEP_1) | instskip(NEXT) | instid1(VALU_DEP_1)
	v_fma_f32 v41, v44, v42, -v45
	v_fmac_f32_e32 v41, v44, v40
	s_delay_alu instid0(VALU_DEP_1) | instskip(NEXT) | instid1(VALU_DEP_1)
	v_add_f32_e32 v46, v45, v41
	v_sub_f32_e32 v47, v43, v46
	v_sub_f32_e32 v39, v46, v45
	s_delay_alu instid0(VALU_DEP_2) | instskip(NEXT) | instid1(VALU_DEP_1)
	v_sub_f32_e32 v43, v43, v47
	v_sub_f32_e32 v43, v43, v46
	s_delay_alu instid0(VALU_DEP_3) | instskip(NEXT) | instid1(VALU_DEP_2)
	v_sub_f32_e32 v39, v39, v41
	v_add_f32_e32 v37, v37, v43
	s_delay_alu instid0(VALU_DEP_1) | instskip(NEXT) | instid1(VALU_DEP_1)
	v_add_f32_e32 v37, v39, v37
	v_add_f32_e32 v39, v47, v37
	s_delay_alu instid0(VALU_DEP_1) | instskip(NEXT) | instid1(VALU_DEP_1)
	v_mul_f32_e32 v41, v38, v39
	v_dual_sub_f32 v46, v47, v39 :: v_dual_mul_f32 v43, v42, v41
	s_delay_alu instid0(VALU_DEP_1) | instskip(NEXT) | instid1(VALU_DEP_2)
	v_add_f32_e32 v37, v37, v46
	v_fma_f32 v42, v41, v42, -v43
	s_delay_alu instid0(VALU_DEP_1) | instskip(NEXT) | instid1(VALU_DEP_1)
	v_fmac_f32_e32 v42, v41, v40
	v_add_f32_e32 v40, v43, v42
	s_delay_alu instid0(VALU_DEP_1) | instskip(NEXT) | instid1(VALU_DEP_1)
	v_sub_f32_e32 v45, v39, v40
	v_sub_f32_e32 v39, v39, v45
	s_delay_alu instid0(VALU_DEP_1) | instskip(NEXT) | instid1(VALU_DEP_1)
	v_sub_f32_e32 v39, v39, v40
	v_add_f32_e32 v37, v37, v39
	v_add_f32_e32 v39, v44, v41
	v_sub_f32_e32 v43, v40, v43
	s_delay_alu instid0(VALU_DEP_1) | instskip(NEXT) | instid1(VALU_DEP_1)
	v_sub_f32_e32 v40, v43, v42
	v_dual_add_f32 v37, v40, v37 :: v_dual_sub_f32 v40, v39, v44
	s_delay_alu instid0(VALU_DEP_1) | instskip(NEXT) | instid1(VALU_DEP_1)
	v_add_f32_e32 v37, v45, v37
	v_dual_sub_f32 v40, v41, v40 :: v_dual_mul_f32 v37, v38, v37
	s_delay_alu instid0(VALU_DEP_1) | instskip(NEXT) | instid1(VALU_DEP_1)
	v_add_f32_e32 v37, v40, v37
	v_add_f32_e32 v38, v39, v37
	s_delay_alu instid0(VALU_DEP_1) | instskip(NEXT) | instid1(VALU_DEP_1)
	v_mul_f32_e32 v40, v38, v38
	v_fmaak_f32 v41, s26, v40, 0x3ecc95a3
	v_mul_f32_e32 v42, v38, v40
	s_delay_alu instid0(VALU_DEP_2) | instskip(SKIP_1) | instid1(VALU_DEP_2)
	v_fmaak_f32 v40, v40, v41, 0x3f2aaada
	v_ldexp_f32 v41, v38, 1
	v_mul_f32_e32 v40, v42, v40
	v_mul_f32_e32 v42, 0x3f317218, v36
	s_delay_alu instid0(VALU_DEP_2) | instskip(NEXT) | instid1(VALU_DEP_1)
	v_dual_sub_f32 v38, v38, v39 :: v_dual_add_f32 v39, v41, v40
	v_dual_sub_f32 v37, v37, v38 :: v_dual_sub_f32 v38, v39, v41
	s_delay_alu instid0(VALU_DEP_3) | instskip(NEXT) | instid1(VALU_DEP_2)
	v_fma_f32 v41, 0x3f317218, v36, -v42
	v_ldexp_f32 v37, v37, 1
	s_delay_alu instid0(VALU_DEP_2) | instskip(NEXT) | instid1(VALU_DEP_1)
	v_dual_sub_f32 v38, v40, v38 :: v_dual_fmac_f32 v41, 0xb102e308, v36
	v_dual_add_f32 v36, v37, v38 :: v_dual_add_f32 v37, v42, v41
	s_delay_alu instid0(VALU_DEP_1) | instskip(NEXT) | instid1(VALU_DEP_1)
	v_add_f32_e32 v38, v39, v36
	v_add_f32_e32 v40, v37, v38
	s_delay_alu instid0(VALU_DEP_1) | instskip(NEXT) | instid1(VALU_DEP_1)
	v_sub_f32_e32 v43, v40, v37
	v_sub_f32_e32 v44, v40, v43
	;; [unrolled: 1-line block ×3, first 2 shown]
	s_delay_alu instid0(VALU_DEP_1) | instskip(SKIP_1) | instid1(VALU_DEP_1)
	v_sub_f32_e32 v36, v36, v39
	v_sub_f32_e32 v42, v37, v42
	v_dual_sub_f32 v38, v38, v43 :: v_dual_sub_f32 v41, v41, v42
	s_delay_alu instid0(VALU_DEP_1) | instskip(SKIP_1) | instid1(VALU_DEP_1)
	v_add_f32_e32 v39, v41, v36
	v_sub_f32_e32 v37, v37, v44
	v_add_f32_e32 v37, v38, v37
	s_delay_alu instid0(VALU_DEP_3) | instskip(NEXT) | instid1(VALU_DEP_1)
	v_sub_f32_e32 v38, v39, v41
	v_dual_sub_f32 v36, v36, v38 :: v_dual_add_f32 v37, v39, v37
	s_delay_alu instid0(VALU_DEP_1) | instskip(NEXT) | instid1(VALU_DEP_1)
	v_dual_sub_f32 v39, v39, v38 :: v_dual_add_f32 v42, v40, v37
	v_dual_sub_f32 v38, v42, v40 :: v_dual_sub_f32 v39, v41, v39
	s_delay_alu instid0(VALU_DEP_1) | instskip(NEXT) | instid1(VALU_DEP_1)
	v_dual_sub_f32 v37, v37, v38 :: v_dual_add_f32 v36, v36, v39
	v_add_f32_e32 v36, v36, v37
	s_delay_alu instid0(VALU_DEP_1) | instskip(SKIP_1) | instid1(VALU_DEP_1)
	v_add_f32_e32 v36, v42, v36
	s_wait_alu 0xfffd
	v_cndmask_b32_e32 v36, 0x7f800000, v36, vcc_lo
	v_cmp_gt_f32_e64 vcc_lo, 0x33800000, |v14|
	s_wait_alu 0xfffd
	s_delay_alu instid0(VALU_DEP_2) | instskip(NEXT) | instid1(VALU_DEP_1)
	v_cndmask_b32_e32 v14, v36, v14, vcc_lo
	v_add_f32_e32 v36, v8, v14
.LBB158_108:                            ;   in Loop: Header=BB158_100 Depth=1
	s_wait_alu 0xfffe
	s_or_b32 exec_lo, exec_lo, s33
	s_delay_alu instid0(VALU_DEP_1)
	v_mov_b32_e32 v8, v36
	v_mov_b32_e32 v14, v36
.LBB158_109:                            ;   in Loop: Header=BB158_100 Depth=1
	s_wait_alu 0xfffe
	s_or_b32 exec_lo, exec_lo, s27
	s_wait_dscnt 0x0
	ds_bpermute_b32 v36, v27, v8
	s_mov_b32 s27, exec_lo
	v_cmpx_le_u32_e64 v28, v13
	s_cbranch_execz .LBB158_113
; %bb.110:                              ;   in Loop: Header=BB158_100 Depth=1
	s_wait_dscnt 0x0
	v_dual_max_num_f32 v8, v14, v14 :: v_dual_max_num_f32 v37, v36, v36
	v_cmp_u_f32_e32 vcc_lo, v36, v36
	s_delay_alu instid0(VALU_DEP_2) | instskip(SKIP_2) | instid1(VALU_DEP_1)
	v_min_num_f32_e32 v38, v37, v8
	v_max_num_f32_e32 v8, v37, v8
	s_wait_alu 0xfffd
	v_cndmask_b32_e32 v8, v8, v36, vcc_lo
	s_delay_alu instid0(VALU_DEP_3) | instskip(SKIP_2) | instid1(VALU_DEP_3)
	v_cndmask_b32_e32 v37, v38, v36, vcc_lo
	v_cmp_u_f32_e32 vcc_lo, v14, v14
	s_wait_alu 0xfffd
	v_cndmask_b32_e32 v8, v8, v14, vcc_lo
	s_delay_alu instid0(VALU_DEP_3) | instskip(NEXT) | instid1(VALU_DEP_1)
	v_cndmask_b32_e32 v37, v37, v14, vcc_lo
	v_cmp_neq_f32_e32 vcc_lo, v37, v8
	v_cmp_class_f32_e64 s33, v37, 0x1f8
	s_or_b32 s34, vcc_lo, s33
	s_delay_alu instid0(SALU_CYCLE_1)
	s_and_saveexec_b32 s33, s34
	s_cbranch_execz .LBB158_112
; %bb.111:                              ;   in Loop: Header=BB158_100 Depth=1
	v_sub_f32_e32 v14, v37, v8
	s_delay_alu instid0(VALU_DEP_1) | instskip(SKIP_1) | instid1(VALU_DEP_2)
	v_mul_f32_e32 v36, 0x3fb8aa3b, v14
	v_cmp_ngt_f32_e32 vcc_lo, 0xc2ce8ed0, v14
	v_fma_f32 v37, 0x3fb8aa3b, v14, -v36
	v_rndne_f32_e32 v38, v36
	s_delay_alu instid0(VALU_DEP_2) | instskip(NEXT) | instid1(VALU_DEP_2)
	v_fmac_f32_e32 v37, 0x32a5705f, v14
	v_sub_f32_e32 v36, v36, v38
	s_delay_alu instid0(VALU_DEP_1) | instskip(SKIP_1) | instid1(VALU_DEP_2)
	v_add_f32_e32 v36, v36, v37
	v_cvt_i32_f32_e32 v37, v38
	v_exp_f32_e32 v36, v36
	s_delay_alu instid0(TRANS32_DEP_1) | instskip(SKIP_1) | instid1(VALU_DEP_1)
	v_ldexp_f32 v36, v36, v37
	s_wait_alu 0xfffd
	v_cndmask_b32_e32 v36, 0, v36, vcc_lo
	v_cmp_nlt_f32_e32 vcc_lo, 0x42b17218, v14
	s_wait_alu 0xfffd
	s_delay_alu instid0(VALU_DEP_2) | instskip(NEXT) | instid1(VALU_DEP_1)
	v_cndmask_b32_e32 v14, 0x7f800000, v36, vcc_lo
	v_add_f32_e32 v38, 1.0, v14
	s_delay_alu instid0(VALU_DEP_1) | instskip(NEXT) | instid1(VALU_DEP_1)
	v_cvt_f64_f32_e32 v[36:37], v38
	v_frexp_exp_i32_f64_e32 v36, v[36:37]
	v_frexp_mant_f32_e32 v37, v38
	s_delay_alu instid0(VALU_DEP_1) | instskip(SKIP_1) | instid1(VALU_DEP_1)
	v_cmp_gt_f32_e32 vcc_lo, 0x3f2aaaab, v37
	v_add_f32_e32 v37, -1.0, v38
	v_dual_sub_f32 v40, v37, v38 :: v_dual_sub_f32 v37, v14, v37
	s_delay_alu instid0(VALU_DEP_1) | instskip(NEXT) | instid1(VALU_DEP_1)
	v_add_f32_e32 v40, 1.0, v40
	v_add_f32_e32 v37, v37, v40
	s_wait_alu 0xfffd
	v_subrev_co_ci_u32_e64 v36, null, 0, v36, vcc_lo
	s_delay_alu instid0(VALU_DEP_1) | instskip(SKIP_1) | instid1(VALU_DEP_2)
	v_sub_nc_u32_e32 v39, 0, v36
	v_cvt_f32_i32_e32 v36, v36
	v_ldexp_f32 v38, v38, v39
	v_ldexp_f32 v37, v37, v39
	s_delay_alu instid0(VALU_DEP_2) | instskip(SKIP_2) | instid1(VALU_DEP_3)
	v_add_f32_e32 v41, 1.0, v38
	v_add_f32_e32 v39, -1.0, v38
	v_cmp_neq_f32_e32 vcc_lo, 0x7f800000, v14
	v_add_f32_e32 v40, -1.0, v41
	s_delay_alu instid0(VALU_DEP_3) | instskip(NEXT) | instid1(VALU_DEP_2)
	v_add_f32_e32 v42, 1.0, v39
	v_sub_f32_e32 v40, v38, v40
	s_delay_alu instid0(VALU_DEP_2) | instskip(NEXT) | instid1(VALU_DEP_2)
	v_sub_f32_e32 v38, v38, v42
	v_add_f32_e32 v40, v37, v40
	s_delay_alu instid0(VALU_DEP_2) | instskip(NEXT) | instid1(VALU_DEP_1)
	v_add_f32_e32 v37, v37, v38
	v_add_f32_e32 v43, v39, v37
	s_delay_alu instid0(VALU_DEP_1) | instskip(NEXT) | instid1(VALU_DEP_1)
	v_dual_sub_f32 v39, v39, v43 :: v_dual_add_f32 v42, v41, v40
	v_add_f32_e32 v37, v37, v39
	s_delay_alu instid0(VALU_DEP_2) | instskip(SKIP_1) | instid1(VALU_DEP_1)
	v_rcp_f32_e32 v38, v42
	v_sub_f32_e32 v41, v41, v42
	v_add_f32_e32 v40, v40, v41
	s_delay_alu instid0(TRANS32_DEP_1) | instskip(NEXT) | instid1(VALU_DEP_1)
	v_mul_f32_e32 v44, v43, v38
	v_mul_f32_e32 v45, v42, v44
	s_delay_alu instid0(VALU_DEP_1) | instskip(NEXT) | instid1(VALU_DEP_1)
	v_fma_f32 v41, v44, v42, -v45
	v_fmac_f32_e32 v41, v44, v40
	s_delay_alu instid0(VALU_DEP_1) | instskip(NEXT) | instid1(VALU_DEP_1)
	v_add_f32_e32 v46, v45, v41
	v_sub_f32_e32 v47, v43, v46
	v_sub_f32_e32 v39, v46, v45
	s_delay_alu instid0(VALU_DEP_2) | instskip(NEXT) | instid1(VALU_DEP_1)
	v_sub_f32_e32 v43, v43, v47
	v_sub_f32_e32 v43, v43, v46
	s_delay_alu instid0(VALU_DEP_3) | instskip(NEXT) | instid1(VALU_DEP_2)
	v_sub_f32_e32 v39, v39, v41
	v_add_f32_e32 v37, v37, v43
	s_delay_alu instid0(VALU_DEP_1) | instskip(NEXT) | instid1(VALU_DEP_1)
	v_add_f32_e32 v37, v39, v37
	v_add_f32_e32 v39, v47, v37
	s_delay_alu instid0(VALU_DEP_1) | instskip(NEXT) | instid1(VALU_DEP_1)
	v_mul_f32_e32 v41, v38, v39
	v_dual_sub_f32 v46, v47, v39 :: v_dual_mul_f32 v43, v42, v41
	s_delay_alu instid0(VALU_DEP_1) | instskip(NEXT) | instid1(VALU_DEP_2)
	v_add_f32_e32 v37, v37, v46
	v_fma_f32 v42, v41, v42, -v43
	s_delay_alu instid0(VALU_DEP_1) | instskip(NEXT) | instid1(VALU_DEP_1)
	v_fmac_f32_e32 v42, v41, v40
	v_add_f32_e32 v40, v43, v42
	s_delay_alu instid0(VALU_DEP_1) | instskip(NEXT) | instid1(VALU_DEP_1)
	v_sub_f32_e32 v45, v39, v40
	v_sub_f32_e32 v39, v39, v45
	s_delay_alu instid0(VALU_DEP_1) | instskip(NEXT) | instid1(VALU_DEP_1)
	v_sub_f32_e32 v39, v39, v40
	v_add_f32_e32 v37, v37, v39
	v_add_f32_e32 v39, v44, v41
	v_sub_f32_e32 v43, v40, v43
	s_delay_alu instid0(VALU_DEP_1) | instskip(NEXT) | instid1(VALU_DEP_1)
	v_sub_f32_e32 v40, v43, v42
	v_dual_add_f32 v37, v40, v37 :: v_dual_sub_f32 v40, v39, v44
	s_delay_alu instid0(VALU_DEP_1) | instskip(NEXT) | instid1(VALU_DEP_1)
	v_add_f32_e32 v37, v45, v37
	v_dual_sub_f32 v40, v41, v40 :: v_dual_mul_f32 v37, v38, v37
	s_delay_alu instid0(VALU_DEP_1) | instskip(NEXT) | instid1(VALU_DEP_1)
	v_add_f32_e32 v37, v40, v37
	v_add_f32_e32 v38, v39, v37
	s_delay_alu instid0(VALU_DEP_1) | instskip(NEXT) | instid1(VALU_DEP_1)
	v_mul_f32_e32 v40, v38, v38
	v_fmaak_f32 v41, s26, v40, 0x3ecc95a3
	v_mul_f32_e32 v42, v38, v40
	s_delay_alu instid0(VALU_DEP_2) | instskip(SKIP_1) | instid1(VALU_DEP_2)
	v_fmaak_f32 v40, v40, v41, 0x3f2aaada
	v_ldexp_f32 v41, v38, 1
	v_mul_f32_e32 v40, v42, v40
	v_mul_f32_e32 v42, 0x3f317218, v36
	s_delay_alu instid0(VALU_DEP_2) | instskip(NEXT) | instid1(VALU_DEP_1)
	v_dual_sub_f32 v38, v38, v39 :: v_dual_add_f32 v39, v41, v40
	v_dual_sub_f32 v37, v37, v38 :: v_dual_sub_f32 v38, v39, v41
	s_delay_alu instid0(VALU_DEP_3) | instskip(NEXT) | instid1(VALU_DEP_2)
	v_fma_f32 v41, 0x3f317218, v36, -v42
	v_ldexp_f32 v37, v37, 1
	s_delay_alu instid0(VALU_DEP_2) | instskip(NEXT) | instid1(VALU_DEP_1)
	v_dual_sub_f32 v38, v40, v38 :: v_dual_fmac_f32 v41, 0xb102e308, v36
	v_dual_add_f32 v36, v37, v38 :: v_dual_add_f32 v37, v42, v41
	s_delay_alu instid0(VALU_DEP_1) | instskip(NEXT) | instid1(VALU_DEP_1)
	v_add_f32_e32 v38, v39, v36
	v_add_f32_e32 v40, v37, v38
	s_delay_alu instid0(VALU_DEP_1) | instskip(NEXT) | instid1(VALU_DEP_1)
	v_sub_f32_e32 v43, v40, v37
	v_sub_f32_e32 v44, v40, v43
	;; [unrolled: 1-line block ×3, first 2 shown]
	s_delay_alu instid0(VALU_DEP_1) | instskip(SKIP_1) | instid1(VALU_DEP_1)
	v_sub_f32_e32 v36, v36, v39
	v_sub_f32_e32 v42, v37, v42
	v_dual_sub_f32 v38, v38, v43 :: v_dual_sub_f32 v41, v41, v42
	s_delay_alu instid0(VALU_DEP_1) | instskip(SKIP_1) | instid1(VALU_DEP_1)
	v_add_f32_e32 v39, v41, v36
	v_sub_f32_e32 v37, v37, v44
	v_add_f32_e32 v37, v38, v37
	s_delay_alu instid0(VALU_DEP_3) | instskip(NEXT) | instid1(VALU_DEP_1)
	v_sub_f32_e32 v38, v39, v41
	v_dual_sub_f32 v36, v36, v38 :: v_dual_add_f32 v37, v39, v37
	s_delay_alu instid0(VALU_DEP_1) | instskip(NEXT) | instid1(VALU_DEP_1)
	v_dual_sub_f32 v39, v39, v38 :: v_dual_add_f32 v42, v40, v37
	v_dual_sub_f32 v38, v42, v40 :: v_dual_sub_f32 v39, v41, v39
	s_delay_alu instid0(VALU_DEP_1) | instskip(NEXT) | instid1(VALU_DEP_1)
	v_dual_sub_f32 v37, v37, v38 :: v_dual_add_f32 v36, v36, v39
	v_add_f32_e32 v36, v36, v37
	s_delay_alu instid0(VALU_DEP_1) | instskip(SKIP_1) | instid1(VALU_DEP_1)
	v_add_f32_e32 v36, v42, v36
	s_wait_alu 0xfffd
	v_cndmask_b32_e32 v36, 0x7f800000, v36, vcc_lo
	v_cmp_gt_f32_e64 vcc_lo, 0x33800000, |v14|
	s_wait_alu 0xfffd
	s_delay_alu instid0(VALU_DEP_2) | instskip(NEXT) | instid1(VALU_DEP_1)
	v_cndmask_b32_e32 v14, v36, v14, vcc_lo
	v_add_f32_e32 v36, v8, v14
.LBB158_112:                            ;   in Loop: Header=BB158_100 Depth=1
	s_wait_alu 0xfffe
	s_or_b32 exec_lo, exec_lo, s33
	s_delay_alu instid0(VALU_DEP_1)
	v_mov_b32_e32 v8, v36
	v_mov_b32_e32 v14, v36
.LBB158_113:                            ;   in Loop: Header=BB158_100 Depth=1
	s_wait_alu 0xfffe
	s_or_b32 exec_lo, exec_lo, s27
	s_wait_dscnt 0x0
	ds_bpermute_b32 v36, v29, v8
	s_mov_b32 s27, exec_lo
	v_cmpx_le_u32_e64 v30, v13
	s_cbranch_execz .LBB158_117
; %bb.114:                              ;   in Loop: Header=BB158_100 Depth=1
	s_wait_dscnt 0x0
	v_dual_max_num_f32 v8, v14, v14 :: v_dual_max_num_f32 v37, v36, v36
	v_cmp_u_f32_e32 vcc_lo, v36, v36
	s_delay_alu instid0(VALU_DEP_2) | instskip(SKIP_2) | instid1(VALU_DEP_1)
	v_min_num_f32_e32 v38, v37, v8
	v_max_num_f32_e32 v8, v37, v8
	s_wait_alu 0xfffd
	v_cndmask_b32_e32 v8, v8, v36, vcc_lo
	s_delay_alu instid0(VALU_DEP_3) | instskip(SKIP_2) | instid1(VALU_DEP_3)
	v_cndmask_b32_e32 v37, v38, v36, vcc_lo
	v_cmp_u_f32_e32 vcc_lo, v14, v14
	s_wait_alu 0xfffd
	v_cndmask_b32_e32 v8, v8, v14, vcc_lo
	s_delay_alu instid0(VALU_DEP_3) | instskip(NEXT) | instid1(VALU_DEP_1)
	v_cndmask_b32_e32 v37, v37, v14, vcc_lo
	v_cmp_neq_f32_e32 vcc_lo, v37, v8
	v_cmp_class_f32_e64 s33, v37, 0x1f8
	s_or_b32 s34, vcc_lo, s33
	s_delay_alu instid0(SALU_CYCLE_1)
	s_and_saveexec_b32 s33, s34
	s_cbranch_execz .LBB158_116
; %bb.115:                              ;   in Loop: Header=BB158_100 Depth=1
	v_sub_f32_e32 v14, v37, v8
	s_delay_alu instid0(VALU_DEP_1) | instskip(SKIP_1) | instid1(VALU_DEP_2)
	v_mul_f32_e32 v36, 0x3fb8aa3b, v14
	v_cmp_ngt_f32_e32 vcc_lo, 0xc2ce8ed0, v14
	v_fma_f32 v37, 0x3fb8aa3b, v14, -v36
	v_rndne_f32_e32 v38, v36
	s_delay_alu instid0(VALU_DEP_2) | instskip(NEXT) | instid1(VALU_DEP_2)
	v_fmac_f32_e32 v37, 0x32a5705f, v14
	v_sub_f32_e32 v36, v36, v38
	s_delay_alu instid0(VALU_DEP_1) | instskip(SKIP_1) | instid1(VALU_DEP_2)
	v_add_f32_e32 v36, v36, v37
	v_cvt_i32_f32_e32 v37, v38
	v_exp_f32_e32 v36, v36
	s_delay_alu instid0(TRANS32_DEP_1) | instskip(SKIP_1) | instid1(VALU_DEP_1)
	v_ldexp_f32 v36, v36, v37
	s_wait_alu 0xfffd
	v_cndmask_b32_e32 v36, 0, v36, vcc_lo
	v_cmp_nlt_f32_e32 vcc_lo, 0x42b17218, v14
	s_wait_alu 0xfffd
	s_delay_alu instid0(VALU_DEP_2) | instskip(NEXT) | instid1(VALU_DEP_1)
	v_cndmask_b32_e32 v14, 0x7f800000, v36, vcc_lo
	v_add_f32_e32 v38, 1.0, v14
	s_delay_alu instid0(VALU_DEP_1) | instskip(NEXT) | instid1(VALU_DEP_1)
	v_cvt_f64_f32_e32 v[36:37], v38
	v_frexp_exp_i32_f64_e32 v36, v[36:37]
	v_frexp_mant_f32_e32 v37, v38
	s_delay_alu instid0(VALU_DEP_1) | instskip(SKIP_1) | instid1(VALU_DEP_1)
	v_cmp_gt_f32_e32 vcc_lo, 0x3f2aaaab, v37
	v_add_f32_e32 v37, -1.0, v38
	v_dual_sub_f32 v40, v37, v38 :: v_dual_sub_f32 v37, v14, v37
	s_delay_alu instid0(VALU_DEP_1) | instskip(NEXT) | instid1(VALU_DEP_1)
	v_add_f32_e32 v40, 1.0, v40
	v_add_f32_e32 v37, v37, v40
	s_wait_alu 0xfffd
	v_subrev_co_ci_u32_e64 v36, null, 0, v36, vcc_lo
	s_delay_alu instid0(VALU_DEP_1) | instskip(SKIP_1) | instid1(VALU_DEP_2)
	v_sub_nc_u32_e32 v39, 0, v36
	v_cvt_f32_i32_e32 v36, v36
	v_ldexp_f32 v38, v38, v39
	v_ldexp_f32 v37, v37, v39
	s_delay_alu instid0(VALU_DEP_2) | instskip(SKIP_2) | instid1(VALU_DEP_3)
	v_add_f32_e32 v41, 1.0, v38
	v_add_f32_e32 v39, -1.0, v38
	v_cmp_neq_f32_e32 vcc_lo, 0x7f800000, v14
	v_add_f32_e32 v40, -1.0, v41
	s_delay_alu instid0(VALU_DEP_3) | instskip(NEXT) | instid1(VALU_DEP_2)
	v_add_f32_e32 v42, 1.0, v39
	v_sub_f32_e32 v40, v38, v40
	s_delay_alu instid0(VALU_DEP_2) | instskip(NEXT) | instid1(VALU_DEP_2)
	v_sub_f32_e32 v38, v38, v42
	v_add_f32_e32 v40, v37, v40
	s_delay_alu instid0(VALU_DEP_2) | instskip(NEXT) | instid1(VALU_DEP_1)
	v_add_f32_e32 v37, v37, v38
	v_add_f32_e32 v43, v39, v37
	s_delay_alu instid0(VALU_DEP_1) | instskip(NEXT) | instid1(VALU_DEP_1)
	v_dual_sub_f32 v39, v39, v43 :: v_dual_add_f32 v42, v41, v40
	v_add_f32_e32 v37, v37, v39
	s_delay_alu instid0(VALU_DEP_2) | instskip(SKIP_1) | instid1(VALU_DEP_1)
	v_rcp_f32_e32 v38, v42
	v_sub_f32_e32 v41, v41, v42
	v_add_f32_e32 v40, v40, v41
	s_delay_alu instid0(TRANS32_DEP_1) | instskip(NEXT) | instid1(VALU_DEP_1)
	v_mul_f32_e32 v44, v43, v38
	v_mul_f32_e32 v45, v42, v44
	s_delay_alu instid0(VALU_DEP_1) | instskip(NEXT) | instid1(VALU_DEP_1)
	v_fma_f32 v41, v44, v42, -v45
	v_fmac_f32_e32 v41, v44, v40
	s_delay_alu instid0(VALU_DEP_1) | instskip(NEXT) | instid1(VALU_DEP_1)
	v_add_f32_e32 v46, v45, v41
	v_sub_f32_e32 v47, v43, v46
	v_sub_f32_e32 v39, v46, v45
	s_delay_alu instid0(VALU_DEP_2) | instskip(NEXT) | instid1(VALU_DEP_1)
	v_sub_f32_e32 v43, v43, v47
	v_sub_f32_e32 v43, v43, v46
	s_delay_alu instid0(VALU_DEP_3) | instskip(NEXT) | instid1(VALU_DEP_2)
	v_sub_f32_e32 v39, v39, v41
	v_add_f32_e32 v37, v37, v43
	s_delay_alu instid0(VALU_DEP_1) | instskip(NEXT) | instid1(VALU_DEP_1)
	v_add_f32_e32 v37, v39, v37
	v_add_f32_e32 v39, v47, v37
	s_delay_alu instid0(VALU_DEP_1) | instskip(NEXT) | instid1(VALU_DEP_1)
	v_mul_f32_e32 v41, v38, v39
	v_dual_sub_f32 v46, v47, v39 :: v_dual_mul_f32 v43, v42, v41
	s_delay_alu instid0(VALU_DEP_1) | instskip(NEXT) | instid1(VALU_DEP_2)
	v_add_f32_e32 v37, v37, v46
	v_fma_f32 v42, v41, v42, -v43
	s_delay_alu instid0(VALU_DEP_1) | instskip(NEXT) | instid1(VALU_DEP_1)
	v_fmac_f32_e32 v42, v41, v40
	v_add_f32_e32 v40, v43, v42
	s_delay_alu instid0(VALU_DEP_1) | instskip(NEXT) | instid1(VALU_DEP_1)
	v_sub_f32_e32 v45, v39, v40
	v_sub_f32_e32 v39, v39, v45
	s_delay_alu instid0(VALU_DEP_1) | instskip(NEXT) | instid1(VALU_DEP_1)
	v_sub_f32_e32 v39, v39, v40
	v_add_f32_e32 v37, v37, v39
	v_add_f32_e32 v39, v44, v41
	v_sub_f32_e32 v43, v40, v43
	s_delay_alu instid0(VALU_DEP_1) | instskip(NEXT) | instid1(VALU_DEP_1)
	v_sub_f32_e32 v40, v43, v42
	v_dual_add_f32 v37, v40, v37 :: v_dual_sub_f32 v40, v39, v44
	s_delay_alu instid0(VALU_DEP_1) | instskip(NEXT) | instid1(VALU_DEP_1)
	v_add_f32_e32 v37, v45, v37
	v_dual_sub_f32 v40, v41, v40 :: v_dual_mul_f32 v37, v38, v37
	s_delay_alu instid0(VALU_DEP_1) | instskip(NEXT) | instid1(VALU_DEP_1)
	v_add_f32_e32 v37, v40, v37
	v_add_f32_e32 v38, v39, v37
	s_delay_alu instid0(VALU_DEP_1) | instskip(NEXT) | instid1(VALU_DEP_1)
	v_mul_f32_e32 v40, v38, v38
	v_fmaak_f32 v41, s26, v40, 0x3ecc95a3
	v_mul_f32_e32 v42, v38, v40
	s_delay_alu instid0(VALU_DEP_2) | instskip(SKIP_1) | instid1(VALU_DEP_2)
	v_fmaak_f32 v40, v40, v41, 0x3f2aaada
	v_ldexp_f32 v41, v38, 1
	v_mul_f32_e32 v40, v42, v40
	v_mul_f32_e32 v42, 0x3f317218, v36
	s_delay_alu instid0(VALU_DEP_2) | instskip(NEXT) | instid1(VALU_DEP_1)
	v_dual_sub_f32 v38, v38, v39 :: v_dual_add_f32 v39, v41, v40
	v_dual_sub_f32 v37, v37, v38 :: v_dual_sub_f32 v38, v39, v41
	s_delay_alu instid0(VALU_DEP_3) | instskip(NEXT) | instid1(VALU_DEP_2)
	v_fma_f32 v41, 0x3f317218, v36, -v42
	v_ldexp_f32 v37, v37, 1
	s_delay_alu instid0(VALU_DEP_2) | instskip(NEXT) | instid1(VALU_DEP_1)
	v_dual_sub_f32 v38, v40, v38 :: v_dual_fmac_f32 v41, 0xb102e308, v36
	v_dual_add_f32 v36, v37, v38 :: v_dual_add_f32 v37, v42, v41
	s_delay_alu instid0(VALU_DEP_1) | instskip(NEXT) | instid1(VALU_DEP_1)
	v_add_f32_e32 v38, v39, v36
	v_add_f32_e32 v40, v37, v38
	s_delay_alu instid0(VALU_DEP_1) | instskip(NEXT) | instid1(VALU_DEP_1)
	v_sub_f32_e32 v43, v40, v37
	v_sub_f32_e32 v44, v40, v43
	;; [unrolled: 1-line block ×3, first 2 shown]
	s_delay_alu instid0(VALU_DEP_1) | instskip(SKIP_1) | instid1(VALU_DEP_1)
	v_sub_f32_e32 v36, v36, v39
	v_sub_f32_e32 v42, v37, v42
	v_dual_sub_f32 v38, v38, v43 :: v_dual_sub_f32 v41, v41, v42
	s_delay_alu instid0(VALU_DEP_1) | instskip(SKIP_1) | instid1(VALU_DEP_1)
	v_add_f32_e32 v39, v41, v36
	v_sub_f32_e32 v37, v37, v44
	v_add_f32_e32 v37, v38, v37
	s_delay_alu instid0(VALU_DEP_3) | instskip(NEXT) | instid1(VALU_DEP_1)
	v_sub_f32_e32 v38, v39, v41
	v_dual_sub_f32 v36, v36, v38 :: v_dual_add_f32 v37, v39, v37
	s_delay_alu instid0(VALU_DEP_1) | instskip(NEXT) | instid1(VALU_DEP_1)
	v_dual_sub_f32 v39, v39, v38 :: v_dual_add_f32 v42, v40, v37
	v_dual_sub_f32 v38, v42, v40 :: v_dual_sub_f32 v39, v41, v39
	s_delay_alu instid0(VALU_DEP_1) | instskip(NEXT) | instid1(VALU_DEP_1)
	v_dual_sub_f32 v37, v37, v38 :: v_dual_add_f32 v36, v36, v39
	v_add_f32_e32 v36, v36, v37
	s_delay_alu instid0(VALU_DEP_1) | instskip(SKIP_1) | instid1(VALU_DEP_1)
	v_add_f32_e32 v36, v42, v36
	s_wait_alu 0xfffd
	v_cndmask_b32_e32 v36, 0x7f800000, v36, vcc_lo
	v_cmp_gt_f32_e64 vcc_lo, 0x33800000, |v14|
	s_wait_alu 0xfffd
	s_delay_alu instid0(VALU_DEP_2) | instskip(NEXT) | instid1(VALU_DEP_1)
	v_cndmask_b32_e32 v14, v36, v14, vcc_lo
	v_add_f32_e32 v36, v8, v14
.LBB158_116:                            ;   in Loop: Header=BB158_100 Depth=1
	s_wait_alu 0xfffe
	s_or_b32 exec_lo, exec_lo, s33
	s_delay_alu instid0(VALU_DEP_1)
	v_mov_b32_e32 v8, v36
	v_mov_b32_e32 v14, v36
.LBB158_117:                            ;   in Loop: Header=BB158_100 Depth=1
	s_wait_alu 0xfffe
	s_or_b32 exec_lo, exec_lo, s27
	s_wait_dscnt 0x0
	ds_bpermute_b32 v36, v31, v8
	s_mov_b32 s27, exec_lo
	v_cmpx_le_u32_e64 v32, v13
	s_cbranch_execz .LBB158_121
; %bb.118:                              ;   in Loop: Header=BB158_100 Depth=1
	s_wait_dscnt 0x0
	v_dual_max_num_f32 v8, v14, v14 :: v_dual_max_num_f32 v37, v36, v36
	v_cmp_u_f32_e32 vcc_lo, v36, v36
	s_delay_alu instid0(VALU_DEP_2) | instskip(SKIP_2) | instid1(VALU_DEP_1)
	v_min_num_f32_e32 v38, v37, v8
	v_max_num_f32_e32 v8, v37, v8
	s_wait_alu 0xfffd
	v_cndmask_b32_e32 v8, v8, v36, vcc_lo
	s_delay_alu instid0(VALU_DEP_3) | instskip(SKIP_2) | instid1(VALU_DEP_3)
	v_cndmask_b32_e32 v37, v38, v36, vcc_lo
	v_cmp_u_f32_e32 vcc_lo, v14, v14
	s_wait_alu 0xfffd
	v_cndmask_b32_e32 v8, v8, v14, vcc_lo
	s_delay_alu instid0(VALU_DEP_3) | instskip(NEXT) | instid1(VALU_DEP_1)
	v_cndmask_b32_e32 v37, v37, v14, vcc_lo
	v_cmp_neq_f32_e32 vcc_lo, v37, v8
	v_cmp_class_f32_e64 s33, v37, 0x1f8
	s_or_b32 s34, vcc_lo, s33
	s_delay_alu instid0(SALU_CYCLE_1)
	s_and_saveexec_b32 s33, s34
	s_cbranch_execz .LBB158_120
; %bb.119:                              ;   in Loop: Header=BB158_100 Depth=1
	v_sub_f32_e32 v14, v37, v8
	s_delay_alu instid0(VALU_DEP_1) | instskip(SKIP_1) | instid1(VALU_DEP_2)
	v_mul_f32_e32 v36, 0x3fb8aa3b, v14
	v_cmp_ngt_f32_e32 vcc_lo, 0xc2ce8ed0, v14
	v_fma_f32 v37, 0x3fb8aa3b, v14, -v36
	v_rndne_f32_e32 v38, v36
	s_delay_alu instid0(VALU_DEP_2) | instskip(NEXT) | instid1(VALU_DEP_2)
	v_fmac_f32_e32 v37, 0x32a5705f, v14
	v_sub_f32_e32 v36, v36, v38
	s_delay_alu instid0(VALU_DEP_1) | instskip(SKIP_1) | instid1(VALU_DEP_2)
	v_add_f32_e32 v36, v36, v37
	v_cvt_i32_f32_e32 v37, v38
	v_exp_f32_e32 v36, v36
	s_delay_alu instid0(TRANS32_DEP_1) | instskip(SKIP_1) | instid1(VALU_DEP_1)
	v_ldexp_f32 v36, v36, v37
	s_wait_alu 0xfffd
	v_cndmask_b32_e32 v36, 0, v36, vcc_lo
	v_cmp_nlt_f32_e32 vcc_lo, 0x42b17218, v14
	s_wait_alu 0xfffd
	s_delay_alu instid0(VALU_DEP_2) | instskip(NEXT) | instid1(VALU_DEP_1)
	v_cndmask_b32_e32 v14, 0x7f800000, v36, vcc_lo
	v_add_f32_e32 v38, 1.0, v14
	s_delay_alu instid0(VALU_DEP_1) | instskip(NEXT) | instid1(VALU_DEP_1)
	v_cvt_f64_f32_e32 v[36:37], v38
	v_frexp_exp_i32_f64_e32 v36, v[36:37]
	v_frexp_mant_f32_e32 v37, v38
	s_delay_alu instid0(VALU_DEP_1) | instskip(SKIP_1) | instid1(VALU_DEP_1)
	v_cmp_gt_f32_e32 vcc_lo, 0x3f2aaaab, v37
	v_add_f32_e32 v37, -1.0, v38
	v_dual_sub_f32 v40, v37, v38 :: v_dual_sub_f32 v37, v14, v37
	s_delay_alu instid0(VALU_DEP_1) | instskip(NEXT) | instid1(VALU_DEP_1)
	v_add_f32_e32 v40, 1.0, v40
	v_add_f32_e32 v37, v37, v40
	s_wait_alu 0xfffd
	v_subrev_co_ci_u32_e64 v36, null, 0, v36, vcc_lo
	s_delay_alu instid0(VALU_DEP_1) | instskip(SKIP_1) | instid1(VALU_DEP_2)
	v_sub_nc_u32_e32 v39, 0, v36
	v_cvt_f32_i32_e32 v36, v36
	v_ldexp_f32 v38, v38, v39
	v_ldexp_f32 v37, v37, v39
	s_delay_alu instid0(VALU_DEP_2) | instskip(SKIP_2) | instid1(VALU_DEP_3)
	v_add_f32_e32 v41, 1.0, v38
	v_add_f32_e32 v39, -1.0, v38
	v_cmp_neq_f32_e32 vcc_lo, 0x7f800000, v14
	v_add_f32_e32 v40, -1.0, v41
	s_delay_alu instid0(VALU_DEP_3) | instskip(NEXT) | instid1(VALU_DEP_2)
	v_add_f32_e32 v42, 1.0, v39
	v_sub_f32_e32 v40, v38, v40
	s_delay_alu instid0(VALU_DEP_2) | instskip(NEXT) | instid1(VALU_DEP_2)
	v_sub_f32_e32 v38, v38, v42
	v_add_f32_e32 v40, v37, v40
	s_delay_alu instid0(VALU_DEP_2) | instskip(NEXT) | instid1(VALU_DEP_1)
	v_add_f32_e32 v37, v37, v38
	v_add_f32_e32 v43, v39, v37
	s_delay_alu instid0(VALU_DEP_1) | instskip(NEXT) | instid1(VALU_DEP_1)
	v_dual_sub_f32 v39, v39, v43 :: v_dual_add_f32 v42, v41, v40
	v_add_f32_e32 v37, v37, v39
	s_delay_alu instid0(VALU_DEP_2) | instskip(SKIP_1) | instid1(VALU_DEP_1)
	v_rcp_f32_e32 v38, v42
	v_sub_f32_e32 v41, v41, v42
	v_add_f32_e32 v40, v40, v41
	s_delay_alu instid0(TRANS32_DEP_1) | instskip(NEXT) | instid1(VALU_DEP_1)
	v_mul_f32_e32 v44, v43, v38
	v_mul_f32_e32 v45, v42, v44
	s_delay_alu instid0(VALU_DEP_1) | instskip(NEXT) | instid1(VALU_DEP_1)
	v_fma_f32 v41, v44, v42, -v45
	v_fmac_f32_e32 v41, v44, v40
	s_delay_alu instid0(VALU_DEP_1) | instskip(NEXT) | instid1(VALU_DEP_1)
	v_add_f32_e32 v46, v45, v41
	v_sub_f32_e32 v47, v43, v46
	v_sub_f32_e32 v39, v46, v45
	s_delay_alu instid0(VALU_DEP_2) | instskip(NEXT) | instid1(VALU_DEP_1)
	v_sub_f32_e32 v43, v43, v47
	v_sub_f32_e32 v43, v43, v46
	s_delay_alu instid0(VALU_DEP_3) | instskip(NEXT) | instid1(VALU_DEP_2)
	v_sub_f32_e32 v39, v39, v41
	v_add_f32_e32 v37, v37, v43
	s_delay_alu instid0(VALU_DEP_1) | instskip(NEXT) | instid1(VALU_DEP_1)
	v_add_f32_e32 v37, v39, v37
	v_add_f32_e32 v39, v47, v37
	s_delay_alu instid0(VALU_DEP_1) | instskip(NEXT) | instid1(VALU_DEP_1)
	v_mul_f32_e32 v41, v38, v39
	v_dual_sub_f32 v46, v47, v39 :: v_dual_mul_f32 v43, v42, v41
	s_delay_alu instid0(VALU_DEP_1) | instskip(NEXT) | instid1(VALU_DEP_2)
	v_add_f32_e32 v37, v37, v46
	v_fma_f32 v42, v41, v42, -v43
	s_delay_alu instid0(VALU_DEP_1) | instskip(NEXT) | instid1(VALU_DEP_1)
	v_fmac_f32_e32 v42, v41, v40
	v_add_f32_e32 v40, v43, v42
	s_delay_alu instid0(VALU_DEP_1) | instskip(NEXT) | instid1(VALU_DEP_1)
	v_sub_f32_e32 v45, v39, v40
	v_sub_f32_e32 v39, v39, v45
	s_delay_alu instid0(VALU_DEP_1) | instskip(NEXT) | instid1(VALU_DEP_1)
	v_sub_f32_e32 v39, v39, v40
	v_add_f32_e32 v37, v37, v39
	v_add_f32_e32 v39, v44, v41
	v_sub_f32_e32 v43, v40, v43
	s_delay_alu instid0(VALU_DEP_1) | instskip(NEXT) | instid1(VALU_DEP_1)
	v_sub_f32_e32 v40, v43, v42
	v_dual_add_f32 v37, v40, v37 :: v_dual_sub_f32 v40, v39, v44
	s_delay_alu instid0(VALU_DEP_1) | instskip(NEXT) | instid1(VALU_DEP_1)
	v_add_f32_e32 v37, v45, v37
	v_dual_sub_f32 v40, v41, v40 :: v_dual_mul_f32 v37, v38, v37
	s_delay_alu instid0(VALU_DEP_1) | instskip(NEXT) | instid1(VALU_DEP_1)
	v_add_f32_e32 v37, v40, v37
	v_add_f32_e32 v38, v39, v37
	s_delay_alu instid0(VALU_DEP_1) | instskip(NEXT) | instid1(VALU_DEP_1)
	v_mul_f32_e32 v40, v38, v38
	v_fmaak_f32 v41, s26, v40, 0x3ecc95a3
	v_mul_f32_e32 v42, v38, v40
	s_delay_alu instid0(VALU_DEP_2) | instskip(SKIP_1) | instid1(VALU_DEP_2)
	v_fmaak_f32 v40, v40, v41, 0x3f2aaada
	v_ldexp_f32 v41, v38, 1
	v_mul_f32_e32 v40, v42, v40
	v_mul_f32_e32 v42, 0x3f317218, v36
	s_delay_alu instid0(VALU_DEP_2) | instskip(NEXT) | instid1(VALU_DEP_1)
	v_dual_sub_f32 v38, v38, v39 :: v_dual_add_f32 v39, v41, v40
	v_dual_sub_f32 v37, v37, v38 :: v_dual_sub_f32 v38, v39, v41
	s_delay_alu instid0(VALU_DEP_3) | instskip(NEXT) | instid1(VALU_DEP_2)
	v_fma_f32 v41, 0x3f317218, v36, -v42
	v_ldexp_f32 v37, v37, 1
	s_delay_alu instid0(VALU_DEP_2) | instskip(NEXT) | instid1(VALU_DEP_1)
	v_dual_sub_f32 v38, v40, v38 :: v_dual_fmac_f32 v41, 0xb102e308, v36
	v_dual_add_f32 v36, v37, v38 :: v_dual_add_f32 v37, v42, v41
	s_delay_alu instid0(VALU_DEP_1) | instskip(NEXT) | instid1(VALU_DEP_1)
	v_add_f32_e32 v38, v39, v36
	v_add_f32_e32 v40, v37, v38
	s_delay_alu instid0(VALU_DEP_1) | instskip(NEXT) | instid1(VALU_DEP_1)
	v_sub_f32_e32 v43, v40, v37
	v_sub_f32_e32 v44, v40, v43
	;; [unrolled: 1-line block ×3, first 2 shown]
	s_delay_alu instid0(VALU_DEP_1) | instskip(SKIP_1) | instid1(VALU_DEP_1)
	v_sub_f32_e32 v36, v36, v39
	v_sub_f32_e32 v42, v37, v42
	v_dual_sub_f32 v38, v38, v43 :: v_dual_sub_f32 v41, v41, v42
	s_delay_alu instid0(VALU_DEP_1) | instskip(SKIP_1) | instid1(VALU_DEP_1)
	v_add_f32_e32 v39, v41, v36
	v_sub_f32_e32 v37, v37, v44
	v_add_f32_e32 v37, v38, v37
	s_delay_alu instid0(VALU_DEP_3) | instskip(NEXT) | instid1(VALU_DEP_1)
	v_sub_f32_e32 v38, v39, v41
	v_dual_sub_f32 v36, v36, v38 :: v_dual_add_f32 v37, v39, v37
	s_delay_alu instid0(VALU_DEP_1) | instskip(NEXT) | instid1(VALU_DEP_1)
	v_dual_sub_f32 v39, v39, v38 :: v_dual_add_f32 v42, v40, v37
	v_dual_sub_f32 v38, v42, v40 :: v_dual_sub_f32 v39, v41, v39
	s_delay_alu instid0(VALU_DEP_1) | instskip(NEXT) | instid1(VALU_DEP_1)
	v_dual_sub_f32 v37, v37, v38 :: v_dual_add_f32 v36, v36, v39
	v_add_f32_e32 v36, v36, v37
	s_delay_alu instid0(VALU_DEP_1) | instskip(SKIP_1) | instid1(VALU_DEP_1)
	v_add_f32_e32 v36, v42, v36
	s_wait_alu 0xfffd
	v_cndmask_b32_e32 v36, 0x7f800000, v36, vcc_lo
	v_cmp_gt_f32_e64 vcc_lo, 0x33800000, |v14|
	s_wait_alu 0xfffd
	s_delay_alu instid0(VALU_DEP_2) | instskip(NEXT) | instid1(VALU_DEP_1)
	v_cndmask_b32_e32 v14, v36, v14, vcc_lo
	v_add_f32_e32 v36, v8, v14
.LBB158_120:                            ;   in Loop: Header=BB158_100 Depth=1
	s_wait_alu 0xfffe
	s_or_b32 exec_lo, exec_lo, s33
	s_delay_alu instid0(VALU_DEP_1)
	v_mov_b32_e32 v8, v36
	v_mov_b32_e32 v14, v36
.LBB158_121:                            ;   in Loop: Header=BB158_100 Depth=1
	s_wait_alu 0xfffe
	s_or_b32 exec_lo, exec_lo, s27
	s_wait_dscnt 0x0
	ds_bpermute_b32 v36, v34, v8
	s_mov_b32 s27, exec_lo
	v_cmpx_le_u32_e64 v35, v13
	s_cbranch_execz .LBB158_125
; %bb.122:                              ;   in Loop: Header=BB158_100 Depth=1
	s_wait_dscnt 0x0
	v_dual_max_num_f32 v8, v14, v14 :: v_dual_max_num_f32 v13, v36, v36
	v_cmp_u_f32_e32 vcc_lo, v36, v36
	s_delay_alu instid0(VALU_DEP_2) | instskip(SKIP_2) | instid1(VALU_DEP_2)
	v_min_num_f32_e32 v37, v13, v8
	v_max_num_f32_e32 v8, v13, v8
	s_wait_alu 0xfffd
	v_cndmask_b32_e32 v13, v37, v36, vcc_lo
	s_delay_alu instid0(VALU_DEP_2) | instskip(SKIP_2) | instid1(VALU_DEP_3)
	v_cndmask_b32_e32 v8, v8, v36, vcc_lo
	v_cmp_u_f32_e32 vcc_lo, v14, v14
	s_wait_alu 0xfffd
	v_cndmask_b32_e32 v13, v13, v14, vcc_lo
	s_delay_alu instid0(VALU_DEP_3) | instskip(NEXT) | instid1(VALU_DEP_2)
	v_cndmask_b32_e32 v8, v8, v14, vcc_lo
	v_cmp_class_f32_e64 s33, v13, 0x1f8
	s_delay_alu instid0(VALU_DEP_2) | instskip(SKIP_1) | instid1(SALU_CYCLE_1)
	v_cmp_neq_f32_e32 vcc_lo, v13, v8
	s_or_b32 s34, vcc_lo, s33
	s_and_saveexec_b32 s33, s34
	s_cbranch_execz .LBB158_124
; %bb.123:                              ;   in Loop: Header=BB158_100 Depth=1
	v_sub_f32_e32 v13, v13, v8
	s_delay_alu instid0(VALU_DEP_1) | instskip(NEXT) | instid1(VALU_DEP_1)
	v_mul_f32_e32 v14, 0x3fb8aa3b, v13
	v_fma_f32 v36, 0x3fb8aa3b, v13, -v14
	v_rndne_f32_e32 v37, v14
	s_delay_alu instid0(VALU_DEP_1) | instskip(NEXT) | instid1(VALU_DEP_3)
	v_sub_f32_e32 v14, v14, v37
	v_fmac_f32_e32 v36, 0x32a5705f, v13
	v_cmp_ngt_f32_e32 vcc_lo, 0xc2ce8ed0, v13
	s_delay_alu instid0(VALU_DEP_2) | instskip(SKIP_1) | instid1(VALU_DEP_2)
	v_add_f32_e32 v14, v14, v36
	v_cvt_i32_f32_e32 v36, v37
	v_exp_f32_e32 v14, v14
	s_delay_alu instid0(TRANS32_DEP_1) | instskip(SKIP_1) | instid1(VALU_DEP_1)
	v_ldexp_f32 v14, v14, v36
	s_wait_alu 0xfffd
	v_cndmask_b32_e32 v14, 0, v14, vcc_lo
	v_cmp_nlt_f32_e32 vcc_lo, 0x42b17218, v13
	s_wait_alu 0xfffd
	s_delay_alu instid0(VALU_DEP_2) | instskip(NEXT) | instid1(VALU_DEP_1)
	v_cndmask_b32_e32 v36, 0x7f800000, v14, vcc_lo
	v_add_f32_e32 v37, 1.0, v36
	s_delay_alu instid0(VALU_DEP_1) | instskip(NEXT) | instid1(VALU_DEP_1)
	v_cvt_f64_f32_e32 v[13:14], v37
	v_frexp_exp_i32_f64_e32 v13, v[13:14]
	v_frexp_mant_f32_e32 v14, v37
	s_delay_alu instid0(VALU_DEP_1) | instskip(SKIP_1) | instid1(VALU_DEP_1)
	v_cmp_gt_f32_e32 vcc_lo, 0x3f2aaaab, v14
	v_add_f32_e32 v14, -1.0, v37
	v_sub_f32_e32 v39, v14, v37
	s_delay_alu instid0(VALU_DEP_1) | instskip(SKIP_3) | instid1(VALU_DEP_2)
	v_add_f32_e32 v39, 1.0, v39
	s_wait_alu 0xfffd
	v_subrev_co_ci_u32_e64 v13, null, 0, v13, vcc_lo
	v_cmp_neq_f32_e32 vcc_lo, 0x7f800000, v36
	v_sub_nc_u32_e32 v38, 0, v13
	v_cvt_f32_i32_e32 v13, v13
	s_delay_alu instid0(VALU_DEP_2) | instskip(SKIP_1) | instid1(VALU_DEP_1)
	v_ldexp_f32 v37, v37, v38
	v_sub_f32_e32 v14, v36, v14
	v_add_f32_e32 v14, v14, v39
	s_delay_alu instid0(VALU_DEP_1) | instskip(NEXT) | instid1(VALU_DEP_4)
	v_ldexp_f32 v14, v14, v38
	v_add_f32_e32 v40, 1.0, v37
	s_delay_alu instid0(VALU_DEP_1) | instskip(NEXT) | instid1(VALU_DEP_1)
	v_add_f32_e32 v39, -1.0, v40
	v_sub_f32_e32 v39, v37, v39
	s_delay_alu instid0(VALU_DEP_1) | instskip(NEXT) | instid1(VALU_DEP_1)
	v_dual_add_f32 v39, v14, v39 :: v_dual_add_f32 v38, -1.0, v37
	v_add_f32_e32 v41, 1.0, v38
	s_delay_alu instid0(VALU_DEP_1) | instskip(NEXT) | instid1(VALU_DEP_1)
	v_sub_f32_e32 v37, v37, v41
	v_dual_add_f32 v41, v40, v39 :: v_dual_add_f32 v14, v14, v37
	s_delay_alu instid0(VALU_DEP_1) | instskip(SKIP_1) | instid1(VALU_DEP_1)
	v_rcp_f32_e32 v37, v41
	v_sub_f32_e32 v40, v40, v41
	v_dual_add_f32 v39, v39, v40 :: v_dual_add_f32 v42, v38, v14
	s_delay_alu instid0(TRANS32_DEP_1) | instid1(VALU_DEP_1)
	v_mul_f32_e32 v43, v42, v37
	v_sub_f32_e32 v38, v38, v42
	s_delay_alu instid0(VALU_DEP_2) | instskip(NEXT) | instid1(VALU_DEP_1)
	v_mul_f32_e32 v44, v41, v43
	v_fma_f32 v40, v43, v41, -v44
	s_delay_alu instid0(VALU_DEP_1) | instskip(NEXT) | instid1(VALU_DEP_1)
	v_fmac_f32_e32 v40, v43, v39
	v_dual_add_f32 v45, v44, v40 :: v_dual_add_f32 v14, v14, v38
	s_delay_alu instid0(VALU_DEP_1) | instskip(SKIP_1) | instid1(VALU_DEP_2)
	v_sub_f32_e32 v46, v42, v45
	v_sub_f32_e32 v38, v45, v44
	;; [unrolled: 1-line block ×3, first 2 shown]
	s_delay_alu instid0(VALU_DEP_2) | instskip(NEXT) | instid1(VALU_DEP_2)
	v_sub_f32_e32 v38, v38, v40
	v_sub_f32_e32 v42, v42, v45
	s_delay_alu instid0(VALU_DEP_1) | instskip(NEXT) | instid1(VALU_DEP_1)
	v_add_f32_e32 v14, v14, v42
	v_add_f32_e32 v14, v38, v14
	s_delay_alu instid0(VALU_DEP_1) | instskip(NEXT) | instid1(VALU_DEP_1)
	v_add_f32_e32 v38, v46, v14
	v_mul_f32_e32 v40, v37, v38
	s_delay_alu instid0(VALU_DEP_1) | instskip(NEXT) | instid1(VALU_DEP_1)
	v_dual_sub_f32 v45, v46, v38 :: v_dual_mul_f32 v42, v41, v40
	v_add_f32_e32 v14, v14, v45
	s_delay_alu instid0(VALU_DEP_2) | instskip(NEXT) | instid1(VALU_DEP_1)
	v_fma_f32 v41, v40, v41, -v42
	v_fmac_f32_e32 v41, v40, v39
	s_delay_alu instid0(VALU_DEP_1) | instskip(NEXT) | instid1(VALU_DEP_1)
	v_add_f32_e32 v39, v42, v41
	v_sub_f32_e32 v44, v38, v39
	v_sub_f32_e32 v42, v39, v42
	s_delay_alu instid0(VALU_DEP_2) | instskip(NEXT) | instid1(VALU_DEP_1)
	v_sub_f32_e32 v38, v38, v44
	v_sub_f32_e32 v38, v38, v39
	s_delay_alu instid0(VALU_DEP_3) | instskip(NEXT) | instid1(VALU_DEP_2)
	v_sub_f32_e32 v39, v42, v41
	v_add_f32_e32 v14, v14, v38
	v_add_f32_e32 v38, v43, v40
	s_delay_alu instid0(VALU_DEP_1) | instskip(NEXT) | instid1(VALU_DEP_1)
	v_dual_add_f32 v14, v39, v14 :: v_dual_sub_f32 v39, v38, v43
	v_add_f32_e32 v14, v44, v14
	s_delay_alu instid0(VALU_DEP_1) | instskip(NEXT) | instid1(VALU_DEP_1)
	v_dual_sub_f32 v39, v40, v39 :: v_dual_mul_f32 v14, v37, v14
	v_add_f32_e32 v14, v39, v14
	s_delay_alu instid0(VALU_DEP_1) | instskip(NEXT) | instid1(VALU_DEP_1)
	v_add_f32_e32 v37, v38, v14
	v_mul_f32_e32 v39, v37, v37
	s_delay_alu instid0(VALU_DEP_1) | instskip(SKIP_1) | instid1(VALU_DEP_2)
	v_fmaak_f32 v40, s26, v39, 0x3ecc95a3
	v_mul_f32_e32 v41, v37, v39
	v_fmaak_f32 v39, v39, v40, 0x3f2aaada
	v_ldexp_f32 v40, v37, 1
	v_sub_f32_e32 v37, v37, v38
	s_delay_alu instid0(VALU_DEP_3) | instskip(SKIP_1) | instid1(VALU_DEP_3)
	v_mul_f32_e32 v39, v41, v39
	v_mul_f32_e32 v41, 0x3f317218, v13
	v_sub_f32_e32 v14, v14, v37
	s_delay_alu instid0(VALU_DEP_3) | instskip(NEXT) | instid1(VALU_DEP_2)
	v_add_f32_e32 v38, v40, v39
	v_ldexp_f32 v14, v14, 1
	s_delay_alu instid0(VALU_DEP_2) | instskip(SKIP_1) | instid1(VALU_DEP_2)
	v_sub_f32_e32 v37, v38, v40
	v_fma_f32 v40, 0x3f317218, v13, -v41
	v_sub_f32_e32 v37, v39, v37
	s_delay_alu instid0(VALU_DEP_2) | instskip(NEXT) | instid1(VALU_DEP_1)
	v_fmac_f32_e32 v40, 0xb102e308, v13
	v_dual_add_f32 v13, v14, v37 :: v_dual_add_f32 v14, v41, v40
	s_delay_alu instid0(VALU_DEP_1) | instskip(NEXT) | instid1(VALU_DEP_2)
	v_sub_f32_e32 v41, v14, v41
	v_add_f32_e32 v37, v38, v13
	s_delay_alu instid0(VALU_DEP_2) | instskip(NEXT) | instid1(VALU_DEP_2)
	v_sub_f32_e32 v40, v40, v41
	v_dual_add_f32 v39, v14, v37 :: v_dual_sub_f32 v38, v37, v38
	s_delay_alu instid0(VALU_DEP_1) | instskip(NEXT) | instid1(VALU_DEP_2)
	v_sub_f32_e32 v42, v39, v14
	v_sub_f32_e32 v13, v13, v38
	s_delay_alu instid0(VALU_DEP_2) | instskip(NEXT) | instid1(VALU_DEP_2)
	v_sub_f32_e32 v43, v39, v42
	v_dual_sub_f32 v37, v37, v42 :: v_dual_add_f32 v38, v40, v13
	s_delay_alu instid0(VALU_DEP_2) | instskip(NEXT) | instid1(VALU_DEP_1)
	v_sub_f32_e32 v14, v14, v43
	v_dual_add_f32 v14, v37, v14 :: v_dual_sub_f32 v37, v38, v40
	s_delay_alu instid0(VALU_DEP_1) | instskip(NEXT) | instid1(VALU_DEP_2)
	v_add_f32_e32 v14, v38, v14
	v_sub_f32_e32 v38, v38, v37
	v_sub_f32_e32 v13, v13, v37
	s_delay_alu instid0(VALU_DEP_3) | instskip(NEXT) | instid1(VALU_DEP_1)
	v_add_f32_e32 v41, v39, v14
	v_dual_sub_f32 v38, v40, v38 :: v_dual_sub_f32 v37, v41, v39
	s_delay_alu instid0(VALU_DEP_1) | instskip(NEXT) | instid1(VALU_DEP_1)
	v_dual_add_f32 v13, v13, v38 :: v_dual_sub_f32 v14, v14, v37
	v_add_f32_e32 v13, v13, v14
	s_delay_alu instid0(VALU_DEP_1) | instskip(SKIP_1) | instid1(VALU_DEP_1)
	v_add_f32_e32 v13, v41, v13
	s_wait_alu 0xfffd
	v_cndmask_b32_e32 v13, 0x7f800000, v13, vcc_lo
	v_cmp_gt_f32_e64 vcc_lo, 0x33800000, |v36|
	s_wait_alu 0xfffd
	s_delay_alu instid0(VALU_DEP_2) | instskip(NEXT) | instid1(VALU_DEP_1)
	v_cndmask_b32_e32 v13, v13, v36, vcc_lo
	v_add_f32_e32 v36, v8, v13
.LBB158_124:                            ;   in Loop: Header=BB158_100 Depth=1
	s_wait_alu 0xfffe
	s_or_b32 exec_lo, exec_lo, s33
	s_delay_alu instid0(VALU_DEP_1)
	v_mov_b32_e32 v14, v36
.LBB158_125:                            ;   in Loop: Header=BB158_100 Depth=1
	s_wait_alu 0xfffe
	s_or_b32 exec_lo, exec_lo, s27
	s_delay_alu instid0(VALU_DEP_1) | instskip(SKIP_2) | instid1(VALU_DEP_2)
	v_dual_max_num_f32 v8, v33, v33 :: v_dual_max_num_f32 v13, v14, v14
	v_cmp_u_f32_e32 vcc_lo, v14, v14
	s_wait_dscnt 0x0
	v_min_num_f32_e32 v36, v13, v8
	s_wait_alu 0xfffd
	s_delay_alu instid0(VALU_DEP_1) | instskip(NEXT) | instid1(VALU_DEP_1)
	v_dual_max_num_f32 v8, v13, v8 :: v_dual_cndmask_b32 v13, v36, v14
	v_cndmask_b32_e32 v8, v8, v14, vcc_lo
	v_cmp_u_f32_e32 vcc_lo, v33, v33
	s_wait_alu 0xfffd
	s_delay_alu instid0(VALU_DEP_3) | instskip(NEXT) | instid1(VALU_DEP_3)
	v_cndmask_b32_e32 v13, v13, v33, vcc_lo
	v_cndmask_b32_e32 v8, v8, v33, vcc_lo
	s_delay_alu instid0(VALU_DEP_2) | instskip(NEXT) | instid1(VALU_DEP_2)
	v_cmp_class_f32_e64 s27, v13, 0x1f8
	v_cmp_neq_f32_e32 vcc_lo, v13, v8
	s_or_b32 s27, vcc_lo, s27
	s_wait_alu 0xfffe
	s_and_saveexec_b32 s33, s27
	s_wait_alu 0xfffe
	s_xor_b32 s27, exec_lo, s33
	s_cbranch_execz .LBB158_98
; %bb.126:                              ;   in Loop: Header=BB158_100 Depth=1
	v_sub_f32_e32 v13, v13, v8
	s_delay_alu instid0(VALU_DEP_1) | instskip(NEXT) | instid1(VALU_DEP_1)
	v_mul_f32_e32 v14, 0x3fb8aa3b, v13
	v_fma_f32 v36, 0x3fb8aa3b, v13, -v14
	v_rndne_f32_e32 v37, v14
	s_delay_alu instid0(VALU_DEP_1) | instskip(NEXT) | instid1(VALU_DEP_3)
	v_sub_f32_e32 v14, v14, v37
	v_fmac_f32_e32 v36, 0x32a5705f, v13
	v_cmp_ngt_f32_e32 vcc_lo, 0xc2ce8ed0, v13
	s_delay_alu instid0(VALU_DEP_2) | instskip(SKIP_1) | instid1(VALU_DEP_2)
	v_add_f32_e32 v14, v14, v36
	v_cvt_i32_f32_e32 v36, v37
	v_exp_f32_e32 v14, v14
	s_delay_alu instid0(TRANS32_DEP_1) | instskip(SKIP_1) | instid1(VALU_DEP_1)
	v_ldexp_f32 v14, v14, v36
	s_wait_alu 0xfffd
	v_cndmask_b32_e32 v14, 0, v14, vcc_lo
	v_cmp_nlt_f32_e32 vcc_lo, 0x42b17218, v13
	s_wait_alu 0xfffd
	s_delay_alu instid0(VALU_DEP_2) | instskip(NEXT) | instid1(VALU_DEP_1)
	v_cndmask_b32_e32 v36, 0x7f800000, v14, vcc_lo
	v_add_f32_e32 v37, 1.0, v36
	s_delay_alu instid0(VALU_DEP_1) | instskip(NEXT) | instid1(VALU_DEP_1)
	v_cvt_f64_f32_e32 v[13:14], v37
	v_frexp_exp_i32_f64_e32 v13, v[13:14]
	v_frexp_mant_f32_e32 v14, v37
	s_delay_alu instid0(VALU_DEP_1) | instskip(SKIP_1) | instid1(VALU_DEP_1)
	v_cmp_gt_f32_e32 vcc_lo, 0x3f2aaaab, v14
	v_add_f32_e32 v14, -1.0, v37
	v_sub_f32_e32 v39, v14, v37
	s_delay_alu instid0(VALU_DEP_1) | instskip(SKIP_3) | instid1(VALU_DEP_2)
	v_add_f32_e32 v39, 1.0, v39
	s_wait_alu 0xfffd
	v_subrev_co_ci_u32_e64 v13, null, 0, v13, vcc_lo
	v_cmp_neq_f32_e32 vcc_lo, 0x7f800000, v36
	v_sub_nc_u32_e32 v38, 0, v13
	v_cvt_f32_i32_e32 v13, v13
	s_delay_alu instid0(VALU_DEP_2) | instskip(SKIP_1) | instid1(VALU_DEP_1)
	v_ldexp_f32 v37, v37, v38
	v_sub_f32_e32 v14, v36, v14
	v_add_f32_e32 v14, v14, v39
	s_delay_alu instid0(VALU_DEP_1) | instskip(NEXT) | instid1(VALU_DEP_4)
	v_ldexp_f32 v14, v14, v38
	v_add_f32_e32 v40, 1.0, v37
	s_delay_alu instid0(VALU_DEP_1) | instskip(NEXT) | instid1(VALU_DEP_1)
	v_add_f32_e32 v39, -1.0, v40
	v_sub_f32_e32 v39, v37, v39
	s_delay_alu instid0(VALU_DEP_1) | instskip(NEXT) | instid1(VALU_DEP_1)
	v_dual_add_f32 v39, v14, v39 :: v_dual_add_f32 v38, -1.0, v37
	v_add_f32_e32 v41, 1.0, v38
	s_delay_alu instid0(VALU_DEP_1) | instskip(NEXT) | instid1(VALU_DEP_1)
	v_sub_f32_e32 v37, v37, v41
	v_dual_add_f32 v41, v40, v39 :: v_dual_add_f32 v14, v14, v37
	s_delay_alu instid0(VALU_DEP_1) | instskip(SKIP_1) | instid1(VALU_DEP_1)
	v_rcp_f32_e32 v37, v41
	v_sub_f32_e32 v40, v40, v41
	v_dual_add_f32 v39, v39, v40 :: v_dual_add_f32 v42, v38, v14
	s_delay_alu instid0(TRANS32_DEP_1) | instid1(VALU_DEP_1)
	v_mul_f32_e32 v43, v42, v37
	v_sub_f32_e32 v38, v38, v42
	s_delay_alu instid0(VALU_DEP_2) | instskip(NEXT) | instid1(VALU_DEP_1)
	v_mul_f32_e32 v44, v41, v43
	v_fma_f32 v40, v43, v41, -v44
	s_delay_alu instid0(VALU_DEP_1) | instskip(NEXT) | instid1(VALU_DEP_1)
	v_fmac_f32_e32 v40, v43, v39
	v_dual_add_f32 v45, v44, v40 :: v_dual_add_f32 v14, v14, v38
	s_delay_alu instid0(VALU_DEP_1) | instskip(SKIP_1) | instid1(VALU_DEP_2)
	v_sub_f32_e32 v46, v42, v45
	v_sub_f32_e32 v38, v45, v44
	;; [unrolled: 1-line block ×3, first 2 shown]
	s_delay_alu instid0(VALU_DEP_2) | instskip(NEXT) | instid1(VALU_DEP_2)
	v_sub_f32_e32 v38, v38, v40
	v_sub_f32_e32 v42, v42, v45
	s_delay_alu instid0(VALU_DEP_1) | instskip(NEXT) | instid1(VALU_DEP_1)
	v_add_f32_e32 v14, v14, v42
	v_add_f32_e32 v14, v38, v14
	s_delay_alu instid0(VALU_DEP_1) | instskip(NEXT) | instid1(VALU_DEP_1)
	v_add_f32_e32 v38, v46, v14
	v_mul_f32_e32 v40, v37, v38
	s_delay_alu instid0(VALU_DEP_1) | instskip(NEXT) | instid1(VALU_DEP_1)
	v_dual_sub_f32 v45, v46, v38 :: v_dual_mul_f32 v42, v41, v40
	v_add_f32_e32 v14, v14, v45
	s_delay_alu instid0(VALU_DEP_2) | instskip(NEXT) | instid1(VALU_DEP_1)
	v_fma_f32 v41, v40, v41, -v42
	v_fmac_f32_e32 v41, v40, v39
	s_delay_alu instid0(VALU_DEP_1) | instskip(NEXT) | instid1(VALU_DEP_1)
	v_add_f32_e32 v39, v42, v41
	v_sub_f32_e32 v44, v38, v39
	v_sub_f32_e32 v42, v39, v42
	s_delay_alu instid0(VALU_DEP_2) | instskip(NEXT) | instid1(VALU_DEP_1)
	v_sub_f32_e32 v38, v38, v44
	v_sub_f32_e32 v38, v38, v39
	s_delay_alu instid0(VALU_DEP_3) | instskip(NEXT) | instid1(VALU_DEP_2)
	v_sub_f32_e32 v39, v42, v41
	v_add_f32_e32 v14, v14, v38
	v_add_f32_e32 v38, v43, v40
	s_delay_alu instid0(VALU_DEP_1) | instskip(NEXT) | instid1(VALU_DEP_1)
	v_dual_add_f32 v14, v39, v14 :: v_dual_sub_f32 v39, v38, v43
	v_add_f32_e32 v14, v44, v14
	s_delay_alu instid0(VALU_DEP_1) | instskip(NEXT) | instid1(VALU_DEP_1)
	v_dual_sub_f32 v39, v40, v39 :: v_dual_mul_f32 v14, v37, v14
	v_add_f32_e32 v14, v39, v14
	s_delay_alu instid0(VALU_DEP_1) | instskip(NEXT) | instid1(VALU_DEP_1)
	v_add_f32_e32 v37, v38, v14
	v_mul_f32_e32 v39, v37, v37
	s_delay_alu instid0(VALU_DEP_1) | instskip(SKIP_1) | instid1(VALU_DEP_2)
	v_fmaak_f32 v40, s26, v39, 0x3ecc95a3
	v_mul_f32_e32 v41, v37, v39
	v_fmaak_f32 v39, v39, v40, 0x3f2aaada
	v_ldexp_f32 v40, v37, 1
	v_sub_f32_e32 v37, v37, v38
	s_delay_alu instid0(VALU_DEP_3) | instskip(SKIP_1) | instid1(VALU_DEP_3)
	v_mul_f32_e32 v39, v41, v39
	v_mul_f32_e32 v41, 0x3f317218, v13
	v_sub_f32_e32 v14, v14, v37
	s_delay_alu instid0(VALU_DEP_3) | instskip(NEXT) | instid1(VALU_DEP_2)
	v_add_f32_e32 v38, v40, v39
	v_ldexp_f32 v14, v14, 1
	s_delay_alu instid0(VALU_DEP_2) | instskip(SKIP_1) | instid1(VALU_DEP_2)
	v_sub_f32_e32 v37, v38, v40
	v_fma_f32 v40, 0x3f317218, v13, -v41
	v_sub_f32_e32 v37, v39, v37
	s_delay_alu instid0(VALU_DEP_2) | instskip(NEXT) | instid1(VALU_DEP_1)
	v_fmac_f32_e32 v40, 0xb102e308, v13
	v_dual_add_f32 v13, v14, v37 :: v_dual_add_f32 v14, v41, v40
	s_delay_alu instid0(VALU_DEP_1) | instskip(NEXT) | instid1(VALU_DEP_2)
	v_sub_f32_e32 v41, v14, v41
	v_add_f32_e32 v37, v38, v13
	s_delay_alu instid0(VALU_DEP_2) | instskip(NEXT) | instid1(VALU_DEP_2)
	v_sub_f32_e32 v40, v40, v41
	v_dual_add_f32 v39, v14, v37 :: v_dual_sub_f32 v38, v37, v38
	s_delay_alu instid0(VALU_DEP_1) | instskip(NEXT) | instid1(VALU_DEP_2)
	v_sub_f32_e32 v42, v39, v14
	v_sub_f32_e32 v13, v13, v38
	s_delay_alu instid0(VALU_DEP_2) | instskip(NEXT) | instid1(VALU_DEP_2)
	v_sub_f32_e32 v43, v39, v42
	v_dual_sub_f32 v37, v37, v42 :: v_dual_add_f32 v38, v40, v13
	s_delay_alu instid0(VALU_DEP_2) | instskip(NEXT) | instid1(VALU_DEP_1)
	v_sub_f32_e32 v14, v14, v43
	v_dual_add_f32 v14, v37, v14 :: v_dual_sub_f32 v37, v38, v40
	s_delay_alu instid0(VALU_DEP_1) | instskip(NEXT) | instid1(VALU_DEP_2)
	v_add_f32_e32 v14, v38, v14
	v_sub_f32_e32 v38, v38, v37
	v_sub_f32_e32 v13, v13, v37
	s_delay_alu instid0(VALU_DEP_3) | instskip(NEXT) | instid1(VALU_DEP_1)
	v_add_f32_e32 v41, v39, v14
	v_dual_sub_f32 v38, v40, v38 :: v_dual_sub_f32 v37, v41, v39
	s_delay_alu instid0(VALU_DEP_1) | instskip(NEXT) | instid1(VALU_DEP_1)
	v_dual_add_f32 v13, v13, v38 :: v_dual_sub_f32 v14, v14, v37
	v_add_f32_e32 v13, v13, v14
	s_delay_alu instid0(VALU_DEP_1) | instskip(SKIP_1) | instid1(VALU_DEP_1)
	v_add_f32_e32 v13, v41, v13
	s_wait_alu 0xfffd
	v_cndmask_b32_e32 v13, 0x7f800000, v13, vcc_lo
	v_cmp_gt_f32_e64 vcc_lo, 0x33800000, |v36|
	s_wait_alu 0xfffd
	s_delay_alu instid0(VALU_DEP_2) | instskip(NEXT) | instid1(VALU_DEP_1)
	v_cndmask_b32_e32 v13, v13, v36, vcc_lo
	v_add_f32_e32 v14, v8, v13
	s_branch .LBB158_98
.LBB158_127:
                                        ; implicit-def: $vgpr5_vgpr6_vgpr7_vgpr8_vgpr9_vgpr10
	s_cbranch_execnz .LBB158_151
	s_branch .LBB158_222
.LBB158_128:
	s_and_saveexec_b32 s26, s9
	s_cbranch_execz .LBB158_132
; %bb.129:
	v_max_num_f32_e32 v6, v5, v5
	v_max_num_f32_e32 v7, v33, v33
	v_cmp_u_f32_e32 vcc_lo, v33, v33
	s_delay_alu instid0(VALU_DEP_2) | instskip(SKIP_1) | instid1(VALU_DEP_1)
	v_min_num_f32_e32 v8, v7, v6
	s_wait_alu 0xfffd
	v_dual_max_num_f32 v6, v7, v6 :: v_dual_cndmask_b32 v7, v8, v33
	s_delay_alu instid0(VALU_DEP_1) | instskip(SKIP_2) | instid1(VALU_DEP_3)
	v_cndmask_b32_e32 v6, v6, v33, vcc_lo
	v_cmp_u_f32_e32 vcc_lo, v5, v5
	s_wait_alu 0xfffd
	v_cndmask_b32_e32 v7, v7, v5, vcc_lo
	s_delay_alu instid0(VALU_DEP_3) | instskip(NEXT) | instid1(VALU_DEP_2)
	v_dual_cndmask_b32 v6, v6, v5 :: v_dual_mov_b32 v5, v33
	v_cmp_class_f32_e64 s27, v7, 0x1f8
	s_delay_alu instid0(VALU_DEP_2)
	v_cmp_neq_f32_e32 vcc_lo, v7, v6
	s_or_b32 s33, vcc_lo, s27
	s_wait_alu 0xfffe
	s_and_saveexec_b32 s27, s33
	s_cbranch_execz .LBB158_131
; %bb.130:
	v_sub_f32_e32 v5, v7, v6
	s_mov_b32 s33, 0x3e9b6dac
	s_delay_alu instid0(VALU_DEP_1) | instskip(SKIP_1) | instid1(VALU_DEP_2)
	v_mul_f32_e32 v7, 0x3fb8aa3b, v5
	v_cmp_ngt_f32_e32 vcc_lo, 0xc2ce8ed0, v5
	v_fma_f32 v8, 0x3fb8aa3b, v5, -v7
	v_rndne_f32_e32 v9, v7
	s_delay_alu instid0(VALU_DEP_1) | instskip(NEXT) | instid1(VALU_DEP_1)
	v_dual_fmamk_f32 v8, v5, 0x32a5705f, v8 :: v_dual_sub_f32 v7, v7, v9
	v_add_f32_e32 v7, v7, v8
	v_cvt_i32_f32_e32 v8, v9
	s_delay_alu instid0(VALU_DEP_2) | instskip(NEXT) | instid1(TRANS32_DEP_1)
	v_exp_f32_e32 v7, v7
	v_ldexp_f32 v7, v7, v8
	s_wait_alu 0xfffd
	s_delay_alu instid0(VALU_DEP_1) | instskip(SKIP_2) | instid1(VALU_DEP_2)
	v_cndmask_b32_e32 v7, 0, v7, vcc_lo
	v_cmp_nlt_f32_e32 vcc_lo, 0x42b17218, v5
	s_wait_alu 0xfffd
	v_cndmask_b32_e32 v5, 0x7f800000, v7, vcc_lo
	s_delay_alu instid0(VALU_DEP_1) | instskip(NEXT) | instid1(VALU_DEP_1)
	v_add_f32_e32 v9, 1.0, v5
	v_cvt_f64_f32_e32 v[7:8], v9
	s_delay_alu instid0(VALU_DEP_1) | instskip(SKIP_1) | instid1(VALU_DEP_1)
	v_frexp_exp_i32_f64_e32 v7, v[7:8]
	v_frexp_mant_f32_e32 v8, v9
	v_cmp_gt_f32_e32 vcc_lo, 0x3f2aaaab, v8
	v_add_f32_e32 v8, -1.0, v9
	s_delay_alu instid0(VALU_DEP_1) | instskip(NEXT) | instid1(VALU_DEP_1)
	v_sub_f32_e32 v14, v8, v9
	v_add_f32_e32 v14, 1.0, v14
	s_wait_alu 0xfffd
	v_subrev_co_ci_u32_e64 v7, null, 0, v7, vcc_lo
	s_delay_alu instid0(VALU_DEP_1) | instskip(SKIP_1) | instid1(VALU_DEP_2)
	v_sub_nc_u32_e32 v13, 0, v7
	v_cvt_f32_i32_e32 v7, v7
	v_ldexp_f32 v9, v9, v13
	s_delay_alu instid0(VALU_DEP_1) | instskip(SKIP_2) | instid1(VALU_DEP_2)
	v_add_f32_e32 v22, 1.0, v9
	v_sub_f32_e32 v8, v5, v8
	v_cmp_neq_f32_e32 vcc_lo, 0x7f800000, v5
	v_add_f32_e32 v8, v8, v14
	s_delay_alu instid0(VALU_DEP_4) | instskip(NEXT) | instid1(VALU_DEP_2)
	v_add_f32_e32 v14, -1.0, v22
	v_ldexp_f32 v8, v8, v13
	s_delay_alu instid0(VALU_DEP_2) | instskip(NEXT) | instid1(VALU_DEP_1)
	v_dual_add_f32 v13, -1.0, v9 :: v_dual_sub_f32 v14, v9, v14
	v_dual_add_f32 v25, 1.0, v13 :: v_dual_add_f32 v14, v8, v14
	s_delay_alu instid0(VALU_DEP_1) | instskip(NEXT) | instid1(VALU_DEP_1)
	v_sub_f32_e32 v9, v9, v25
	v_dual_add_f32 v25, v22, v14 :: v_dual_add_f32 v8, v8, v9
	s_delay_alu instid0(VALU_DEP_1) | instskip(NEXT) | instid1(VALU_DEP_1)
	v_rcp_f32_e32 v9, v25
	v_add_f32_e32 v26, v13, v8
	v_sub_f32_e32 v22, v22, v25
	s_delay_alu instid0(TRANS32_DEP_1) | instid1(VALU_DEP_2)
	v_mul_f32_e32 v27, v26, v9
	s_delay_alu instid0(VALU_DEP_1) | instskip(NEXT) | instid1(VALU_DEP_3)
	v_mul_f32_e32 v28, v25, v27
	v_add_f32_e32 v14, v14, v22
	s_delay_alu instid0(VALU_DEP_2) | instskip(NEXT) | instid1(VALU_DEP_1)
	v_fma_f32 v22, v27, v25, -v28
	v_fmac_f32_e32 v22, v27, v14
	s_delay_alu instid0(VALU_DEP_1) | instskip(SKIP_1) | instid1(VALU_DEP_1)
	v_add_f32_e32 v29, v28, v22
	v_sub_f32_e32 v13, v13, v26
	v_dual_add_f32 v8, v8, v13 :: v_dual_sub_f32 v13, v29, v28
	s_delay_alu instid0(VALU_DEP_1) | instskip(NEXT) | instid1(VALU_DEP_1)
	v_dual_sub_f32 v30, v26, v29 :: v_dual_sub_f32 v13, v13, v22
	v_sub_f32_e32 v26, v26, v30
	s_delay_alu instid0(VALU_DEP_1) | instskip(NEXT) | instid1(VALU_DEP_1)
	v_sub_f32_e32 v26, v26, v29
	v_add_f32_e32 v8, v8, v26
	s_delay_alu instid0(VALU_DEP_1) | instskip(NEXT) | instid1(VALU_DEP_1)
	v_add_f32_e32 v8, v13, v8
	v_add_f32_e32 v13, v30, v8
	s_delay_alu instid0(VALU_DEP_1) | instskip(NEXT) | instid1(VALU_DEP_1)
	v_mul_f32_e32 v22, v9, v13
	v_dual_sub_f32 v29, v30, v13 :: v_dual_mul_f32 v26, v25, v22
	s_delay_alu instid0(VALU_DEP_1) | instskip(NEXT) | instid1(VALU_DEP_2)
	v_add_f32_e32 v8, v8, v29
	v_fma_f32 v25, v22, v25, -v26
	s_delay_alu instid0(VALU_DEP_1) | instskip(NEXT) | instid1(VALU_DEP_1)
	v_fmac_f32_e32 v25, v22, v14
	v_add_f32_e32 v14, v26, v25
	s_delay_alu instid0(VALU_DEP_1) | instskip(NEXT) | instid1(VALU_DEP_1)
	v_sub_f32_e32 v28, v13, v14
	v_sub_f32_e32 v13, v13, v28
	s_delay_alu instid0(VALU_DEP_1) | instskip(NEXT) | instid1(VALU_DEP_1)
	v_sub_f32_e32 v13, v13, v14
	v_dual_add_f32 v8, v8, v13 :: v_dual_add_f32 v13, v27, v22
	v_sub_f32_e32 v26, v14, v26
	s_delay_alu instid0(VALU_DEP_1) | instskip(NEXT) | instid1(VALU_DEP_1)
	v_sub_f32_e32 v14, v26, v25
	v_add_f32_e32 v8, v14, v8
	s_delay_alu instid0(VALU_DEP_4) | instskip(NEXT) | instid1(VALU_DEP_2)
	v_sub_f32_e32 v14, v13, v27
	v_add_f32_e32 v8, v28, v8
	s_delay_alu instid0(VALU_DEP_2) | instskip(NEXT) | instid1(VALU_DEP_2)
	v_sub_f32_e32 v14, v22, v14
	v_mul_f32_e32 v8, v9, v8
	s_delay_alu instid0(VALU_DEP_1) | instskip(NEXT) | instid1(VALU_DEP_1)
	v_add_f32_e32 v8, v14, v8
	v_add_f32_e32 v9, v13, v8
	s_delay_alu instid0(VALU_DEP_1) | instskip(SKIP_1) | instid1(VALU_DEP_1)
	v_mul_f32_e32 v14, v9, v9
	s_wait_alu 0xfffe
	v_fmaak_f32 v22, s33, v14, 0x3ecc95a3
	v_mul_f32_e32 v25, v9, v14
	s_delay_alu instid0(VALU_DEP_2) | instskip(SKIP_2) | instid1(VALU_DEP_3)
	v_fmaak_f32 v14, v14, v22, 0x3f2aaada
	v_ldexp_f32 v22, v9, 1
	v_sub_f32_e32 v9, v9, v13
	v_dual_mul_f32 v14, v25, v14 :: v_dual_mul_f32 v25, 0x3f317218, v7
	s_delay_alu instid0(VALU_DEP_1) | instskip(NEXT) | instid1(VALU_DEP_1)
	v_dual_sub_f32 v8, v8, v9 :: v_dual_add_f32 v13, v22, v14
	v_ldexp_f32 v8, v8, 1
	s_delay_alu instid0(VALU_DEP_2) | instskip(NEXT) | instid1(VALU_DEP_4)
	v_sub_f32_e32 v9, v13, v22
	v_fma_f32 v22, 0x3f317218, v7, -v25
	s_delay_alu instid0(VALU_DEP_2) | instskip(NEXT) | instid1(VALU_DEP_1)
	v_sub_f32_e32 v9, v14, v9
	v_dual_fmamk_f32 v7, v7, 0xb102e308, v22 :: v_dual_add_f32 v8, v8, v9
	s_delay_alu instid0(VALU_DEP_1) | instskip(NEXT) | instid1(VALU_DEP_2)
	v_add_f32_e32 v9, v25, v7
	v_add_f32_e32 v14, v13, v8
	s_delay_alu instid0(VALU_DEP_2) | instskip(NEXT) | instid1(VALU_DEP_1)
	v_sub_f32_e32 v25, v9, v25
	v_dual_add_f32 v22, v9, v14 :: v_dual_sub_f32 v7, v7, v25
	v_sub_f32_e32 v13, v14, v13
	s_delay_alu instid0(VALU_DEP_2) | instskip(NEXT) | instid1(VALU_DEP_1)
	v_sub_f32_e32 v26, v22, v9
	v_dual_sub_f32 v8, v8, v13 :: v_dual_sub_f32 v27, v22, v26
	s_delay_alu instid0(VALU_DEP_1) | instskip(NEXT) | instid1(VALU_DEP_2)
	v_dual_sub_f32 v13, v14, v26 :: v_dual_add_f32 v14, v7, v8
	v_sub_f32_e32 v9, v9, v27
	s_delay_alu instid0(VALU_DEP_1) | instskip(NEXT) | instid1(VALU_DEP_3)
	v_add_f32_e32 v9, v13, v9
	v_sub_f32_e32 v13, v14, v7
	s_delay_alu instid0(VALU_DEP_2) | instskip(NEXT) | instid1(VALU_DEP_2)
	v_add_f32_e32 v9, v14, v9
	v_sub_f32_e32 v14, v14, v13
	v_sub_f32_e32 v8, v8, v13
	s_delay_alu instid0(VALU_DEP_3) | instskip(NEXT) | instid1(VALU_DEP_3)
	v_add_f32_e32 v25, v22, v9
	v_sub_f32_e32 v7, v7, v14
	s_delay_alu instid0(VALU_DEP_2) | instskip(NEXT) | instid1(VALU_DEP_1)
	v_sub_f32_e32 v13, v25, v22
	v_dual_add_f32 v7, v8, v7 :: v_dual_sub_f32 v8, v9, v13
	s_delay_alu instid0(VALU_DEP_1) | instskip(NEXT) | instid1(VALU_DEP_1)
	v_add_f32_e32 v7, v7, v8
	v_add_f32_e32 v7, v25, v7
	s_wait_alu 0xfffd
	s_delay_alu instid0(VALU_DEP_1) | instskip(SKIP_2) | instid1(VALU_DEP_2)
	v_cndmask_b32_e32 v7, 0x7f800000, v7, vcc_lo
	v_cmp_gt_f32_e64 vcc_lo, 0x33800000, |v5|
	s_wait_alu 0xfffd
	v_cndmask_b32_e32 v5, v7, v5, vcc_lo
	s_delay_alu instid0(VALU_DEP_1)
	v_add_f32_e32 v5, v6, v5
.LBB158_131:
	s_wait_alu 0xfffe
	s_or_b32 exec_lo, exec_lo, s27
	s_add_co_i32 s34, s11, 32
	s_mov_b32 s35, 0
	v_dual_mov_b32 v7, 0 :: v_dual_mov_b32 v6, 2
	s_lshl_b64 s[34:35], s[34:35], 3
	s_delay_alu instid0(SALU_CYCLE_1)
	s_add_nc_u64 s[34:35], s[28:29], s[34:35]
	global_store_b64 v7, v[5:6], s[34:35] scope:SCOPE_DEV
.LBB158_132:
	s_wait_alu 0xfffe
	s_or_b32 exec_lo, exec_lo, s26
	s_delay_alu instid0(SALU_CYCLE_1)
	s_and_b32 exec_lo, exec_lo, s3
; %bb.133:
	v_mov_b32_e32 v5, 0
	ds_store_b32 v5, v33 offset:28
.LBB158_134:
	s_wait_alu 0xfffe
	s_or_b32 exec_lo, exec_lo, s10
	v_mov_b32_e32 v5, 0
	s_wait_storecnt 0x0
	s_wait_loadcnt_dscnt 0x0
	s_barrier_signal -1
	s_barrier_wait -1
	global_inv scope:SCOPE_SE
	ds_load_b32 v5, v5 offset:28
	v_mov_b32_e32 v7, v1
	s_and_saveexec_b32 s10, s2
	s_cbranch_execz .LBB158_138
; %bb.135:
	v_cndmask_b32_e64 v7, v24, v23, s9
	s_delay_alu instid0(VALU_DEP_1) | instskip(SKIP_1) | instid1(VALU_DEP_2)
	v_max_num_f32_e32 v6, v7, v7
	v_cmp_u_f32_e32 vcc_lo, v7, v7
	v_min_num_f32_e32 v8, v6, v21
	v_max_num_f32_e32 v6, v6, v21
	s_wait_alu 0xfffd
	s_delay_alu instid0(VALU_DEP_2) | instskip(NEXT) | instid1(VALU_DEP_2)
	v_cndmask_b32_e32 v8, v8, v7, vcc_lo
	v_cndmask_b32_e32 v6, v6, v7, vcc_lo
	s_delay_alu instid0(VALU_DEP_2) | instskip(NEXT) | instid1(VALU_DEP_2)
	v_cndmask_b32_e64 v8, v8, v1, s8
	v_cndmask_b32_e64 v6, v6, v1, s8
	s_delay_alu instid0(VALU_DEP_2) | instskip(NEXT) | instid1(VALU_DEP_2)
	v_cmp_class_f32_e64 s8, v8, 0x1f8
	v_cmp_neq_f32_e32 vcc_lo, v8, v6
	s_or_b32 s9, vcc_lo, s8
	s_wait_alu 0xfffe
	s_and_saveexec_b32 s8, s9
	s_cbranch_execz .LBB158_137
; %bb.136:
	v_sub_f32_e32 v7, v8, v6
	s_mov_b32 s9, 0x3e9b6dac
	s_delay_alu instid0(VALU_DEP_1) | instskip(SKIP_1) | instid1(VALU_DEP_2)
	v_mul_f32_e32 v8, 0x3fb8aa3b, v7
	v_cmp_ngt_f32_e32 vcc_lo, 0xc2ce8ed0, v7
	v_fma_f32 v9, 0x3fb8aa3b, v7, -v8
	v_rndne_f32_e32 v13, v8
	s_delay_alu instid0(VALU_DEP_1) | instskip(NEXT) | instid1(VALU_DEP_1)
	v_dual_fmamk_f32 v9, v7, 0x32a5705f, v9 :: v_dual_sub_f32 v8, v8, v13
	v_add_f32_e32 v8, v8, v9
	v_cvt_i32_f32_e32 v9, v13
	s_delay_alu instid0(VALU_DEP_2) | instskip(NEXT) | instid1(TRANS32_DEP_1)
	v_exp_f32_e32 v8, v8
	v_ldexp_f32 v8, v8, v9
	s_wait_alu 0xfffd
	s_delay_alu instid0(VALU_DEP_1) | instskip(SKIP_2) | instid1(VALU_DEP_2)
	v_cndmask_b32_e32 v8, 0, v8, vcc_lo
	v_cmp_nlt_f32_e32 vcc_lo, 0x42b17218, v7
	s_wait_alu 0xfffd
	v_cndmask_b32_e32 v9, 0x7f800000, v8, vcc_lo
	s_delay_alu instid0(VALU_DEP_1) | instskip(NEXT) | instid1(VALU_DEP_1)
	v_add_f32_e32 v13, 1.0, v9
	v_cvt_f64_f32_e32 v[7:8], v13
	s_delay_alu instid0(VALU_DEP_1) | instskip(SKIP_1) | instid1(VALU_DEP_1)
	v_frexp_exp_i32_f64_e32 v7, v[7:8]
	v_frexp_mant_f32_e32 v8, v13
	v_cmp_gt_f32_e32 vcc_lo, 0x3f2aaaab, v8
	v_add_f32_e32 v8, -1.0, v13
	s_delay_alu instid0(VALU_DEP_1) | instskip(NEXT) | instid1(VALU_DEP_1)
	v_dual_sub_f32 v21, v8, v13 :: v_dual_sub_f32 v8, v9, v8
	v_add_f32_e32 v21, 1.0, v21
	s_wait_alu 0xfffd
	v_subrev_co_ci_u32_e64 v7, null, 0, v7, vcc_lo
	v_cmp_neq_f32_e32 vcc_lo, 0x7f800000, v9
	s_delay_alu instid0(VALU_DEP_2) | instskip(SKIP_1) | instid1(VALU_DEP_2)
	v_sub_nc_u32_e32 v14, 0, v7
	v_cvt_f32_i32_e32 v7, v7
	v_ldexp_f32 v13, v13, v14
	v_add_f32_e32 v8, v8, v21
	s_delay_alu instid0(VALU_DEP_1) | instskip(NEXT) | instid1(VALU_DEP_3)
	v_ldexp_f32 v8, v8, v14
	v_add_f32_e32 v14, -1.0, v13
	s_delay_alu instid0(VALU_DEP_1) | instskip(NEXT) | instid1(VALU_DEP_1)
	v_dual_add_f32 v22, 1.0, v13 :: v_dual_add_f32 v23, 1.0, v14
	v_add_f32_e32 v21, -1.0, v22
	s_delay_alu instid0(VALU_DEP_1) | instskip(NEXT) | instid1(VALU_DEP_3)
	v_sub_f32_e32 v21, v13, v21
	v_sub_f32_e32 v13, v13, v23
	s_delay_alu instid0(VALU_DEP_2) | instskip(NEXT) | instid1(VALU_DEP_2)
	v_add_f32_e32 v21, v8, v21
	v_add_f32_e32 v8, v8, v13
	s_delay_alu instid0(VALU_DEP_2) | instskip(NEXT) | instid1(VALU_DEP_1)
	v_add_f32_e32 v23, v22, v21
	v_rcp_f32_e32 v13, v23
	v_sub_f32_e32 v22, v22, v23
	s_delay_alu instid0(VALU_DEP_1)
	v_dual_add_f32 v21, v21, v22 :: v_dual_add_f32 v24, v14, v8
	s_delay_alu instid0(TRANS32_DEP_1) | instid1(VALU_DEP_1)
	v_dual_mul_f32 v25, v24, v13 :: v_dual_sub_f32 v14, v14, v24
	s_delay_alu instid0(VALU_DEP_1) | instskip(NEXT) | instid1(VALU_DEP_1)
	v_mul_f32_e32 v26, v23, v25
	v_fma_f32 v22, v25, v23, -v26
	s_delay_alu instid0(VALU_DEP_1) | instskip(NEXT) | instid1(VALU_DEP_1)
	v_fmac_f32_e32 v22, v25, v21
	v_add_f32_e32 v27, v26, v22
	v_add_f32_e32 v8, v8, v14
	s_delay_alu instid0(VALU_DEP_2) | instskip(SKIP_1) | instid1(VALU_DEP_2)
	v_sub_f32_e32 v28, v24, v27
	v_sub_f32_e32 v14, v27, v26
	;; [unrolled: 1-line block ×3, first 2 shown]
	s_delay_alu instid0(VALU_DEP_2) | instskip(NEXT) | instid1(VALU_DEP_2)
	v_sub_f32_e32 v14, v14, v22
	v_sub_f32_e32 v24, v24, v27
	s_delay_alu instid0(VALU_DEP_1) | instskip(NEXT) | instid1(VALU_DEP_1)
	v_add_f32_e32 v8, v8, v24
	v_add_f32_e32 v8, v14, v8
	s_delay_alu instid0(VALU_DEP_1) | instskip(NEXT) | instid1(VALU_DEP_1)
	v_add_f32_e32 v14, v28, v8
	v_mul_f32_e32 v22, v13, v14
	v_sub_f32_e32 v27, v28, v14
	s_delay_alu instid0(VALU_DEP_2) | instskip(NEXT) | instid1(VALU_DEP_2)
	v_mul_f32_e32 v24, v23, v22
	v_add_f32_e32 v8, v8, v27
	s_delay_alu instid0(VALU_DEP_2) | instskip(NEXT) | instid1(VALU_DEP_1)
	v_fma_f32 v23, v22, v23, -v24
	v_fmac_f32_e32 v23, v22, v21
	s_delay_alu instid0(VALU_DEP_1) | instskip(NEXT) | instid1(VALU_DEP_1)
	v_add_f32_e32 v21, v24, v23
	v_sub_f32_e32 v26, v14, v21
	v_sub_f32_e32 v24, v21, v24
	s_delay_alu instid0(VALU_DEP_2) | instskip(NEXT) | instid1(VALU_DEP_1)
	v_sub_f32_e32 v14, v14, v26
	v_dual_sub_f32 v14, v14, v21 :: v_dual_sub_f32 v21, v24, v23
	s_delay_alu instid0(VALU_DEP_1) | instskip(SKIP_1) | instid1(VALU_DEP_1)
	v_add_f32_e32 v8, v8, v14
	v_add_f32_e32 v14, v25, v22
	v_dual_add_f32 v8, v21, v8 :: v_dual_sub_f32 v21, v14, v25
	s_delay_alu instid0(VALU_DEP_1) | instskip(NEXT) | instid1(VALU_DEP_1)
	v_add_f32_e32 v8, v26, v8
	v_dual_sub_f32 v21, v22, v21 :: v_dual_mul_f32 v8, v13, v8
	s_delay_alu instid0(VALU_DEP_1) | instskip(NEXT) | instid1(VALU_DEP_1)
	v_add_f32_e32 v8, v21, v8
	v_add_f32_e32 v13, v14, v8
	s_delay_alu instid0(VALU_DEP_1) | instskip(SKIP_1) | instid1(VALU_DEP_1)
	v_mul_f32_e32 v21, v13, v13
	s_wait_alu 0xfffe
	v_fmaak_f32 v22, s9, v21, 0x3ecc95a3
	v_mul_f32_e32 v23, v13, v21
	s_delay_alu instid0(VALU_DEP_2) | instskip(SKIP_2) | instid1(VALU_DEP_3)
	v_fmaak_f32 v21, v21, v22, 0x3f2aaada
	v_ldexp_f32 v22, v13, 1
	v_sub_f32_e32 v13, v13, v14
	v_mul_f32_e32 v21, v23, v21
	s_delay_alu instid0(VALU_DEP_2) | instskip(NEXT) | instid1(VALU_DEP_2)
	v_dual_mul_f32 v23, 0x3f317218, v7 :: v_dual_sub_f32 v8, v8, v13
	v_add_f32_e32 v14, v22, v21
	s_delay_alu instid0(VALU_DEP_2) | instskip(NEXT) | instid1(VALU_DEP_2)
	v_ldexp_f32 v8, v8, 1
	v_sub_f32_e32 v13, v14, v22
	s_delay_alu instid0(VALU_DEP_4) | instskip(NEXT) | instid1(VALU_DEP_2)
	v_fma_f32 v22, 0x3f317218, v7, -v23
	v_sub_f32_e32 v13, v21, v13
	s_delay_alu instid0(VALU_DEP_1) | instskip(NEXT) | instid1(VALU_DEP_1)
	v_dual_fmamk_f32 v7, v7, 0xb102e308, v22 :: v_dual_add_f32 v8, v8, v13
	v_add_f32_e32 v13, v23, v7
	s_delay_alu instid0(VALU_DEP_2) | instskip(NEXT) | instid1(VALU_DEP_2)
	v_add_f32_e32 v21, v14, v8
	v_sub_f32_e32 v23, v13, v23
	s_delay_alu instid0(VALU_DEP_1) | instskip(SKIP_1) | instid1(VALU_DEP_2)
	v_dual_add_f32 v22, v13, v21 :: v_dual_sub_f32 v7, v7, v23
	v_sub_f32_e32 v14, v21, v14
	v_sub_f32_e32 v24, v22, v13
	s_delay_alu instid0(VALU_DEP_1) | instskip(SKIP_1) | instid1(VALU_DEP_2)
	v_dual_sub_f32 v25, v22, v24 :: v_dual_sub_f32 v8, v8, v14
	v_sub_f32_e32 v14, v21, v24
	v_sub_f32_e32 v13, v13, v25
	s_delay_alu instid0(VALU_DEP_3) | instskip(NEXT) | instid1(VALU_DEP_1)
	v_add_f32_e32 v21, v7, v8
	v_dual_add_f32 v13, v14, v13 :: v_dual_sub_f32 v14, v21, v7
	s_delay_alu instid0(VALU_DEP_1) | instskip(SKIP_1) | instid1(VALU_DEP_1)
	v_dual_add_f32 v13, v21, v13 :: v_dual_sub_f32 v8, v8, v14
	v_sub_f32_e32 v21, v21, v14
	v_sub_f32_e32 v7, v7, v21
	s_delay_alu instid0(VALU_DEP_1) | instskip(NEXT) | instid1(VALU_DEP_4)
	v_add_f32_e32 v7, v8, v7
	v_add_f32_e32 v23, v22, v13
	s_delay_alu instid0(VALU_DEP_1) | instskip(NEXT) | instid1(VALU_DEP_1)
	v_sub_f32_e32 v14, v23, v22
	v_sub_f32_e32 v8, v13, v14
	s_delay_alu instid0(VALU_DEP_1) | instskip(NEXT) | instid1(VALU_DEP_1)
	v_add_f32_e32 v7, v7, v8
	v_add_f32_e32 v7, v23, v7
	s_wait_alu 0xfffd
	s_delay_alu instid0(VALU_DEP_1) | instskip(SKIP_2) | instid1(VALU_DEP_2)
	v_cndmask_b32_e32 v7, 0x7f800000, v7, vcc_lo
	v_cmp_gt_f32_e64 vcc_lo, 0x33800000, |v9|
	s_wait_alu 0xfffd
	v_cndmask_b32_e32 v7, v7, v9, vcc_lo
	s_delay_alu instid0(VALU_DEP_1)
	v_add_f32_e32 v7, v6, v7
.LBB158_137:
	s_wait_alu 0xfffe
	s_or_b32 exec_lo, exec_lo, s8
.LBB158_138:
	s_wait_alu 0xfffe
	s_or_b32 exec_lo, exec_lo, s10
	v_max_num_f32_e32 v6, v7, v7
	s_wait_dscnt 0x0
	v_max_num_f32_e32 v8, v5, v5
	v_cmp_u_f32_e32 vcc_lo, v5, v5
	s_delay_alu instid0(VALU_DEP_2) | instskip(SKIP_2) | instid1(VALU_DEP_1)
	v_min_num_f32_e32 v9, v8, v6
	v_max_num_f32_e32 v6, v8, v6
	s_wait_alu 0xfffd
	v_cndmask_b32_e32 v6, v6, v5, vcc_lo
	s_delay_alu instid0(VALU_DEP_3) | instskip(SKIP_2) | instid1(VALU_DEP_2)
	v_cndmask_b32_e32 v8, v9, v5, vcc_lo
	v_cmp_u_f32_e32 vcc_lo, v7, v7
	s_wait_alu 0xfffd
	v_cndmask_b32_e32 v8, v8, v7, vcc_lo
	v_cndmask_b32_e32 v6, v6, v7, vcc_lo
	s_delay_alu instid0(VALU_DEP_2) | instskip(NEXT) | instid1(VALU_DEP_2)
	v_cmp_class_f32_e64 s8, v8, 0x1f8
	v_cmp_neq_f32_e32 vcc_lo, v8, v6
	s_or_b32 s9, vcc_lo, s8
	s_wait_alu 0xfffe
	s_and_saveexec_b32 s8, s9
	s_cbranch_execz .LBB158_140
; %bb.139:
	v_sub_f32_e32 v5, v8, v6
	s_mov_b32 s9, 0x3e9b6dac
	s_delay_alu instid0(VALU_DEP_1) | instskip(SKIP_1) | instid1(VALU_DEP_2)
	v_mul_f32_e32 v7, 0x3fb8aa3b, v5
	v_cmp_ngt_f32_e32 vcc_lo, 0xc2ce8ed0, v5
	v_fma_f32 v8, 0x3fb8aa3b, v5, -v7
	v_rndne_f32_e32 v9, v7
	s_delay_alu instid0(VALU_DEP_1) | instskip(NEXT) | instid1(VALU_DEP_1)
	v_dual_fmamk_f32 v8, v5, 0x32a5705f, v8 :: v_dual_sub_f32 v7, v7, v9
	v_add_f32_e32 v7, v7, v8
	v_cvt_i32_f32_e32 v8, v9
	s_delay_alu instid0(VALU_DEP_2) | instskip(NEXT) | instid1(TRANS32_DEP_1)
	v_exp_f32_e32 v7, v7
	v_ldexp_f32 v7, v7, v8
	s_wait_alu 0xfffd
	s_delay_alu instid0(VALU_DEP_1) | instskip(SKIP_2) | instid1(VALU_DEP_2)
	v_cndmask_b32_e32 v7, 0, v7, vcc_lo
	v_cmp_nlt_f32_e32 vcc_lo, 0x42b17218, v5
	s_wait_alu 0xfffd
	v_cndmask_b32_e32 v5, 0x7f800000, v7, vcc_lo
	s_delay_alu instid0(VALU_DEP_1) | instskip(NEXT) | instid1(VALU_DEP_1)
	v_add_f32_e32 v9, 1.0, v5
	v_cvt_f64_f32_e32 v[7:8], v9
	s_delay_alu instid0(VALU_DEP_1) | instskip(SKIP_1) | instid1(VALU_DEP_1)
	v_frexp_exp_i32_f64_e32 v7, v[7:8]
	v_frexp_mant_f32_e32 v8, v9
	v_cmp_gt_f32_e32 vcc_lo, 0x3f2aaaab, v8
	v_add_f32_e32 v8, -1.0, v9
	s_delay_alu instid0(VALU_DEP_1) | instskip(SKIP_1) | instid1(VALU_DEP_2)
	v_sub_f32_e32 v14, v8, v9
	v_sub_f32_e32 v8, v5, v8
	v_add_f32_e32 v14, 1.0, v14
	s_delay_alu instid0(VALU_DEP_1) | instskip(SKIP_3) | instid1(VALU_DEP_2)
	v_add_f32_e32 v8, v8, v14
	s_wait_alu 0xfffd
	v_subrev_co_ci_u32_e64 v7, null, 0, v7, vcc_lo
	v_cmp_neq_f32_e32 vcc_lo, 0x7f800000, v5
	v_sub_nc_u32_e32 v13, 0, v7
	v_cvt_f32_i32_e32 v7, v7
	s_delay_alu instid0(VALU_DEP_2) | instskip(SKIP_1) | instid1(VALU_DEP_2)
	v_ldexp_f32 v9, v9, v13
	v_ldexp_f32 v8, v8, v13
	v_add_f32_e32 v21, 1.0, v9
	v_add_f32_e32 v13, -1.0, v9
	s_delay_alu instid0(VALU_DEP_1) | instskip(NEXT) | instid1(VALU_DEP_3)
	v_add_f32_e32 v22, 1.0, v13
	v_add_f32_e32 v14, -1.0, v21
	s_delay_alu instid0(VALU_DEP_1) | instskip(NEXT) | instid1(VALU_DEP_3)
	v_sub_f32_e32 v14, v9, v14
	v_sub_f32_e32 v9, v9, v22
	s_delay_alu instid0(VALU_DEP_2) | instskip(NEXT) | instid1(VALU_DEP_1)
	v_add_f32_e32 v14, v8, v14
	v_add_f32_e32 v22, v21, v14
	s_delay_alu instid0(VALU_DEP_1) | instskip(SKIP_1) | instid1(VALU_DEP_1)
	v_dual_add_f32 v8, v8, v9 :: v_dual_sub_f32 v21, v21, v22
	v_rcp_f32_e32 v9, v22
	v_dual_add_f32 v23, v13, v8 :: v_dual_add_f32 v14, v14, v21
	s_delay_alu instid0(TRANS32_DEP_1) | instid1(VALU_DEP_1)
	v_dual_sub_f32 v13, v13, v23 :: v_dual_mul_f32 v24, v23, v9
	s_delay_alu instid0(VALU_DEP_1) | instskip(NEXT) | instid1(VALU_DEP_1)
	v_dual_add_f32 v8, v8, v13 :: v_dual_mul_f32 v25, v22, v24
	v_fma_f32 v21, v24, v22, -v25
	s_delay_alu instid0(VALU_DEP_1) | instskip(NEXT) | instid1(VALU_DEP_1)
	v_fmac_f32_e32 v21, v24, v14
	v_add_f32_e32 v26, v25, v21
	s_delay_alu instid0(VALU_DEP_1) | instskip(NEXT) | instid1(VALU_DEP_1)
	v_sub_f32_e32 v27, v23, v26
	v_sub_f32_e32 v23, v23, v27
	s_delay_alu instid0(VALU_DEP_1) | instskip(NEXT) | instid1(VALU_DEP_1)
	v_sub_f32_e32 v23, v23, v26
	v_dual_sub_f32 v13, v26, v25 :: v_dual_add_f32 v8, v8, v23
	s_delay_alu instid0(VALU_DEP_1) | instskip(NEXT) | instid1(VALU_DEP_1)
	v_sub_f32_e32 v13, v13, v21
	v_add_f32_e32 v8, v13, v8
	s_delay_alu instid0(VALU_DEP_1) | instskip(NEXT) | instid1(VALU_DEP_1)
	v_add_f32_e32 v13, v27, v8
	v_mul_f32_e32 v21, v9, v13
	s_delay_alu instid0(VALU_DEP_1) | instskip(NEXT) | instid1(VALU_DEP_1)
	v_mul_f32_e32 v23, v22, v21
	v_fma_f32 v22, v21, v22, -v23
	s_delay_alu instid0(VALU_DEP_1) | instskip(SKIP_1) | instid1(VALU_DEP_2)
	v_fmac_f32_e32 v22, v21, v14
	v_sub_f32_e32 v26, v27, v13
	v_add_f32_e32 v14, v23, v22
	s_delay_alu instid0(VALU_DEP_2) | instskip(NEXT) | instid1(VALU_DEP_2)
	v_add_f32_e32 v8, v8, v26
	v_sub_f32_e32 v25, v13, v14
	v_sub_f32_e32 v23, v14, v23
	s_delay_alu instid0(VALU_DEP_2) | instskip(NEXT) | instid1(VALU_DEP_1)
	v_sub_f32_e32 v13, v13, v25
	v_sub_f32_e32 v13, v13, v14
	s_delay_alu instid0(VALU_DEP_3) | instskip(NEXT) | instid1(VALU_DEP_2)
	v_sub_f32_e32 v14, v23, v22
	v_add_f32_e32 v8, v8, v13
	s_delay_alu instid0(VALU_DEP_1) | instskip(NEXT) | instid1(VALU_DEP_1)
	v_dual_add_f32 v13, v24, v21 :: v_dual_add_f32 v8, v14, v8
	v_sub_f32_e32 v14, v13, v24
	s_delay_alu instid0(VALU_DEP_2) | instskip(NEXT) | instid1(VALU_DEP_2)
	v_add_f32_e32 v8, v25, v8
	v_sub_f32_e32 v14, v21, v14
	s_delay_alu instid0(VALU_DEP_2) | instskip(NEXT) | instid1(VALU_DEP_1)
	v_mul_f32_e32 v8, v9, v8
	v_add_f32_e32 v8, v14, v8
	s_delay_alu instid0(VALU_DEP_1) | instskip(NEXT) | instid1(VALU_DEP_1)
	v_add_f32_e32 v9, v13, v8
	v_mul_f32_e32 v14, v9, v9
	s_wait_alu 0xfffe
	s_delay_alu instid0(VALU_DEP_1) | instskip(SKIP_1) | instid1(VALU_DEP_2)
	v_fmaak_f32 v21, s9, v14, 0x3ecc95a3
	v_mul_f32_e32 v22, v9, v14
	v_fmaak_f32 v14, v14, v21, 0x3f2aaada
	v_ldexp_f32 v21, v9, 1
	s_delay_alu instid0(VALU_DEP_2) | instskip(SKIP_1) | instid1(VALU_DEP_2)
	v_dual_sub_f32 v9, v9, v13 :: v_dual_mul_f32 v14, v22, v14
	v_mul_f32_e32 v22, 0x3f317218, v7
	v_dual_sub_f32 v8, v8, v9 :: v_dual_add_f32 v13, v21, v14
	s_delay_alu instid0(VALU_DEP_1) | instskip(NEXT) | instid1(VALU_DEP_2)
	v_ldexp_f32 v8, v8, 1
	v_sub_f32_e32 v9, v13, v21
	s_delay_alu instid0(VALU_DEP_4) | instskip(NEXT) | instid1(VALU_DEP_2)
	v_fma_f32 v21, 0x3f317218, v7, -v22
	v_sub_f32_e32 v9, v14, v9
	s_delay_alu instid0(VALU_DEP_1) | instskip(NEXT) | instid1(VALU_DEP_1)
	v_dual_fmamk_f32 v7, v7, 0xb102e308, v21 :: v_dual_add_f32 v8, v8, v9
	v_add_f32_e32 v9, v22, v7
	s_delay_alu instid0(VALU_DEP_1) | instskip(NEXT) | instid1(VALU_DEP_1)
	v_sub_f32_e32 v22, v9, v22
	v_dual_add_f32 v14, v13, v8 :: v_dual_sub_f32 v7, v7, v22
	s_delay_alu instid0(VALU_DEP_1) | instskip(SKIP_1) | instid1(VALU_DEP_1)
	v_add_f32_e32 v21, v9, v14
	v_sub_f32_e32 v13, v14, v13
	v_sub_f32_e32 v8, v8, v13
	s_delay_alu instid0(VALU_DEP_3) | instskip(NEXT) | instid1(VALU_DEP_1)
	v_sub_f32_e32 v23, v21, v9
	v_dual_sub_f32 v13, v14, v23 :: v_dual_add_f32 v14, v7, v8
	v_sub_f32_e32 v24, v21, v23
	s_delay_alu instid0(VALU_DEP_1) | instskip(NEXT) | instid1(VALU_DEP_1)
	v_sub_f32_e32 v9, v9, v24
	v_add_f32_e32 v9, v13, v9
	s_delay_alu instid0(VALU_DEP_4) | instskip(NEXT) | instid1(VALU_DEP_2)
	v_sub_f32_e32 v13, v14, v7
	v_add_f32_e32 v9, v14, v9
	s_delay_alu instid0(VALU_DEP_1) | instskip(NEXT) | instid1(VALU_DEP_3)
	v_add_f32_e32 v22, v21, v9
	v_sub_f32_e32 v8, v8, v13
	v_sub_f32_e32 v14, v14, v13
	s_delay_alu instid0(VALU_DEP_3) | instskip(NEXT) | instid1(VALU_DEP_2)
	v_sub_f32_e32 v13, v22, v21
	v_sub_f32_e32 v7, v7, v14
	s_delay_alu instid0(VALU_DEP_1) | instskip(NEXT) | instid1(VALU_DEP_1)
	v_dual_add_f32 v7, v8, v7 :: v_dual_sub_f32 v8, v9, v13
	v_add_f32_e32 v7, v7, v8
	s_delay_alu instid0(VALU_DEP_1) | instskip(SKIP_1) | instid1(VALU_DEP_1)
	v_add_f32_e32 v7, v22, v7
	s_wait_alu 0xfffd
	v_cndmask_b32_e32 v7, 0x7f800000, v7, vcc_lo
	v_cmp_gt_f32_e64 vcc_lo, 0x33800000, |v5|
	s_wait_alu 0xfffd
	s_delay_alu instid0(VALU_DEP_2) | instskip(NEXT) | instid1(VALU_DEP_1)
	v_cndmask_b32_e32 v5, v7, v5, vcc_lo
	v_add_f32_e32 v5, v6, v5
.LBB158_140:
	s_wait_alu 0xfffe
	s_or_b32 exec_lo, exec_lo, s8
	s_delay_alu instid0(VALU_DEP_1) | instskip(SKIP_1) | instid1(VALU_DEP_2)
	v_max_num_f32_e32 v6, v5, v5
	v_cmp_u_f32_e32 vcc_lo, v5, v5
	v_min_num_f32_e32 v7, v6, v17
	v_max_num_f32_e32 v6, v6, v17
	s_wait_alu 0xfffd
	s_delay_alu instid0(VALU_DEP_2) | instskip(NEXT) | instid1(VALU_DEP_2)
	v_cndmask_b32_e32 v7, v7, v5, vcc_lo
	v_cndmask_b32_e32 v6, v6, v5, vcc_lo
	s_delay_alu instid0(VALU_DEP_2) | instskip(NEXT) | instid1(VALU_DEP_2)
	v_cndmask_b32_e64 v8, v7, v2, s1
	v_cndmask_b32_e64 v7, v6, v2, s1
	v_mov_b32_e32 v6, v5
	s_delay_alu instid0(VALU_DEP_3) | instskip(NEXT) | instid1(VALU_DEP_3)
	v_cmp_class_f32_e64 s1, v8, 0x1f8
	v_cmp_neq_f32_e32 vcc_lo, v8, v7
	s_or_b32 s8, vcc_lo, s1
	s_wait_alu 0xfffe
	s_and_saveexec_b32 s1, s8
	s_cbranch_execz .LBB158_142
; %bb.141:
	v_sub_f32_e32 v6, v8, v7
	s_mov_b32 s8, 0x3e9b6dac
	s_delay_alu instid0(VALU_DEP_1) | instskip(SKIP_1) | instid1(VALU_DEP_2)
	v_mul_f32_e32 v8, 0x3fb8aa3b, v6
	v_cmp_ngt_f32_e32 vcc_lo, 0xc2ce8ed0, v6
	v_fma_f32 v9, 0x3fb8aa3b, v6, -v8
	v_rndne_f32_e32 v13, v8
	s_delay_alu instid0(VALU_DEP_1) | instskip(NEXT) | instid1(VALU_DEP_1)
	v_dual_fmamk_f32 v9, v6, 0x32a5705f, v9 :: v_dual_sub_f32 v8, v8, v13
	v_add_f32_e32 v8, v8, v9
	v_cvt_i32_f32_e32 v9, v13
	s_delay_alu instid0(VALU_DEP_2) | instskip(NEXT) | instid1(TRANS32_DEP_1)
	v_exp_f32_e32 v8, v8
	v_ldexp_f32 v8, v8, v9
	s_wait_alu 0xfffd
	s_delay_alu instid0(VALU_DEP_1) | instskip(SKIP_2) | instid1(VALU_DEP_2)
	v_cndmask_b32_e32 v8, 0, v8, vcc_lo
	v_cmp_nlt_f32_e32 vcc_lo, 0x42b17218, v6
	s_wait_alu 0xfffd
	v_cndmask_b32_e32 v6, 0x7f800000, v8, vcc_lo
	s_delay_alu instid0(VALU_DEP_1) | instskip(NEXT) | instid1(VALU_DEP_1)
	v_add_f32_e32 v13, 1.0, v6
	v_cvt_f64_f32_e32 v[8:9], v13
	s_delay_alu instid0(VALU_DEP_1) | instskip(SKIP_1) | instid1(VALU_DEP_1)
	v_frexp_exp_i32_f64_e32 v8, v[8:9]
	v_frexp_mant_f32_e32 v9, v13
	v_cmp_gt_f32_e32 vcc_lo, 0x3f2aaaab, v9
	v_add_f32_e32 v9, -1.0, v13
	s_delay_alu instid0(VALU_DEP_1) | instskip(NEXT) | instid1(VALU_DEP_1)
	v_sub_f32_e32 v21, v9, v13
	v_add_f32_e32 v21, 1.0, v21
	v_sub_f32_e32 v9, v6, v9
	s_delay_alu instid0(VALU_DEP_1) | instskip(SKIP_3) | instid1(VALU_DEP_2)
	v_add_f32_e32 v9, v9, v21
	s_wait_alu 0xfffd
	v_subrev_co_ci_u32_e64 v8, null, 0, v8, vcc_lo
	v_cmp_neq_f32_e32 vcc_lo, 0x7f800000, v6
	v_sub_nc_u32_e32 v14, 0, v8
	v_cvt_f32_i32_e32 v8, v8
	s_delay_alu instid0(VALU_DEP_2) | instskip(SKIP_1) | instid1(VALU_DEP_2)
	v_ldexp_f32 v13, v13, v14
	v_ldexp_f32 v9, v9, v14
	v_add_f32_e32 v14, -1.0, v13
	s_delay_alu instid0(VALU_DEP_1) | instskip(NEXT) | instid1(VALU_DEP_1)
	v_dual_add_f32 v22, 1.0, v13 :: v_dual_add_f32 v23, 1.0, v14
	v_add_f32_e32 v21, -1.0, v22
	s_delay_alu instid0(VALU_DEP_1) | instskip(NEXT) | instid1(VALU_DEP_3)
	v_sub_f32_e32 v21, v13, v21
	v_sub_f32_e32 v13, v13, v23
	s_delay_alu instid0(VALU_DEP_2) | instskip(NEXT) | instid1(VALU_DEP_2)
	v_add_f32_e32 v21, v9, v21
	v_add_f32_e32 v9, v9, v13
	s_delay_alu instid0(VALU_DEP_1) | instskip(NEXT) | instid1(VALU_DEP_1)
	v_add_f32_e32 v24, v14, v9
	v_sub_f32_e32 v14, v14, v24
	s_delay_alu instid0(VALU_DEP_4) | instskip(NEXT) | instid1(VALU_DEP_1)
	v_add_f32_e32 v23, v22, v21
	v_rcp_f32_e32 v13, v23
	v_sub_f32_e32 v22, v22, v23
	s_delay_alu instid0(VALU_DEP_1) | instskip(NEXT) | instid1(TRANS32_DEP_1)
	v_add_f32_e32 v21, v21, v22
	v_mul_f32_e32 v25, v24, v13
	s_delay_alu instid0(VALU_DEP_1) | instskip(NEXT) | instid1(VALU_DEP_1)
	v_mul_f32_e32 v26, v23, v25
	v_fma_f32 v22, v25, v23, -v26
	s_delay_alu instid0(VALU_DEP_1) | instskip(NEXT) | instid1(VALU_DEP_1)
	v_fmac_f32_e32 v22, v25, v21
	v_add_f32_e32 v27, v26, v22
	s_delay_alu instid0(VALU_DEP_1) | instskip(NEXT) | instid1(VALU_DEP_1)
	v_sub_f32_e32 v28, v24, v27
	v_dual_sub_f32 v24, v24, v28 :: v_dual_add_f32 v9, v9, v14
	v_sub_f32_e32 v14, v27, v26
	s_delay_alu instid0(VALU_DEP_2) | instskip(NEXT) | instid1(VALU_DEP_1)
	v_sub_f32_e32 v24, v24, v27
	v_dual_sub_f32 v14, v14, v22 :: v_dual_add_f32 v9, v9, v24
	s_delay_alu instid0(VALU_DEP_1) | instskip(NEXT) | instid1(VALU_DEP_1)
	v_add_f32_e32 v9, v14, v9
	v_add_f32_e32 v14, v28, v9
	s_delay_alu instid0(VALU_DEP_1) | instskip(SKIP_1) | instid1(VALU_DEP_1)
	v_mul_f32_e32 v22, v13, v14
	v_sub_f32_e32 v27, v28, v14
	v_dual_mul_f32 v24, v23, v22 :: v_dual_add_f32 v9, v9, v27
	s_delay_alu instid0(VALU_DEP_1) | instskip(NEXT) | instid1(VALU_DEP_1)
	v_fma_f32 v23, v22, v23, -v24
	v_fmac_f32_e32 v23, v22, v21
	s_delay_alu instid0(VALU_DEP_1) | instskip(NEXT) | instid1(VALU_DEP_1)
	v_add_f32_e32 v21, v24, v23
	v_sub_f32_e32 v26, v14, v21
	v_sub_f32_e32 v24, v21, v24
	s_delay_alu instid0(VALU_DEP_2) | instskip(NEXT) | instid1(VALU_DEP_1)
	v_sub_f32_e32 v14, v14, v26
	v_dual_sub_f32 v14, v14, v21 :: v_dual_sub_f32 v21, v24, v23
	s_delay_alu instid0(VALU_DEP_1) | instskip(NEXT) | instid1(VALU_DEP_1)
	v_add_f32_e32 v9, v9, v14
	v_add_f32_e32 v9, v21, v9
	s_delay_alu instid0(VALU_DEP_1) | instskip(NEXT) | instid1(VALU_DEP_1)
	v_dual_add_f32 v14, v25, v22 :: v_dual_add_f32 v9, v26, v9
	v_sub_f32_e32 v21, v14, v25
	s_delay_alu instid0(VALU_DEP_2) | instskip(NEXT) | instid1(VALU_DEP_2)
	v_mul_f32_e32 v9, v13, v9
	v_sub_f32_e32 v21, v22, v21
	s_delay_alu instid0(VALU_DEP_1) | instskip(NEXT) | instid1(VALU_DEP_1)
	v_add_f32_e32 v9, v21, v9
	v_add_f32_e32 v13, v14, v9
	s_delay_alu instid0(VALU_DEP_1) | instskip(SKIP_1) | instid1(VALU_DEP_1)
	v_mul_f32_e32 v21, v13, v13
	s_wait_alu 0xfffe
	v_fmaak_f32 v22, s8, v21, 0x3ecc95a3
	v_mul_f32_e32 v23, v13, v21
	s_delay_alu instid0(VALU_DEP_2) | instskip(SKIP_1) | instid1(VALU_DEP_2)
	v_fmaak_f32 v21, v21, v22, 0x3f2aaada
	v_ldexp_f32 v22, v13, 1
	v_mul_f32_e32 v21, v23, v21
	s_delay_alu instid0(VALU_DEP_1) | instskip(NEXT) | instid1(VALU_DEP_1)
	v_dual_sub_f32 v13, v13, v14 :: v_dual_add_f32 v14, v22, v21
	v_sub_f32_e32 v9, v9, v13
	s_delay_alu instid0(VALU_DEP_2) | instskip(NEXT) | instid1(VALU_DEP_2)
	v_sub_f32_e32 v13, v14, v22
	v_ldexp_f32 v9, v9, 1
	s_delay_alu instid0(VALU_DEP_2) | instskip(NEXT) | instid1(VALU_DEP_1)
	v_sub_f32_e32 v13, v21, v13
	v_add_f32_e32 v9, v9, v13
	s_delay_alu instid0(VALU_DEP_1) | instskip(NEXT) | instid1(VALU_DEP_1)
	v_add_f32_e32 v21, v14, v9
	v_dual_mul_f32 v23, 0x3f317218, v8 :: v_dual_sub_f32 v14, v21, v14
	s_delay_alu instid0(VALU_DEP_1) | instskip(NEXT) | instid1(VALU_DEP_1)
	v_fma_f32 v22, 0x3f317218, v8, -v23
	v_dual_sub_f32 v9, v9, v14 :: v_dual_fmamk_f32 v8, v8, 0xb102e308, v22
	s_delay_alu instid0(VALU_DEP_1) | instskip(NEXT) | instid1(VALU_DEP_1)
	v_add_f32_e32 v13, v23, v8
	v_add_f32_e32 v22, v13, v21
	s_delay_alu instid0(VALU_DEP_1) | instskip(NEXT) | instid1(VALU_DEP_1)
	v_dual_sub_f32 v23, v13, v23 :: v_dual_sub_f32 v24, v22, v13
	v_dual_sub_f32 v8, v8, v23 :: v_dual_sub_f32 v25, v22, v24
	s_delay_alu instid0(VALU_DEP_1) | instskip(NEXT) | instid1(VALU_DEP_2)
	v_dual_sub_f32 v14, v21, v24 :: v_dual_add_f32 v21, v8, v9
	v_sub_f32_e32 v13, v13, v25
	s_delay_alu instid0(VALU_DEP_1) | instskip(NEXT) | instid1(VALU_DEP_1)
	v_dual_add_f32 v13, v14, v13 :: v_dual_sub_f32 v14, v21, v8
	v_add_f32_e32 v13, v21, v13
	s_delay_alu instid0(VALU_DEP_2) | instskip(SKIP_1) | instid1(VALU_DEP_3)
	v_sub_f32_e32 v21, v21, v14
	v_sub_f32_e32 v9, v9, v14
	v_add_f32_e32 v23, v22, v13
	s_delay_alu instid0(VALU_DEP_3) | instskip(NEXT) | instid1(VALU_DEP_2)
	v_sub_f32_e32 v8, v8, v21
	v_sub_f32_e32 v14, v23, v22
	s_delay_alu instid0(VALU_DEP_2) | instskip(NEXT) | instid1(VALU_DEP_2)
	v_add_f32_e32 v8, v9, v8
	v_sub_f32_e32 v9, v13, v14
	s_delay_alu instid0(VALU_DEP_1) | instskip(NEXT) | instid1(VALU_DEP_1)
	v_add_f32_e32 v8, v8, v9
	v_add_f32_e32 v8, v23, v8
	s_wait_alu 0xfffd
	s_delay_alu instid0(VALU_DEP_1) | instskip(SKIP_2) | instid1(VALU_DEP_2)
	v_cndmask_b32_e32 v8, 0x7f800000, v8, vcc_lo
	v_cmp_gt_f32_e64 vcc_lo, 0x33800000, |v6|
	s_wait_alu 0xfffd
	v_cndmask_b32_e32 v6, v8, v6, vcc_lo
	s_delay_alu instid0(VALU_DEP_1)
	v_add_f32_e32 v6, v7, v6
.LBB158_142:
	s_wait_alu 0xfffe
	s_or_b32 exec_lo, exec_lo, s1
	s_delay_alu instid0(VALU_DEP_1) | instskip(SKIP_1) | instid1(VALU_DEP_2)
	v_max_num_f32_e32 v7, v6, v6
	v_cmp_u_f32_e32 vcc_lo, v6, v6
	v_min_num_f32_e32 v8, v7, v10
	v_max_num_f32_e32 v7, v7, v10
	s_wait_alu 0xfffd
	s_delay_alu instid0(VALU_DEP_2) | instskip(NEXT) | instid1(VALU_DEP_2)
	v_cndmask_b32_e32 v8, v8, v6, vcc_lo
	v_cndmask_b32_e32 v7, v7, v6, vcc_lo
	s_delay_alu instid0(VALU_DEP_2) | instskip(NEXT) | instid1(VALU_DEP_2)
	v_cndmask_b32_e64 v9, v8, v3, s4
	v_cndmask_b32_e64 v8, v7, v3, s4
	v_mov_b32_e32 v7, v6
	s_delay_alu instid0(VALU_DEP_3) | instskip(NEXT) | instid1(VALU_DEP_3)
	v_cmp_class_f32_e64 s1, v9, 0x1f8
	v_cmp_neq_f32_e32 vcc_lo, v9, v8
	s_or_b32 s4, vcc_lo, s1
	s_wait_alu 0xfffe
	s_and_saveexec_b32 s1, s4
	s_cbranch_execz .LBB158_144
; %bb.143:
	v_sub_f32_e32 v7, v9, v8
	s_mov_b32 s4, 0x3e9b6dac
	s_delay_alu instid0(VALU_DEP_1) | instskip(SKIP_1) | instid1(VALU_DEP_2)
	v_mul_f32_e32 v9, 0x3fb8aa3b, v7
	v_cmp_ngt_f32_e32 vcc_lo, 0xc2ce8ed0, v7
	v_fma_f32 v10, 0x3fb8aa3b, v7, -v9
	v_rndne_f32_e32 v13, v9
	s_delay_alu instid0(VALU_DEP_1) | instskip(NEXT) | instid1(VALU_DEP_1)
	v_dual_fmamk_f32 v10, v7, 0x32a5705f, v10 :: v_dual_sub_f32 v9, v9, v13
	v_add_f32_e32 v9, v9, v10
	v_cvt_i32_f32_e32 v10, v13
	s_delay_alu instid0(VALU_DEP_2) | instskip(NEXT) | instid1(TRANS32_DEP_1)
	v_exp_f32_e32 v9, v9
	v_ldexp_f32 v9, v9, v10
	s_wait_alu 0xfffd
	s_delay_alu instid0(VALU_DEP_1) | instskip(SKIP_2) | instid1(VALU_DEP_2)
	v_cndmask_b32_e32 v9, 0, v9, vcc_lo
	v_cmp_nlt_f32_e32 vcc_lo, 0x42b17218, v7
	s_wait_alu 0xfffd
	v_cndmask_b32_e32 v7, 0x7f800000, v9, vcc_lo
	s_delay_alu instid0(VALU_DEP_1) | instskip(NEXT) | instid1(VALU_DEP_1)
	v_add_f32_e32 v13, 1.0, v7
	v_cvt_f64_f32_e32 v[9:10], v13
	s_delay_alu instid0(VALU_DEP_1) | instskip(SKIP_1) | instid1(VALU_DEP_1)
	v_frexp_exp_i32_f64_e32 v9, v[9:10]
	v_frexp_mant_f32_e32 v10, v13
	v_cmp_gt_f32_e32 vcc_lo, 0x3f2aaaab, v10
	v_add_f32_e32 v10, -1.0, v13
	s_delay_alu instid0(VALU_DEP_1) | instskip(NEXT) | instid1(VALU_DEP_1)
	v_dual_sub_f32 v21, v10, v13 :: v_dual_sub_f32 v10, v7, v10
	v_add_f32_e32 v21, 1.0, v21
	s_delay_alu instid0(VALU_DEP_1) | instskip(SKIP_2) | instid1(VALU_DEP_1)
	v_add_f32_e32 v10, v10, v21
	s_wait_alu 0xfffd
	v_subrev_co_ci_u32_e64 v9, null, 0, v9, vcc_lo
	v_sub_nc_u32_e32 v14, 0, v9
	v_cvt_f32_i32_e32 v9, v9
	s_delay_alu instid0(VALU_DEP_2) | instskip(SKIP_1) | instid1(VALU_DEP_2)
	v_ldexp_f32 v13, v13, v14
	v_ldexp_f32 v10, v10, v14
	v_add_f32_e32 v22, 1.0, v13
	s_delay_alu instid0(VALU_DEP_1) | instskip(NEXT) | instid1(VALU_DEP_1)
	v_dual_add_f32 v14, -1.0, v13 :: v_dual_add_f32 v21, -1.0, v22
	v_add_f32_e32 v23, 1.0, v14
	s_delay_alu instid0(VALU_DEP_2) | instskip(NEXT) | instid1(VALU_DEP_2)
	v_sub_f32_e32 v21, v13, v21
	v_sub_f32_e32 v13, v13, v23
	s_delay_alu instid0(VALU_DEP_2) | instskip(NEXT) | instid1(VALU_DEP_2)
	v_add_f32_e32 v21, v10, v21
	v_add_f32_e32 v10, v10, v13
	s_delay_alu instid0(VALU_DEP_2) | instskip(NEXT) | instid1(VALU_DEP_2)
	v_add_f32_e32 v23, v22, v21
	v_add_f32_e32 v24, v14, v10
	s_delay_alu instid0(VALU_DEP_2) | instskip(SKIP_2) | instid1(VALU_DEP_3)
	v_rcp_f32_e32 v13, v23
	v_sub_f32_e32 v22, v22, v23
	v_cmp_neq_f32_e32 vcc_lo, 0x7f800000, v7
	v_sub_f32_e32 v14, v14, v24
	s_delay_alu instid0(VALU_DEP_1) | instskip(NEXT) | instid1(VALU_DEP_4)
	v_add_f32_e32 v10, v10, v14
	v_add_f32_e32 v21, v21, v22
	s_delay_alu instid0(TRANS32_DEP_1) | instskip(NEXT) | instid1(VALU_DEP_1)
	v_mul_f32_e32 v25, v24, v13
	v_mul_f32_e32 v26, v23, v25
	s_delay_alu instid0(VALU_DEP_1) | instskip(NEXT) | instid1(VALU_DEP_1)
	v_fma_f32 v22, v25, v23, -v26
	v_fmac_f32_e32 v22, v25, v21
	s_delay_alu instid0(VALU_DEP_1) | instskip(NEXT) | instid1(VALU_DEP_1)
	v_add_f32_e32 v27, v26, v22
	v_sub_f32_e32 v28, v24, v27
	v_sub_f32_e32 v14, v27, v26
	s_delay_alu instid0(VALU_DEP_2) | instskip(NEXT) | instid1(VALU_DEP_2)
	v_sub_f32_e32 v24, v24, v28
	v_sub_f32_e32 v14, v14, v22
	s_delay_alu instid0(VALU_DEP_2) | instskip(NEXT) | instid1(VALU_DEP_1)
	v_sub_f32_e32 v24, v24, v27
	v_add_f32_e32 v10, v10, v24
	s_delay_alu instid0(VALU_DEP_1) | instskip(NEXT) | instid1(VALU_DEP_1)
	v_add_f32_e32 v10, v14, v10
	v_add_f32_e32 v14, v28, v10
	s_delay_alu instid0(VALU_DEP_1) | instskip(NEXT) | instid1(VALU_DEP_1)
	v_mul_f32_e32 v22, v13, v14
	v_mul_f32_e32 v24, v23, v22
	s_delay_alu instid0(VALU_DEP_1) | instskip(NEXT) | instid1(VALU_DEP_1)
	v_fma_f32 v23, v22, v23, -v24
	v_fmac_f32_e32 v23, v22, v21
	v_sub_f32_e32 v27, v28, v14
	s_delay_alu instid0(VALU_DEP_2) | instskip(NEXT) | instid1(VALU_DEP_2)
	v_add_f32_e32 v21, v24, v23
	v_add_f32_e32 v10, v10, v27
	s_delay_alu instid0(VALU_DEP_2) | instskip(SKIP_1) | instid1(VALU_DEP_2)
	v_sub_f32_e32 v26, v14, v21
	v_sub_f32_e32 v24, v21, v24
	;; [unrolled: 1-line block ×3, first 2 shown]
	s_delay_alu instid0(VALU_DEP_1) | instskip(NEXT) | instid1(VALU_DEP_1)
	v_dual_sub_f32 v14, v14, v21 :: v_dual_sub_f32 v21, v24, v23
	v_add_f32_e32 v10, v10, v14
	v_add_f32_e32 v14, v25, v22
	s_delay_alu instid0(VALU_DEP_1) | instskip(NEXT) | instid1(VALU_DEP_1)
	v_dual_add_f32 v10, v21, v10 :: v_dual_sub_f32 v21, v14, v25
	v_add_f32_e32 v10, v26, v10
	s_delay_alu instid0(VALU_DEP_1) | instskip(NEXT) | instid1(VALU_DEP_1)
	v_dual_sub_f32 v21, v22, v21 :: v_dual_mul_f32 v10, v13, v10
	v_add_f32_e32 v10, v21, v10
	s_delay_alu instid0(VALU_DEP_1) | instskip(NEXT) | instid1(VALU_DEP_1)
	v_add_f32_e32 v13, v14, v10
	v_mul_f32_e32 v21, v13, v13
	s_wait_alu 0xfffe
	s_delay_alu instid0(VALU_DEP_1) | instskip(SKIP_1) | instid1(VALU_DEP_2)
	v_fmaak_f32 v22, s4, v21, 0x3ecc95a3
	v_mul_f32_e32 v23, v13, v21
	v_fmaak_f32 v21, v21, v22, 0x3f2aaada
	v_ldexp_f32 v22, v13, 1
	s_delay_alu instid0(VALU_DEP_2) | instskip(SKIP_1) | instid1(VALU_DEP_2)
	v_mul_f32_e32 v21, v23, v21
	v_mul_f32_e32 v23, 0x3f317218, v9
	v_dual_sub_f32 v13, v13, v14 :: v_dual_add_f32 v14, v22, v21
	s_delay_alu instid0(VALU_DEP_1) | instskip(NEXT) | instid1(VALU_DEP_2)
	v_sub_f32_e32 v10, v10, v13
	v_sub_f32_e32 v13, v14, v22
	s_delay_alu instid0(VALU_DEP_4) | instskip(NEXT) | instid1(VALU_DEP_3)
	v_fma_f32 v22, 0x3f317218, v9, -v23
	v_ldexp_f32 v10, v10, 1
	s_delay_alu instid0(VALU_DEP_3) | instskip(NEXT) | instid1(VALU_DEP_1)
	v_sub_f32_e32 v13, v21, v13
	v_dual_fmamk_f32 v9, v9, 0xb102e308, v22 :: v_dual_add_f32 v10, v10, v13
	s_delay_alu instid0(VALU_DEP_1) | instskip(NEXT) | instid1(VALU_DEP_1)
	v_add_f32_e32 v13, v23, v9
	v_sub_f32_e32 v23, v13, v23
	s_delay_alu instid0(VALU_DEP_1) | instskip(NEXT) | instid1(VALU_DEP_4)
	v_sub_f32_e32 v9, v9, v23
	v_add_f32_e32 v21, v14, v10
	s_delay_alu instid0(VALU_DEP_1) | instskip(SKIP_1) | instid1(VALU_DEP_1)
	v_add_f32_e32 v22, v13, v21
	v_sub_f32_e32 v14, v21, v14
	v_sub_f32_e32 v10, v10, v14
	s_delay_alu instid0(VALU_DEP_3) | instskip(NEXT) | instid1(VALU_DEP_1)
	v_sub_f32_e32 v24, v22, v13
	v_sub_f32_e32 v14, v21, v24
	s_delay_alu instid0(VALU_DEP_3) | instskip(SKIP_1) | instid1(VALU_DEP_1)
	v_add_f32_e32 v21, v9, v10
	v_sub_f32_e32 v25, v22, v24
	v_sub_f32_e32 v13, v13, v25
	s_delay_alu instid0(VALU_DEP_1) | instskip(NEXT) | instid1(VALU_DEP_4)
	v_add_f32_e32 v13, v14, v13
	v_sub_f32_e32 v14, v21, v9
	s_delay_alu instid0(VALU_DEP_1) | instskip(SKIP_1) | instid1(VALU_DEP_2)
	v_dual_add_f32 v13, v21, v13 :: v_dual_sub_f32 v10, v10, v14
	v_sub_f32_e32 v21, v21, v14
	v_add_f32_e32 v23, v22, v13
	s_delay_alu instid0(VALU_DEP_1) | instskip(NEXT) | instid1(VALU_DEP_1)
	v_dual_sub_f32 v9, v9, v21 :: v_dual_sub_f32 v14, v23, v22
	v_dual_add_f32 v9, v10, v9 :: v_dual_sub_f32 v10, v13, v14
	s_delay_alu instid0(VALU_DEP_1) | instskip(NEXT) | instid1(VALU_DEP_1)
	v_add_f32_e32 v9, v9, v10
	v_add_f32_e32 v9, v23, v9
	s_wait_alu 0xfffd
	s_delay_alu instid0(VALU_DEP_1) | instskip(SKIP_2) | instid1(VALU_DEP_2)
	v_cndmask_b32_e32 v9, 0x7f800000, v9, vcc_lo
	v_cmp_gt_f32_e64 vcc_lo, 0x33800000, |v7|
	s_wait_alu 0xfffd
	v_cndmask_b32_e32 v7, v9, v7, vcc_lo
	s_delay_alu instid0(VALU_DEP_1)
	v_add_f32_e32 v7, v8, v7
.LBB158_144:
	s_wait_alu 0xfffe
	s_or_b32 exec_lo, exec_lo, s1
	s_delay_alu instid0(VALU_DEP_1) | instskip(SKIP_1) | instid1(VALU_DEP_2)
	v_max_num_f32_e32 v8, v7, v7
	v_cmp_u_f32_e32 vcc_lo, v7, v7
	v_min_num_f32_e32 v9, v8, v18
	s_wait_alu 0xfffd
	s_delay_alu instid0(VALU_DEP_1) | instskip(NEXT) | instid1(VALU_DEP_1)
	v_dual_max_num_f32 v8, v8, v18 :: v_dual_cndmask_b32 v9, v9, v7
	v_cndmask_b32_e32 v8, v8, v7, vcc_lo
	s_delay_alu instid0(VALU_DEP_2) | instskip(NEXT) | instid1(VALU_DEP_2)
	v_cndmask_b32_e64 v10, v9, v4, s5
	v_cndmask_b32_e64 v9, v8, v4, s5
	v_mov_b32_e32 v8, v7
	s_delay_alu instid0(VALU_DEP_3) | instskip(NEXT) | instid1(VALU_DEP_3)
	v_cmp_class_f32_e64 s1, v10, 0x1f8
	v_cmp_neq_f32_e32 vcc_lo, v10, v9
	s_or_b32 s4, vcc_lo, s1
	s_wait_alu 0xfffe
	s_and_saveexec_b32 s1, s4
	s_cbranch_execz .LBB158_146
; %bb.145:
	v_sub_f32_e32 v8, v10, v9
	s_mov_b32 s4, 0x3e9b6dac
	s_delay_alu instid0(VALU_DEP_1) | instskip(SKIP_1) | instid1(VALU_DEP_2)
	v_mul_f32_e32 v10, 0x3fb8aa3b, v8
	v_cmp_ngt_f32_e32 vcc_lo, 0xc2ce8ed0, v8
	v_fma_f32 v13, 0x3fb8aa3b, v8, -v10
	v_rndne_f32_e32 v14, v10
	s_delay_alu instid0(VALU_DEP_1) | instskip(NEXT) | instid1(VALU_DEP_1)
	v_dual_fmamk_f32 v13, v8, 0x32a5705f, v13 :: v_dual_sub_f32 v10, v10, v14
	v_add_f32_e32 v10, v10, v13
	v_cvt_i32_f32_e32 v13, v14
	s_delay_alu instid0(VALU_DEP_2) | instskip(NEXT) | instid1(TRANS32_DEP_1)
	v_exp_f32_e32 v10, v10
	v_ldexp_f32 v10, v10, v13
	s_wait_alu 0xfffd
	s_delay_alu instid0(VALU_DEP_1) | instskip(SKIP_2) | instid1(VALU_DEP_2)
	v_cndmask_b32_e32 v10, 0, v10, vcc_lo
	v_cmp_nlt_f32_e32 vcc_lo, 0x42b17218, v8
	s_wait_alu 0xfffd
	v_cndmask_b32_e32 v8, 0x7f800000, v10, vcc_lo
	s_delay_alu instid0(VALU_DEP_1) | instskip(NEXT) | instid1(VALU_DEP_1)
	v_add_f32_e32 v10, 1.0, v8
	v_cvt_f64_f32_e32 v[13:14], v10
	s_delay_alu instid0(VALU_DEP_1) | instskip(SKIP_1) | instid1(VALU_DEP_1)
	v_frexp_exp_i32_f64_e32 v13, v[13:14]
	v_frexp_mant_f32_e32 v14, v10
	v_cmp_gt_f32_e32 vcc_lo, 0x3f2aaaab, v14
	v_add_f32_e32 v14, -1.0, v10
	s_delay_alu instid0(VALU_DEP_1) | instskip(NEXT) | instid1(VALU_DEP_1)
	v_sub_f32_e32 v21, v14, v10
	v_dual_sub_f32 v14, v8, v14 :: v_dual_add_f32 v21, 1.0, v21
	s_delay_alu instid0(VALU_DEP_1) | instskip(SKIP_2) | instid1(VALU_DEP_1)
	v_add_f32_e32 v14, v14, v21
	s_wait_alu 0xfffd
	v_subrev_co_ci_u32_e64 v13, null, 0, v13, vcc_lo
	v_sub_nc_u32_e32 v18, 0, v13
	v_cvt_f32_i32_e32 v13, v13
	s_delay_alu instid0(VALU_DEP_2) | instskip(SKIP_1) | instid1(VALU_DEP_2)
	v_ldexp_f32 v10, v10, v18
	v_ldexp_f32 v14, v14, v18
	v_add_f32_e32 v22, 1.0, v10
	v_add_f32_e32 v18, -1.0, v10
	s_delay_alu instid0(VALU_DEP_2) | instskip(NEXT) | instid1(VALU_DEP_2)
	v_add_f32_e32 v21, -1.0, v22
	v_add_f32_e32 v23, 1.0, v18
	s_delay_alu instid0(VALU_DEP_2) | instskip(NEXT) | instid1(VALU_DEP_2)
	v_sub_f32_e32 v21, v10, v21
	v_sub_f32_e32 v10, v10, v23
	v_cmp_neq_f32_e32 vcc_lo, 0x7f800000, v8
	s_delay_alu instid0(VALU_DEP_3) | instskip(NEXT) | instid1(VALU_DEP_3)
	v_add_f32_e32 v21, v14, v21
	v_add_f32_e32 v10, v14, v10
	s_delay_alu instid0(VALU_DEP_2) | instskip(NEXT) | instid1(VALU_DEP_2)
	v_add_f32_e32 v23, v22, v21
	v_add_f32_e32 v24, v18, v10
	s_delay_alu instid0(VALU_DEP_2) | instskip(SKIP_1) | instid1(VALU_DEP_1)
	v_rcp_f32_e32 v14, v23
	v_sub_f32_e32 v22, v22, v23
	v_dual_sub_f32 v18, v18, v24 :: v_dual_add_f32 v21, v21, v22
	s_delay_alu instid0(VALU_DEP_1) | instskip(NEXT) | instid1(TRANS32_DEP_1)
	v_add_f32_e32 v10, v10, v18
	v_mul_f32_e32 v25, v24, v14
	s_delay_alu instid0(VALU_DEP_1) | instskip(NEXT) | instid1(VALU_DEP_1)
	v_mul_f32_e32 v26, v23, v25
	v_fma_f32 v22, v25, v23, -v26
	s_delay_alu instid0(VALU_DEP_1) | instskip(NEXT) | instid1(VALU_DEP_1)
	v_fmac_f32_e32 v22, v25, v21
	v_add_f32_e32 v27, v26, v22
	s_delay_alu instid0(VALU_DEP_1) | instskip(NEXT) | instid1(VALU_DEP_1)
	v_sub_f32_e32 v28, v24, v27
	v_sub_f32_e32 v24, v24, v28
	;; [unrolled: 1-line block ×3, first 2 shown]
	s_delay_alu instid0(VALU_DEP_2) | instskip(NEXT) | instid1(VALU_DEP_2)
	v_sub_f32_e32 v24, v24, v27
	v_sub_f32_e32 v18, v18, v22
	s_delay_alu instid0(VALU_DEP_2) | instskip(NEXT) | instid1(VALU_DEP_1)
	v_add_f32_e32 v10, v10, v24
	v_add_f32_e32 v10, v18, v10
	s_delay_alu instid0(VALU_DEP_1) | instskip(NEXT) | instid1(VALU_DEP_1)
	v_add_f32_e32 v18, v28, v10
	v_mul_f32_e32 v22, v14, v18
	v_sub_f32_e32 v27, v28, v18
	s_delay_alu instid0(VALU_DEP_2) | instskip(NEXT) | instid1(VALU_DEP_2)
	v_mul_f32_e32 v24, v23, v22
	v_add_f32_e32 v10, v10, v27
	s_delay_alu instid0(VALU_DEP_2) | instskip(NEXT) | instid1(VALU_DEP_1)
	v_fma_f32 v23, v22, v23, -v24
	v_fmac_f32_e32 v23, v22, v21
	s_delay_alu instid0(VALU_DEP_1) | instskip(NEXT) | instid1(VALU_DEP_1)
	v_add_f32_e32 v21, v24, v23
	v_sub_f32_e32 v26, v18, v21
	v_sub_f32_e32 v24, v21, v24
	s_delay_alu instid0(VALU_DEP_2) | instskip(NEXT) | instid1(VALU_DEP_1)
	v_sub_f32_e32 v18, v18, v26
	v_dual_sub_f32 v18, v18, v21 :: v_dual_sub_f32 v21, v24, v23
	s_delay_alu instid0(VALU_DEP_1) | instskip(SKIP_1) | instid1(VALU_DEP_1)
	v_add_f32_e32 v10, v10, v18
	v_add_f32_e32 v18, v25, v22
	v_dual_add_f32 v10, v21, v10 :: v_dual_sub_f32 v21, v18, v25
	s_delay_alu instid0(VALU_DEP_1) | instskip(NEXT) | instid1(VALU_DEP_2)
	v_add_f32_e32 v10, v26, v10
	v_sub_f32_e32 v21, v22, v21
	s_delay_alu instid0(VALU_DEP_2) | instskip(NEXT) | instid1(VALU_DEP_1)
	v_mul_f32_e32 v10, v14, v10
	v_add_f32_e32 v10, v21, v10
	s_delay_alu instid0(VALU_DEP_1) | instskip(NEXT) | instid1(VALU_DEP_1)
	v_add_f32_e32 v14, v18, v10
	v_mul_f32_e32 v21, v14, v14
	s_wait_alu 0xfffe
	s_delay_alu instid0(VALU_DEP_1) | instskip(SKIP_1) | instid1(VALU_DEP_2)
	v_fmaak_f32 v22, s4, v21, 0x3ecc95a3
	v_mul_f32_e32 v23, v14, v21
	v_fmaak_f32 v21, v21, v22, 0x3f2aaada
	v_ldexp_f32 v22, v14, 1
	s_delay_alu instid0(VALU_DEP_2) | instskip(NEXT) | instid1(VALU_DEP_1)
	v_dual_sub_f32 v14, v14, v18 :: v_dual_mul_f32 v21, v23, v21
	v_dual_mul_f32 v23, 0x3f317218, v13 :: v_dual_sub_f32 v10, v10, v14
	s_delay_alu instid0(VALU_DEP_2) | instskip(NEXT) | instid1(VALU_DEP_2)
	v_add_f32_e32 v18, v22, v21
	v_ldexp_f32 v10, v10, 1
	s_delay_alu instid0(VALU_DEP_2) | instskip(NEXT) | instid1(VALU_DEP_4)
	v_sub_f32_e32 v14, v18, v22
	v_fma_f32 v22, 0x3f317218, v13, -v23
	s_delay_alu instid0(VALU_DEP_2) | instskip(NEXT) | instid1(VALU_DEP_1)
	v_sub_f32_e32 v14, v21, v14
	v_dual_fmamk_f32 v13, v13, 0xb102e308, v22 :: v_dual_add_f32 v10, v10, v14
	s_delay_alu instid0(VALU_DEP_1) | instskip(NEXT) | instid1(VALU_DEP_1)
	v_dual_add_f32 v14, v23, v13 :: v_dual_add_f32 v21, v18, v10
	v_sub_f32_e32 v23, v14, v23
	s_delay_alu instid0(VALU_DEP_2) | instskip(SKIP_1) | instid1(VALU_DEP_2)
	v_add_f32_e32 v22, v14, v21
	v_sub_f32_e32 v18, v21, v18
	v_dual_sub_f32 v13, v13, v23 :: v_dual_sub_f32 v24, v22, v14
	s_delay_alu instid0(VALU_DEP_2) | instskip(NEXT) | instid1(VALU_DEP_2)
	v_sub_f32_e32 v10, v10, v18
	v_sub_f32_e32 v25, v22, v24
	;; [unrolled: 1-line block ×3, first 2 shown]
	s_delay_alu instid0(VALU_DEP_2) | instskip(NEXT) | instid1(VALU_DEP_1)
	v_dual_add_f32 v21, v13, v10 :: v_dual_sub_f32 v14, v14, v25
	v_add_f32_e32 v14, v18, v14
	s_delay_alu instid0(VALU_DEP_2) | instskip(NEXT) | instid1(VALU_DEP_2)
	v_sub_f32_e32 v18, v21, v13
	v_add_f32_e32 v14, v21, v14
	s_delay_alu instid0(VALU_DEP_2) | instskip(SKIP_1) | instid1(VALU_DEP_3)
	v_sub_f32_e32 v21, v21, v18
	v_sub_f32_e32 v10, v10, v18
	v_add_f32_e32 v23, v22, v14
	s_delay_alu instid0(VALU_DEP_1) | instskip(NEXT) | instid1(VALU_DEP_1)
	v_dual_sub_f32 v13, v13, v21 :: v_dual_sub_f32 v18, v23, v22
	v_add_f32_e32 v10, v10, v13
	s_delay_alu instid0(VALU_DEP_2) | instskip(NEXT) | instid1(VALU_DEP_1)
	v_sub_f32_e32 v13, v14, v18
	v_add_f32_e32 v10, v10, v13
	s_delay_alu instid0(VALU_DEP_1) | instskip(SKIP_1) | instid1(VALU_DEP_1)
	v_add_f32_e32 v10, v23, v10
	s_wait_alu 0xfffd
	v_cndmask_b32_e32 v10, 0x7f800000, v10, vcc_lo
	v_cmp_gt_f32_e64 vcc_lo, 0x33800000, |v8|
	s_wait_alu 0xfffd
	s_delay_alu instid0(VALU_DEP_2) | instskip(NEXT) | instid1(VALU_DEP_1)
	v_cndmask_b32_e32 v8, v10, v8, vcc_lo
	v_add_f32_e32 v8, v9, v8
.LBB158_146:
	s_wait_alu 0xfffe
	s_or_b32 exec_lo, exec_lo, s1
	s_delay_alu instid0(VALU_DEP_1) | instskip(SKIP_1) | instid1(VALU_DEP_2)
	v_max_num_f32_e32 v9, v8, v8
	v_cmp_u_f32_e32 vcc_lo, v8, v8
	v_min_num_f32_e32 v10, v9, v19
	s_wait_alu 0xfffd
	s_delay_alu instid0(VALU_DEP_1) | instskip(NEXT) | instid1(VALU_DEP_1)
	v_dual_max_num_f32 v9, v9, v19 :: v_dual_cndmask_b32 v10, v10, v8
	v_cndmask_b32_e32 v9, v9, v8, vcc_lo
	s_delay_alu instid0(VALU_DEP_2) | instskip(NEXT) | instid1(VALU_DEP_2)
	v_cndmask_b32_e64 v13, v10, v11, s6
	v_cndmask_b32_e64 v10, v9, v11, s6
	v_mov_b32_e32 v9, v8
	s_delay_alu instid0(VALU_DEP_3) | instskip(NEXT) | instid1(VALU_DEP_3)
	v_cmp_class_f32_e64 s1, v13, 0x1f8
	v_cmp_neq_f32_e32 vcc_lo, v13, v10
	s_or_b32 s4, vcc_lo, s1
	s_wait_alu 0xfffe
	s_and_saveexec_b32 s1, s4
	s_cbranch_execz .LBB158_148
; %bb.147:
	v_sub_f32_e32 v9, v13, v10
	s_mov_b32 s4, 0x3e9b6dac
	s_delay_alu instid0(VALU_DEP_1) | instskip(SKIP_1) | instid1(VALU_DEP_2)
	v_mul_f32_e32 v13, 0x3fb8aa3b, v9
	v_cmp_ngt_f32_e32 vcc_lo, 0xc2ce8ed0, v9
	v_fma_f32 v14, 0x3fb8aa3b, v9, -v13
	v_rndne_f32_e32 v18, v13
	s_delay_alu instid0(VALU_DEP_2) | instskip(NEXT) | instid1(VALU_DEP_2)
	v_fmamk_f32 v14, v9, 0x32a5705f, v14
	v_sub_f32_e32 v13, v13, v18
	s_delay_alu instid0(VALU_DEP_1) | instskip(SKIP_1) | instid1(VALU_DEP_2)
	v_add_f32_e32 v13, v13, v14
	v_cvt_i32_f32_e32 v14, v18
	v_exp_f32_e32 v13, v13
	s_delay_alu instid0(TRANS32_DEP_1) | instskip(SKIP_1) | instid1(VALU_DEP_1)
	v_ldexp_f32 v13, v13, v14
	s_wait_alu 0xfffd
	v_cndmask_b32_e32 v13, 0, v13, vcc_lo
	v_cmp_nlt_f32_e32 vcc_lo, 0x42b17218, v9
	s_wait_alu 0xfffd
	s_delay_alu instid0(VALU_DEP_2) | instskip(NEXT) | instid1(VALU_DEP_1)
	v_cndmask_b32_e32 v9, 0x7f800000, v13, vcc_lo
	v_add_f32_e32 v18, 1.0, v9
	s_delay_alu instid0(VALU_DEP_1) | instskip(NEXT) | instid1(VALU_DEP_1)
	v_cvt_f64_f32_e32 v[13:14], v18
	v_frexp_exp_i32_f64_e32 v13, v[13:14]
	v_frexp_mant_f32_e32 v14, v18
	s_delay_alu instid0(VALU_DEP_1) | instskip(SKIP_1) | instid1(VALU_DEP_1)
	v_cmp_gt_f32_e32 vcc_lo, 0x3f2aaaab, v14
	v_add_f32_e32 v14, -1.0, v18
	v_sub_f32_e32 v21, v14, v18
	s_delay_alu instid0(VALU_DEP_1) | instskip(SKIP_2) | instid1(VALU_DEP_1)
	v_add_f32_e32 v21, 1.0, v21
	s_wait_alu 0xfffd
	v_subrev_co_ci_u32_e64 v13, null, 0, v13, vcc_lo
	v_sub_nc_u32_e32 v19, 0, v13
	v_cvt_f32_i32_e32 v13, v13
	s_delay_alu instid0(VALU_DEP_2) | instskip(NEXT) | instid1(VALU_DEP_1)
	v_ldexp_f32 v18, v18, v19
	v_add_f32_e32 v22, 1.0, v18
	v_sub_f32_e32 v14, v9, v14
	v_cmp_neq_f32_e32 vcc_lo, 0x7f800000, v9
	s_delay_alu instid0(VALU_DEP_2) | instskip(NEXT) | instid1(VALU_DEP_1)
	v_dual_add_f32 v14, v14, v21 :: v_dual_add_f32 v21, -1.0, v22
	v_ldexp_f32 v14, v14, v19
	v_add_f32_e32 v19, -1.0, v18
	s_delay_alu instid0(VALU_DEP_3) | instskip(NEXT) | instid1(VALU_DEP_2)
	v_sub_f32_e32 v21, v18, v21
	v_add_f32_e32 v23, 1.0, v19
	s_delay_alu instid0(VALU_DEP_2) | instskip(NEXT) | instid1(VALU_DEP_2)
	v_add_f32_e32 v21, v14, v21
	v_sub_f32_e32 v18, v18, v23
	s_delay_alu instid0(VALU_DEP_1) | instskip(NEXT) | instid1(VALU_DEP_1)
	v_add_f32_e32 v14, v14, v18
	v_dual_add_f32 v24, v19, v14 :: v_dual_add_f32 v23, v22, v21
	s_delay_alu instid0(VALU_DEP_1) | instskip(SKIP_1) | instid1(VALU_DEP_1)
	v_rcp_f32_e32 v18, v23
	v_sub_f32_e32 v22, v22, v23
	v_add_f32_e32 v21, v21, v22
	s_delay_alu instid0(TRANS32_DEP_1) | instskip(NEXT) | instid1(VALU_DEP_1)
	v_mul_f32_e32 v25, v24, v18
	v_mul_f32_e32 v26, v23, v25
	s_delay_alu instid0(VALU_DEP_1) | instskip(NEXT) | instid1(VALU_DEP_1)
	v_fma_f32 v22, v25, v23, -v26
	v_dual_fmac_f32 v22, v25, v21 :: v_dual_sub_f32 v19, v19, v24
	s_delay_alu instid0(VALU_DEP_1) | instskip(NEXT) | instid1(VALU_DEP_2)
	v_add_f32_e32 v27, v26, v22
	v_add_f32_e32 v14, v14, v19
	s_delay_alu instid0(VALU_DEP_2) | instskip(NEXT) | instid1(VALU_DEP_1)
	v_sub_f32_e32 v28, v24, v27
	v_sub_f32_e32 v24, v24, v28
	s_delay_alu instid0(VALU_DEP_1) | instskip(NEXT) | instid1(VALU_DEP_1)
	v_dual_sub_f32 v24, v24, v27 :: v_dual_sub_f32 v19, v27, v26
	v_dual_add_f32 v14, v14, v24 :: v_dual_sub_f32 v19, v19, v22
	s_delay_alu instid0(VALU_DEP_1) | instskip(NEXT) | instid1(VALU_DEP_1)
	v_add_f32_e32 v14, v19, v14
	v_add_f32_e32 v19, v28, v14
	s_delay_alu instid0(VALU_DEP_1) | instskip(NEXT) | instid1(VALU_DEP_1)
	v_mul_f32_e32 v22, v18, v19
	v_dual_sub_f32 v27, v28, v19 :: v_dual_mul_f32 v24, v23, v22
	s_delay_alu instid0(VALU_DEP_1) | instskip(NEXT) | instid1(VALU_DEP_1)
	v_fma_f32 v23, v22, v23, -v24
	v_fmac_f32_e32 v23, v22, v21
	s_delay_alu instid0(VALU_DEP_3) | instskip(NEXT) | instid1(VALU_DEP_2)
	v_add_f32_e32 v14, v14, v27
	v_add_f32_e32 v21, v24, v23
	s_delay_alu instid0(VALU_DEP_1) | instskip(NEXT) | instid1(VALU_DEP_1)
	v_sub_f32_e32 v26, v19, v21
	v_dual_sub_f32 v24, v21, v24 :: v_dual_sub_f32 v19, v19, v26
	s_delay_alu instid0(VALU_DEP_1) | instskip(NEXT) | instid1(VALU_DEP_2)
	v_sub_f32_e32 v19, v19, v21
	v_sub_f32_e32 v21, v24, v23
	s_delay_alu instid0(VALU_DEP_2) | instskip(NEXT) | instid1(VALU_DEP_1)
	v_dual_add_f32 v14, v14, v19 :: v_dual_add_f32 v19, v25, v22
	v_dual_add_f32 v14, v21, v14 :: v_dual_sub_f32 v21, v19, v25
	s_delay_alu instid0(VALU_DEP_1) | instskip(NEXT) | instid1(VALU_DEP_2)
	v_add_f32_e32 v14, v26, v14
	v_sub_f32_e32 v21, v22, v21
	s_delay_alu instid0(VALU_DEP_2) | instskip(NEXT) | instid1(VALU_DEP_1)
	v_mul_f32_e32 v14, v18, v14
	v_add_f32_e32 v14, v21, v14
	s_delay_alu instid0(VALU_DEP_1) | instskip(NEXT) | instid1(VALU_DEP_1)
	v_add_f32_e32 v18, v19, v14
	v_mul_f32_e32 v21, v18, v18
	s_wait_alu 0xfffe
	s_delay_alu instid0(VALU_DEP_1) | instskip(SKIP_1) | instid1(VALU_DEP_2)
	v_fmaak_f32 v22, s4, v21, 0x3ecc95a3
	v_mul_f32_e32 v23, v18, v21
	v_fmaak_f32 v21, v21, v22, 0x3f2aaada
	v_ldexp_f32 v22, v18, 1
	s_delay_alu instid0(VALU_DEP_2) | instskip(NEXT) | instid1(VALU_DEP_1)
	v_dual_sub_f32 v18, v18, v19 :: v_dual_mul_f32 v21, v23, v21
	v_sub_f32_e32 v14, v14, v18
	s_delay_alu instid0(VALU_DEP_2) | instskip(SKIP_1) | instid1(VALU_DEP_3)
	v_add_f32_e32 v19, v22, v21
	v_mul_f32_e32 v23, 0x3f317218, v13
	v_ldexp_f32 v14, v14, 1
	s_delay_alu instid0(VALU_DEP_3) | instskip(NEXT) | instid1(VALU_DEP_3)
	v_sub_f32_e32 v18, v19, v22
	v_fma_f32 v22, 0x3f317218, v13, -v23
	s_delay_alu instid0(VALU_DEP_2) | instskip(NEXT) | instid1(VALU_DEP_1)
	v_sub_f32_e32 v18, v21, v18
	v_dual_fmamk_f32 v13, v13, 0xb102e308, v22 :: v_dual_add_f32 v14, v14, v18
	s_delay_alu instid0(VALU_DEP_1) | instskip(NEXT) | instid1(VALU_DEP_2)
	v_add_f32_e32 v18, v23, v13
	v_add_f32_e32 v21, v19, v14
	s_delay_alu instid0(VALU_DEP_2) | instskip(NEXT) | instid1(VALU_DEP_1)
	v_sub_f32_e32 v23, v18, v23
	v_dual_add_f32 v22, v18, v21 :: v_dual_sub_f32 v13, v13, v23
	s_delay_alu instid0(VALU_DEP_1) | instskip(NEXT) | instid1(VALU_DEP_1)
	v_sub_f32_e32 v24, v22, v18
	v_sub_f32_e32 v25, v22, v24
	s_delay_alu instid0(VALU_DEP_1) | instskip(NEXT) | instid1(VALU_DEP_1)
	v_dual_sub_f32 v18, v18, v25 :: v_dual_sub_f32 v19, v21, v19
	v_dual_sub_f32 v14, v14, v19 :: v_dual_sub_f32 v19, v21, v24
	s_delay_alu instid0(VALU_DEP_1) | instskip(NEXT) | instid1(VALU_DEP_1)
	v_add_f32_e32 v21, v13, v14
	v_dual_add_f32 v18, v19, v18 :: v_dual_sub_f32 v19, v21, v13
	s_delay_alu instid0(VALU_DEP_1) | instskip(NEXT) | instid1(VALU_DEP_2)
	v_sub_f32_e32 v14, v14, v19
	v_add_f32_e32 v18, v21, v18
	v_sub_f32_e32 v21, v21, v19
	s_delay_alu instid0(VALU_DEP_2) | instskip(NEXT) | instid1(VALU_DEP_1)
	v_add_f32_e32 v23, v22, v18
	v_sub_f32_e32 v19, v23, v22
	s_delay_alu instid0(VALU_DEP_3) | instskip(NEXT) | instid1(VALU_DEP_1)
	v_sub_f32_e32 v13, v13, v21
	v_add_f32_e32 v13, v14, v13
	s_delay_alu instid0(VALU_DEP_3) | instskip(NEXT) | instid1(VALU_DEP_1)
	v_sub_f32_e32 v14, v18, v19
	v_add_f32_e32 v13, v13, v14
	s_delay_alu instid0(VALU_DEP_1) | instskip(SKIP_1) | instid1(VALU_DEP_1)
	v_add_f32_e32 v13, v23, v13
	s_wait_alu 0xfffd
	v_cndmask_b32_e32 v13, 0x7f800000, v13, vcc_lo
	v_cmp_gt_f32_e64 vcc_lo, 0x33800000, |v9|
	s_wait_alu 0xfffd
	s_delay_alu instid0(VALU_DEP_2) | instskip(NEXT) | instid1(VALU_DEP_1)
	v_cndmask_b32_e32 v9, v13, v9, vcc_lo
	v_add_f32_e32 v9, v10, v9
.LBB158_148:
	s_wait_alu 0xfffe
	s_or_b32 exec_lo, exec_lo, s1
	s_delay_alu instid0(VALU_DEP_1) | instskip(SKIP_1) | instid1(VALU_DEP_2)
	v_max_num_f32_e32 v10, v9, v9
	v_cmp_u_f32_e32 vcc_lo, v9, v9
	v_min_num_f32_e32 v13, v10, v20
	s_wait_alu 0xfffd
	s_delay_alu instid0(VALU_DEP_1) | instskip(NEXT) | instid1(VALU_DEP_1)
	v_dual_max_num_f32 v10, v10, v20 :: v_dual_cndmask_b32 v13, v13, v9
	v_cndmask_b32_e32 v10, v10, v9, vcc_lo
	s_delay_alu instid0(VALU_DEP_2) | instskip(NEXT) | instid1(VALU_DEP_2)
	v_cndmask_b32_e64 v14, v13, v12, s7
	v_cndmask_b32_e64 v13, v10, v12, s7
	v_mov_b32_e32 v10, v9
	s_delay_alu instid0(VALU_DEP_3) | instskip(NEXT) | instid1(VALU_DEP_3)
	v_cmp_class_f32_e64 s1, v14, 0x1f8
	v_cmp_neq_f32_e32 vcc_lo, v14, v13
	s_or_b32 s4, vcc_lo, s1
	s_wait_alu 0xfffe
	s_and_saveexec_b32 s1, s4
	s_cbranch_execz .LBB158_150
; %bb.149:
	v_sub_f32_e32 v10, v14, v13
	s_mov_b32 s4, 0x3e9b6dac
	s_delay_alu instid0(VALU_DEP_1) | instskip(SKIP_1) | instid1(VALU_DEP_2)
	v_mul_f32_e32 v14, 0x3fb8aa3b, v10
	v_cmp_ngt_f32_e32 vcc_lo, 0xc2ce8ed0, v10
	v_fma_f32 v18, 0x3fb8aa3b, v10, -v14
	v_rndne_f32_e32 v19, v14
	s_delay_alu instid0(VALU_DEP_2) | instskip(NEXT) | instid1(VALU_DEP_2)
	v_fmamk_f32 v18, v10, 0x32a5705f, v18
	v_sub_f32_e32 v14, v14, v19
	s_delay_alu instid0(VALU_DEP_1) | instskip(SKIP_1) | instid1(VALU_DEP_2)
	v_add_f32_e32 v14, v14, v18
	v_cvt_i32_f32_e32 v18, v19
	v_exp_f32_e32 v14, v14
	s_delay_alu instid0(TRANS32_DEP_1) | instskip(SKIP_1) | instid1(VALU_DEP_1)
	v_ldexp_f32 v14, v14, v18
	s_wait_alu 0xfffd
	v_cndmask_b32_e32 v14, 0, v14, vcc_lo
	v_cmp_nlt_f32_e32 vcc_lo, 0x42b17218, v10
	s_wait_alu 0xfffd
	s_delay_alu instid0(VALU_DEP_2) | instskip(NEXT) | instid1(VALU_DEP_1)
	v_cndmask_b32_e32 v10, 0x7f800000, v14, vcc_lo
	v_add_f32_e32 v14, 1.0, v10
	s_delay_alu instid0(VALU_DEP_1) | instskip(NEXT) | instid1(VALU_DEP_1)
	v_cvt_f64_f32_e32 v[18:19], v14
	v_frexp_exp_i32_f64_e32 v18, v[18:19]
	v_frexp_mant_f32_e32 v19, v14
	s_delay_alu instid0(VALU_DEP_1) | instskip(SKIP_1) | instid1(VALU_DEP_1)
	v_cmp_gt_f32_e32 vcc_lo, 0x3f2aaaab, v19
	v_add_f32_e32 v19, -1.0, v14
	v_sub_f32_e32 v21, v19, v14
	v_sub_f32_e32 v19, v10, v19
	s_delay_alu instid0(VALU_DEP_2) | instskip(NEXT) | instid1(VALU_DEP_1)
	v_add_f32_e32 v21, 1.0, v21
	v_add_f32_e32 v19, v19, v21
	s_wait_alu 0xfffd
	v_subrev_co_ci_u32_e64 v18, null, 0, v18, vcc_lo
	s_delay_alu instid0(VALU_DEP_1) | instskip(SKIP_1) | instid1(VALU_DEP_2)
	v_sub_nc_u32_e32 v20, 0, v18
	v_cvt_f32_i32_e32 v18, v18
	v_ldexp_f32 v14, v14, v20
	v_ldexp_f32 v19, v19, v20
	s_delay_alu instid0(VALU_DEP_2) | instskip(SKIP_1) | instid1(VALU_DEP_1)
	v_add_f32_e32 v22, 1.0, v14
	v_add_f32_e32 v20, -1.0, v14
	v_add_f32_e32 v23, 1.0, v20
	s_delay_alu instid0(VALU_DEP_3) | instskip(NEXT) | instid1(VALU_DEP_1)
	v_add_f32_e32 v21, -1.0, v22
	v_sub_f32_e32 v21, v14, v21
	s_delay_alu instid0(VALU_DEP_3) | instskip(SKIP_1) | instid1(VALU_DEP_3)
	v_sub_f32_e32 v14, v14, v23
	v_cmp_neq_f32_e32 vcc_lo, 0x7f800000, v10
	v_add_f32_e32 v21, v19, v21
	s_delay_alu instid0(VALU_DEP_1) | instskip(NEXT) | instid1(VALU_DEP_1)
	v_dual_add_f32 v14, v19, v14 :: v_dual_add_f32 v23, v22, v21
	v_add_f32_e32 v24, v20, v14
	s_delay_alu instid0(VALU_DEP_2) | instskip(NEXT) | instid1(VALU_DEP_1)
	v_rcp_f32_e32 v19, v23
	v_sub_f32_e32 v20, v20, v24
	s_delay_alu instid0(TRANS32_DEP_1) | instid1(VALU_DEP_1)
	v_dual_add_f32 v14, v14, v20 :: v_dual_mul_f32 v25, v24, v19
	v_sub_f32_e32 v22, v22, v23
	s_delay_alu instid0(VALU_DEP_1) | instskip(NEXT) | instid1(VALU_DEP_1)
	v_dual_mul_f32 v26, v23, v25 :: v_dual_add_f32 v21, v21, v22
	v_fma_f32 v22, v25, v23, -v26
	s_delay_alu instid0(VALU_DEP_1) | instskip(NEXT) | instid1(VALU_DEP_1)
	v_fmac_f32_e32 v22, v25, v21
	v_add_f32_e32 v27, v26, v22
	s_delay_alu instid0(VALU_DEP_1) | instskip(SKIP_1) | instid1(VALU_DEP_2)
	v_sub_f32_e32 v28, v24, v27
	v_sub_f32_e32 v20, v27, v26
	;; [unrolled: 1-line block ×3, first 2 shown]
	s_delay_alu instid0(VALU_DEP_2) | instskip(NEXT) | instid1(VALU_DEP_2)
	v_sub_f32_e32 v20, v20, v22
	v_sub_f32_e32 v24, v24, v27
	s_delay_alu instid0(VALU_DEP_1) | instskip(NEXT) | instid1(VALU_DEP_1)
	v_add_f32_e32 v14, v14, v24
	v_add_f32_e32 v14, v20, v14
	s_delay_alu instid0(VALU_DEP_1) | instskip(NEXT) | instid1(VALU_DEP_1)
	v_add_f32_e32 v20, v28, v14
	v_mul_f32_e32 v22, v19, v20
	s_delay_alu instid0(VALU_DEP_1) | instskip(NEXT) | instid1(VALU_DEP_1)
	v_dual_sub_f32 v27, v28, v20 :: v_dual_mul_f32 v24, v23, v22
	v_add_f32_e32 v14, v14, v27
	s_delay_alu instid0(VALU_DEP_2) | instskip(NEXT) | instid1(VALU_DEP_1)
	v_fma_f32 v23, v22, v23, -v24
	v_fmac_f32_e32 v23, v22, v21
	s_delay_alu instid0(VALU_DEP_1) | instskip(NEXT) | instid1(VALU_DEP_1)
	v_add_f32_e32 v21, v24, v23
	v_sub_f32_e32 v26, v20, v21
	v_sub_f32_e32 v24, v21, v24
	s_delay_alu instid0(VALU_DEP_2) | instskip(NEXT) | instid1(VALU_DEP_1)
	v_sub_f32_e32 v20, v20, v26
	v_sub_f32_e32 v20, v20, v21
	s_delay_alu instid0(VALU_DEP_1) | instskip(SKIP_1) | instid1(VALU_DEP_1)
	v_dual_sub_f32 v21, v24, v23 :: v_dual_add_f32 v14, v14, v20
	v_add_f32_e32 v20, v25, v22
	v_dual_add_f32 v14, v21, v14 :: v_dual_sub_f32 v21, v20, v25
	s_delay_alu instid0(VALU_DEP_1) | instskip(NEXT) | instid1(VALU_DEP_1)
	v_add_f32_e32 v14, v26, v14
	v_dual_sub_f32 v21, v22, v21 :: v_dual_mul_f32 v14, v19, v14
	s_delay_alu instid0(VALU_DEP_1) | instskip(NEXT) | instid1(VALU_DEP_1)
	v_add_f32_e32 v14, v21, v14
	v_add_f32_e32 v19, v20, v14
	s_delay_alu instid0(VALU_DEP_1) | instskip(SKIP_1) | instid1(VALU_DEP_1)
	v_mul_f32_e32 v21, v19, v19
	s_wait_alu 0xfffe
	v_fmaak_f32 v22, s4, v21, 0x3ecc95a3
	v_mul_f32_e32 v23, v19, v21
	s_delay_alu instid0(VALU_DEP_2) | instskip(SKIP_2) | instid1(VALU_DEP_3)
	v_fmaak_f32 v21, v21, v22, 0x3f2aaada
	v_ldexp_f32 v22, v19, 1
	v_sub_f32_e32 v19, v19, v20
	v_mul_f32_e32 v21, v23, v21
	s_delay_alu instid0(VALU_DEP_2) | instskip(NEXT) | instid1(VALU_DEP_2)
	v_dual_mul_f32 v23, 0x3f317218, v18 :: v_dual_sub_f32 v14, v14, v19
	v_add_f32_e32 v20, v22, v21
	s_delay_alu instid0(VALU_DEP_2) | instskip(NEXT) | instid1(VALU_DEP_2)
	v_ldexp_f32 v14, v14, 1
	v_sub_f32_e32 v19, v20, v22
	s_delay_alu instid0(VALU_DEP_4) | instskip(NEXT) | instid1(VALU_DEP_1)
	v_fma_f32 v22, 0x3f317218, v18, -v23
	v_dual_sub_f32 v19, v21, v19 :: v_dual_fmamk_f32 v18, v18, 0xb102e308, v22
	s_delay_alu instid0(VALU_DEP_1) | instskip(NEXT) | instid1(VALU_DEP_1)
	v_dual_add_f32 v14, v14, v19 :: v_dual_add_f32 v19, v23, v18
	v_add_f32_e32 v21, v20, v14
	s_delay_alu instid0(VALU_DEP_2) | instskip(NEXT) | instid1(VALU_DEP_2)
	v_sub_f32_e32 v23, v19, v23
	v_add_f32_e32 v22, v19, v21
	v_sub_f32_e32 v20, v21, v20
	s_delay_alu instid0(VALU_DEP_3) | instskip(NEXT) | instid1(VALU_DEP_3)
	v_sub_f32_e32 v18, v18, v23
	v_sub_f32_e32 v24, v22, v19
	s_delay_alu instid0(VALU_DEP_3) | instskip(NEXT) | instid1(VALU_DEP_2)
	v_sub_f32_e32 v14, v14, v20
	v_sub_f32_e32 v25, v22, v24
	s_delay_alu instid0(VALU_DEP_2) | instskip(NEXT) | instid1(VALU_DEP_2)
	v_dual_sub_f32 v20, v21, v24 :: v_dual_add_f32 v21, v18, v14
	v_sub_f32_e32 v19, v19, v25
	s_delay_alu instid0(VALU_DEP_1) | instskip(NEXT) | instid1(VALU_DEP_1)
	v_dual_add_f32 v19, v20, v19 :: v_dual_sub_f32 v20, v21, v18
	v_add_f32_e32 v19, v21, v19
	s_delay_alu instid0(VALU_DEP_2) | instskip(SKIP_1) | instid1(VALU_DEP_3)
	v_sub_f32_e32 v21, v21, v20
	v_sub_f32_e32 v14, v14, v20
	v_add_f32_e32 v23, v22, v19
	s_delay_alu instid0(VALU_DEP_3) | instskip(NEXT) | instid1(VALU_DEP_2)
	v_sub_f32_e32 v18, v18, v21
	v_sub_f32_e32 v20, v23, v22
	s_delay_alu instid0(VALU_DEP_2) | instskip(NEXT) | instid1(VALU_DEP_2)
	v_add_f32_e32 v14, v14, v18
	v_sub_f32_e32 v18, v19, v20
	s_delay_alu instid0(VALU_DEP_1) | instskip(NEXT) | instid1(VALU_DEP_1)
	v_add_f32_e32 v14, v14, v18
	v_add_f32_e32 v14, v23, v14
	s_wait_alu 0xfffd
	s_delay_alu instid0(VALU_DEP_1) | instskip(SKIP_2) | instid1(VALU_DEP_2)
	v_cndmask_b32_e32 v14, 0x7f800000, v14, vcc_lo
	v_cmp_gt_f32_e64 vcc_lo, 0x33800000, |v10|
	s_wait_alu 0xfffd
	v_cndmask_b32_e32 v10, v14, v10, vcc_lo
	s_delay_alu instid0(VALU_DEP_1)
	v_add_f32_e32 v10, v13, v10
.LBB158_150:
	s_wait_alu 0xfffe
	s_or_b32 exec_lo, exec_lo, s1
	s_branch .LBB158_222
.LBB158_151:
	s_cmp_lg_u64 s[16:17], 0
	v_mov_b32_e32 v10, v6
	v_dual_mov_b32 v9, v5 :: v_dual_mov_b32 v8, v4
	v_dual_mov_b32 v7, v3 :: v_dual_mov_b32 v6, v2
	v_mov_b32_e32 v5, v1
	s_cselect_b32 s1, -1, 0
	s_wait_alu 0xfffe
	s_and_b32 s3, s3, s1
	s_delay_alu instid0(SALU_CYCLE_1)
	s_and_saveexec_b32 s1, s3
	s_cbranch_execz .LBB158_155
; %bb.152:
	v_dual_mov_b32 v5, 0 :: v_dual_max_num_f32 v6, v1, v1
	global_load_b32 v5, v5, s[12:13]
	s_wait_loadcnt 0x0
	v_max_num_f32_e32 v7, v5, v5
	v_cmp_u_f32_e32 vcc_lo, v5, v5
	s_delay_alu instid0(VALU_DEP_2) | instskip(NEXT) | instid1(VALU_DEP_1)
	v_min_num_f32_e32 v8, v7, v6
	v_dual_max_num_f32 v6, v7, v6 :: v_dual_cndmask_b32 v7, v8, v5
	s_delay_alu instid0(VALU_DEP_1) | instskip(SKIP_2) | instid1(VALU_DEP_3)
	v_cndmask_b32_e32 v8, v6, v5, vcc_lo
	v_cmp_u_f32_e32 vcc_lo, v1, v1
	s_wait_alu 0xfffd
	v_cndmask_b32_e32 v6, v7, v1, vcc_lo
	s_delay_alu instid0(VALU_DEP_3) | instskip(NEXT) | instid1(VALU_DEP_2)
	v_cndmask_b32_e32 v1, v8, v1, vcc_lo
	v_cmp_class_f32_e64 s3, v6, 0x1f8
	s_delay_alu instid0(VALU_DEP_2)
	v_cmp_neq_f32_e32 vcc_lo, v6, v1
	s_or_b32 s4, vcc_lo, s3
	s_wait_alu 0xfffe
	s_and_saveexec_b32 s3, s4
	s_cbranch_execz .LBB158_154
; %bb.153:
	v_sub_f32_e32 v5, v6, v1
	s_mov_b32 s4, 0x3e9b6dac
	s_delay_alu instid0(VALU_DEP_1) | instskip(SKIP_1) | instid1(VALU_DEP_2)
	v_mul_f32_e32 v6, 0x3fb8aa3b, v5
	v_cmp_ngt_f32_e32 vcc_lo, 0xc2ce8ed0, v5
	v_fma_f32 v7, 0x3fb8aa3b, v5, -v6
	v_rndne_f32_e32 v8, v6
	s_delay_alu instid0(VALU_DEP_1) | instskip(NEXT) | instid1(VALU_DEP_1)
	v_dual_fmamk_f32 v7, v5, 0x32a5705f, v7 :: v_dual_sub_f32 v6, v6, v8
	v_add_f32_e32 v6, v6, v7
	v_cvt_i32_f32_e32 v7, v8
	s_delay_alu instid0(VALU_DEP_2) | instskip(NEXT) | instid1(TRANS32_DEP_1)
	v_exp_f32_e32 v6, v6
	v_ldexp_f32 v6, v6, v7
	s_wait_alu 0xfffd
	s_delay_alu instid0(VALU_DEP_1) | instskip(SKIP_2) | instid1(VALU_DEP_2)
	v_cndmask_b32_e32 v6, 0, v6, vcc_lo
	v_cmp_nlt_f32_e32 vcc_lo, 0x42b17218, v5
	s_wait_alu 0xfffd
	v_cndmask_b32_e32 v7, 0x7f800000, v6, vcc_lo
	s_delay_alu instid0(VALU_DEP_1) | instskip(NEXT) | instid1(VALU_DEP_1)
	v_add_f32_e32 v8, 1.0, v7
	v_cvt_f64_f32_e32 v[5:6], v8
	s_delay_alu instid0(VALU_DEP_1) | instskip(SKIP_1) | instid1(VALU_DEP_1)
	v_frexp_exp_i32_f64_e32 v5, v[5:6]
	v_frexp_mant_f32_e32 v6, v8
	v_cmp_gt_f32_e32 vcc_lo, 0x3f2aaaab, v6
	v_add_f32_e32 v6, -1.0, v8
	s_delay_alu instid0(VALU_DEP_1) | instskip(SKIP_1) | instid1(VALU_DEP_2)
	v_sub_f32_e32 v10, v6, v8
	v_sub_f32_e32 v6, v7, v6
	v_add_f32_e32 v10, 1.0, v10
	s_delay_alu instid0(VALU_DEP_1) | instskip(SKIP_3) | instid1(VALU_DEP_2)
	v_add_f32_e32 v6, v6, v10
	s_wait_alu 0xfffd
	v_subrev_co_ci_u32_e64 v5, null, 0, v5, vcc_lo
	v_cmp_neq_f32_e32 vcc_lo, 0x7f800000, v7
	v_sub_nc_u32_e32 v9, 0, v5
	v_cvt_f32_i32_e32 v5, v5
	s_delay_alu instid0(VALU_DEP_2) | instskip(SKIP_1) | instid1(VALU_DEP_2)
	v_ldexp_f32 v8, v8, v9
	v_ldexp_f32 v6, v6, v9
	v_add_f32_e32 v13, 1.0, v8
	s_delay_alu instid0(VALU_DEP_1) | instskip(NEXT) | instid1(VALU_DEP_1)
	v_dual_add_f32 v9, -1.0, v8 :: v_dual_add_f32 v10, -1.0, v13
	v_add_f32_e32 v14, 1.0, v9
	s_delay_alu instid0(VALU_DEP_2) | instskip(NEXT) | instid1(VALU_DEP_2)
	v_sub_f32_e32 v10, v8, v10
	v_sub_f32_e32 v8, v8, v14
	s_delay_alu instid0(VALU_DEP_2) | instskip(NEXT) | instid1(VALU_DEP_2)
	v_add_f32_e32 v10, v6, v10
	v_add_f32_e32 v6, v6, v8
	s_delay_alu instid0(VALU_DEP_2) | instskip(NEXT) | instid1(VALU_DEP_2)
	v_add_f32_e32 v14, v13, v10
	v_add_f32_e32 v18, v9, v6
	s_delay_alu instid0(VALU_DEP_2) | instskip(SKIP_1) | instid1(VALU_DEP_1)
	v_rcp_f32_e32 v8, v14
	v_sub_f32_e32 v13, v13, v14
	v_dual_sub_f32 v9, v9, v18 :: v_dual_add_f32 v10, v10, v13
	s_delay_alu instid0(VALU_DEP_1) | instskip(NEXT) | instid1(TRANS32_DEP_1)
	v_add_f32_e32 v6, v6, v9
	v_mul_f32_e32 v19, v18, v8
	s_delay_alu instid0(VALU_DEP_1) | instskip(NEXT) | instid1(VALU_DEP_1)
	v_mul_f32_e32 v20, v14, v19
	v_fma_f32 v13, v19, v14, -v20
	s_delay_alu instid0(VALU_DEP_1) | instskip(NEXT) | instid1(VALU_DEP_1)
	v_fmac_f32_e32 v13, v19, v10
	v_add_f32_e32 v21, v20, v13
	s_delay_alu instid0(VALU_DEP_1) | instskip(NEXT) | instid1(VALU_DEP_1)
	v_dual_sub_f32 v22, v18, v21 :: v_dual_sub_f32 v9, v21, v20
	v_dual_sub_f32 v18, v18, v22 :: v_dual_sub_f32 v9, v9, v13
	s_delay_alu instid0(VALU_DEP_1) | instskip(NEXT) | instid1(VALU_DEP_1)
	v_sub_f32_e32 v18, v18, v21
	v_add_f32_e32 v6, v6, v18
	s_delay_alu instid0(VALU_DEP_1) | instskip(NEXT) | instid1(VALU_DEP_1)
	v_add_f32_e32 v6, v9, v6
	v_add_f32_e32 v9, v22, v6
	s_delay_alu instid0(VALU_DEP_1) | instskip(SKIP_1) | instid1(VALU_DEP_2)
	v_mul_f32_e32 v13, v8, v9
	v_sub_f32_e32 v21, v22, v9
	v_mul_f32_e32 v18, v14, v13
	s_delay_alu instid0(VALU_DEP_2) | instskip(NEXT) | instid1(VALU_DEP_2)
	v_add_f32_e32 v6, v6, v21
	v_fma_f32 v14, v13, v14, -v18
	s_delay_alu instid0(VALU_DEP_1) | instskip(NEXT) | instid1(VALU_DEP_1)
	v_fmac_f32_e32 v14, v13, v10
	v_add_f32_e32 v10, v18, v14
	s_delay_alu instid0(VALU_DEP_1) | instskip(NEXT) | instid1(VALU_DEP_1)
	v_sub_f32_e32 v20, v9, v10
	v_dual_sub_f32 v18, v10, v18 :: v_dual_sub_f32 v9, v9, v20
	s_delay_alu instid0(VALU_DEP_1) | instskip(NEXT) | instid1(VALU_DEP_2)
	v_sub_f32_e32 v9, v9, v10
	v_sub_f32_e32 v10, v18, v14
	s_delay_alu instid0(VALU_DEP_2) | instskip(NEXT) | instid1(VALU_DEP_1)
	v_add_f32_e32 v6, v6, v9
	v_dual_add_f32 v9, v19, v13 :: v_dual_add_f32 v6, v10, v6
	s_delay_alu instid0(VALU_DEP_1) | instskip(NEXT) | instid1(VALU_DEP_2)
	v_sub_f32_e32 v10, v9, v19
	v_add_f32_e32 v6, v20, v6
	s_delay_alu instid0(VALU_DEP_2) | instskip(NEXT) | instid1(VALU_DEP_2)
	v_sub_f32_e32 v10, v13, v10
	v_mul_f32_e32 v6, v8, v6
	s_delay_alu instid0(VALU_DEP_1) | instskip(NEXT) | instid1(VALU_DEP_1)
	v_add_f32_e32 v6, v10, v6
	v_add_f32_e32 v8, v9, v6
	s_delay_alu instid0(VALU_DEP_1) | instskip(SKIP_1) | instid1(VALU_DEP_1)
	v_mul_f32_e32 v10, v8, v8
	s_wait_alu 0xfffe
	v_fmaak_f32 v13, s4, v10, 0x3ecc95a3
	v_mul_f32_e32 v14, v8, v10
	s_delay_alu instid0(VALU_DEP_2) | instskip(SKIP_2) | instid1(VALU_DEP_3)
	v_fmaak_f32 v10, v10, v13, 0x3f2aaada
	v_ldexp_f32 v13, v8, 1
	v_sub_f32_e32 v8, v8, v9
	v_mul_f32_e32 v10, v14, v10
	v_mul_f32_e32 v14, 0x3f317218, v5
	s_delay_alu instid0(VALU_DEP_2) | instskip(NEXT) | instid1(VALU_DEP_1)
	v_dual_sub_f32 v6, v6, v8 :: v_dual_add_f32 v9, v13, v10
	v_ldexp_f32 v6, v6, 1
	s_delay_alu instid0(VALU_DEP_2) | instskip(NEXT) | instid1(VALU_DEP_4)
	v_sub_f32_e32 v8, v9, v13
	v_fma_f32 v13, 0x3f317218, v5, -v14
	s_delay_alu instid0(VALU_DEP_1) | instskip(NEXT) | instid1(VALU_DEP_1)
	v_dual_sub_f32 v8, v10, v8 :: v_dual_fmamk_f32 v5, v5, 0xb102e308, v13
	v_add_f32_e32 v6, v6, v8
	s_delay_alu instid0(VALU_DEP_2) | instskip(NEXT) | instid1(VALU_DEP_2)
	v_add_f32_e32 v8, v14, v5
	v_add_f32_e32 v10, v9, v6
	s_delay_alu instid0(VALU_DEP_2) | instskip(NEXT) | instid1(VALU_DEP_2)
	v_sub_f32_e32 v14, v8, v14
	v_add_f32_e32 v13, v8, v10
	v_sub_f32_e32 v9, v10, v9
	s_delay_alu instid0(VALU_DEP_3) | instskip(NEXT) | instid1(VALU_DEP_3)
	v_sub_f32_e32 v5, v5, v14
	v_sub_f32_e32 v18, v13, v8
	s_delay_alu instid0(VALU_DEP_1) | instskip(SKIP_1) | instid1(VALU_DEP_2)
	v_dual_sub_f32 v6, v6, v9 :: v_dual_sub_f32 v19, v13, v18
	v_sub_f32_e32 v9, v10, v18
	v_add_f32_e32 v10, v5, v6
	s_delay_alu instid0(VALU_DEP_3) | instskip(NEXT) | instid1(VALU_DEP_1)
	v_sub_f32_e32 v8, v8, v19
	v_dual_add_f32 v8, v9, v8 :: v_dual_sub_f32 v9, v10, v5
	s_delay_alu instid0(VALU_DEP_1) | instskip(NEXT) | instid1(VALU_DEP_2)
	v_add_f32_e32 v8, v10, v8
	v_sub_f32_e32 v10, v10, v9
	v_sub_f32_e32 v6, v6, v9
	s_delay_alu instid0(VALU_DEP_3) | instskip(NEXT) | instid1(VALU_DEP_3)
	v_add_f32_e32 v14, v13, v8
	v_sub_f32_e32 v5, v5, v10
	s_delay_alu instid0(VALU_DEP_2) | instskip(NEXT) | instid1(VALU_DEP_2)
	v_sub_f32_e32 v9, v14, v13
	v_add_f32_e32 v5, v6, v5
	s_delay_alu instid0(VALU_DEP_2) | instskip(NEXT) | instid1(VALU_DEP_1)
	v_sub_f32_e32 v6, v8, v9
	v_add_f32_e32 v5, v5, v6
	s_delay_alu instid0(VALU_DEP_1) | instskip(SKIP_1) | instid1(VALU_DEP_1)
	v_add_f32_e32 v5, v14, v5
	s_wait_alu 0xfffd
	v_cndmask_b32_e32 v5, 0x7f800000, v5, vcc_lo
	v_cmp_gt_f32_e64 vcc_lo, 0x33800000, |v7|
	s_wait_alu 0xfffd
	s_delay_alu instid0(VALU_DEP_2) | instskip(NEXT) | instid1(VALU_DEP_1)
	v_cndmask_b32_e32 v5, v5, v7, vcc_lo
	v_add_f32_e32 v5, v1, v5
.LBB158_154:
	s_or_b32 exec_lo, exec_lo, s3
	s_delay_alu instid0(VALU_DEP_1)
	v_mov_b32_e32 v1, v5
.LBB158_155:
	s_wait_alu 0xfffe
	s_or_b32 exec_lo, exec_lo, s1
	s_delay_alu instid0(VALU_DEP_1) | instskip(SKIP_3) | instid1(VALU_DEP_4)
	v_max_num_f32_e32 v14, v1, v1
	v_cmp_u_f32_e64 s6, v1, v1
	v_cmp_u_f32_e32 vcc_lo, v2, v2
	v_mov_b32_e32 v19, v1
	v_max_num_f32_e32 v13, v14, v17
	s_wait_alu 0xf1ff
	s_delay_alu instid0(VALU_DEP_1) | instskip(SKIP_1) | instid1(VALU_DEP_1)
	v_cndmask_b32_e64 v9, v13, v1, s6
	v_min_num_f32_e32 v7, v14, v17
	v_cndmask_b32_e64 v6, v7, v1, s6
	s_wait_alu 0xfffd
	s_delay_alu instid0(VALU_DEP_1) | instskip(SKIP_1) | instid1(VALU_DEP_2)
	v_cndmask_b32_e32 v8, v6, v2, vcc_lo
	v_cndmask_b32_e32 v6, v9, v2, vcc_lo
	v_cmp_class_f32_e64 s3, v8, 0x1f8
	s_delay_alu instid0(VALU_DEP_2)
	v_cmp_neq_f32_e64 s1, v8, v6
	s_or_b32 s1, s1, s3
	s_wait_alu 0xfffe
	s_and_saveexec_b32 s3, s1
	s_cbranch_execz .LBB158_157
; %bb.156:
	v_sub_f32_e32 v8, v8, v6
	s_delay_alu instid0(VALU_DEP_1) | instskip(SKIP_1) | instid1(VALU_DEP_2)
	v_mul_f32_e32 v9, 0x3fb8aa3b, v8
	v_cmp_ngt_f32_e64 s1, 0xc2ce8ed0, v8
	v_fma_f32 v10, 0x3fb8aa3b, v8, -v9
	v_rndne_f32_e32 v18, v9
	s_delay_alu instid0(VALU_DEP_1) | instskip(NEXT) | instid1(VALU_DEP_1)
	v_dual_fmamk_f32 v10, v8, 0x32a5705f, v10 :: v_dual_sub_f32 v9, v9, v18
	v_add_f32_e32 v9, v9, v10
	v_cvt_i32_f32_e32 v10, v18
	s_delay_alu instid0(VALU_DEP_2) | instskip(NEXT) | instid1(TRANS32_DEP_1)
	v_exp_f32_e32 v9, v9
	v_ldexp_f32 v9, v9, v10
	s_wait_alu 0xf1ff
	s_delay_alu instid0(VALU_DEP_1) | instskip(SKIP_2) | instid1(VALU_DEP_1)
	v_cndmask_b32_e64 v9, 0, v9, s1
	v_cmp_nlt_f32_e64 s1, 0x42b17218, v8
	s_wait_alu 0xf1ff
	v_cndmask_b32_e64 v10, 0x7f800000, v9, s1
	s_delay_alu instid0(VALU_DEP_1) | instskip(NEXT) | instid1(VALU_DEP_1)
	v_add_f32_e32 v18, 1.0, v10
	v_cvt_f64_f32_e32 v[8:9], v18
	s_delay_alu instid0(VALU_DEP_1) | instskip(SKIP_1) | instid1(VALU_DEP_1)
	v_frexp_exp_i32_f64_e32 v8, v[8:9]
	v_frexp_mant_f32_e32 v9, v18
	v_cmp_gt_f32_e64 s1, 0x3f2aaaab, v9
	v_add_f32_e32 v9, -1.0, v18
	s_delay_alu instid0(VALU_DEP_1) | instskip(NEXT) | instid1(VALU_DEP_1)
	v_dual_sub_f32 v20, v9, v18 :: v_dual_sub_f32 v9, v10, v9
	v_add_f32_e32 v20, 1.0, v20
	s_delay_alu instid0(VALU_DEP_1)
	v_add_f32_e32 v9, v9, v20
	s_wait_alu 0xf1ff
	v_subrev_co_ci_u32_e64 v8, null, 0, v8, s1
	s_mov_b32 s1, 0x3e9b6dac
	v_sub_nc_u32_e32 v19, 0, v8
	v_cvt_f32_i32_e32 v8, v8
	s_delay_alu instid0(VALU_DEP_2) | instskip(SKIP_1) | instid1(VALU_DEP_2)
	v_ldexp_f32 v18, v18, v19
	v_ldexp_f32 v9, v9, v19
	v_add_f32_e32 v21, 1.0, v18
	s_delay_alu instid0(VALU_DEP_1) | instskip(NEXT) | instid1(VALU_DEP_1)
	v_add_f32_e32 v20, -1.0, v21
	v_dual_sub_f32 v20, v18, v20 :: v_dual_add_f32 v19, -1.0, v18
	s_delay_alu instid0(VALU_DEP_1) | instskip(NEXT) | instid1(VALU_DEP_2)
	v_add_f32_e32 v20, v9, v20
	v_add_f32_e32 v22, 1.0, v19
	s_delay_alu instid0(VALU_DEP_1) | instskip(NEXT) | instid1(VALU_DEP_1)
	v_sub_f32_e32 v18, v18, v22
	v_add_f32_e32 v9, v9, v18
	s_delay_alu instid0(VALU_DEP_1) | instskip(NEXT) | instid1(VALU_DEP_1)
	v_dual_add_f32 v23, v19, v9 :: v_dual_add_f32 v22, v21, v20
	v_rcp_f32_e32 v18, v22
	v_sub_f32_e32 v21, v21, v22
	s_delay_alu instid0(VALU_DEP_1)
	v_dual_add_f32 v20, v20, v21 :: v_dual_sub_f32 v19, v19, v23
	s_delay_alu instid0(TRANS32_DEP_1) | instid1(VALU_DEP_1)
	v_dual_mul_f32 v24, v23, v18 :: v_dual_add_f32 v9, v9, v19
	s_delay_alu instid0(VALU_DEP_1) | instskip(NEXT) | instid1(VALU_DEP_1)
	v_mul_f32_e32 v25, v22, v24
	v_fma_f32 v21, v24, v22, -v25
	s_delay_alu instid0(VALU_DEP_1) | instskip(NEXT) | instid1(VALU_DEP_1)
	v_fmac_f32_e32 v21, v24, v20
	v_add_f32_e32 v26, v25, v21
	s_delay_alu instid0(VALU_DEP_1) | instskip(NEXT) | instid1(VALU_DEP_1)
	v_sub_f32_e32 v27, v23, v26
	v_sub_f32_e32 v23, v23, v27
	;; [unrolled: 1-line block ×3, first 2 shown]
	s_delay_alu instid0(VALU_DEP_2) | instskip(NEXT) | instid1(VALU_DEP_2)
	v_sub_f32_e32 v23, v23, v26
	v_sub_f32_e32 v19, v19, v21
	s_delay_alu instid0(VALU_DEP_2) | instskip(NEXT) | instid1(VALU_DEP_1)
	v_add_f32_e32 v9, v9, v23
	v_add_f32_e32 v9, v19, v9
	s_delay_alu instid0(VALU_DEP_1) | instskip(NEXT) | instid1(VALU_DEP_1)
	v_add_f32_e32 v19, v27, v9
	v_mul_f32_e32 v21, v18, v19
	s_delay_alu instid0(VALU_DEP_1) | instskip(NEXT) | instid1(VALU_DEP_1)
	v_dual_sub_f32 v26, v27, v19 :: v_dual_mul_f32 v23, v22, v21
	v_add_f32_e32 v9, v9, v26
	s_delay_alu instid0(VALU_DEP_2) | instskip(NEXT) | instid1(VALU_DEP_1)
	v_fma_f32 v22, v21, v22, -v23
	v_fmac_f32_e32 v22, v21, v20
	s_delay_alu instid0(VALU_DEP_1) | instskip(NEXT) | instid1(VALU_DEP_1)
	v_add_f32_e32 v20, v23, v22
	v_sub_f32_e32 v25, v19, v20
	v_sub_f32_e32 v23, v20, v23
	s_delay_alu instid0(VALU_DEP_2) | instskip(NEXT) | instid1(VALU_DEP_1)
	v_sub_f32_e32 v19, v19, v25
	v_sub_f32_e32 v19, v19, v20
	s_delay_alu instid0(VALU_DEP_1) | instskip(SKIP_1) | instid1(VALU_DEP_1)
	v_dual_sub_f32 v20, v23, v22 :: v_dual_add_f32 v9, v9, v19
	v_add_f32_e32 v19, v24, v21
	v_dual_add_f32 v9, v20, v9 :: v_dual_sub_f32 v20, v19, v24
	s_delay_alu instid0(VALU_DEP_1) | instskip(NEXT) | instid1(VALU_DEP_1)
	v_add_f32_e32 v9, v25, v9
	v_dual_sub_f32 v20, v21, v20 :: v_dual_mul_f32 v9, v18, v9
	s_delay_alu instid0(VALU_DEP_1) | instskip(NEXT) | instid1(VALU_DEP_1)
	v_add_f32_e32 v9, v20, v9
	v_add_f32_e32 v18, v19, v9
	s_delay_alu instid0(VALU_DEP_1) | instskip(SKIP_1) | instid1(VALU_DEP_1)
	v_mul_f32_e32 v20, v18, v18
	s_wait_alu 0xfffe
	v_fmaak_f32 v21, s1, v20, 0x3ecc95a3
	v_mul_f32_e32 v22, v18, v20
	v_cmp_neq_f32_e64 s1, 0x7f800000, v10
	s_delay_alu instid0(VALU_DEP_3) | instskip(SKIP_2) | instid1(VALU_DEP_3)
	v_fmaak_f32 v20, v20, v21, 0x3f2aaada
	v_ldexp_f32 v21, v18, 1
	v_sub_f32_e32 v18, v18, v19
	v_mul_f32_e32 v20, v22, v20
	s_delay_alu instid0(VALU_DEP_2) | instskip(NEXT) | instid1(VALU_DEP_2)
	v_dual_mul_f32 v22, 0x3f317218, v8 :: v_dual_sub_f32 v9, v9, v18
	v_add_f32_e32 v19, v21, v20
	s_delay_alu instid0(VALU_DEP_2) | instskip(NEXT) | instid1(VALU_DEP_2)
	v_ldexp_f32 v9, v9, 1
	v_sub_f32_e32 v18, v19, v21
	s_delay_alu instid0(VALU_DEP_4) | instskip(NEXT) | instid1(VALU_DEP_2)
	v_fma_f32 v21, 0x3f317218, v8, -v22
	v_sub_f32_e32 v18, v20, v18
	s_delay_alu instid0(VALU_DEP_1) | instskip(NEXT) | instid1(VALU_DEP_1)
	v_dual_fmamk_f32 v8, v8, 0xb102e308, v21 :: v_dual_add_f32 v9, v9, v18
	v_add_f32_e32 v18, v22, v8
	s_delay_alu instid0(VALU_DEP_2) | instskip(NEXT) | instid1(VALU_DEP_2)
	v_add_f32_e32 v20, v19, v9
	v_sub_f32_e32 v22, v18, v22
	s_delay_alu instid0(VALU_DEP_2) | instskip(SKIP_1) | instid1(VALU_DEP_3)
	v_add_f32_e32 v21, v18, v20
	v_sub_f32_e32 v19, v20, v19
	v_sub_f32_e32 v8, v8, v22
	s_delay_alu instid0(VALU_DEP_3) | instskip(NEXT) | instid1(VALU_DEP_3)
	v_sub_f32_e32 v23, v21, v18
	v_sub_f32_e32 v9, v9, v19
	s_delay_alu instid0(VALU_DEP_2) | instskip(SKIP_1) | instid1(VALU_DEP_3)
	v_sub_f32_e32 v24, v21, v23
	v_sub_f32_e32 v19, v20, v23
	v_add_f32_e32 v20, v8, v9
	s_delay_alu instid0(VALU_DEP_3) | instskip(NEXT) | instid1(VALU_DEP_1)
	v_sub_f32_e32 v18, v18, v24
	v_dual_add_f32 v18, v19, v18 :: v_dual_sub_f32 v19, v20, v8
	s_delay_alu instid0(VALU_DEP_1) | instskip(NEXT) | instid1(VALU_DEP_2)
	v_add_f32_e32 v18, v20, v18
	v_sub_f32_e32 v20, v20, v19
	v_sub_f32_e32 v9, v9, v19
	s_delay_alu instid0(VALU_DEP_3) | instskip(NEXT) | instid1(VALU_DEP_1)
	v_add_f32_e32 v22, v21, v18
	v_dual_sub_f32 v8, v8, v20 :: v_dual_sub_f32 v19, v22, v21
	s_delay_alu instid0(VALU_DEP_1) | instskip(NEXT) | instid1(VALU_DEP_1)
	v_dual_add_f32 v8, v9, v8 :: v_dual_sub_f32 v9, v18, v19
	v_add_f32_e32 v8, v8, v9
	s_delay_alu instid0(VALU_DEP_1) | instskip(SKIP_1) | instid1(VALU_DEP_1)
	v_add_f32_e32 v8, v22, v8
	s_wait_alu 0xf1ff
	v_cndmask_b32_e64 v8, 0x7f800000, v8, s1
	v_cmp_gt_f32_e64 s1, 0x33800000, |v10|
	s_wait_alu 0xf1ff
	s_delay_alu instid0(VALU_DEP_1) | instskip(NEXT) | instid1(VALU_DEP_1)
	v_cndmask_b32_e64 v8, v8, v10, s1
	v_add_f32_e32 v19, v6, v8
.LBB158_157:
	s_or_b32 exec_lo, exec_lo, s3
	v_max_num_f32_e32 v6, v3, v3
	s_delay_alu instid0(VALU_DEP_2) | instskip(SKIP_1) | instid1(VALU_DEP_2)
	v_max_num_f32_e32 v8, v19, v19
	v_cmp_u_f32_e64 s1, v19, v19
	v_min_num_f32_e32 v9, v8, v6
	v_max_num_f32_e32 v8, v8, v6
	s_wait_alu 0xf1ff
	s_delay_alu instid0(VALU_DEP_2) | instskip(NEXT) | instid1(VALU_DEP_2)
	v_cndmask_b32_e64 v9, v9, v19, s1
	v_cndmask_b32_e64 v8, v8, v19, s1
	v_cmp_u_f32_e64 s1, v3, v3
	s_wait_alu 0xf1ff
	s_delay_alu instid0(VALU_DEP_1) | instskip(NEXT) | instid1(VALU_DEP_3)
	v_cndmask_b32_e64 v9, v9, v3, s1
	v_cndmask_b32_e64 v8, v8, v3, s1
	s_delay_alu instid0(VALU_DEP_2) | instskip(NEXT) | instid1(VALU_DEP_2)
	v_cmp_class_f32_e64 s4, v9, 0x1f8
	v_cmp_neq_f32_e64 s3, v9, v8
	s_or_b32 s3, s3, s4
	s_delay_alu instid0(SALU_CYCLE_1)
	s_and_saveexec_b32 s4, s3
	s_cbranch_execz .LBB158_159
; %bb.158:
	v_sub_f32_e32 v9, v9, v8
	s_delay_alu instid0(VALU_DEP_1) | instskip(NEXT) | instid1(VALU_DEP_1)
	v_mul_f32_e32 v10, 0x3fb8aa3b, v9
	v_fma_f32 v18, 0x3fb8aa3b, v9, -v10
	v_rndne_f32_e32 v19, v10
	s_delay_alu instid0(VALU_DEP_1) | instskip(NEXT) | instid1(VALU_DEP_3)
	v_sub_f32_e32 v10, v10, v19
	v_fmamk_f32 v18, v9, 0x32a5705f, v18
	v_cmp_ngt_f32_e64 s3, 0xc2ce8ed0, v9
	s_delay_alu instid0(VALU_DEP_2) | instskip(SKIP_1) | instid1(VALU_DEP_2)
	v_add_f32_e32 v10, v10, v18
	v_cvt_i32_f32_e32 v18, v19
	v_exp_f32_e32 v10, v10
	s_delay_alu instid0(TRANS32_DEP_1) | instskip(NEXT) | instid1(VALU_DEP_1)
	v_ldexp_f32 v10, v10, v18
	v_cndmask_b32_e64 v10, 0, v10, s3
	v_cmp_nlt_f32_e64 s3, 0x42b17218, v9
	s_wait_alu 0xf1ff
	s_delay_alu instid0(VALU_DEP_1) | instskip(NEXT) | instid1(VALU_DEP_1)
	v_cndmask_b32_e64 v18, 0x7f800000, v10, s3
	v_add_f32_e32 v19, 1.0, v18
	s_delay_alu instid0(VALU_DEP_1) | instskip(NEXT) | instid1(VALU_DEP_1)
	v_cvt_f64_f32_e32 v[9:10], v19
	v_frexp_exp_i32_f64_e32 v9, v[9:10]
	v_frexp_mant_f32_e32 v10, v19
	s_delay_alu instid0(VALU_DEP_1) | instskip(SKIP_1) | instid1(VALU_DEP_1)
	v_cmp_gt_f32_e64 s3, 0x3f2aaaab, v10
	v_add_f32_e32 v10, -1.0, v19
	v_sub_f32_e32 v21, v10, v19
	s_delay_alu instid0(VALU_DEP_1)
	v_add_f32_e32 v21, 1.0, v21
	s_wait_alu 0xf1ff
	v_subrev_co_ci_u32_e64 v9, null, 0, v9, s3
	s_mov_b32 s3, 0x3e9b6dac
	v_sub_nc_u32_e32 v20, 0, v9
	v_cvt_f32_i32_e32 v9, v9
	s_delay_alu instid0(VALU_DEP_2) | instskip(SKIP_1) | instid1(VALU_DEP_1)
	v_ldexp_f32 v19, v19, v20
	v_sub_f32_e32 v10, v18, v10
	v_add_f32_e32 v10, v10, v21
	s_delay_alu instid0(VALU_DEP_1) | instskip(NEXT) | instid1(VALU_DEP_4)
	v_ldexp_f32 v10, v10, v20
	v_add_f32_e32 v20, -1.0, v19
	s_delay_alu instid0(VALU_DEP_1) | instskip(NEXT) | instid1(VALU_DEP_1)
	v_dual_add_f32 v22, 1.0, v19 :: v_dual_add_f32 v23, 1.0, v20
	v_add_f32_e32 v21, -1.0, v22
	s_delay_alu instid0(VALU_DEP_1) | instskip(NEXT) | instid1(VALU_DEP_3)
	v_sub_f32_e32 v21, v19, v21
	v_sub_f32_e32 v19, v19, v23
	s_delay_alu instid0(VALU_DEP_2) | instskip(NEXT) | instid1(VALU_DEP_2)
	v_add_f32_e32 v21, v10, v21
	v_add_f32_e32 v10, v10, v19
	s_delay_alu instid0(VALU_DEP_1) | instskip(NEXT) | instid1(VALU_DEP_1)
	v_dual_add_f32 v23, v22, v21 :: v_dual_add_f32 v24, v20, v10
	v_rcp_f32_e32 v19, v23
	v_sub_f32_e32 v22, v22, v23
	s_delay_alu instid0(VALU_DEP_1)
	v_dual_sub_f32 v20, v20, v24 :: v_dual_add_f32 v21, v21, v22
	s_delay_alu instid0(TRANS32_DEP_1) | instid1(VALU_DEP_1)
	v_dual_add_f32 v10, v10, v20 :: v_dual_mul_f32 v25, v24, v19
	s_delay_alu instid0(VALU_DEP_1) | instskip(NEXT) | instid1(VALU_DEP_1)
	v_mul_f32_e32 v26, v23, v25
	v_fma_f32 v22, v25, v23, -v26
	s_delay_alu instid0(VALU_DEP_1) | instskip(NEXT) | instid1(VALU_DEP_1)
	v_fmac_f32_e32 v22, v25, v21
	v_add_f32_e32 v27, v26, v22
	s_delay_alu instid0(VALU_DEP_1) | instskip(NEXT) | instid1(VALU_DEP_1)
	v_sub_f32_e32 v28, v24, v27
	v_sub_f32_e32 v24, v24, v28
	;; [unrolled: 1-line block ×3, first 2 shown]
	s_delay_alu instid0(VALU_DEP_2) | instskip(NEXT) | instid1(VALU_DEP_2)
	v_sub_f32_e32 v24, v24, v27
	v_sub_f32_e32 v20, v20, v22
	s_delay_alu instid0(VALU_DEP_2) | instskip(NEXT) | instid1(VALU_DEP_1)
	v_add_f32_e32 v10, v10, v24
	v_add_f32_e32 v10, v20, v10
	s_delay_alu instid0(VALU_DEP_1) | instskip(NEXT) | instid1(VALU_DEP_1)
	v_add_f32_e32 v20, v28, v10
	v_mul_f32_e32 v22, v19, v20
	s_delay_alu instid0(VALU_DEP_1) | instskip(NEXT) | instid1(VALU_DEP_1)
	v_mul_f32_e32 v24, v23, v22
	v_fma_f32 v23, v22, v23, -v24
	s_delay_alu instid0(VALU_DEP_1) | instskip(SKIP_1) | instid1(VALU_DEP_2)
	v_fmac_f32_e32 v23, v22, v21
	v_sub_f32_e32 v27, v28, v20
	v_add_f32_e32 v21, v24, v23
	s_delay_alu instid0(VALU_DEP_2) | instskip(NEXT) | instid1(VALU_DEP_2)
	v_add_f32_e32 v10, v10, v27
	v_sub_f32_e32 v26, v20, v21
	v_sub_f32_e32 v24, v21, v24
	s_delay_alu instid0(VALU_DEP_2) | instskip(NEXT) | instid1(VALU_DEP_1)
	v_sub_f32_e32 v20, v20, v26
	v_sub_f32_e32 v20, v20, v21
	s_delay_alu instid0(VALU_DEP_1) | instskip(SKIP_1) | instid1(VALU_DEP_1)
	v_dual_sub_f32 v21, v24, v23 :: v_dual_add_f32 v10, v10, v20
	v_add_f32_e32 v20, v25, v22
	v_dual_add_f32 v10, v21, v10 :: v_dual_sub_f32 v21, v20, v25
	s_delay_alu instid0(VALU_DEP_1) | instskip(NEXT) | instid1(VALU_DEP_1)
	v_add_f32_e32 v10, v26, v10
	v_dual_sub_f32 v21, v22, v21 :: v_dual_mul_f32 v10, v19, v10
	s_delay_alu instid0(VALU_DEP_1) | instskip(NEXT) | instid1(VALU_DEP_1)
	v_add_f32_e32 v10, v21, v10
	v_add_f32_e32 v19, v20, v10
	s_delay_alu instid0(VALU_DEP_1) | instskip(SKIP_1) | instid1(VALU_DEP_1)
	v_mul_f32_e32 v21, v19, v19
	s_wait_alu 0xfffe
	v_fmaak_f32 v22, s3, v21, 0x3ecc95a3
	v_mul_f32_e32 v23, v19, v21
	v_cmp_neq_f32_e64 s3, 0x7f800000, v18
	s_delay_alu instid0(VALU_DEP_3) | instskip(SKIP_2) | instid1(VALU_DEP_3)
	v_fmaak_f32 v21, v21, v22, 0x3f2aaada
	v_ldexp_f32 v22, v19, 1
	v_sub_f32_e32 v19, v19, v20
	v_mul_f32_e32 v21, v23, v21
	s_delay_alu instid0(VALU_DEP_2) | instskip(NEXT) | instid1(VALU_DEP_2)
	v_dual_mul_f32 v23, 0x3f317218, v9 :: v_dual_sub_f32 v10, v10, v19
	v_add_f32_e32 v20, v22, v21
	s_delay_alu instid0(VALU_DEP_2) | instskip(NEXT) | instid1(VALU_DEP_2)
	v_ldexp_f32 v10, v10, 1
	v_sub_f32_e32 v19, v20, v22
	s_delay_alu instid0(VALU_DEP_4) | instskip(NEXT) | instid1(VALU_DEP_2)
	v_fma_f32 v22, 0x3f317218, v9, -v23
	v_sub_f32_e32 v19, v21, v19
	s_delay_alu instid0(VALU_DEP_1) | instskip(NEXT) | instid1(VALU_DEP_1)
	v_dual_fmamk_f32 v9, v9, 0xb102e308, v22 :: v_dual_add_f32 v10, v10, v19
	v_add_f32_e32 v19, v23, v9
	s_delay_alu instid0(VALU_DEP_2) | instskip(NEXT) | instid1(VALU_DEP_2)
	v_add_f32_e32 v21, v20, v10
	v_sub_f32_e32 v23, v19, v23
	s_delay_alu instid0(VALU_DEP_2) | instskip(SKIP_1) | instid1(VALU_DEP_3)
	v_add_f32_e32 v22, v19, v21
	v_sub_f32_e32 v20, v21, v20
	v_sub_f32_e32 v9, v9, v23
	s_delay_alu instid0(VALU_DEP_3) | instskip(NEXT) | instid1(VALU_DEP_3)
	v_sub_f32_e32 v24, v22, v19
	v_sub_f32_e32 v10, v10, v20
	s_delay_alu instid0(VALU_DEP_2) | instskip(SKIP_1) | instid1(VALU_DEP_3)
	v_sub_f32_e32 v25, v22, v24
	v_sub_f32_e32 v20, v21, v24
	v_add_f32_e32 v21, v9, v10
	s_delay_alu instid0(VALU_DEP_3) | instskip(NEXT) | instid1(VALU_DEP_1)
	v_sub_f32_e32 v19, v19, v25
	v_dual_add_f32 v19, v20, v19 :: v_dual_sub_f32 v20, v21, v9
	s_delay_alu instid0(VALU_DEP_1) | instskip(NEXT) | instid1(VALU_DEP_2)
	v_add_f32_e32 v19, v21, v19
	v_sub_f32_e32 v21, v21, v20
	v_sub_f32_e32 v10, v10, v20
	s_delay_alu instid0(VALU_DEP_3) | instskip(NEXT) | instid1(VALU_DEP_1)
	v_add_f32_e32 v23, v22, v19
	v_dual_sub_f32 v9, v9, v21 :: v_dual_sub_f32 v20, v23, v22
	s_delay_alu instid0(VALU_DEP_1) | instskip(NEXT) | instid1(VALU_DEP_1)
	v_dual_add_f32 v9, v10, v9 :: v_dual_sub_f32 v10, v19, v20
	v_add_f32_e32 v9, v9, v10
	s_delay_alu instid0(VALU_DEP_1) | instskip(SKIP_1) | instid1(VALU_DEP_1)
	v_add_f32_e32 v9, v23, v9
	s_wait_alu 0xf1ff
	v_cndmask_b32_e64 v9, 0x7f800000, v9, s3
	v_cmp_gt_f32_e64 s3, 0x33800000, |v18|
	s_wait_alu 0xf1ff
	s_delay_alu instid0(VALU_DEP_1) | instskip(NEXT) | instid1(VALU_DEP_1)
	v_cndmask_b32_e64 v9, v9, v18, s3
	v_add_f32_e32 v19, v8, v9
.LBB158_159:
	s_wait_alu 0xfffe
	s_or_b32 exec_lo, exec_lo, s4
	s_delay_alu instid0(VALU_DEP_1) | instskip(SKIP_1) | instid1(VALU_DEP_2)
	v_dual_max_num_f32 v8, v4, v4 :: v_dual_max_num_f32 v9, v19, v19
	v_cmp_u_f32_e64 s3, v19, v19
	v_min_num_f32_e32 v10, v9, v8
	v_max_num_f32_e32 v9, v9, v8
	s_wait_alu 0xf1ff
	s_delay_alu instid0(VALU_DEP_2) | instskip(NEXT) | instid1(VALU_DEP_2)
	v_cndmask_b32_e64 v10, v10, v19, s3
	v_cndmask_b32_e64 v9, v9, v19, s3
	v_cmp_u_f32_e64 s3, v4, v4
	s_wait_alu 0xf1ff
	s_delay_alu instid0(VALU_DEP_1) | instskip(NEXT) | instid1(VALU_DEP_3)
	v_cndmask_b32_e64 v10, v10, v4, s3
	v_cndmask_b32_e64 v9, v9, v4, s3
	s_delay_alu instid0(VALU_DEP_2) | instskip(NEXT) | instid1(VALU_DEP_2)
	v_cmp_class_f32_e64 s5, v10, 0x1f8
	v_cmp_neq_f32_e64 s4, v10, v9
	s_or_b32 s4, s4, s5
	s_wait_alu 0xfffe
	s_and_saveexec_b32 s5, s4
	s_cbranch_execz .LBB158_161
; %bb.160:
	v_sub_f32_e32 v10, v10, v9
	s_delay_alu instid0(VALU_DEP_1) | instskip(SKIP_1) | instid1(VALU_DEP_2)
	v_mul_f32_e32 v18, 0x3fb8aa3b, v10
	v_cmp_ngt_f32_e64 s4, 0xc2ce8ed0, v10
	v_fma_f32 v19, 0x3fb8aa3b, v10, -v18
	v_rndne_f32_e32 v20, v18
	s_delay_alu instid0(VALU_DEP_2) | instskip(NEXT) | instid1(VALU_DEP_2)
	v_fmamk_f32 v19, v10, 0x32a5705f, v19
	v_sub_f32_e32 v18, v18, v20
	s_delay_alu instid0(VALU_DEP_1) | instskip(SKIP_1) | instid1(VALU_DEP_2)
	v_add_f32_e32 v18, v18, v19
	v_cvt_i32_f32_e32 v19, v20
	v_exp_f32_e32 v18, v18
	s_delay_alu instid0(TRANS32_DEP_1) | instskip(SKIP_1) | instid1(VALU_DEP_1)
	v_ldexp_f32 v18, v18, v19
	s_wait_alu 0xf1ff
	v_cndmask_b32_e64 v18, 0, v18, s4
	v_cmp_nlt_f32_e64 s4, 0x42b17218, v10
	s_wait_alu 0xf1ff
	s_delay_alu instid0(VALU_DEP_1) | instskip(NEXT) | instid1(VALU_DEP_1)
	v_cndmask_b32_e64 v10, 0x7f800000, v18, s4
	v_add_f32_e32 v20, 1.0, v10
	s_delay_alu instid0(VALU_DEP_1) | instskip(NEXT) | instid1(VALU_DEP_1)
	v_cvt_f64_f32_e32 v[18:19], v20
	v_frexp_exp_i32_f64_e32 v18, v[18:19]
	v_frexp_mant_f32_e32 v19, v20
	s_delay_alu instid0(VALU_DEP_1) | instskip(SKIP_1) | instid1(VALU_DEP_1)
	v_cmp_gt_f32_e64 s4, 0x3f2aaaab, v19
	v_add_f32_e32 v19, -1.0, v20
	v_dual_sub_f32 v22, v19, v20 :: v_dual_sub_f32 v19, v10, v19
	s_wait_alu 0xf1ff
	s_delay_alu instid0(VALU_DEP_3) | instskip(SKIP_3) | instid1(VALU_DEP_2)
	v_subrev_co_ci_u32_e64 v18, null, 0, v18, s4
	s_mov_b32 s4, 0x3e9b6dac
	v_sub_nc_u32_e32 v21, 0, v18
	v_cvt_f32_i32_e32 v18, v18
	v_ldexp_f32 v20, v20, v21
	s_delay_alu instid0(VALU_DEP_1) | instskip(NEXT) | instid1(VALU_DEP_1)
	v_dual_add_f32 v22, 1.0, v22 :: v_dual_add_f32 v23, 1.0, v20
	v_add_f32_e32 v19, v19, v22
	s_delay_alu instid0(VALU_DEP_1) | instskip(NEXT) | instid1(VALU_DEP_3)
	v_ldexp_f32 v19, v19, v21
	v_dual_add_f32 v21, -1.0, v20 :: v_dual_add_f32 v22, -1.0, v23
	s_delay_alu instid0(VALU_DEP_1) | instskip(NEXT) | instid1(VALU_DEP_2)
	v_add_f32_e32 v24, 1.0, v21
	v_sub_f32_e32 v22, v20, v22
	s_delay_alu instid0(VALU_DEP_2) | instskip(NEXT) | instid1(VALU_DEP_2)
	v_sub_f32_e32 v20, v20, v24
	v_add_f32_e32 v22, v19, v22
	s_delay_alu instid0(VALU_DEP_2) | instskip(NEXT) | instid1(VALU_DEP_1)
	v_add_f32_e32 v19, v19, v20
	v_dual_add_f32 v25, v21, v19 :: v_dual_add_f32 v24, v23, v22
	s_delay_alu instid0(VALU_DEP_1) | instskip(NEXT) | instid1(VALU_DEP_2)
	v_sub_f32_e32 v21, v21, v25
	v_rcp_f32_e32 v20, v24
	v_sub_f32_e32 v23, v23, v24
	s_delay_alu instid0(VALU_DEP_1) | instskip(NEXT) | instid1(TRANS32_DEP_1)
	v_dual_add_f32 v19, v19, v21 :: v_dual_add_f32 v22, v22, v23
	v_mul_f32_e32 v26, v25, v20
	s_delay_alu instid0(VALU_DEP_1) | instskip(NEXT) | instid1(VALU_DEP_1)
	v_mul_f32_e32 v27, v24, v26
	v_fma_f32 v23, v26, v24, -v27
	s_delay_alu instid0(VALU_DEP_1) | instskip(NEXT) | instid1(VALU_DEP_1)
	v_fmac_f32_e32 v23, v26, v22
	v_add_f32_e32 v28, v27, v23
	s_delay_alu instid0(VALU_DEP_1) | instskip(SKIP_1) | instid1(VALU_DEP_2)
	v_sub_f32_e32 v29, v25, v28
	v_sub_f32_e32 v21, v28, v27
	;; [unrolled: 1-line block ×3, first 2 shown]
	s_delay_alu instid0(VALU_DEP_2) | instskip(NEXT) | instid1(VALU_DEP_2)
	v_sub_f32_e32 v21, v21, v23
	v_sub_f32_e32 v25, v25, v28
	s_delay_alu instid0(VALU_DEP_1) | instskip(NEXT) | instid1(VALU_DEP_1)
	v_add_f32_e32 v19, v19, v25
	v_add_f32_e32 v19, v21, v19
	s_delay_alu instid0(VALU_DEP_1) | instskip(NEXT) | instid1(VALU_DEP_1)
	v_add_f32_e32 v21, v29, v19
	v_mul_f32_e32 v23, v20, v21
	s_delay_alu instid0(VALU_DEP_1) | instskip(NEXT) | instid1(VALU_DEP_1)
	v_dual_sub_f32 v28, v29, v21 :: v_dual_mul_f32 v25, v24, v23
	v_add_f32_e32 v19, v19, v28
	s_delay_alu instid0(VALU_DEP_2) | instskip(NEXT) | instid1(VALU_DEP_1)
	v_fma_f32 v24, v23, v24, -v25
	v_fmac_f32_e32 v24, v23, v22
	s_delay_alu instid0(VALU_DEP_1) | instskip(NEXT) | instid1(VALU_DEP_1)
	v_add_f32_e32 v22, v25, v24
	v_sub_f32_e32 v27, v21, v22
	s_delay_alu instid0(VALU_DEP_1) | instskip(NEXT) | instid1(VALU_DEP_1)
	v_sub_f32_e32 v21, v21, v27
	v_sub_f32_e32 v21, v21, v22
	s_delay_alu instid0(VALU_DEP_1) | instskip(SKIP_2) | instid1(VALU_DEP_1)
	v_add_f32_e32 v19, v19, v21
	v_add_f32_e32 v21, v26, v23
	v_sub_f32_e32 v25, v22, v25
	v_sub_f32_e32 v22, v25, v24
	s_delay_alu instid0(VALU_DEP_1) | instskip(NEXT) | instid1(VALU_DEP_1)
	v_dual_add_f32 v19, v22, v19 :: v_dual_sub_f32 v22, v21, v26
	v_add_f32_e32 v19, v27, v19
	s_delay_alu instid0(VALU_DEP_1) | instskip(NEXT) | instid1(VALU_DEP_1)
	v_dual_sub_f32 v22, v23, v22 :: v_dual_mul_f32 v19, v20, v19
	v_add_f32_e32 v19, v22, v19
	s_delay_alu instid0(VALU_DEP_1) | instskip(NEXT) | instid1(VALU_DEP_1)
	v_add_f32_e32 v20, v21, v19
	v_mul_f32_e32 v22, v20, v20
	s_wait_alu 0xfffe
	s_delay_alu instid0(VALU_DEP_1) | instskip(SKIP_2) | instid1(VALU_DEP_3)
	v_fmaak_f32 v23, s4, v22, 0x3ecc95a3
	v_mul_f32_e32 v24, v20, v22
	v_cmp_neq_f32_e64 s4, 0x7f800000, v10
	v_fmaak_f32 v22, v22, v23, 0x3f2aaada
	v_ldexp_f32 v23, v20, 1
	v_sub_f32_e32 v20, v20, v21
	s_delay_alu instid0(VALU_DEP_3) | instskip(NEXT) | instid1(VALU_DEP_2)
	v_mul_f32_e32 v22, v24, v22
	v_dual_mul_f32 v24, 0x3f317218, v18 :: v_dual_sub_f32 v19, v19, v20
	s_delay_alu instid0(VALU_DEP_2) | instskip(NEXT) | instid1(VALU_DEP_2)
	v_add_f32_e32 v21, v23, v22
	v_ldexp_f32 v19, v19, 1
	s_delay_alu instid0(VALU_DEP_2) | instskip(NEXT) | instid1(VALU_DEP_4)
	v_sub_f32_e32 v20, v21, v23
	v_fma_f32 v23, 0x3f317218, v18, -v24
	s_delay_alu instid0(VALU_DEP_2) | instskip(NEXT) | instid1(VALU_DEP_1)
	v_sub_f32_e32 v20, v22, v20
	v_dual_fmamk_f32 v18, v18, 0xb102e308, v23 :: v_dual_add_f32 v19, v19, v20
	s_delay_alu instid0(VALU_DEP_1) | instskip(NEXT) | instid1(VALU_DEP_1)
	v_add_f32_e32 v20, v24, v18
	v_sub_f32_e32 v24, v20, v24
	s_delay_alu instid0(VALU_DEP_1) | instskip(NEXT) | instid1(VALU_DEP_4)
	v_sub_f32_e32 v18, v18, v24
	v_add_f32_e32 v22, v21, v19
	s_delay_alu instid0(VALU_DEP_1) | instskip(NEXT) | instid1(VALU_DEP_1)
	v_sub_f32_e32 v21, v22, v21
	v_sub_f32_e32 v19, v19, v21
	v_add_f32_e32 v23, v20, v22
	s_delay_alu instid0(VALU_DEP_1) | instskip(NEXT) | instid1(VALU_DEP_1)
	v_sub_f32_e32 v25, v23, v20
	v_sub_f32_e32 v21, v22, v25
	s_delay_alu instid0(VALU_DEP_4) | instskip(SKIP_1) | instid1(VALU_DEP_1)
	v_add_f32_e32 v22, v18, v19
	v_sub_f32_e32 v26, v23, v25
	v_sub_f32_e32 v20, v20, v26
	s_delay_alu instid0(VALU_DEP_1) | instskip(NEXT) | instid1(VALU_DEP_1)
	v_dual_add_f32 v20, v21, v20 :: v_dual_sub_f32 v21, v22, v18
	v_dual_add_f32 v20, v22, v20 :: v_dual_sub_f32 v19, v19, v21
	v_sub_f32_e32 v22, v22, v21
	s_delay_alu instid0(VALU_DEP_2) | instskip(NEXT) | instid1(VALU_DEP_1)
	v_add_f32_e32 v24, v23, v20
	v_dual_sub_f32 v18, v18, v22 :: v_dual_sub_f32 v21, v24, v23
	s_delay_alu instid0(VALU_DEP_1) | instskip(NEXT) | instid1(VALU_DEP_1)
	v_dual_add_f32 v18, v19, v18 :: v_dual_sub_f32 v19, v20, v21
	v_add_f32_e32 v18, v18, v19
	s_delay_alu instid0(VALU_DEP_1) | instskip(SKIP_1) | instid1(VALU_DEP_1)
	v_add_f32_e32 v18, v24, v18
	s_wait_alu 0xf1ff
	v_cndmask_b32_e64 v18, 0x7f800000, v18, s4
	v_cmp_gt_f32_e64 s4, 0x33800000, |v10|
	s_wait_alu 0xf1ff
	s_delay_alu instid0(VALU_DEP_1) | instskip(NEXT) | instid1(VALU_DEP_1)
	v_cndmask_b32_e64 v10, v18, v10, s4
	v_add_f32_e32 v19, v9, v10
.LBB158_161:
	s_wait_alu 0xfffe
	s_or_b32 exec_lo, exec_lo, s5
	v_max_num_f32_e32 v9, v11, v11
	s_delay_alu instid0(VALU_DEP_2) | instskip(SKIP_1) | instid1(VALU_DEP_2)
	v_max_num_f32_e32 v10, v19, v19
	v_cmp_u_f32_e64 s4, v19, v19
	v_min_num_f32_e32 v18, v10, v9
	v_max_num_f32_e32 v10, v10, v9
	s_wait_alu 0xf1ff
	s_delay_alu instid0(VALU_DEP_2) | instskip(NEXT) | instid1(VALU_DEP_2)
	v_cndmask_b32_e64 v18, v18, v19, s4
	v_cndmask_b32_e64 v10, v10, v19, s4
	v_cmp_u_f32_e64 s4, v11, v11
	s_wait_alu 0xf1ff
	s_delay_alu instid0(VALU_DEP_1) | instskip(NEXT) | instid1(VALU_DEP_3)
	v_cndmask_b32_e64 v18, v18, v11, s4
	v_cndmask_b32_e64 v10, v10, v11, s4
	s_delay_alu instid0(VALU_DEP_2) | instskip(NEXT) | instid1(VALU_DEP_2)
	v_cmp_class_f32_e64 s7, v18, 0x1f8
	v_cmp_neq_f32_e64 s5, v18, v10
	s_or_b32 s5, s5, s7
	s_wait_alu 0xfffe
	s_and_saveexec_b32 s7, s5
	s_cbranch_execz .LBB158_163
; %bb.162:
	v_sub_f32_e32 v18, v18, v10
	s_delay_alu instid0(VALU_DEP_1) | instskip(NEXT) | instid1(VALU_DEP_1)
	v_mul_f32_e32 v19, 0x3fb8aa3b, v18
	v_fma_f32 v20, 0x3fb8aa3b, v18, -v19
	v_rndne_f32_e32 v21, v19
	s_delay_alu instid0(VALU_DEP_1) | instskip(SKIP_1) | instid1(VALU_DEP_2)
	v_dual_sub_f32 v19, v19, v21 :: v_dual_fmamk_f32 v20, v18, 0x32a5705f, v20
	v_cmp_ngt_f32_e64 s5, 0xc2ce8ed0, v18
	v_add_f32_e32 v19, v19, v20
	v_cvt_i32_f32_e32 v20, v21
	s_delay_alu instid0(VALU_DEP_2) | instskip(NEXT) | instid1(TRANS32_DEP_1)
	v_exp_f32_e32 v19, v19
	v_ldexp_f32 v19, v19, v20
	s_wait_alu 0xf1ff
	s_delay_alu instid0(VALU_DEP_1) | instskip(SKIP_2) | instid1(VALU_DEP_1)
	v_cndmask_b32_e64 v19, 0, v19, s5
	v_cmp_nlt_f32_e64 s5, 0x42b17218, v18
	s_wait_alu 0xf1ff
	v_cndmask_b32_e64 v20, 0x7f800000, v19, s5
	s_delay_alu instid0(VALU_DEP_1) | instskip(NEXT) | instid1(VALU_DEP_1)
	v_add_f32_e32 v21, 1.0, v20
	v_cvt_f64_f32_e32 v[18:19], v21
	s_delay_alu instid0(VALU_DEP_1) | instskip(SKIP_1) | instid1(VALU_DEP_1)
	v_frexp_exp_i32_f64_e32 v18, v[18:19]
	v_frexp_mant_f32_e32 v19, v21
	v_cmp_gt_f32_e64 s5, 0x3f2aaaab, v19
	v_add_f32_e32 v19, -1.0, v21
	s_delay_alu instid0(VALU_DEP_1)
	v_sub_f32_e32 v23, v19, v21
	v_sub_f32_e32 v19, v20, v19
	s_wait_alu 0xf1ff
	v_subrev_co_ci_u32_e64 v18, null, 0, v18, s5
	s_mov_b32 s5, 0x3e9b6dac
	v_sub_nc_u32_e32 v22, 0, v18
	v_cvt_f32_i32_e32 v18, v18
	s_delay_alu instid0(VALU_DEP_2) | instskip(NEXT) | instid1(VALU_DEP_1)
	v_ldexp_f32 v21, v21, v22
	v_dual_add_f32 v24, 1.0, v21 :: v_dual_add_f32 v23, 1.0, v23
	s_delay_alu instid0(VALU_DEP_1) | instskip(NEXT) | instid1(VALU_DEP_2)
	v_add_f32_e32 v19, v19, v23
	v_add_f32_e32 v23, -1.0, v24
	s_delay_alu instid0(VALU_DEP_2) | instskip(NEXT) | instid1(VALU_DEP_2)
	v_ldexp_f32 v19, v19, v22
	v_dual_add_f32 v22, -1.0, v21 :: v_dual_sub_f32 v23, v21, v23
	s_delay_alu instid0(VALU_DEP_1) | instskip(NEXT) | instid1(VALU_DEP_2)
	v_add_f32_e32 v25, 1.0, v22
	v_add_f32_e32 v23, v19, v23
	s_delay_alu instid0(VALU_DEP_2) | instskip(NEXT) | instid1(VALU_DEP_2)
	v_sub_f32_e32 v21, v21, v25
	v_add_f32_e32 v25, v24, v23
	s_delay_alu instid0(VALU_DEP_2) | instskip(NEXT) | instid1(VALU_DEP_2)
	v_add_f32_e32 v19, v19, v21
	v_rcp_f32_e32 v21, v25
	v_sub_f32_e32 v24, v24, v25
	s_delay_alu instid0(VALU_DEP_1) | instskip(NEXT) | instid1(VALU_DEP_1)
	v_dual_add_f32 v26, v22, v19 :: v_dual_add_f32 v23, v23, v24
	v_sub_f32_e32 v22, v22, v26
	s_delay_alu instid0(TRANS32_DEP_1) | instskip(NEXT) | instid1(VALU_DEP_1)
	v_mul_f32_e32 v27, v26, v21
	v_dual_add_f32 v19, v19, v22 :: v_dual_mul_f32 v28, v25, v27
	s_delay_alu instid0(VALU_DEP_1) | instskip(NEXT) | instid1(VALU_DEP_1)
	v_fma_f32 v24, v27, v25, -v28
	v_fmac_f32_e32 v24, v27, v23
	s_delay_alu instid0(VALU_DEP_1) | instskip(NEXT) | instid1(VALU_DEP_1)
	v_add_f32_e32 v29, v28, v24
	v_sub_f32_e32 v30, v26, v29
	v_sub_f32_e32 v22, v29, v28
	s_delay_alu instid0(VALU_DEP_2) | instskip(NEXT) | instid1(VALU_DEP_2)
	v_sub_f32_e32 v26, v26, v30
	v_sub_f32_e32 v22, v22, v24
	s_delay_alu instid0(VALU_DEP_2) | instskip(NEXT) | instid1(VALU_DEP_1)
	v_sub_f32_e32 v26, v26, v29
	v_add_f32_e32 v19, v19, v26
	s_delay_alu instid0(VALU_DEP_1) | instskip(NEXT) | instid1(VALU_DEP_1)
	v_add_f32_e32 v19, v22, v19
	v_add_f32_e32 v22, v30, v19
	s_delay_alu instid0(VALU_DEP_1) | instskip(NEXT) | instid1(VALU_DEP_1)
	v_mul_f32_e32 v24, v21, v22
	v_dual_sub_f32 v29, v30, v22 :: v_dual_mul_f32 v26, v25, v24
	s_delay_alu instid0(VALU_DEP_1) | instskip(NEXT) | instid1(VALU_DEP_2)
	v_add_f32_e32 v19, v19, v29
	v_fma_f32 v25, v24, v25, -v26
	s_delay_alu instid0(VALU_DEP_1) | instskip(NEXT) | instid1(VALU_DEP_1)
	v_fmac_f32_e32 v25, v24, v23
	v_add_f32_e32 v23, v26, v25
	s_delay_alu instid0(VALU_DEP_1) | instskip(SKIP_1) | instid1(VALU_DEP_2)
	v_sub_f32_e32 v28, v22, v23
	v_sub_f32_e32 v26, v23, v26
	;; [unrolled: 1-line block ×3, first 2 shown]
	s_delay_alu instid0(VALU_DEP_1) | instskip(NEXT) | instid1(VALU_DEP_3)
	v_sub_f32_e32 v22, v22, v23
	v_sub_f32_e32 v23, v26, v25
	s_delay_alu instid0(VALU_DEP_2) | instskip(SKIP_1) | instid1(VALU_DEP_2)
	v_add_f32_e32 v19, v19, v22
	v_add_f32_e32 v22, v27, v24
	v_add_f32_e32 v19, v23, v19
	s_delay_alu instid0(VALU_DEP_2) | instskip(NEXT) | instid1(VALU_DEP_2)
	v_sub_f32_e32 v23, v22, v27
	v_add_f32_e32 v19, v28, v19
	s_delay_alu instid0(VALU_DEP_2) | instskip(NEXT) | instid1(VALU_DEP_2)
	v_sub_f32_e32 v23, v24, v23
	v_mul_f32_e32 v19, v21, v19
	s_delay_alu instid0(VALU_DEP_1) | instskip(NEXT) | instid1(VALU_DEP_1)
	v_add_f32_e32 v19, v23, v19
	v_add_f32_e32 v21, v22, v19
	s_delay_alu instid0(VALU_DEP_1) | instskip(SKIP_1) | instid1(VALU_DEP_1)
	v_mul_f32_e32 v23, v21, v21
	s_wait_alu 0xfffe
	v_fmaak_f32 v24, s5, v23, 0x3ecc95a3
	v_mul_f32_e32 v25, v21, v23
	v_cmp_neq_f32_e64 s5, 0x7f800000, v20
	s_delay_alu instid0(VALU_DEP_3) | instskip(SKIP_2) | instid1(VALU_DEP_3)
	v_fmaak_f32 v23, v23, v24, 0x3f2aaada
	v_ldexp_f32 v24, v21, 1
	v_sub_f32_e32 v21, v21, v22
	v_mul_f32_e32 v23, v25, v23
	v_mul_f32_e32 v25, 0x3f317218, v18
	s_delay_alu instid0(VALU_DEP_2) | instskip(NEXT) | instid1(VALU_DEP_1)
	v_dual_sub_f32 v19, v19, v21 :: v_dual_add_f32 v22, v24, v23
	v_ldexp_f32 v19, v19, 1
	s_delay_alu instid0(VALU_DEP_2) | instskip(NEXT) | instid1(VALU_DEP_4)
	v_sub_f32_e32 v21, v22, v24
	v_fma_f32 v24, 0x3f317218, v18, -v25
	s_delay_alu instid0(VALU_DEP_1) | instskip(NEXT) | instid1(VALU_DEP_1)
	v_dual_sub_f32 v21, v23, v21 :: v_dual_fmamk_f32 v18, v18, 0xb102e308, v24
	v_add_f32_e32 v19, v19, v21
	s_delay_alu instid0(VALU_DEP_2) | instskip(NEXT) | instid1(VALU_DEP_2)
	v_add_f32_e32 v21, v25, v18
	v_add_f32_e32 v23, v22, v19
	s_delay_alu instid0(VALU_DEP_2) | instskip(NEXT) | instid1(VALU_DEP_2)
	v_sub_f32_e32 v25, v21, v25
	v_add_f32_e32 v24, v21, v23
	v_sub_f32_e32 v22, v23, v22
	s_delay_alu instid0(VALU_DEP_3) | instskip(NEXT) | instid1(VALU_DEP_2)
	v_sub_f32_e32 v18, v18, v25
	v_dual_sub_f32 v26, v24, v21 :: v_dual_sub_f32 v19, v19, v22
	s_delay_alu instid0(VALU_DEP_1) | instskip(NEXT) | instid1(VALU_DEP_2)
	v_sub_f32_e32 v27, v24, v26
	v_dual_sub_f32 v22, v23, v26 :: v_dual_add_f32 v23, v18, v19
	s_delay_alu instid0(VALU_DEP_2) | instskip(NEXT) | instid1(VALU_DEP_1)
	v_sub_f32_e32 v21, v21, v27
	v_dual_add_f32 v21, v22, v21 :: v_dual_sub_f32 v22, v23, v18
	s_delay_alu instid0(VALU_DEP_1) | instskip(NEXT) | instid1(VALU_DEP_2)
	v_add_f32_e32 v21, v23, v21
	v_sub_f32_e32 v23, v23, v22
	v_sub_f32_e32 v19, v19, v22
	s_delay_alu instid0(VALU_DEP_2) | instskip(NEXT) | instid1(VALU_DEP_1)
	v_dual_add_f32 v25, v24, v21 :: v_dual_sub_f32 v18, v18, v23
	v_sub_f32_e32 v22, v25, v24
	s_delay_alu instid0(VALU_DEP_2) | instskip(NEXT) | instid1(VALU_DEP_2)
	v_add_f32_e32 v18, v19, v18
	v_sub_f32_e32 v19, v21, v22
	s_delay_alu instid0(VALU_DEP_1) | instskip(NEXT) | instid1(VALU_DEP_1)
	v_add_f32_e32 v18, v18, v19
	v_add_f32_e32 v18, v25, v18
	s_wait_alu 0xf1ff
	s_delay_alu instid0(VALU_DEP_1) | instskip(SKIP_2) | instid1(VALU_DEP_1)
	v_cndmask_b32_e64 v18, 0x7f800000, v18, s5
	v_cmp_gt_f32_e64 s5, 0x33800000, |v20|
	s_wait_alu 0xf1ff
	v_cndmask_b32_e64 v18, v18, v20, s5
	s_delay_alu instid0(VALU_DEP_1)
	v_add_f32_e32 v19, v10, v18
.LBB158_163:
	s_wait_alu 0xfffe
	s_or_b32 exec_lo, exec_lo, s7
	v_max_num_f32_e32 v10, v12, v12
	s_delay_alu instid0(VALU_DEP_2) | instskip(SKIP_1) | instid1(VALU_DEP_2)
	v_max_num_f32_e32 v18, v19, v19
	v_cmp_u_f32_e64 s5, v19, v19
	v_min_num_f32_e32 v20, v18, v10
	v_max_num_f32_e32 v18, v18, v10
	s_wait_alu 0xf1ff
	s_delay_alu instid0(VALU_DEP_2) | instskip(NEXT) | instid1(VALU_DEP_2)
	v_cndmask_b32_e64 v20, v20, v19, s5
	v_cndmask_b32_e64 v18, v18, v19, s5
	v_cmp_u_f32_e64 s5, v12, v12
	s_wait_alu 0xf1ff
	s_delay_alu instid0(VALU_DEP_1) | instskip(NEXT) | instid1(VALU_DEP_3)
	v_cndmask_b32_e64 v20, v20, v12, s5
	v_cndmask_b32_e64 v18, v18, v12, s5
	s_delay_alu instid0(VALU_DEP_2) | instskip(NEXT) | instid1(VALU_DEP_2)
	v_cmp_class_f32_e64 s8, v20, 0x1f8
	v_cmp_neq_f32_e64 s7, v20, v18
	s_or_b32 s7, s7, s8
	s_wait_alu 0xfffe
	s_and_saveexec_b32 s8, s7
	s_cbranch_execz .LBB158_165
; %bb.164:
	v_sub_f32_e32 v19, v20, v18
	s_delay_alu instid0(VALU_DEP_1) | instskip(SKIP_1) | instid1(VALU_DEP_2)
	v_mul_f32_e32 v20, 0x3fb8aa3b, v19
	v_cmp_ngt_f32_e64 s7, 0xc2ce8ed0, v19
	v_fma_f32 v21, 0x3fb8aa3b, v19, -v20
	v_rndne_f32_e32 v22, v20
	s_delay_alu instid0(VALU_DEP_1) | instskip(NEXT) | instid1(VALU_DEP_1)
	v_dual_fmamk_f32 v21, v19, 0x32a5705f, v21 :: v_dual_sub_f32 v20, v20, v22
	v_add_f32_e32 v20, v20, v21
	v_cvt_i32_f32_e32 v21, v22
	s_delay_alu instid0(VALU_DEP_2) | instskip(NEXT) | instid1(TRANS32_DEP_1)
	v_exp_f32_e32 v20, v20
	v_ldexp_f32 v20, v20, v21
	s_wait_alu 0xf1ff
	s_delay_alu instid0(VALU_DEP_1) | instskip(SKIP_2) | instid1(VALU_DEP_1)
	v_cndmask_b32_e64 v20, 0, v20, s7
	v_cmp_nlt_f32_e64 s7, 0x42b17218, v19
	s_wait_alu 0xf1ff
	v_cndmask_b32_e64 v21, 0x7f800000, v20, s7
	s_delay_alu instid0(VALU_DEP_1) | instskip(NEXT) | instid1(VALU_DEP_1)
	v_add_f32_e32 v22, 1.0, v21
	v_cvt_f64_f32_e32 v[19:20], v22
	s_delay_alu instid0(VALU_DEP_1) | instskip(SKIP_1) | instid1(VALU_DEP_1)
	v_frexp_exp_i32_f64_e32 v19, v[19:20]
	v_frexp_mant_f32_e32 v20, v22
	v_cmp_gt_f32_e64 s7, 0x3f2aaaab, v20
	v_add_f32_e32 v20, -1.0, v22
	s_delay_alu instid0(VALU_DEP_1)
	v_sub_f32_e32 v24, v20, v22
	v_sub_f32_e32 v20, v21, v20
	s_wait_alu 0xf1ff
	v_subrev_co_ci_u32_e64 v19, null, 0, v19, s7
	s_mov_b32 s7, 0x3e9b6dac
	v_sub_nc_u32_e32 v23, 0, v19
	v_cvt_f32_i32_e32 v19, v19
	s_delay_alu instid0(VALU_DEP_2) | instskip(NEXT) | instid1(VALU_DEP_1)
	v_ldexp_f32 v22, v22, v23
	v_dual_add_f32 v25, 1.0, v22 :: v_dual_add_f32 v24, 1.0, v24
	s_delay_alu instid0(VALU_DEP_1) | instskip(NEXT) | instid1(VALU_DEP_2)
	v_add_f32_e32 v20, v20, v24
	v_add_f32_e32 v24, -1.0, v25
	s_delay_alu instid0(VALU_DEP_2) | instskip(NEXT) | instid1(VALU_DEP_2)
	v_ldexp_f32 v20, v20, v23
	v_dual_add_f32 v23, -1.0, v22 :: v_dual_sub_f32 v24, v22, v24
	s_delay_alu instid0(VALU_DEP_1) | instskip(NEXT) | instid1(VALU_DEP_2)
	v_add_f32_e32 v26, 1.0, v23
	v_add_f32_e32 v24, v20, v24
	s_delay_alu instid0(VALU_DEP_2) | instskip(NEXT) | instid1(VALU_DEP_2)
	v_sub_f32_e32 v22, v22, v26
	v_add_f32_e32 v26, v25, v24
	s_delay_alu instid0(VALU_DEP_2) | instskip(NEXT) | instid1(VALU_DEP_2)
	v_add_f32_e32 v20, v20, v22
	v_rcp_f32_e32 v22, v26
	v_sub_f32_e32 v25, v25, v26
	s_delay_alu instid0(VALU_DEP_1) | instskip(NEXT) | instid1(VALU_DEP_1)
	v_dual_add_f32 v27, v23, v20 :: v_dual_add_f32 v24, v24, v25
	v_sub_f32_e32 v23, v23, v27
	s_delay_alu instid0(TRANS32_DEP_1) | instskip(NEXT) | instid1(VALU_DEP_1)
	v_mul_f32_e32 v28, v27, v22
	v_dual_add_f32 v20, v20, v23 :: v_dual_mul_f32 v29, v26, v28
	s_delay_alu instid0(VALU_DEP_1) | instskip(NEXT) | instid1(VALU_DEP_1)
	v_fma_f32 v25, v28, v26, -v29
	v_fmac_f32_e32 v25, v28, v24
	s_delay_alu instid0(VALU_DEP_1) | instskip(NEXT) | instid1(VALU_DEP_1)
	v_add_f32_e32 v30, v29, v25
	v_sub_f32_e32 v31, v27, v30
	v_sub_f32_e32 v23, v30, v29
	s_delay_alu instid0(VALU_DEP_2) | instskip(NEXT) | instid1(VALU_DEP_2)
	v_sub_f32_e32 v27, v27, v31
	v_sub_f32_e32 v23, v23, v25
	s_delay_alu instid0(VALU_DEP_2) | instskip(NEXT) | instid1(VALU_DEP_1)
	v_sub_f32_e32 v27, v27, v30
	v_add_f32_e32 v20, v20, v27
	s_delay_alu instid0(VALU_DEP_1) | instskip(NEXT) | instid1(VALU_DEP_1)
	v_add_f32_e32 v20, v23, v20
	v_add_f32_e32 v23, v31, v20
	s_delay_alu instid0(VALU_DEP_1) | instskip(NEXT) | instid1(VALU_DEP_1)
	v_mul_f32_e32 v25, v22, v23
	v_dual_sub_f32 v30, v31, v23 :: v_dual_mul_f32 v27, v26, v25
	s_delay_alu instid0(VALU_DEP_1) | instskip(NEXT) | instid1(VALU_DEP_2)
	v_add_f32_e32 v20, v20, v30
	v_fma_f32 v26, v25, v26, -v27
	s_delay_alu instid0(VALU_DEP_1) | instskip(NEXT) | instid1(VALU_DEP_1)
	v_fmac_f32_e32 v26, v25, v24
	v_add_f32_e32 v24, v27, v26
	s_delay_alu instid0(VALU_DEP_1) | instskip(SKIP_1) | instid1(VALU_DEP_2)
	v_sub_f32_e32 v29, v23, v24
	v_sub_f32_e32 v27, v24, v27
	;; [unrolled: 1-line block ×3, first 2 shown]
	s_delay_alu instid0(VALU_DEP_1) | instskip(NEXT) | instid1(VALU_DEP_3)
	v_sub_f32_e32 v23, v23, v24
	v_sub_f32_e32 v24, v27, v26
	s_delay_alu instid0(VALU_DEP_2) | instskip(SKIP_1) | instid1(VALU_DEP_2)
	v_add_f32_e32 v20, v20, v23
	v_add_f32_e32 v23, v28, v25
	;; [unrolled: 1-line block ×3, first 2 shown]
	s_delay_alu instid0(VALU_DEP_2) | instskip(NEXT) | instid1(VALU_DEP_2)
	v_sub_f32_e32 v24, v23, v28
	v_add_f32_e32 v20, v29, v20
	s_delay_alu instid0(VALU_DEP_2) | instskip(NEXT) | instid1(VALU_DEP_2)
	v_sub_f32_e32 v24, v25, v24
	v_mul_f32_e32 v20, v22, v20
	s_delay_alu instid0(VALU_DEP_1) | instskip(NEXT) | instid1(VALU_DEP_1)
	v_add_f32_e32 v20, v24, v20
	v_add_f32_e32 v22, v23, v20
	s_delay_alu instid0(VALU_DEP_1) | instskip(SKIP_1) | instid1(VALU_DEP_1)
	v_mul_f32_e32 v24, v22, v22
	s_wait_alu 0xfffe
	v_fmaak_f32 v25, s7, v24, 0x3ecc95a3
	v_mul_f32_e32 v26, v22, v24
	v_cmp_neq_f32_e64 s7, 0x7f800000, v21
	s_delay_alu instid0(VALU_DEP_3) | instskip(SKIP_2) | instid1(VALU_DEP_3)
	v_fmaak_f32 v24, v24, v25, 0x3f2aaada
	v_ldexp_f32 v25, v22, 1
	v_sub_f32_e32 v22, v22, v23
	v_mul_f32_e32 v24, v26, v24
	v_mul_f32_e32 v26, 0x3f317218, v19
	s_delay_alu instid0(VALU_DEP_2) | instskip(NEXT) | instid1(VALU_DEP_1)
	v_dual_sub_f32 v20, v20, v22 :: v_dual_add_f32 v23, v25, v24
	v_ldexp_f32 v20, v20, 1
	s_delay_alu instid0(VALU_DEP_2) | instskip(NEXT) | instid1(VALU_DEP_4)
	v_sub_f32_e32 v22, v23, v25
	v_fma_f32 v25, 0x3f317218, v19, -v26
	s_delay_alu instid0(VALU_DEP_1) | instskip(NEXT) | instid1(VALU_DEP_1)
	v_dual_sub_f32 v22, v24, v22 :: v_dual_fmamk_f32 v19, v19, 0xb102e308, v25
	v_add_f32_e32 v20, v20, v22
	s_delay_alu instid0(VALU_DEP_2) | instskip(NEXT) | instid1(VALU_DEP_2)
	v_add_f32_e32 v22, v26, v19
	v_add_f32_e32 v24, v23, v20
	s_delay_alu instid0(VALU_DEP_2) | instskip(NEXT) | instid1(VALU_DEP_2)
	v_sub_f32_e32 v26, v22, v26
	v_add_f32_e32 v25, v22, v24
	v_sub_f32_e32 v23, v24, v23
	s_delay_alu instid0(VALU_DEP_3) | instskip(NEXT) | instid1(VALU_DEP_2)
	v_sub_f32_e32 v19, v19, v26
	v_dual_sub_f32 v27, v25, v22 :: v_dual_sub_f32 v20, v20, v23
	s_delay_alu instid0(VALU_DEP_1) | instskip(NEXT) | instid1(VALU_DEP_2)
	v_sub_f32_e32 v28, v25, v27
	v_dual_sub_f32 v23, v24, v27 :: v_dual_add_f32 v24, v19, v20
	s_delay_alu instid0(VALU_DEP_2) | instskip(NEXT) | instid1(VALU_DEP_1)
	v_sub_f32_e32 v22, v22, v28
	v_dual_add_f32 v22, v23, v22 :: v_dual_sub_f32 v23, v24, v19
	s_delay_alu instid0(VALU_DEP_1) | instskip(NEXT) | instid1(VALU_DEP_2)
	v_add_f32_e32 v22, v24, v22
	v_sub_f32_e32 v24, v24, v23
	v_sub_f32_e32 v20, v20, v23
	s_delay_alu instid0(VALU_DEP_2) | instskip(NEXT) | instid1(VALU_DEP_1)
	v_dual_add_f32 v26, v25, v22 :: v_dual_sub_f32 v19, v19, v24
	v_sub_f32_e32 v23, v26, v25
	s_delay_alu instid0(VALU_DEP_2) | instskip(NEXT) | instid1(VALU_DEP_2)
	v_add_f32_e32 v19, v20, v19
	v_sub_f32_e32 v20, v22, v23
	s_delay_alu instid0(VALU_DEP_1) | instskip(NEXT) | instid1(VALU_DEP_1)
	v_add_f32_e32 v19, v19, v20
	v_add_f32_e32 v19, v26, v19
	s_wait_alu 0xf1ff
	s_delay_alu instid0(VALU_DEP_1) | instskip(SKIP_2) | instid1(VALU_DEP_1)
	v_cndmask_b32_e64 v19, 0x7f800000, v19, s7
	v_cmp_gt_f32_e64 s7, 0x33800000, |v21|
	s_wait_alu 0xf1ff
	v_cndmask_b32_e64 v19, v19, v21, s7
	s_delay_alu instid0(VALU_DEP_1)
	v_add_f32_e32 v19, v18, v19
.LBB158_165:
	s_or_b32 exec_lo, exec_lo, s8
	v_mbcnt_lo_u32_b32 v18, -1, 0
	s_delay_alu instid0(VALU_DEP_2) | instskip(SKIP_1) | instid1(VALU_DEP_2)
	v_mov_b32_dpp v21, v19 row_shr:1 row_mask:0xf bank_mask:0xf
	s_mov_b32 s8, exec_lo
	v_and_b32_e32 v20, 15, v18
	s_delay_alu instid0(VALU_DEP_1)
	v_cmpx_ne_u32_e32 0, v20
	s_cbranch_execz .LBB158_169
; %bb.166:
	v_dual_max_num_f32 v22, v19, v19 :: v_dual_max_num_f32 v23, v21, v21
	v_cmp_u_f32_e64 s7, v21, v21
	s_delay_alu instid0(VALU_DEP_2) | instskip(SKIP_2) | instid1(VALU_DEP_2)
	v_min_num_f32_e32 v24, v23, v22
	v_max_num_f32_e32 v22, v23, v22
	s_wait_alu 0xf1ff
	v_cndmask_b32_e64 v23, v24, v21, s7
	s_delay_alu instid0(VALU_DEP_2) | instskip(SKIP_2) | instid1(VALU_DEP_1)
	v_cndmask_b32_e64 v24, v22, v21, s7
	v_cmp_u_f32_e64 s7, v19, v19
	s_wait_alu 0xf1ff
	v_cndmask_b32_e64 v22, v23, v19, s7
	s_delay_alu instid0(VALU_DEP_3) | instskip(NEXT) | instid1(VALU_DEP_2)
	v_cndmask_b32_e64 v19, v24, v19, s7
	v_cmp_class_f32_e64 s9, v22, 0x1f8
	s_delay_alu instid0(VALU_DEP_2)
	v_cmp_neq_f32_e64 s7, v22, v19
	s_or_b32 s7, s7, s9
	s_wait_alu 0xfffe
	s_and_saveexec_b32 s9, s7
	s_cbranch_execz .LBB158_168
; %bb.167:
	v_sub_f32_e32 v21, v22, v19
	s_delay_alu instid0(VALU_DEP_1) | instskip(SKIP_1) | instid1(VALU_DEP_2)
	v_mul_f32_e32 v22, 0x3fb8aa3b, v21
	v_cmp_ngt_f32_e64 s7, 0xc2ce8ed0, v21
	v_fma_f32 v23, 0x3fb8aa3b, v21, -v22
	v_rndne_f32_e32 v24, v22
	s_delay_alu instid0(VALU_DEP_1) | instskip(NEXT) | instid1(VALU_DEP_1)
	v_dual_fmamk_f32 v23, v21, 0x32a5705f, v23 :: v_dual_sub_f32 v22, v22, v24
	v_add_f32_e32 v22, v22, v23
	v_cvt_i32_f32_e32 v23, v24
	s_delay_alu instid0(VALU_DEP_2) | instskip(NEXT) | instid1(TRANS32_DEP_1)
	v_exp_f32_e32 v22, v22
	v_ldexp_f32 v22, v22, v23
	s_wait_alu 0xf1ff
	s_delay_alu instid0(VALU_DEP_1) | instskip(SKIP_2) | instid1(VALU_DEP_1)
	v_cndmask_b32_e64 v22, 0, v22, s7
	v_cmp_nlt_f32_e64 s7, 0x42b17218, v21
	s_wait_alu 0xf1ff
	v_cndmask_b32_e64 v23, 0x7f800000, v22, s7
	s_delay_alu instid0(VALU_DEP_1) | instskip(NEXT) | instid1(VALU_DEP_1)
	v_add_f32_e32 v24, 1.0, v23
	v_cvt_f64_f32_e32 v[21:22], v24
	s_delay_alu instid0(VALU_DEP_1) | instskip(SKIP_1) | instid1(VALU_DEP_1)
	v_frexp_exp_i32_f64_e32 v21, v[21:22]
	v_frexp_mant_f32_e32 v22, v24
	v_cmp_gt_f32_e64 s7, 0x3f2aaaab, v22
	v_add_f32_e32 v22, -1.0, v24
	s_delay_alu instid0(VALU_DEP_1)
	v_sub_f32_e32 v26, v22, v24
	v_sub_f32_e32 v22, v23, v22
	s_wait_alu 0xf1ff
	v_subrev_co_ci_u32_e64 v21, null, 0, v21, s7
	s_mov_b32 s7, 0x3e9b6dac
	v_sub_nc_u32_e32 v25, 0, v21
	v_cvt_f32_i32_e32 v21, v21
	s_delay_alu instid0(VALU_DEP_2) | instskip(NEXT) | instid1(VALU_DEP_1)
	v_ldexp_f32 v24, v24, v25
	v_dual_add_f32 v27, 1.0, v24 :: v_dual_add_f32 v26, 1.0, v26
	s_delay_alu instid0(VALU_DEP_1) | instskip(NEXT) | instid1(VALU_DEP_2)
	v_add_f32_e32 v22, v22, v26
	v_add_f32_e32 v26, -1.0, v27
	s_delay_alu instid0(VALU_DEP_2) | instskip(NEXT) | instid1(VALU_DEP_2)
	v_ldexp_f32 v22, v22, v25
	v_dual_add_f32 v25, -1.0, v24 :: v_dual_sub_f32 v26, v24, v26
	s_delay_alu instid0(VALU_DEP_1) | instskip(NEXT) | instid1(VALU_DEP_2)
	v_add_f32_e32 v28, 1.0, v25
	v_add_f32_e32 v26, v22, v26
	s_delay_alu instid0(VALU_DEP_2) | instskip(NEXT) | instid1(VALU_DEP_2)
	v_sub_f32_e32 v24, v24, v28
	v_add_f32_e32 v28, v27, v26
	s_delay_alu instid0(VALU_DEP_2) | instskip(NEXT) | instid1(VALU_DEP_2)
	v_add_f32_e32 v22, v22, v24
	v_rcp_f32_e32 v24, v28
	v_sub_f32_e32 v27, v27, v28
	s_delay_alu instid0(VALU_DEP_1) | instskip(NEXT) | instid1(VALU_DEP_1)
	v_dual_add_f32 v29, v25, v22 :: v_dual_add_f32 v26, v26, v27
	v_sub_f32_e32 v25, v25, v29
	s_delay_alu instid0(TRANS32_DEP_1) | instskip(NEXT) | instid1(VALU_DEP_1)
	v_mul_f32_e32 v30, v29, v24
	v_dual_add_f32 v22, v22, v25 :: v_dual_mul_f32 v31, v28, v30
	s_delay_alu instid0(VALU_DEP_1) | instskip(NEXT) | instid1(VALU_DEP_1)
	v_fma_f32 v27, v30, v28, -v31
	v_fmac_f32_e32 v27, v30, v26
	s_delay_alu instid0(VALU_DEP_1) | instskip(NEXT) | instid1(VALU_DEP_1)
	v_add_f32_e32 v32, v31, v27
	v_sub_f32_e32 v33, v29, v32
	v_sub_f32_e32 v25, v32, v31
	s_delay_alu instid0(VALU_DEP_2) | instskip(NEXT) | instid1(VALU_DEP_2)
	v_sub_f32_e32 v29, v29, v33
	v_sub_f32_e32 v25, v25, v27
	s_delay_alu instid0(VALU_DEP_2) | instskip(NEXT) | instid1(VALU_DEP_1)
	v_sub_f32_e32 v29, v29, v32
	v_add_f32_e32 v22, v22, v29
	s_delay_alu instid0(VALU_DEP_1) | instskip(NEXT) | instid1(VALU_DEP_1)
	v_add_f32_e32 v22, v25, v22
	v_add_f32_e32 v25, v33, v22
	s_delay_alu instid0(VALU_DEP_1) | instskip(NEXT) | instid1(VALU_DEP_1)
	v_mul_f32_e32 v27, v24, v25
	v_dual_sub_f32 v32, v33, v25 :: v_dual_mul_f32 v29, v28, v27
	s_delay_alu instid0(VALU_DEP_1) | instskip(NEXT) | instid1(VALU_DEP_2)
	v_add_f32_e32 v22, v22, v32
	v_fma_f32 v28, v27, v28, -v29
	s_delay_alu instid0(VALU_DEP_1) | instskip(NEXT) | instid1(VALU_DEP_1)
	v_fmac_f32_e32 v28, v27, v26
	v_add_f32_e32 v26, v29, v28
	s_delay_alu instid0(VALU_DEP_1) | instskip(SKIP_1) | instid1(VALU_DEP_2)
	v_sub_f32_e32 v31, v25, v26
	v_sub_f32_e32 v29, v26, v29
	v_sub_f32_e32 v25, v25, v31
	s_delay_alu instid0(VALU_DEP_1) | instskip(NEXT) | instid1(VALU_DEP_3)
	v_sub_f32_e32 v25, v25, v26
	v_sub_f32_e32 v26, v29, v28
	s_delay_alu instid0(VALU_DEP_2) | instskip(SKIP_1) | instid1(VALU_DEP_2)
	v_add_f32_e32 v22, v22, v25
	v_add_f32_e32 v25, v30, v27
	;; [unrolled: 1-line block ×3, first 2 shown]
	s_delay_alu instid0(VALU_DEP_2) | instskip(NEXT) | instid1(VALU_DEP_2)
	v_sub_f32_e32 v26, v25, v30
	v_add_f32_e32 v22, v31, v22
	s_delay_alu instid0(VALU_DEP_2) | instskip(NEXT) | instid1(VALU_DEP_2)
	v_sub_f32_e32 v26, v27, v26
	v_mul_f32_e32 v22, v24, v22
	s_delay_alu instid0(VALU_DEP_1) | instskip(NEXT) | instid1(VALU_DEP_1)
	v_add_f32_e32 v22, v26, v22
	v_add_f32_e32 v24, v25, v22
	s_delay_alu instid0(VALU_DEP_1) | instskip(SKIP_1) | instid1(VALU_DEP_1)
	v_mul_f32_e32 v26, v24, v24
	s_wait_alu 0xfffe
	v_fmaak_f32 v27, s7, v26, 0x3ecc95a3
	v_mul_f32_e32 v28, v24, v26
	v_cmp_neq_f32_e64 s7, 0x7f800000, v23
	s_delay_alu instid0(VALU_DEP_3) | instskip(SKIP_2) | instid1(VALU_DEP_3)
	v_fmaak_f32 v26, v26, v27, 0x3f2aaada
	v_ldexp_f32 v27, v24, 1
	v_sub_f32_e32 v24, v24, v25
	v_mul_f32_e32 v26, v28, v26
	v_mul_f32_e32 v28, 0x3f317218, v21
	s_delay_alu instid0(VALU_DEP_2) | instskip(NEXT) | instid1(VALU_DEP_1)
	v_dual_sub_f32 v22, v22, v24 :: v_dual_add_f32 v25, v27, v26
	v_ldexp_f32 v22, v22, 1
	s_delay_alu instid0(VALU_DEP_2) | instskip(NEXT) | instid1(VALU_DEP_4)
	v_sub_f32_e32 v24, v25, v27
	v_fma_f32 v27, 0x3f317218, v21, -v28
	s_delay_alu instid0(VALU_DEP_1) | instskip(NEXT) | instid1(VALU_DEP_1)
	v_dual_sub_f32 v24, v26, v24 :: v_dual_fmamk_f32 v21, v21, 0xb102e308, v27
	v_add_f32_e32 v22, v22, v24
	s_delay_alu instid0(VALU_DEP_2) | instskip(NEXT) | instid1(VALU_DEP_2)
	v_add_f32_e32 v24, v28, v21
	v_add_f32_e32 v26, v25, v22
	s_delay_alu instid0(VALU_DEP_2) | instskip(NEXT) | instid1(VALU_DEP_2)
	v_sub_f32_e32 v28, v24, v28
	v_add_f32_e32 v27, v24, v26
	v_sub_f32_e32 v25, v26, v25
	s_delay_alu instid0(VALU_DEP_3) | instskip(NEXT) | instid1(VALU_DEP_2)
	v_sub_f32_e32 v21, v21, v28
	v_dual_sub_f32 v29, v27, v24 :: v_dual_sub_f32 v22, v22, v25
	s_delay_alu instid0(VALU_DEP_1) | instskip(NEXT) | instid1(VALU_DEP_2)
	v_sub_f32_e32 v30, v27, v29
	v_dual_sub_f32 v25, v26, v29 :: v_dual_add_f32 v26, v21, v22
	s_delay_alu instid0(VALU_DEP_2) | instskip(NEXT) | instid1(VALU_DEP_1)
	v_sub_f32_e32 v24, v24, v30
	v_dual_add_f32 v24, v25, v24 :: v_dual_sub_f32 v25, v26, v21
	s_delay_alu instid0(VALU_DEP_1) | instskip(NEXT) | instid1(VALU_DEP_2)
	v_add_f32_e32 v24, v26, v24
	v_sub_f32_e32 v26, v26, v25
	v_sub_f32_e32 v22, v22, v25
	s_delay_alu instid0(VALU_DEP_2) | instskip(NEXT) | instid1(VALU_DEP_1)
	v_dual_add_f32 v28, v27, v24 :: v_dual_sub_f32 v21, v21, v26
	v_sub_f32_e32 v25, v28, v27
	s_delay_alu instid0(VALU_DEP_2) | instskip(NEXT) | instid1(VALU_DEP_2)
	v_add_f32_e32 v21, v22, v21
	v_sub_f32_e32 v22, v24, v25
	s_delay_alu instid0(VALU_DEP_1) | instskip(NEXT) | instid1(VALU_DEP_1)
	v_add_f32_e32 v21, v21, v22
	v_add_f32_e32 v21, v28, v21
	s_wait_alu 0xf1ff
	s_delay_alu instid0(VALU_DEP_1) | instskip(SKIP_2) | instid1(VALU_DEP_1)
	v_cndmask_b32_e64 v21, 0x7f800000, v21, s7
	v_cmp_gt_f32_e64 s7, 0x33800000, |v23|
	s_wait_alu 0xf1ff
	v_cndmask_b32_e64 v21, v21, v23, s7
	s_delay_alu instid0(VALU_DEP_1)
	v_add_f32_e32 v21, v19, v21
.LBB158_168:
	s_or_b32 exec_lo, exec_lo, s9
	s_delay_alu instid0(VALU_DEP_1)
	v_mov_b32_e32 v19, v21
.LBB158_169:
	s_or_b32 exec_lo, exec_lo, s8
	s_delay_alu instid0(VALU_DEP_1)
	v_mov_b32_dpp v21, v19 row_shr:2 row_mask:0xf bank_mask:0xf
	s_mov_b32 s8, exec_lo
	v_cmpx_lt_u32_e32 1, v20
	s_cbranch_execz .LBB158_173
; %bb.170:
	s_delay_alu instid0(VALU_DEP_2) | instskip(SKIP_1) | instid1(VALU_DEP_2)
	v_dual_max_num_f32 v22, v19, v19 :: v_dual_max_num_f32 v23, v21, v21
	v_cmp_u_f32_e64 s7, v21, v21
	v_min_num_f32_e32 v24, v23, v22
	v_max_num_f32_e32 v22, v23, v22
	s_wait_alu 0xf1ff
	s_delay_alu instid0(VALU_DEP_2) | instskip(NEXT) | instid1(VALU_DEP_2)
	v_cndmask_b32_e64 v23, v24, v21, s7
	v_cndmask_b32_e64 v24, v22, v21, s7
	v_cmp_u_f32_e64 s7, v19, v19
	s_wait_alu 0xf1ff
	s_delay_alu instid0(VALU_DEP_1) | instskip(NEXT) | instid1(VALU_DEP_3)
	v_cndmask_b32_e64 v22, v23, v19, s7
	v_cndmask_b32_e64 v19, v24, v19, s7
	s_delay_alu instid0(VALU_DEP_2) | instskip(NEXT) | instid1(VALU_DEP_2)
	v_cmp_class_f32_e64 s9, v22, 0x1f8
	v_cmp_neq_f32_e64 s7, v22, v19
	s_or_b32 s7, s7, s9
	s_wait_alu 0xfffe
	s_and_saveexec_b32 s9, s7
	s_cbranch_execz .LBB158_172
; %bb.171:
	v_sub_f32_e32 v21, v22, v19
	s_delay_alu instid0(VALU_DEP_1) | instskip(SKIP_1) | instid1(VALU_DEP_2)
	v_mul_f32_e32 v22, 0x3fb8aa3b, v21
	v_cmp_ngt_f32_e64 s7, 0xc2ce8ed0, v21
	v_fma_f32 v23, 0x3fb8aa3b, v21, -v22
	v_rndne_f32_e32 v24, v22
	s_delay_alu instid0(VALU_DEP_1) | instskip(NEXT) | instid1(VALU_DEP_1)
	v_dual_fmamk_f32 v23, v21, 0x32a5705f, v23 :: v_dual_sub_f32 v22, v22, v24
	v_add_f32_e32 v22, v22, v23
	v_cvt_i32_f32_e32 v23, v24
	s_delay_alu instid0(VALU_DEP_2) | instskip(NEXT) | instid1(TRANS32_DEP_1)
	v_exp_f32_e32 v22, v22
	v_ldexp_f32 v22, v22, v23
	s_wait_alu 0xf1ff
	s_delay_alu instid0(VALU_DEP_1) | instskip(SKIP_2) | instid1(VALU_DEP_1)
	v_cndmask_b32_e64 v22, 0, v22, s7
	v_cmp_nlt_f32_e64 s7, 0x42b17218, v21
	s_wait_alu 0xf1ff
	v_cndmask_b32_e64 v23, 0x7f800000, v22, s7
	s_delay_alu instid0(VALU_DEP_1) | instskip(NEXT) | instid1(VALU_DEP_1)
	v_add_f32_e32 v24, 1.0, v23
	v_cvt_f64_f32_e32 v[21:22], v24
	s_delay_alu instid0(VALU_DEP_1) | instskip(SKIP_1) | instid1(VALU_DEP_1)
	v_frexp_exp_i32_f64_e32 v21, v[21:22]
	v_frexp_mant_f32_e32 v22, v24
	v_cmp_gt_f32_e64 s7, 0x3f2aaaab, v22
	v_add_f32_e32 v22, -1.0, v24
	s_delay_alu instid0(VALU_DEP_1)
	v_sub_f32_e32 v26, v22, v24
	v_sub_f32_e32 v22, v23, v22
	s_wait_alu 0xf1ff
	v_subrev_co_ci_u32_e64 v21, null, 0, v21, s7
	s_mov_b32 s7, 0x3e9b6dac
	v_sub_nc_u32_e32 v25, 0, v21
	v_cvt_f32_i32_e32 v21, v21
	s_delay_alu instid0(VALU_DEP_2) | instskip(NEXT) | instid1(VALU_DEP_1)
	v_ldexp_f32 v24, v24, v25
	v_dual_add_f32 v27, 1.0, v24 :: v_dual_add_f32 v26, 1.0, v26
	s_delay_alu instid0(VALU_DEP_1) | instskip(NEXT) | instid1(VALU_DEP_2)
	v_add_f32_e32 v22, v22, v26
	v_add_f32_e32 v26, -1.0, v27
	s_delay_alu instid0(VALU_DEP_2) | instskip(NEXT) | instid1(VALU_DEP_2)
	v_ldexp_f32 v22, v22, v25
	v_dual_add_f32 v25, -1.0, v24 :: v_dual_sub_f32 v26, v24, v26
	s_delay_alu instid0(VALU_DEP_1) | instskip(NEXT) | instid1(VALU_DEP_2)
	v_add_f32_e32 v28, 1.0, v25
	v_add_f32_e32 v26, v22, v26
	s_delay_alu instid0(VALU_DEP_2) | instskip(NEXT) | instid1(VALU_DEP_2)
	v_sub_f32_e32 v24, v24, v28
	v_add_f32_e32 v28, v27, v26
	s_delay_alu instid0(VALU_DEP_2) | instskip(NEXT) | instid1(VALU_DEP_2)
	v_add_f32_e32 v22, v22, v24
	v_rcp_f32_e32 v24, v28
	v_sub_f32_e32 v27, v27, v28
	s_delay_alu instid0(VALU_DEP_1) | instskip(NEXT) | instid1(VALU_DEP_1)
	v_dual_add_f32 v29, v25, v22 :: v_dual_add_f32 v26, v26, v27
	v_sub_f32_e32 v25, v25, v29
	s_delay_alu instid0(TRANS32_DEP_1) | instskip(NEXT) | instid1(VALU_DEP_1)
	v_mul_f32_e32 v30, v29, v24
	v_dual_add_f32 v22, v22, v25 :: v_dual_mul_f32 v31, v28, v30
	s_delay_alu instid0(VALU_DEP_1) | instskip(NEXT) | instid1(VALU_DEP_1)
	v_fma_f32 v27, v30, v28, -v31
	v_fmac_f32_e32 v27, v30, v26
	s_delay_alu instid0(VALU_DEP_1) | instskip(NEXT) | instid1(VALU_DEP_1)
	v_add_f32_e32 v32, v31, v27
	v_sub_f32_e32 v33, v29, v32
	v_sub_f32_e32 v25, v32, v31
	s_delay_alu instid0(VALU_DEP_2) | instskip(NEXT) | instid1(VALU_DEP_2)
	v_sub_f32_e32 v29, v29, v33
	v_sub_f32_e32 v25, v25, v27
	s_delay_alu instid0(VALU_DEP_2) | instskip(NEXT) | instid1(VALU_DEP_1)
	v_sub_f32_e32 v29, v29, v32
	v_add_f32_e32 v22, v22, v29
	s_delay_alu instid0(VALU_DEP_1) | instskip(NEXT) | instid1(VALU_DEP_1)
	v_add_f32_e32 v22, v25, v22
	v_add_f32_e32 v25, v33, v22
	s_delay_alu instid0(VALU_DEP_1) | instskip(NEXT) | instid1(VALU_DEP_1)
	v_mul_f32_e32 v27, v24, v25
	v_dual_sub_f32 v32, v33, v25 :: v_dual_mul_f32 v29, v28, v27
	s_delay_alu instid0(VALU_DEP_1) | instskip(NEXT) | instid1(VALU_DEP_2)
	v_add_f32_e32 v22, v22, v32
	v_fma_f32 v28, v27, v28, -v29
	s_delay_alu instid0(VALU_DEP_1) | instskip(NEXT) | instid1(VALU_DEP_1)
	v_fmac_f32_e32 v28, v27, v26
	v_add_f32_e32 v26, v29, v28
	s_delay_alu instid0(VALU_DEP_1) | instskip(SKIP_1) | instid1(VALU_DEP_2)
	v_sub_f32_e32 v31, v25, v26
	v_sub_f32_e32 v29, v26, v29
	v_sub_f32_e32 v25, v25, v31
	s_delay_alu instid0(VALU_DEP_1) | instskip(NEXT) | instid1(VALU_DEP_3)
	v_sub_f32_e32 v25, v25, v26
	v_sub_f32_e32 v26, v29, v28
	s_delay_alu instid0(VALU_DEP_2) | instskip(SKIP_1) | instid1(VALU_DEP_2)
	v_add_f32_e32 v22, v22, v25
	v_add_f32_e32 v25, v30, v27
	v_add_f32_e32 v22, v26, v22
	s_delay_alu instid0(VALU_DEP_2) | instskip(NEXT) | instid1(VALU_DEP_2)
	v_sub_f32_e32 v26, v25, v30
	v_add_f32_e32 v22, v31, v22
	s_delay_alu instid0(VALU_DEP_2) | instskip(NEXT) | instid1(VALU_DEP_2)
	v_sub_f32_e32 v26, v27, v26
	v_mul_f32_e32 v22, v24, v22
	s_delay_alu instid0(VALU_DEP_1) | instskip(NEXT) | instid1(VALU_DEP_1)
	v_add_f32_e32 v22, v26, v22
	v_add_f32_e32 v24, v25, v22
	s_delay_alu instid0(VALU_DEP_1) | instskip(SKIP_1) | instid1(VALU_DEP_1)
	v_mul_f32_e32 v26, v24, v24
	s_wait_alu 0xfffe
	v_fmaak_f32 v27, s7, v26, 0x3ecc95a3
	v_mul_f32_e32 v28, v24, v26
	v_cmp_neq_f32_e64 s7, 0x7f800000, v23
	s_delay_alu instid0(VALU_DEP_3) | instskip(SKIP_2) | instid1(VALU_DEP_3)
	v_fmaak_f32 v26, v26, v27, 0x3f2aaada
	v_ldexp_f32 v27, v24, 1
	v_sub_f32_e32 v24, v24, v25
	v_mul_f32_e32 v26, v28, v26
	v_mul_f32_e32 v28, 0x3f317218, v21
	s_delay_alu instid0(VALU_DEP_2) | instskip(NEXT) | instid1(VALU_DEP_1)
	v_dual_sub_f32 v22, v22, v24 :: v_dual_add_f32 v25, v27, v26
	v_ldexp_f32 v22, v22, 1
	s_delay_alu instid0(VALU_DEP_2) | instskip(NEXT) | instid1(VALU_DEP_4)
	v_sub_f32_e32 v24, v25, v27
	v_fma_f32 v27, 0x3f317218, v21, -v28
	s_delay_alu instid0(VALU_DEP_1) | instskip(NEXT) | instid1(VALU_DEP_1)
	v_dual_sub_f32 v24, v26, v24 :: v_dual_fmamk_f32 v21, v21, 0xb102e308, v27
	v_add_f32_e32 v22, v22, v24
	s_delay_alu instid0(VALU_DEP_2) | instskip(NEXT) | instid1(VALU_DEP_2)
	v_add_f32_e32 v24, v28, v21
	v_add_f32_e32 v26, v25, v22
	s_delay_alu instid0(VALU_DEP_2) | instskip(NEXT) | instid1(VALU_DEP_2)
	v_sub_f32_e32 v28, v24, v28
	v_add_f32_e32 v27, v24, v26
	v_sub_f32_e32 v25, v26, v25
	s_delay_alu instid0(VALU_DEP_3) | instskip(NEXT) | instid1(VALU_DEP_2)
	v_sub_f32_e32 v21, v21, v28
	v_dual_sub_f32 v29, v27, v24 :: v_dual_sub_f32 v22, v22, v25
	s_delay_alu instid0(VALU_DEP_1) | instskip(NEXT) | instid1(VALU_DEP_2)
	v_sub_f32_e32 v30, v27, v29
	v_dual_sub_f32 v25, v26, v29 :: v_dual_add_f32 v26, v21, v22
	s_delay_alu instid0(VALU_DEP_2) | instskip(NEXT) | instid1(VALU_DEP_1)
	v_sub_f32_e32 v24, v24, v30
	v_dual_add_f32 v24, v25, v24 :: v_dual_sub_f32 v25, v26, v21
	s_delay_alu instid0(VALU_DEP_1) | instskip(NEXT) | instid1(VALU_DEP_2)
	v_add_f32_e32 v24, v26, v24
	v_sub_f32_e32 v26, v26, v25
	v_sub_f32_e32 v22, v22, v25
	s_delay_alu instid0(VALU_DEP_2) | instskip(NEXT) | instid1(VALU_DEP_1)
	v_dual_add_f32 v28, v27, v24 :: v_dual_sub_f32 v21, v21, v26
	v_sub_f32_e32 v25, v28, v27
	s_delay_alu instid0(VALU_DEP_2) | instskip(NEXT) | instid1(VALU_DEP_2)
	v_add_f32_e32 v21, v22, v21
	v_sub_f32_e32 v22, v24, v25
	s_delay_alu instid0(VALU_DEP_1) | instskip(NEXT) | instid1(VALU_DEP_1)
	v_add_f32_e32 v21, v21, v22
	v_add_f32_e32 v21, v28, v21
	s_wait_alu 0xf1ff
	s_delay_alu instid0(VALU_DEP_1) | instskip(SKIP_2) | instid1(VALU_DEP_1)
	v_cndmask_b32_e64 v21, 0x7f800000, v21, s7
	v_cmp_gt_f32_e64 s7, 0x33800000, |v23|
	s_wait_alu 0xf1ff
	v_cndmask_b32_e64 v21, v21, v23, s7
	s_delay_alu instid0(VALU_DEP_1)
	v_add_f32_e32 v21, v19, v21
.LBB158_172:
	s_or_b32 exec_lo, exec_lo, s9
	s_delay_alu instid0(VALU_DEP_1)
	v_mov_b32_e32 v19, v21
.LBB158_173:
	s_or_b32 exec_lo, exec_lo, s8
	s_delay_alu instid0(VALU_DEP_1)
	v_mov_b32_dpp v21, v19 row_shr:4 row_mask:0xf bank_mask:0xf
	s_mov_b32 s8, exec_lo
	v_cmpx_lt_u32_e32 3, v20
	s_cbranch_execz .LBB158_177
; %bb.174:
	s_delay_alu instid0(VALU_DEP_2) | instskip(SKIP_1) | instid1(VALU_DEP_2)
	v_dual_max_num_f32 v22, v19, v19 :: v_dual_max_num_f32 v23, v21, v21
	v_cmp_u_f32_e64 s7, v21, v21
	v_min_num_f32_e32 v24, v23, v22
	v_max_num_f32_e32 v22, v23, v22
	s_wait_alu 0xf1ff
	s_delay_alu instid0(VALU_DEP_2) | instskip(NEXT) | instid1(VALU_DEP_2)
	v_cndmask_b32_e64 v23, v24, v21, s7
	v_cndmask_b32_e64 v24, v22, v21, s7
	v_cmp_u_f32_e64 s7, v19, v19
	s_wait_alu 0xf1ff
	s_delay_alu instid0(VALU_DEP_1) | instskip(NEXT) | instid1(VALU_DEP_3)
	v_cndmask_b32_e64 v22, v23, v19, s7
	v_cndmask_b32_e64 v19, v24, v19, s7
	s_delay_alu instid0(VALU_DEP_2) | instskip(NEXT) | instid1(VALU_DEP_2)
	v_cmp_class_f32_e64 s9, v22, 0x1f8
	v_cmp_neq_f32_e64 s7, v22, v19
	s_or_b32 s7, s7, s9
	s_wait_alu 0xfffe
	s_and_saveexec_b32 s9, s7
	s_cbranch_execz .LBB158_176
; %bb.175:
	v_sub_f32_e32 v21, v22, v19
	s_delay_alu instid0(VALU_DEP_1) | instskip(SKIP_1) | instid1(VALU_DEP_2)
	v_mul_f32_e32 v22, 0x3fb8aa3b, v21
	v_cmp_ngt_f32_e64 s7, 0xc2ce8ed0, v21
	v_fma_f32 v23, 0x3fb8aa3b, v21, -v22
	v_rndne_f32_e32 v24, v22
	s_delay_alu instid0(VALU_DEP_1) | instskip(NEXT) | instid1(VALU_DEP_1)
	v_dual_fmamk_f32 v23, v21, 0x32a5705f, v23 :: v_dual_sub_f32 v22, v22, v24
	v_add_f32_e32 v22, v22, v23
	v_cvt_i32_f32_e32 v23, v24
	s_delay_alu instid0(VALU_DEP_2) | instskip(NEXT) | instid1(TRANS32_DEP_1)
	v_exp_f32_e32 v22, v22
	v_ldexp_f32 v22, v22, v23
	s_wait_alu 0xf1ff
	s_delay_alu instid0(VALU_DEP_1) | instskip(SKIP_2) | instid1(VALU_DEP_1)
	v_cndmask_b32_e64 v22, 0, v22, s7
	v_cmp_nlt_f32_e64 s7, 0x42b17218, v21
	s_wait_alu 0xf1ff
	v_cndmask_b32_e64 v23, 0x7f800000, v22, s7
	s_delay_alu instid0(VALU_DEP_1) | instskip(NEXT) | instid1(VALU_DEP_1)
	v_add_f32_e32 v24, 1.0, v23
	v_cvt_f64_f32_e32 v[21:22], v24
	s_delay_alu instid0(VALU_DEP_1) | instskip(SKIP_1) | instid1(VALU_DEP_1)
	v_frexp_exp_i32_f64_e32 v21, v[21:22]
	v_frexp_mant_f32_e32 v22, v24
	v_cmp_gt_f32_e64 s7, 0x3f2aaaab, v22
	v_add_f32_e32 v22, -1.0, v24
	s_delay_alu instid0(VALU_DEP_1)
	v_sub_f32_e32 v26, v22, v24
	v_sub_f32_e32 v22, v23, v22
	s_wait_alu 0xf1ff
	v_subrev_co_ci_u32_e64 v21, null, 0, v21, s7
	s_mov_b32 s7, 0x3e9b6dac
	v_sub_nc_u32_e32 v25, 0, v21
	v_cvt_f32_i32_e32 v21, v21
	s_delay_alu instid0(VALU_DEP_2) | instskip(NEXT) | instid1(VALU_DEP_1)
	v_ldexp_f32 v24, v24, v25
	v_dual_add_f32 v27, 1.0, v24 :: v_dual_add_f32 v26, 1.0, v26
	s_delay_alu instid0(VALU_DEP_1) | instskip(NEXT) | instid1(VALU_DEP_2)
	v_add_f32_e32 v22, v22, v26
	v_add_f32_e32 v26, -1.0, v27
	s_delay_alu instid0(VALU_DEP_2) | instskip(NEXT) | instid1(VALU_DEP_2)
	v_ldexp_f32 v22, v22, v25
	v_dual_add_f32 v25, -1.0, v24 :: v_dual_sub_f32 v26, v24, v26
	s_delay_alu instid0(VALU_DEP_1) | instskip(NEXT) | instid1(VALU_DEP_2)
	v_add_f32_e32 v28, 1.0, v25
	v_add_f32_e32 v26, v22, v26
	s_delay_alu instid0(VALU_DEP_2) | instskip(NEXT) | instid1(VALU_DEP_2)
	v_sub_f32_e32 v24, v24, v28
	v_add_f32_e32 v28, v27, v26
	s_delay_alu instid0(VALU_DEP_2) | instskip(NEXT) | instid1(VALU_DEP_2)
	v_add_f32_e32 v22, v22, v24
	v_rcp_f32_e32 v24, v28
	v_sub_f32_e32 v27, v27, v28
	s_delay_alu instid0(VALU_DEP_1) | instskip(NEXT) | instid1(VALU_DEP_1)
	v_dual_add_f32 v29, v25, v22 :: v_dual_add_f32 v26, v26, v27
	v_sub_f32_e32 v25, v25, v29
	s_delay_alu instid0(TRANS32_DEP_1) | instskip(NEXT) | instid1(VALU_DEP_1)
	v_mul_f32_e32 v30, v29, v24
	v_dual_add_f32 v22, v22, v25 :: v_dual_mul_f32 v31, v28, v30
	s_delay_alu instid0(VALU_DEP_1) | instskip(NEXT) | instid1(VALU_DEP_1)
	v_fma_f32 v27, v30, v28, -v31
	v_fmac_f32_e32 v27, v30, v26
	s_delay_alu instid0(VALU_DEP_1) | instskip(NEXT) | instid1(VALU_DEP_1)
	v_add_f32_e32 v32, v31, v27
	v_sub_f32_e32 v33, v29, v32
	v_sub_f32_e32 v25, v32, v31
	s_delay_alu instid0(VALU_DEP_2) | instskip(NEXT) | instid1(VALU_DEP_2)
	v_sub_f32_e32 v29, v29, v33
	v_sub_f32_e32 v25, v25, v27
	s_delay_alu instid0(VALU_DEP_2) | instskip(NEXT) | instid1(VALU_DEP_1)
	v_sub_f32_e32 v29, v29, v32
	v_add_f32_e32 v22, v22, v29
	s_delay_alu instid0(VALU_DEP_1) | instskip(NEXT) | instid1(VALU_DEP_1)
	v_add_f32_e32 v22, v25, v22
	v_add_f32_e32 v25, v33, v22
	s_delay_alu instid0(VALU_DEP_1) | instskip(NEXT) | instid1(VALU_DEP_1)
	v_mul_f32_e32 v27, v24, v25
	v_dual_sub_f32 v32, v33, v25 :: v_dual_mul_f32 v29, v28, v27
	s_delay_alu instid0(VALU_DEP_1) | instskip(NEXT) | instid1(VALU_DEP_2)
	v_add_f32_e32 v22, v22, v32
	v_fma_f32 v28, v27, v28, -v29
	s_delay_alu instid0(VALU_DEP_1) | instskip(NEXT) | instid1(VALU_DEP_1)
	v_fmac_f32_e32 v28, v27, v26
	v_add_f32_e32 v26, v29, v28
	s_delay_alu instid0(VALU_DEP_1) | instskip(SKIP_1) | instid1(VALU_DEP_2)
	v_sub_f32_e32 v31, v25, v26
	v_sub_f32_e32 v29, v26, v29
	;; [unrolled: 1-line block ×3, first 2 shown]
	s_delay_alu instid0(VALU_DEP_1) | instskip(NEXT) | instid1(VALU_DEP_3)
	v_sub_f32_e32 v25, v25, v26
	v_sub_f32_e32 v26, v29, v28
	s_delay_alu instid0(VALU_DEP_2) | instskip(SKIP_1) | instid1(VALU_DEP_2)
	v_add_f32_e32 v22, v22, v25
	v_add_f32_e32 v25, v30, v27
	;; [unrolled: 1-line block ×3, first 2 shown]
	s_delay_alu instid0(VALU_DEP_2) | instskip(NEXT) | instid1(VALU_DEP_2)
	v_sub_f32_e32 v26, v25, v30
	v_add_f32_e32 v22, v31, v22
	s_delay_alu instid0(VALU_DEP_2) | instskip(NEXT) | instid1(VALU_DEP_2)
	v_sub_f32_e32 v26, v27, v26
	v_mul_f32_e32 v22, v24, v22
	s_delay_alu instid0(VALU_DEP_1) | instskip(NEXT) | instid1(VALU_DEP_1)
	v_add_f32_e32 v22, v26, v22
	v_add_f32_e32 v24, v25, v22
	s_delay_alu instid0(VALU_DEP_1) | instskip(SKIP_1) | instid1(VALU_DEP_1)
	v_mul_f32_e32 v26, v24, v24
	s_wait_alu 0xfffe
	v_fmaak_f32 v27, s7, v26, 0x3ecc95a3
	v_mul_f32_e32 v28, v24, v26
	v_cmp_neq_f32_e64 s7, 0x7f800000, v23
	s_delay_alu instid0(VALU_DEP_3) | instskip(SKIP_2) | instid1(VALU_DEP_3)
	v_fmaak_f32 v26, v26, v27, 0x3f2aaada
	v_ldexp_f32 v27, v24, 1
	v_sub_f32_e32 v24, v24, v25
	v_mul_f32_e32 v26, v28, v26
	v_mul_f32_e32 v28, 0x3f317218, v21
	s_delay_alu instid0(VALU_DEP_2) | instskip(NEXT) | instid1(VALU_DEP_1)
	v_dual_sub_f32 v22, v22, v24 :: v_dual_add_f32 v25, v27, v26
	v_ldexp_f32 v22, v22, 1
	s_delay_alu instid0(VALU_DEP_2) | instskip(NEXT) | instid1(VALU_DEP_4)
	v_sub_f32_e32 v24, v25, v27
	v_fma_f32 v27, 0x3f317218, v21, -v28
	s_delay_alu instid0(VALU_DEP_1) | instskip(NEXT) | instid1(VALU_DEP_1)
	v_dual_sub_f32 v24, v26, v24 :: v_dual_fmamk_f32 v21, v21, 0xb102e308, v27
	v_add_f32_e32 v22, v22, v24
	s_delay_alu instid0(VALU_DEP_2) | instskip(NEXT) | instid1(VALU_DEP_2)
	v_add_f32_e32 v24, v28, v21
	v_add_f32_e32 v26, v25, v22
	s_delay_alu instid0(VALU_DEP_2) | instskip(NEXT) | instid1(VALU_DEP_2)
	v_sub_f32_e32 v28, v24, v28
	v_add_f32_e32 v27, v24, v26
	v_sub_f32_e32 v25, v26, v25
	s_delay_alu instid0(VALU_DEP_3) | instskip(NEXT) | instid1(VALU_DEP_2)
	v_sub_f32_e32 v21, v21, v28
	v_dual_sub_f32 v29, v27, v24 :: v_dual_sub_f32 v22, v22, v25
	s_delay_alu instid0(VALU_DEP_1) | instskip(NEXT) | instid1(VALU_DEP_2)
	v_sub_f32_e32 v30, v27, v29
	v_dual_sub_f32 v25, v26, v29 :: v_dual_add_f32 v26, v21, v22
	s_delay_alu instid0(VALU_DEP_2) | instskip(NEXT) | instid1(VALU_DEP_1)
	v_sub_f32_e32 v24, v24, v30
	v_dual_add_f32 v24, v25, v24 :: v_dual_sub_f32 v25, v26, v21
	s_delay_alu instid0(VALU_DEP_1) | instskip(NEXT) | instid1(VALU_DEP_2)
	v_add_f32_e32 v24, v26, v24
	v_sub_f32_e32 v26, v26, v25
	v_sub_f32_e32 v22, v22, v25
	s_delay_alu instid0(VALU_DEP_2) | instskip(NEXT) | instid1(VALU_DEP_1)
	v_dual_add_f32 v28, v27, v24 :: v_dual_sub_f32 v21, v21, v26
	v_sub_f32_e32 v25, v28, v27
	s_delay_alu instid0(VALU_DEP_2) | instskip(NEXT) | instid1(VALU_DEP_2)
	v_add_f32_e32 v21, v22, v21
	v_sub_f32_e32 v22, v24, v25
	s_delay_alu instid0(VALU_DEP_1) | instskip(NEXT) | instid1(VALU_DEP_1)
	v_add_f32_e32 v21, v21, v22
	v_add_f32_e32 v21, v28, v21
	s_wait_alu 0xf1ff
	s_delay_alu instid0(VALU_DEP_1) | instskip(SKIP_2) | instid1(VALU_DEP_1)
	v_cndmask_b32_e64 v21, 0x7f800000, v21, s7
	v_cmp_gt_f32_e64 s7, 0x33800000, |v23|
	s_wait_alu 0xf1ff
	v_cndmask_b32_e64 v21, v21, v23, s7
	s_delay_alu instid0(VALU_DEP_1)
	v_add_f32_e32 v21, v19, v21
.LBB158_176:
	s_or_b32 exec_lo, exec_lo, s9
	s_delay_alu instid0(VALU_DEP_1)
	v_mov_b32_e32 v19, v21
.LBB158_177:
	s_or_b32 exec_lo, exec_lo, s8
	s_delay_alu instid0(VALU_DEP_1)
	v_mov_b32_dpp v21, v19 row_shr:8 row_mask:0xf bank_mask:0xf
	s_mov_b32 s8, exec_lo
	v_cmpx_lt_u32_e32 7, v20
	s_cbranch_execz .LBB158_181
; %bb.178:
	v_max_num_f32_e32 v20, v19, v19
	v_max_num_f32_e32 v22, v21, v21
	v_cmp_u_f32_e64 s7, v21, v21
	s_delay_alu instid0(VALU_DEP_2) | instskip(SKIP_2) | instid1(VALU_DEP_2)
	v_min_num_f32_e32 v23, v22, v20
	v_max_num_f32_e32 v20, v22, v20
	s_wait_alu 0xf1ff
	v_cndmask_b32_e64 v22, v23, v21, s7
	s_delay_alu instid0(VALU_DEP_2) | instskip(SKIP_2) | instid1(VALU_DEP_1)
	v_cndmask_b32_e64 v23, v20, v21, s7
	v_cmp_u_f32_e64 s7, v19, v19
	s_wait_alu 0xf1ff
	v_cndmask_b32_e64 v20, v22, v19, s7
	s_delay_alu instid0(VALU_DEP_3) | instskip(NEXT) | instid1(VALU_DEP_2)
	v_cndmask_b32_e64 v19, v23, v19, s7
	v_cmp_class_f32_e64 s9, v20, 0x1f8
	s_delay_alu instid0(VALU_DEP_2)
	v_cmp_neq_f32_e64 s7, v20, v19
	s_or_b32 s7, s7, s9
	s_wait_alu 0xfffe
	s_and_saveexec_b32 s9, s7
	s_cbranch_execz .LBB158_180
; %bb.179:
	v_sub_f32_e32 v20, v20, v19
	s_delay_alu instid0(VALU_DEP_1) | instskip(NEXT) | instid1(VALU_DEP_1)
	v_mul_f32_e32 v21, 0x3fb8aa3b, v20
	v_fma_f32 v22, 0x3fb8aa3b, v20, -v21
	v_rndne_f32_e32 v23, v21
	s_delay_alu instid0(VALU_DEP_1) | instskip(NEXT) | instid1(VALU_DEP_1)
	v_dual_fmamk_f32 v22, v20, 0x32a5705f, v22 :: v_dual_sub_f32 v21, v21, v23
	v_add_f32_e32 v21, v21, v22
	v_cvt_i32_f32_e32 v22, v23
	v_cmp_ngt_f32_e64 s7, 0xc2ce8ed0, v20
	s_delay_alu instid0(VALU_DEP_3) | instskip(NEXT) | instid1(TRANS32_DEP_1)
	v_exp_f32_e32 v21, v21
	v_ldexp_f32 v21, v21, v22
	s_wait_alu 0xf1ff
	s_delay_alu instid0(VALU_DEP_1) | instskip(SKIP_2) | instid1(VALU_DEP_1)
	v_cndmask_b32_e64 v21, 0, v21, s7
	v_cmp_nlt_f32_e64 s7, 0x42b17218, v20
	s_wait_alu 0xf1ff
	v_cndmask_b32_e64 v22, 0x7f800000, v21, s7
	s_delay_alu instid0(VALU_DEP_1) | instskip(NEXT) | instid1(VALU_DEP_1)
	v_add_f32_e32 v23, 1.0, v22
	v_cvt_f64_f32_e32 v[20:21], v23
	s_delay_alu instid0(VALU_DEP_1) | instskip(SKIP_1) | instid1(VALU_DEP_1)
	v_frexp_exp_i32_f64_e32 v20, v[20:21]
	v_frexp_mant_f32_e32 v21, v23
	v_cmp_gt_f32_e64 s7, 0x3f2aaaab, v21
	v_add_f32_e32 v21, -1.0, v23
	s_delay_alu instid0(VALU_DEP_1) | instskip(SKIP_1) | instid1(VALU_DEP_3)
	v_sub_f32_e32 v25, v21, v23
	s_wait_alu 0xf1ff
	v_subrev_co_ci_u32_e64 v20, null, 0, v20, s7
	s_mov_b32 s7, 0x3e9b6dac
	v_sub_nc_u32_e32 v24, 0, v20
	v_cvt_f32_i32_e32 v20, v20
	s_delay_alu instid0(VALU_DEP_2) | instskip(NEXT) | instid1(VALU_DEP_1)
	v_ldexp_f32 v23, v23, v24
	v_dual_sub_f32 v21, v22, v21 :: v_dual_add_f32 v26, 1.0, v23
	v_add_f32_e32 v25, 1.0, v25
	s_delay_alu instid0(VALU_DEP_1) | instskip(NEXT) | instid1(VALU_DEP_3)
	v_add_f32_e32 v21, v21, v25
	v_add_f32_e32 v25, -1.0, v26
	s_delay_alu instid0(VALU_DEP_2) | instskip(NEXT) | instid1(VALU_DEP_2)
	v_ldexp_f32 v21, v21, v24
	v_dual_add_f32 v24, -1.0, v23 :: v_dual_sub_f32 v25, v23, v25
	s_delay_alu instid0(VALU_DEP_1) | instskip(NEXT) | instid1(VALU_DEP_2)
	v_add_f32_e32 v27, 1.0, v24
	v_add_f32_e32 v25, v21, v25
	s_delay_alu instid0(VALU_DEP_2) | instskip(NEXT) | instid1(VALU_DEP_2)
	v_sub_f32_e32 v23, v23, v27
	v_add_f32_e32 v27, v26, v25
	s_delay_alu instid0(VALU_DEP_2) | instskip(NEXT) | instid1(VALU_DEP_2)
	v_add_f32_e32 v21, v21, v23
	v_rcp_f32_e32 v23, v27
	v_sub_f32_e32 v26, v26, v27
	s_delay_alu instid0(VALU_DEP_1) | instskip(NEXT) | instid1(VALU_DEP_1)
	v_dual_add_f32 v28, v24, v21 :: v_dual_add_f32 v25, v25, v26
	v_sub_f32_e32 v24, v24, v28
	s_delay_alu instid0(TRANS32_DEP_1) | instskip(NEXT) | instid1(VALU_DEP_1)
	v_mul_f32_e32 v29, v28, v23
	v_dual_add_f32 v21, v21, v24 :: v_dual_mul_f32 v30, v27, v29
	s_delay_alu instid0(VALU_DEP_1) | instskip(NEXT) | instid1(VALU_DEP_1)
	v_fma_f32 v26, v29, v27, -v30
	v_fmac_f32_e32 v26, v29, v25
	s_delay_alu instid0(VALU_DEP_1) | instskip(NEXT) | instid1(VALU_DEP_1)
	v_add_f32_e32 v31, v30, v26
	v_sub_f32_e32 v32, v28, v31
	v_sub_f32_e32 v24, v31, v30
	s_delay_alu instid0(VALU_DEP_2) | instskip(NEXT) | instid1(VALU_DEP_2)
	v_sub_f32_e32 v28, v28, v32
	v_sub_f32_e32 v24, v24, v26
	s_delay_alu instid0(VALU_DEP_2) | instskip(NEXT) | instid1(VALU_DEP_1)
	v_sub_f32_e32 v28, v28, v31
	v_add_f32_e32 v21, v21, v28
	s_delay_alu instid0(VALU_DEP_1) | instskip(NEXT) | instid1(VALU_DEP_1)
	v_add_f32_e32 v21, v24, v21
	v_add_f32_e32 v24, v32, v21
	s_delay_alu instid0(VALU_DEP_1) | instskip(NEXT) | instid1(VALU_DEP_1)
	v_mul_f32_e32 v26, v23, v24
	v_dual_sub_f32 v31, v32, v24 :: v_dual_mul_f32 v28, v27, v26
	s_delay_alu instid0(VALU_DEP_1) | instskip(NEXT) | instid1(VALU_DEP_2)
	v_add_f32_e32 v21, v21, v31
	v_fma_f32 v27, v26, v27, -v28
	s_delay_alu instid0(VALU_DEP_1) | instskip(NEXT) | instid1(VALU_DEP_1)
	v_fmac_f32_e32 v27, v26, v25
	v_add_f32_e32 v25, v28, v27
	s_delay_alu instid0(VALU_DEP_1) | instskip(SKIP_1) | instid1(VALU_DEP_2)
	v_sub_f32_e32 v30, v24, v25
	v_sub_f32_e32 v28, v25, v28
	;; [unrolled: 1-line block ×3, first 2 shown]
	s_delay_alu instid0(VALU_DEP_1) | instskip(NEXT) | instid1(VALU_DEP_3)
	v_sub_f32_e32 v24, v24, v25
	v_sub_f32_e32 v25, v28, v27
	s_delay_alu instid0(VALU_DEP_2) | instskip(SKIP_1) | instid1(VALU_DEP_2)
	v_add_f32_e32 v21, v21, v24
	v_add_f32_e32 v24, v29, v26
	;; [unrolled: 1-line block ×3, first 2 shown]
	s_delay_alu instid0(VALU_DEP_2) | instskip(NEXT) | instid1(VALU_DEP_2)
	v_sub_f32_e32 v25, v24, v29
	v_add_f32_e32 v21, v30, v21
	s_delay_alu instid0(VALU_DEP_2) | instskip(NEXT) | instid1(VALU_DEP_2)
	v_sub_f32_e32 v25, v26, v25
	v_mul_f32_e32 v21, v23, v21
	s_delay_alu instid0(VALU_DEP_1) | instskip(NEXT) | instid1(VALU_DEP_1)
	v_add_f32_e32 v21, v25, v21
	v_add_f32_e32 v23, v24, v21
	s_delay_alu instid0(VALU_DEP_1) | instskip(SKIP_1) | instid1(VALU_DEP_1)
	v_mul_f32_e32 v25, v23, v23
	s_wait_alu 0xfffe
	v_fmaak_f32 v26, s7, v25, 0x3ecc95a3
	v_mul_f32_e32 v27, v23, v25
	v_cmp_neq_f32_e64 s7, 0x7f800000, v22
	s_delay_alu instid0(VALU_DEP_3) | instskip(SKIP_2) | instid1(VALU_DEP_3)
	v_fmaak_f32 v25, v25, v26, 0x3f2aaada
	v_ldexp_f32 v26, v23, 1
	v_sub_f32_e32 v23, v23, v24
	v_mul_f32_e32 v25, v27, v25
	v_mul_f32_e32 v27, 0x3f317218, v20
	s_delay_alu instid0(VALU_DEP_2) | instskip(NEXT) | instid1(VALU_DEP_1)
	v_dual_sub_f32 v21, v21, v23 :: v_dual_add_f32 v24, v26, v25
	v_ldexp_f32 v21, v21, 1
	s_delay_alu instid0(VALU_DEP_2) | instskip(NEXT) | instid1(VALU_DEP_4)
	v_sub_f32_e32 v23, v24, v26
	v_fma_f32 v26, 0x3f317218, v20, -v27
	s_delay_alu instid0(VALU_DEP_1) | instskip(NEXT) | instid1(VALU_DEP_1)
	v_dual_sub_f32 v23, v25, v23 :: v_dual_fmamk_f32 v20, v20, 0xb102e308, v26
	v_add_f32_e32 v21, v21, v23
	s_delay_alu instid0(VALU_DEP_2) | instskip(NEXT) | instid1(VALU_DEP_2)
	v_add_f32_e32 v23, v27, v20
	v_add_f32_e32 v25, v24, v21
	s_delay_alu instid0(VALU_DEP_2) | instskip(NEXT) | instid1(VALU_DEP_2)
	v_sub_f32_e32 v27, v23, v27
	v_add_f32_e32 v26, v23, v25
	v_sub_f32_e32 v24, v25, v24
	s_delay_alu instid0(VALU_DEP_3) | instskip(NEXT) | instid1(VALU_DEP_2)
	v_sub_f32_e32 v20, v20, v27
	v_dual_sub_f32 v28, v26, v23 :: v_dual_sub_f32 v21, v21, v24
	s_delay_alu instid0(VALU_DEP_1) | instskip(NEXT) | instid1(VALU_DEP_2)
	v_sub_f32_e32 v29, v26, v28
	v_dual_sub_f32 v24, v25, v28 :: v_dual_add_f32 v25, v20, v21
	s_delay_alu instid0(VALU_DEP_2) | instskip(NEXT) | instid1(VALU_DEP_1)
	v_sub_f32_e32 v23, v23, v29
	v_dual_add_f32 v23, v24, v23 :: v_dual_sub_f32 v24, v25, v20
	s_delay_alu instid0(VALU_DEP_1) | instskip(NEXT) | instid1(VALU_DEP_2)
	v_add_f32_e32 v23, v25, v23
	v_sub_f32_e32 v25, v25, v24
	v_sub_f32_e32 v21, v21, v24
	s_delay_alu instid0(VALU_DEP_2) | instskip(NEXT) | instid1(VALU_DEP_1)
	v_dual_add_f32 v27, v26, v23 :: v_dual_sub_f32 v20, v20, v25
	v_sub_f32_e32 v24, v27, v26
	s_delay_alu instid0(VALU_DEP_2) | instskip(NEXT) | instid1(VALU_DEP_2)
	v_add_f32_e32 v20, v21, v20
	v_sub_f32_e32 v21, v23, v24
	s_delay_alu instid0(VALU_DEP_1) | instskip(NEXT) | instid1(VALU_DEP_1)
	v_add_f32_e32 v20, v20, v21
	v_add_f32_e32 v20, v27, v20
	s_wait_alu 0xf1ff
	s_delay_alu instid0(VALU_DEP_1) | instskip(SKIP_2) | instid1(VALU_DEP_1)
	v_cndmask_b32_e64 v20, 0x7f800000, v20, s7
	v_cmp_gt_f32_e64 s7, 0x33800000, |v22|
	s_wait_alu 0xf1ff
	v_cndmask_b32_e64 v20, v20, v22, s7
	s_delay_alu instid0(VALU_DEP_1)
	v_add_f32_e32 v21, v19, v20
.LBB158_180:
	s_or_b32 exec_lo, exec_lo, s9
	s_delay_alu instid0(VALU_DEP_1)
	v_mov_b32_e32 v19, v21
.LBB158_181:
	s_or_b32 exec_lo, exec_lo, s8
	ds_swizzle_b32 v20, v19 offset:swizzle(BROADCAST,32,15)
	v_and_b32_e32 v21, 16, v18
	s_mov_b32 s8, exec_lo
	s_delay_alu instid0(VALU_DEP_1)
	v_cmpx_ne_u32_e32 0, v21
	s_cbranch_execz .LBB158_185
; %bb.182:
	s_wait_dscnt 0x0
	v_dual_max_num_f32 v21, v19, v19 :: v_dual_max_num_f32 v22, v20, v20
	v_cmp_u_f32_e64 s7, v20, v20
	s_delay_alu instid0(VALU_DEP_2) | instskip(SKIP_2) | instid1(VALU_DEP_2)
	v_min_num_f32_e32 v23, v22, v21
	v_max_num_f32_e32 v21, v22, v21
	s_wait_alu 0xf1ff
	v_cndmask_b32_e64 v22, v23, v20, s7
	s_delay_alu instid0(VALU_DEP_2) | instskip(SKIP_2) | instid1(VALU_DEP_1)
	v_cndmask_b32_e64 v23, v21, v20, s7
	v_cmp_u_f32_e64 s7, v19, v19
	s_wait_alu 0xf1ff
	v_cndmask_b32_e64 v21, v22, v19, s7
	s_delay_alu instid0(VALU_DEP_3) | instskip(NEXT) | instid1(VALU_DEP_2)
	v_cndmask_b32_e64 v19, v23, v19, s7
	v_cmp_class_f32_e64 s9, v21, 0x1f8
	s_delay_alu instid0(VALU_DEP_2)
	v_cmp_neq_f32_e64 s7, v21, v19
	s_or_b32 s7, s7, s9
	s_wait_alu 0xfffe
	s_and_saveexec_b32 s9, s7
	s_cbranch_execz .LBB158_184
; %bb.183:
	v_sub_f32_e32 v20, v21, v19
	s_delay_alu instid0(VALU_DEP_1) | instskip(SKIP_1) | instid1(VALU_DEP_2)
	v_mul_f32_e32 v21, 0x3fb8aa3b, v20
	v_cmp_ngt_f32_e64 s7, 0xc2ce8ed0, v20
	v_fma_f32 v22, 0x3fb8aa3b, v20, -v21
	v_rndne_f32_e32 v23, v21
	s_delay_alu instid0(VALU_DEP_1) | instskip(NEXT) | instid1(VALU_DEP_1)
	v_dual_fmamk_f32 v22, v20, 0x32a5705f, v22 :: v_dual_sub_f32 v21, v21, v23
	v_add_f32_e32 v21, v21, v22
	v_cvt_i32_f32_e32 v22, v23
	s_delay_alu instid0(VALU_DEP_2) | instskip(NEXT) | instid1(TRANS32_DEP_1)
	v_exp_f32_e32 v21, v21
	v_ldexp_f32 v21, v21, v22
	s_wait_alu 0xf1ff
	s_delay_alu instid0(VALU_DEP_1) | instskip(SKIP_2) | instid1(VALU_DEP_1)
	v_cndmask_b32_e64 v21, 0, v21, s7
	v_cmp_nlt_f32_e64 s7, 0x42b17218, v20
	s_wait_alu 0xf1ff
	v_cndmask_b32_e64 v22, 0x7f800000, v21, s7
	s_delay_alu instid0(VALU_DEP_1) | instskip(NEXT) | instid1(VALU_DEP_1)
	v_add_f32_e32 v23, 1.0, v22
	v_cvt_f64_f32_e32 v[20:21], v23
	s_delay_alu instid0(VALU_DEP_1) | instskip(SKIP_1) | instid1(VALU_DEP_1)
	v_frexp_exp_i32_f64_e32 v20, v[20:21]
	v_frexp_mant_f32_e32 v21, v23
	v_cmp_gt_f32_e64 s7, 0x3f2aaaab, v21
	v_add_f32_e32 v21, -1.0, v23
	s_delay_alu instid0(VALU_DEP_1)
	v_sub_f32_e32 v25, v21, v23
	v_sub_f32_e32 v21, v22, v21
	s_wait_alu 0xf1ff
	v_subrev_co_ci_u32_e64 v20, null, 0, v20, s7
	s_mov_b32 s7, 0x3e9b6dac
	v_sub_nc_u32_e32 v24, 0, v20
	v_cvt_f32_i32_e32 v20, v20
	s_delay_alu instid0(VALU_DEP_2) | instskip(NEXT) | instid1(VALU_DEP_1)
	v_ldexp_f32 v23, v23, v24
	v_dual_add_f32 v26, 1.0, v23 :: v_dual_add_f32 v25, 1.0, v25
	s_delay_alu instid0(VALU_DEP_1) | instskip(NEXT) | instid1(VALU_DEP_2)
	v_add_f32_e32 v21, v21, v25
	v_add_f32_e32 v25, -1.0, v26
	s_delay_alu instid0(VALU_DEP_2) | instskip(NEXT) | instid1(VALU_DEP_2)
	v_ldexp_f32 v21, v21, v24
	v_dual_add_f32 v24, -1.0, v23 :: v_dual_sub_f32 v25, v23, v25
	s_delay_alu instid0(VALU_DEP_1) | instskip(NEXT) | instid1(VALU_DEP_2)
	v_add_f32_e32 v27, 1.0, v24
	v_add_f32_e32 v25, v21, v25
	s_delay_alu instid0(VALU_DEP_2) | instskip(NEXT) | instid1(VALU_DEP_2)
	v_sub_f32_e32 v23, v23, v27
	v_add_f32_e32 v27, v26, v25
	s_delay_alu instid0(VALU_DEP_2) | instskip(NEXT) | instid1(VALU_DEP_2)
	v_add_f32_e32 v21, v21, v23
	v_rcp_f32_e32 v23, v27
	v_sub_f32_e32 v26, v26, v27
	s_delay_alu instid0(VALU_DEP_1) | instskip(NEXT) | instid1(VALU_DEP_1)
	v_dual_add_f32 v28, v24, v21 :: v_dual_add_f32 v25, v25, v26
	v_sub_f32_e32 v24, v24, v28
	s_delay_alu instid0(TRANS32_DEP_1) | instskip(NEXT) | instid1(VALU_DEP_1)
	v_mul_f32_e32 v29, v28, v23
	v_dual_add_f32 v21, v21, v24 :: v_dual_mul_f32 v30, v27, v29
	s_delay_alu instid0(VALU_DEP_1) | instskip(NEXT) | instid1(VALU_DEP_1)
	v_fma_f32 v26, v29, v27, -v30
	v_fmac_f32_e32 v26, v29, v25
	s_delay_alu instid0(VALU_DEP_1) | instskip(NEXT) | instid1(VALU_DEP_1)
	v_add_f32_e32 v31, v30, v26
	v_sub_f32_e32 v32, v28, v31
	v_sub_f32_e32 v24, v31, v30
	s_delay_alu instid0(VALU_DEP_2) | instskip(NEXT) | instid1(VALU_DEP_2)
	v_sub_f32_e32 v28, v28, v32
	v_sub_f32_e32 v24, v24, v26
	s_delay_alu instid0(VALU_DEP_2) | instskip(NEXT) | instid1(VALU_DEP_1)
	v_sub_f32_e32 v28, v28, v31
	v_add_f32_e32 v21, v21, v28
	s_delay_alu instid0(VALU_DEP_1) | instskip(NEXT) | instid1(VALU_DEP_1)
	v_add_f32_e32 v21, v24, v21
	v_add_f32_e32 v24, v32, v21
	s_delay_alu instid0(VALU_DEP_1) | instskip(NEXT) | instid1(VALU_DEP_1)
	v_mul_f32_e32 v26, v23, v24
	v_dual_sub_f32 v31, v32, v24 :: v_dual_mul_f32 v28, v27, v26
	s_delay_alu instid0(VALU_DEP_1) | instskip(NEXT) | instid1(VALU_DEP_2)
	v_add_f32_e32 v21, v21, v31
	v_fma_f32 v27, v26, v27, -v28
	s_delay_alu instid0(VALU_DEP_1) | instskip(NEXT) | instid1(VALU_DEP_1)
	v_fmac_f32_e32 v27, v26, v25
	v_add_f32_e32 v25, v28, v27
	s_delay_alu instid0(VALU_DEP_1) | instskip(SKIP_1) | instid1(VALU_DEP_2)
	v_sub_f32_e32 v30, v24, v25
	v_sub_f32_e32 v28, v25, v28
	;; [unrolled: 1-line block ×3, first 2 shown]
	s_delay_alu instid0(VALU_DEP_1) | instskip(NEXT) | instid1(VALU_DEP_3)
	v_sub_f32_e32 v24, v24, v25
	v_sub_f32_e32 v25, v28, v27
	s_delay_alu instid0(VALU_DEP_2) | instskip(SKIP_1) | instid1(VALU_DEP_2)
	v_add_f32_e32 v21, v21, v24
	v_add_f32_e32 v24, v29, v26
	;; [unrolled: 1-line block ×3, first 2 shown]
	s_delay_alu instid0(VALU_DEP_2) | instskip(NEXT) | instid1(VALU_DEP_2)
	v_sub_f32_e32 v25, v24, v29
	v_add_f32_e32 v21, v30, v21
	s_delay_alu instid0(VALU_DEP_2) | instskip(NEXT) | instid1(VALU_DEP_2)
	v_sub_f32_e32 v25, v26, v25
	v_mul_f32_e32 v21, v23, v21
	s_delay_alu instid0(VALU_DEP_1) | instskip(NEXT) | instid1(VALU_DEP_1)
	v_add_f32_e32 v21, v25, v21
	v_add_f32_e32 v23, v24, v21
	s_delay_alu instid0(VALU_DEP_1) | instskip(SKIP_1) | instid1(VALU_DEP_1)
	v_mul_f32_e32 v25, v23, v23
	s_wait_alu 0xfffe
	v_fmaak_f32 v26, s7, v25, 0x3ecc95a3
	v_mul_f32_e32 v27, v23, v25
	v_cmp_neq_f32_e64 s7, 0x7f800000, v22
	s_delay_alu instid0(VALU_DEP_3) | instskip(SKIP_2) | instid1(VALU_DEP_3)
	v_fmaak_f32 v25, v25, v26, 0x3f2aaada
	v_ldexp_f32 v26, v23, 1
	v_sub_f32_e32 v23, v23, v24
	v_mul_f32_e32 v25, v27, v25
	v_mul_f32_e32 v27, 0x3f317218, v20
	s_delay_alu instid0(VALU_DEP_2) | instskip(NEXT) | instid1(VALU_DEP_1)
	v_dual_sub_f32 v21, v21, v23 :: v_dual_add_f32 v24, v26, v25
	v_ldexp_f32 v21, v21, 1
	s_delay_alu instid0(VALU_DEP_2) | instskip(NEXT) | instid1(VALU_DEP_4)
	v_sub_f32_e32 v23, v24, v26
	v_fma_f32 v26, 0x3f317218, v20, -v27
	s_delay_alu instid0(VALU_DEP_1) | instskip(NEXT) | instid1(VALU_DEP_1)
	v_dual_sub_f32 v23, v25, v23 :: v_dual_fmamk_f32 v20, v20, 0xb102e308, v26
	v_add_f32_e32 v21, v21, v23
	s_delay_alu instid0(VALU_DEP_2) | instskip(NEXT) | instid1(VALU_DEP_2)
	v_add_f32_e32 v23, v27, v20
	v_add_f32_e32 v25, v24, v21
	s_delay_alu instid0(VALU_DEP_2) | instskip(NEXT) | instid1(VALU_DEP_2)
	v_sub_f32_e32 v27, v23, v27
	v_add_f32_e32 v26, v23, v25
	v_sub_f32_e32 v24, v25, v24
	s_delay_alu instid0(VALU_DEP_3) | instskip(NEXT) | instid1(VALU_DEP_2)
	v_sub_f32_e32 v20, v20, v27
	v_dual_sub_f32 v28, v26, v23 :: v_dual_sub_f32 v21, v21, v24
	s_delay_alu instid0(VALU_DEP_1) | instskip(NEXT) | instid1(VALU_DEP_2)
	v_sub_f32_e32 v29, v26, v28
	v_dual_sub_f32 v24, v25, v28 :: v_dual_add_f32 v25, v20, v21
	s_delay_alu instid0(VALU_DEP_2) | instskip(NEXT) | instid1(VALU_DEP_1)
	v_sub_f32_e32 v23, v23, v29
	v_dual_add_f32 v23, v24, v23 :: v_dual_sub_f32 v24, v25, v20
	s_delay_alu instid0(VALU_DEP_1) | instskip(NEXT) | instid1(VALU_DEP_2)
	v_add_f32_e32 v23, v25, v23
	v_sub_f32_e32 v25, v25, v24
	v_sub_f32_e32 v21, v21, v24
	s_delay_alu instid0(VALU_DEP_2) | instskip(NEXT) | instid1(VALU_DEP_1)
	v_dual_add_f32 v27, v26, v23 :: v_dual_sub_f32 v20, v20, v25
	v_sub_f32_e32 v24, v27, v26
	s_delay_alu instid0(VALU_DEP_2) | instskip(NEXT) | instid1(VALU_DEP_2)
	v_add_f32_e32 v20, v21, v20
	v_sub_f32_e32 v21, v23, v24
	s_delay_alu instid0(VALU_DEP_1) | instskip(NEXT) | instid1(VALU_DEP_1)
	v_add_f32_e32 v20, v20, v21
	v_add_f32_e32 v20, v27, v20
	s_wait_alu 0xf1ff
	s_delay_alu instid0(VALU_DEP_1) | instskip(SKIP_2) | instid1(VALU_DEP_1)
	v_cndmask_b32_e64 v20, 0x7f800000, v20, s7
	v_cmp_gt_f32_e64 s7, 0x33800000, |v22|
	s_wait_alu 0xf1ff
	v_cndmask_b32_e64 v20, v20, v22, s7
	s_delay_alu instid0(VALU_DEP_1)
	v_add_f32_e32 v20, v19, v20
.LBB158_184:
	s_or_b32 exec_lo, exec_lo, s9
	s_delay_alu instid0(VALU_DEP_1)
	v_mov_b32_e32 v19, v20
.LBB158_185:
	s_or_b32 exec_lo, exec_lo, s8
	v_or_b32_e32 v21, 31, v0
	s_wait_dscnt 0x0
	v_lshrrev_b32_e32 v20, 5, v0
	s_mov_b32 s8, exec_lo
	s_delay_alu instid0(VALU_DEP_2)
	v_cmpx_eq_u32_e64 v0, v21
; %bb.186:
	s_delay_alu instid0(VALU_DEP_2)
	v_lshlrev_b32_e32 v21, 2, v20
	ds_store_b32 v21, v19
; %bb.187:
	s_or_b32 exec_lo, exec_lo, s8
	s_delay_alu instid0(SALU_CYCLE_1)
	s_mov_b32 s8, exec_lo
	s_wait_loadcnt_dscnt 0x0
	s_barrier_signal -1
	s_barrier_wait -1
	global_inv scope:SCOPE_SE
	v_cmpx_gt_u32_e32 8, v0
	s_cbranch_execz .LBB158_201
; %bb.188:
	v_mad_i32_i24 v21, 0xffffffec, v0, v16
	s_mov_b32 s9, exec_lo
	ds_load_b32 v23, v21
	v_and_b32_e32 v21, 7, v18
	s_wait_dscnt 0x0
	v_mov_b32_dpp v24, v23 row_shr:1 row_mask:0xf bank_mask:0xf
	s_delay_alu instid0(VALU_DEP_2)
	v_cmpx_ne_u32_e32 0, v21
	s_cbranch_execz .LBB158_192
; %bb.189:
	s_delay_alu instid0(VALU_DEP_2) | instskip(SKIP_1) | instid1(VALU_DEP_2)
	v_dual_max_num_f32 v22, v23, v23 :: v_dual_max_num_f32 v25, v24, v24
	v_cmp_u_f32_e64 s7, v24, v24
	v_min_num_f32_e32 v26, v25, v22
	v_max_num_f32_e32 v22, v25, v22
	s_wait_alu 0xf1ff
	s_delay_alu instid0(VALU_DEP_2) | instskip(NEXT) | instid1(VALU_DEP_2)
	v_cndmask_b32_e64 v25, v26, v24, s7
	v_cndmask_b32_e64 v22, v22, v24, s7
	v_cmp_u_f32_e64 s7, v23, v23
	s_wait_alu 0xf1ff
	s_delay_alu instid0(VALU_DEP_1) | instskip(NEXT) | instid1(VALU_DEP_3)
	v_cndmask_b32_e64 v25, v25, v23, s7
	v_cndmask_b32_e64 v22, v22, v23, s7
	s_delay_alu instid0(VALU_DEP_2) | instskip(NEXT) | instid1(VALU_DEP_2)
	v_cmp_class_f32_e64 s10, v25, 0x1f8
	v_cmp_neq_f32_e64 s7, v25, v22
	s_or_b32 s7, s7, s10
	s_wait_alu 0xfffe
	s_and_saveexec_b32 s10, s7
	s_cbranch_execz .LBB158_191
; %bb.190:
	v_sub_f32_e32 v23, v25, v22
	s_delay_alu instid0(VALU_DEP_1) | instskip(NEXT) | instid1(VALU_DEP_1)
	v_mul_f32_e32 v24, 0x3fb8aa3b, v23
	v_fma_f32 v25, 0x3fb8aa3b, v23, -v24
	v_rndne_f32_e32 v26, v24
	s_delay_alu instid0(VALU_DEP_1) | instskip(NEXT) | instid1(VALU_DEP_1)
	v_dual_fmamk_f32 v25, v23, 0x32a5705f, v25 :: v_dual_sub_f32 v24, v24, v26
	v_add_f32_e32 v24, v24, v25
	v_cvt_i32_f32_e32 v25, v26
	v_cmp_ngt_f32_e64 s7, 0xc2ce8ed0, v23
	s_delay_alu instid0(VALU_DEP_3) | instskip(NEXT) | instid1(TRANS32_DEP_1)
	v_exp_f32_e32 v24, v24
	v_ldexp_f32 v24, v24, v25
	s_wait_alu 0xf1ff
	s_delay_alu instid0(VALU_DEP_1) | instskip(SKIP_2) | instid1(VALU_DEP_1)
	v_cndmask_b32_e64 v24, 0, v24, s7
	v_cmp_nlt_f32_e64 s7, 0x42b17218, v23
	s_wait_alu 0xf1ff
	v_cndmask_b32_e64 v25, 0x7f800000, v24, s7
	s_delay_alu instid0(VALU_DEP_1) | instskip(NEXT) | instid1(VALU_DEP_1)
	v_add_f32_e32 v26, 1.0, v25
	v_cvt_f64_f32_e32 v[23:24], v26
	s_delay_alu instid0(VALU_DEP_1) | instskip(SKIP_1) | instid1(VALU_DEP_1)
	v_frexp_exp_i32_f64_e32 v23, v[23:24]
	v_frexp_mant_f32_e32 v24, v26
	v_cmp_gt_f32_e64 s7, 0x3f2aaaab, v24
	v_add_f32_e32 v24, -1.0, v26
	s_delay_alu instid0(VALU_DEP_1) | instskip(SKIP_1) | instid1(VALU_DEP_3)
	v_sub_f32_e32 v28, v24, v26
	s_wait_alu 0xf1ff
	v_subrev_co_ci_u32_e64 v23, null, 0, v23, s7
	s_mov_b32 s7, 0x3e9b6dac
	v_sub_nc_u32_e32 v27, 0, v23
	v_cvt_f32_i32_e32 v23, v23
	s_delay_alu instid0(VALU_DEP_2) | instskip(NEXT) | instid1(VALU_DEP_1)
	v_ldexp_f32 v26, v26, v27
	v_dual_sub_f32 v24, v25, v24 :: v_dual_add_f32 v29, 1.0, v26
	v_add_f32_e32 v28, 1.0, v28
	s_delay_alu instid0(VALU_DEP_1) | instskip(NEXT) | instid1(VALU_DEP_3)
	v_add_f32_e32 v24, v24, v28
	v_add_f32_e32 v28, -1.0, v29
	s_delay_alu instid0(VALU_DEP_2) | instskip(NEXT) | instid1(VALU_DEP_2)
	v_ldexp_f32 v24, v24, v27
	v_dual_add_f32 v27, -1.0, v26 :: v_dual_sub_f32 v28, v26, v28
	s_delay_alu instid0(VALU_DEP_1) | instskip(NEXT) | instid1(VALU_DEP_2)
	v_add_f32_e32 v30, 1.0, v27
	v_add_f32_e32 v28, v24, v28
	s_delay_alu instid0(VALU_DEP_2) | instskip(NEXT) | instid1(VALU_DEP_2)
	v_sub_f32_e32 v26, v26, v30
	v_add_f32_e32 v30, v29, v28
	s_delay_alu instid0(VALU_DEP_2) | instskip(NEXT) | instid1(VALU_DEP_2)
	v_add_f32_e32 v24, v24, v26
	v_rcp_f32_e32 v26, v30
	v_sub_f32_e32 v29, v29, v30
	s_delay_alu instid0(VALU_DEP_1) | instskip(NEXT) | instid1(VALU_DEP_1)
	v_dual_add_f32 v31, v27, v24 :: v_dual_add_f32 v28, v28, v29
	v_sub_f32_e32 v27, v27, v31
	s_delay_alu instid0(TRANS32_DEP_1) | instskip(NEXT) | instid1(VALU_DEP_1)
	v_mul_f32_e32 v32, v31, v26
	v_dual_add_f32 v24, v24, v27 :: v_dual_mul_f32 v33, v30, v32
	s_delay_alu instid0(VALU_DEP_1) | instskip(NEXT) | instid1(VALU_DEP_1)
	v_fma_f32 v29, v32, v30, -v33
	v_fmac_f32_e32 v29, v32, v28
	s_delay_alu instid0(VALU_DEP_1) | instskip(NEXT) | instid1(VALU_DEP_1)
	v_add_f32_e32 v34, v33, v29
	v_sub_f32_e32 v35, v31, v34
	v_sub_f32_e32 v27, v34, v33
	s_delay_alu instid0(VALU_DEP_2) | instskip(NEXT) | instid1(VALU_DEP_2)
	v_sub_f32_e32 v31, v31, v35
	v_sub_f32_e32 v27, v27, v29
	s_delay_alu instid0(VALU_DEP_2) | instskip(NEXT) | instid1(VALU_DEP_1)
	v_sub_f32_e32 v31, v31, v34
	v_add_f32_e32 v24, v24, v31
	s_delay_alu instid0(VALU_DEP_1) | instskip(NEXT) | instid1(VALU_DEP_1)
	v_add_f32_e32 v24, v27, v24
	v_add_f32_e32 v27, v35, v24
	s_delay_alu instid0(VALU_DEP_1) | instskip(NEXT) | instid1(VALU_DEP_1)
	v_mul_f32_e32 v29, v26, v27
	v_dual_sub_f32 v34, v35, v27 :: v_dual_mul_f32 v31, v30, v29
	s_delay_alu instid0(VALU_DEP_1) | instskip(NEXT) | instid1(VALU_DEP_2)
	v_add_f32_e32 v24, v24, v34
	v_fma_f32 v30, v29, v30, -v31
	s_delay_alu instid0(VALU_DEP_1) | instskip(NEXT) | instid1(VALU_DEP_1)
	v_fmac_f32_e32 v30, v29, v28
	v_add_f32_e32 v28, v31, v30
	s_delay_alu instid0(VALU_DEP_1) | instskip(SKIP_1) | instid1(VALU_DEP_2)
	v_sub_f32_e32 v33, v27, v28
	v_sub_f32_e32 v31, v28, v31
	;; [unrolled: 1-line block ×3, first 2 shown]
	s_delay_alu instid0(VALU_DEP_1) | instskip(NEXT) | instid1(VALU_DEP_3)
	v_sub_f32_e32 v27, v27, v28
	v_sub_f32_e32 v28, v31, v30
	s_delay_alu instid0(VALU_DEP_2) | instskip(SKIP_1) | instid1(VALU_DEP_2)
	v_add_f32_e32 v24, v24, v27
	v_add_f32_e32 v27, v32, v29
	;; [unrolled: 1-line block ×3, first 2 shown]
	s_delay_alu instid0(VALU_DEP_2) | instskip(NEXT) | instid1(VALU_DEP_2)
	v_sub_f32_e32 v28, v27, v32
	v_add_f32_e32 v24, v33, v24
	s_delay_alu instid0(VALU_DEP_2) | instskip(NEXT) | instid1(VALU_DEP_2)
	v_sub_f32_e32 v28, v29, v28
	v_mul_f32_e32 v24, v26, v24
	s_delay_alu instid0(VALU_DEP_1) | instskip(NEXT) | instid1(VALU_DEP_1)
	v_add_f32_e32 v24, v28, v24
	v_add_f32_e32 v26, v27, v24
	s_delay_alu instid0(VALU_DEP_1) | instskip(SKIP_1) | instid1(VALU_DEP_1)
	v_mul_f32_e32 v28, v26, v26
	s_wait_alu 0xfffe
	v_fmaak_f32 v29, s7, v28, 0x3ecc95a3
	v_mul_f32_e32 v30, v26, v28
	v_cmp_neq_f32_e64 s7, 0x7f800000, v25
	s_delay_alu instid0(VALU_DEP_3) | instskip(SKIP_2) | instid1(VALU_DEP_3)
	v_fmaak_f32 v28, v28, v29, 0x3f2aaada
	v_ldexp_f32 v29, v26, 1
	v_sub_f32_e32 v26, v26, v27
	v_mul_f32_e32 v28, v30, v28
	v_mul_f32_e32 v30, 0x3f317218, v23
	s_delay_alu instid0(VALU_DEP_2) | instskip(NEXT) | instid1(VALU_DEP_1)
	v_dual_sub_f32 v24, v24, v26 :: v_dual_add_f32 v27, v29, v28
	v_ldexp_f32 v24, v24, 1
	s_delay_alu instid0(VALU_DEP_2) | instskip(NEXT) | instid1(VALU_DEP_4)
	v_sub_f32_e32 v26, v27, v29
	v_fma_f32 v29, 0x3f317218, v23, -v30
	s_delay_alu instid0(VALU_DEP_1) | instskip(NEXT) | instid1(VALU_DEP_1)
	v_dual_sub_f32 v26, v28, v26 :: v_dual_fmamk_f32 v23, v23, 0xb102e308, v29
	v_add_f32_e32 v24, v24, v26
	s_delay_alu instid0(VALU_DEP_2) | instskip(NEXT) | instid1(VALU_DEP_2)
	v_add_f32_e32 v26, v30, v23
	v_add_f32_e32 v28, v27, v24
	s_delay_alu instid0(VALU_DEP_2) | instskip(NEXT) | instid1(VALU_DEP_2)
	v_sub_f32_e32 v30, v26, v30
	v_add_f32_e32 v29, v26, v28
	v_sub_f32_e32 v27, v28, v27
	s_delay_alu instid0(VALU_DEP_3) | instskip(NEXT) | instid1(VALU_DEP_2)
	v_sub_f32_e32 v23, v23, v30
	v_dual_sub_f32 v31, v29, v26 :: v_dual_sub_f32 v24, v24, v27
	s_delay_alu instid0(VALU_DEP_1) | instskip(NEXT) | instid1(VALU_DEP_2)
	v_sub_f32_e32 v32, v29, v31
	v_dual_sub_f32 v27, v28, v31 :: v_dual_add_f32 v28, v23, v24
	s_delay_alu instid0(VALU_DEP_2) | instskip(NEXT) | instid1(VALU_DEP_1)
	v_sub_f32_e32 v26, v26, v32
	v_dual_add_f32 v26, v27, v26 :: v_dual_sub_f32 v27, v28, v23
	s_delay_alu instid0(VALU_DEP_1) | instskip(NEXT) | instid1(VALU_DEP_2)
	v_add_f32_e32 v26, v28, v26
	v_sub_f32_e32 v28, v28, v27
	v_sub_f32_e32 v24, v24, v27
	s_delay_alu instid0(VALU_DEP_2) | instskip(NEXT) | instid1(VALU_DEP_1)
	v_dual_add_f32 v30, v29, v26 :: v_dual_sub_f32 v23, v23, v28
	v_sub_f32_e32 v27, v30, v29
	s_delay_alu instid0(VALU_DEP_2) | instskip(NEXT) | instid1(VALU_DEP_2)
	v_add_f32_e32 v23, v24, v23
	v_sub_f32_e32 v24, v26, v27
	s_delay_alu instid0(VALU_DEP_1) | instskip(NEXT) | instid1(VALU_DEP_1)
	v_add_f32_e32 v23, v23, v24
	v_add_f32_e32 v23, v30, v23
	s_wait_alu 0xf1ff
	s_delay_alu instid0(VALU_DEP_1) | instskip(SKIP_2) | instid1(VALU_DEP_1)
	v_cndmask_b32_e64 v23, 0x7f800000, v23, s7
	v_cmp_gt_f32_e64 s7, 0x33800000, |v25|
	s_wait_alu 0xf1ff
	v_cndmask_b32_e64 v23, v23, v25, s7
	s_delay_alu instid0(VALU_DEP_1)
	v_add_f32_e32 v24, v22, v23
.LBB158_191:
	s_or_b32 exec_lo, exec_lo, s10
	s_delay_alu instid0(VALU_DEP_1)
	v_mov_b32_e32 v23, v24
.LBB158_192:
	s_or_b32 exec_lo, exec_lo, s9
	v_mul_i32_i24_e32 v22, 0xffffffec, v0
	s_delay_alu instid0(VALU_DEP_2)
	v_mov_b32_dpp v24, v23 row_shr:2 row_mask:0xf bank_mask:0xf
	s_mov_b32 s9, exec_lo
	v_cmpx_lt_u32_e32 1, v21
	s_cbranch_execz .LBB158_196
; %bb.193:
	s_delay_alu instid0(VALU_DEP_2) | instskip(SKIP_1) | instid1(VALU_DEP_2)
	v_dual_max_num_f32 v25, v23, v23 :: v_dual_max_num_f32 v26, v24, v24
	v_cmp_u_f32_e64 s7, v24, v24
	v_min_num_f32_e32 v27, v26, v25
	v_max_num_f32_e32 v25, v26, v25
	s_wait_alu 0xf1ff
	s_delay_alu instid0(VALU_DEP_2) | instskip(NEXT) | instid1(VALU_DEP_2)
	v_cndmask_b32_e64 v26, v27, v24, s7
	v_cndmask_b32_e64 v27, v25, v24, s7
	v_cmp_u_f32_e64 s7, v23, v23
	s_wait_alu 0xf1ff
	s_delay_alu instid0(VALU_DEP_1) | instskip(NEXT) | instid1(VALU_DEP_3)
	v_cndmask_b32_e64 v25, v26, v23, s7
	v_cndmask_b32_e64 v23, v27, v23, s7
	s_delay_alu instid0(VALU_DEP_2) | instskip(NEXT) | instid1(VALU_DEP_2)
	v_cmp_class_f32_e64 s10, v25, 0x1f8
	v_cmp_neq_f32_e64 s7, v25, v23
	s_or_b32 s7, s7, s10
	s_wait_alu 0xfffe
	s_and_saveexec_b32 s10, s7
	s_cbranch_execz .LBB158_195
; %bb.194:
	v_sub_f32_e32 v24, v25, v23
	s_delay_alu instid0(VALU_DEP_1) | instskip(SKIP_1) | instid1(VALU_DEP_2)
	v_mul_f32_e32 v25, 0x3fb8aa3b, v24
	v_cmp_ngt_f32_e64 s7, 0xc2ce8ed0, v24
	v_fma_f32 v26, 0x3fb8aa3b, v24, -v25
	v_rndne_f32_e32 v27, v25
	s_delay_alu instid0(VALU_DEP_1) | instskip(NEXT) | instid1(VALU_DEP_1)
	v_dual_fmamk_f32 v26, v24, 0x32a5705f, v26 :: v_dual_sub_f32 v25, v25, v27
	v_add_f32_e32 v25, v25, v26
	v_cvt_i32_f32_e32 v26, v27
	s_delay_alu instid0(VALU_DEP_2) | instskip(NEXT) | instid1(TRANS32_DEP_1)
	v_exp_f32_e32 v25, v25
	v_ldexp_f32 v25, v25, v26
	s_wait_alu 0xf1ff
	s_delay_alu instid0(VALU_DEP_1) | instskip(SKIP_2) | instid1(VALU_DEP_1)
	v_cndmask_b32_e64 v25, 0, v25, s7
	v_cmp_nlt_f32_e64 s7, 0x42b17218, v24
	s_wait_alu 0xf1ff
	v_cndmask_b32_e64 v26, 0x7f800000, v25, s7
	s_delay_alu instid0(VALU_DEP_1) | instskip(NEXT) | instid1(VALU_DEP_1)
	v_add_f32_e32 v27, 1.0, v26
	v_cvt_f64_f32_e32 v[24:25], v27
	s_delay_alu instid0(VALU_DEP_1) | instskip(SKIP_1) | instid1(VALU_DEP_1)
	v_frexp_exp_i32_f64_e32 v24, v[24:25]
	v_frexp_mant_f32_e32 v25, v27
	v_cmp_gt_f32_e64 s7, 0x3f2aaaab, v25
	v_add_f32_e32 v25, -1.0, v27
	s_delay_alu instid0(VALU_DEP_1)
	v_sub_f32_e32 v29, v25, v27
	v_sub_f32_e32 v25, v26, v25
	s_wait_alu 0xf1ff
	v_subrev_co_ci_u32_e64 v24, null, 0, v24, s7
	s_mov_b32 s7, 0x3e9b6dac
	v_sub_nc_u32_e32 v28, 0, v24
	v_cvt_f32_i32_e32 v24, v24
	s_delay_alu instid0(VALU_DEP_2) | instskip(NEXT) | instid1(VALU_DEP_1)
	v_ldexp_f32 v27, v27, v28
	v_dual_add_f32 v30, 1.0, v27 :: v_dual_add_f32 v29, 1.0, v29
	s_delay_alu instid0(VALU_DEP_1) | instskip(NEXT) | instid1(VALU_DEP_2)
	v_add_f32_e32 v25, v25, v29
	v_add_f32_e32 v29, -1.0, v30
	s_delay_alu instid0(VALU_DEP_2) | instskip(NEXT) | instid1(VALU_DEP_2)
	v_ldexp_f32 v25, v25, v28
	v_dual_add_f32 v28, -1.0, v27 :: v_dual_sub_f32 v29, v27, v29
	s_delay_alu instid0(VALU_DEP_1) | instskip(NEXT) | instid1(VALU_DEP_2)
	v_add_f32_e32 v31, 1.0, v28
	v_add_f32_e32 v29, v25, v29
	s_delay_alu instid0(VALU_DEP_2) | instskip(NEXT) | instid1(VALU_DEP_2)
	v_sub_f32_e32 v27, v27, v31
	v_add_f32_e32 v31, v30, v29
	s_delay_alu instid0(VALU_DEP_2) | instskip(NEXT) | instid1(VALU_DEP_2)
	v_add_f32_e32 v25, v25, v27
	v_rcp_f32_e32 v27, v31
	v_sub_f32_e32 v30, v30, v31
	s_delay_alu instid0(VALU_DEP_1) | instskip(NEXT) | instid1(VALU_DEP_1)
	v_dual_add_f32 v32, v28, v25 :: v_dual_add_f32 v29, v29, v30
	v_sub_f32_e32 v28, v28, v32
	s_delay_alu instid0(TRANS32_DEP_1) | instskip(NEXT) | instid1(VALU_DEP_1)
	v_mul_f32_e32 v33, v32, v27
	v_dual_add_f32 v25, v25, v28 :: v_dual_mul_f32 v34, v31, v33
	s_delay_alu instid0(VALU_DEP_1) | instskip(NEXT) | instid1(VALU_DEP_1)
	v_fma_f32 v30, v33, v31, -v34
	v_fmac_f32_e32 v30, v33, v29
	s_delay_alu instid0(VALU_DEP_1) | instskip(NEXT) | instid1(VALU_DEP_1)
	v_add_f32_e32 v35, v34, v30
	v_sub_f32_e32 v36, v32, v35
	v_sub_f32_e32 v28, v35, v34
	s_delay_alu instid0(VALU_DEP_2) | instskip(NEXT) | instid1(VALU_DEP_2)
	v_sub_f32_e32 v32, v32, v36
	v_sub_f32_e32 v28, v28, v30
	s_delay_alu instid0(VALU_DEP_2) | instskip(NEXT) | instid1(VALU_DEP_1)
	v_sub_f32_e32 v32, v32, v35
	v_add_f32_e32 v25, v25, v32
	s_delay_alu instid0(VALU_DEP_1) | instskip(NEXT) | instid1(VALU_DEP_1)
	v_add_f32_e32 v25, v28, v25
	v_add_f32_e32 v28, v36, v25
	s_delay_alu instid0(VALU_DEP_1) | instskip(NEXT) | instid1(VALU_DEP_1)
	v_mul_f32_e32 v30, v27, v28
	v_dual_sub_f32 v35, v36, v28 :: v_dual_mul_f32 v32, v31, v30
	s_delay_alu instid0(VALU_DEP_1) | instskip(NEXT) | instid1(VALU_DEP_2)
	v_add_f32_e32 v25, v25, v35
	v_fma_f32 v31, v30, v31, -v32
	s_delay_alu instid0(VALU_DEP_1) | instskip(NEXT) | instid1(VALU_DEP_1)
	v_fmac_f32_e32 v31, v30, v29
	v_add_f32_e32 v29, v32, v31
	s_delay_alu instid0(VALU_DEP_1) | instskip(SKIP_1) | instid1(VALU_DEP_2)
	v_sub_f32_e32 v34, v28, v29
	v_sub_f32_e32 v32, v29, v32
	;; [unrolled: 1-line block ×3, first 2 shown]
	s_delay_alu instid0(VALU_DEP_1) | instskip(NEXT) | instid1(VALU_DEP_3)
	v_sub_f32_e32 v28, v28, v29
	v_sub_f32_e32 v29, v32, v31
	s_delay_alu instid0(VALU_DEP_2) | instskip(SKIP_1) | instid1(VALU_DEP_2)
	v_add_f32_e32 v25, v25, v28
	v_add_f32_e32 v28, v33, v30
	;; [unrolled: 1-line block ×3, first 2 shown]
	s_delay_alu instid0(VALU_DEP_2) | instskip(NEXT) | instid1(VALU_DEP_2)
	v_sub_f32_e32 v29, v28, v33
	v_add_f32_e32 v25, v34, v25
	s_delay_alu instid0(VALU_DEP_2) | instskip(NEXT) | instid1(VALU_DEP_2)
	v_sub_f32_e32 v29, v30, v29
	v_mul_f32_e32 v25, v27, v25
	s_delay_alu instid0(VALU_DEP_1) | instskip(NEXT) | instid1(VALU_DEP_1)
	v_add_f32_e32 v25, v29, v25
	v_add_f32_e32 v27, v28, v25
	s_delay_alu instid0(VALU_DEP_1) | instskip(SKIP_1) | instid1(VALU_DEP_1)
	v_mul_f32_e32 v29, v27, v27
	s_wait_alu 0xfffe
	v_fmaak_f32 v30, s7, v29, 0x3ecc95a3
	v_mul_f32_e32 v31, v27, v29
	v_cmp_neq_f32_e64 s7, 0x7f800000, v26
	s_delay_alu instid0(VALU_DEP_3) | instskip(SKIP_2) | instid1(VALU_DEP_3)
	v_fmaak_f32 v29, v29, v30, 0x3f2aaada
	v_ldexp_f32 v30, v27, 1
	v_sub_f32_e32 v27, v27, v28
	v_mul_f32_e32 v29, v31, v29
	v_mul_f32_e32 v31, 0x3f317218, v24
	s_delay_alu instid0(VALU_DEP_2) | instskip(NEXT) | instid1(VALU_DEP_1)
	v_dual_sub_f32 v25, v25, v27 :: v_dual_add_f32 v28, v30, v29
	v_ldexp_f32 v25, v25, 1
	s_delay_alu instid0(VALU_DEP_2) | instskip(NEXT) | instid1(VALU_DEP_4)
	v_sub_f32_e32 v27, v28, v30
	v_fma_f32 v30, 0x3f317218, v24, -v31
	s_delay_alu instid0(VALU_DEP_1) | instskip(NEXT) | instid1(VALU_DEP_1)
	v_dual_sub_f32 v27, v29, v27 :: v_dual_fmamk_f32 v24, v24, 0xb102e308, v30
	v_add_f32_e32 v25, v25, v27
	s_delay_alu instid0(VALU_DEP_2) | instskip(NEXT) | instid1(VALU_DEP_2)
	v_add_f32_e32 v27, v31, v24
	v_add_f32_e32 v29, v28, v25
	s_delay_alu instid0(VALU_DEP_2) | instskip(NEXT) | instid1(VALU_DEP_2)
	v_sub_f32_e32 v31, v27, v31
	v_add_f32_e32 v30, v27, v29
	v_sub_f32_e32 v28, v29, v28
	s_delay_alu instid0(VALU_DEP_3) | instskip(NEXT) | instid1(VALU_DEP_2)
	v_sub_f32_e32 v24, v24, v31
	v_dual_sub_f32 v32, v30, v27 :: v_dual_sub_f32 v25, v25, v28
	s_delay_alu instid0(VALU_DEP_1) | instskip(NEXT) | instid1(VALU_DEP_2)
	v_sub_f32_e32 v33, v30, v32
	v_dual_sub_f32 v28, v29, v32 :: v_dual_add_f32 v29, v24, v25
	s_delay_alu instid0(VALU_DEP_2) | instskip(NEXT) | instid1(VALU_DEP_1)
	v_sub_f32_e32 v27, v27, v33
	v_dual_add_f32 v27, v28, v27 :: v_dual_sub_f32 v28, v29, v24
	s_delay_alu instid0(VALU_DEP_1) | instskip(NEXT) | instid1(VALU_DEP_2)
	v_add_f32_e32 v27, v29, v27
	v_sub_f32_e32 v29, v29, v28
	v_sub_f32_e32 v25, v25, v28
	s_delay_alu instid0(VALU_DEP_2) | instskip(NEXT) | instid1(VALU_DEP_1)
	v_dual_add_f32 v31, v30, v27 :: v_dual_sub_f32 v24, v24, v29
	v_sub_f32_e32 v28, v31, v30
	s_delay_alu instid0(VALU_DEP_2) | instskip(NEXT) | instid1(VALU_DEP_2)
	v_add_f32_e32 v24, v25, v24
	v_sub_f32_e32 v25, v27, v28
	s_delay_alu instid0(VALU_DEP_1) | instskip(NEXT) | instid1(VALU_DEP_1)
	v_add_f32_e32 v24, v24, v25
	v_add_f32_e32 v24, v31, v24
	s_wait_alu 0xf1ff
	s_delay_alu instid0(VALU_DEP_1) | instskip(SKIP_2) | instid1(VALU_DEP_1)
	v_cndmask_b32_e64 v24, 0x7f800000, v24, s7
	v_cmp_gt_f32_e64 s7, 0x33800000, |v26|
	s_wait_alu 0xf1ff
	v_cndmask_b32_e64 v24, v24, v26, s7
	s_delay_alu instid0(VALU_DEP_1)
	v_add_f32_e32 v24, v23, v24
.LBB158_195:
	s_or_b32 exec_lo, exec_lo, s10
	s_delay_alu instid0(VALU_DEP_1)
	v_mov_b32_e32 v23, v24
.LBB158_196:
	s_or_b32 exec_lo, exec_lo, s9
	s_delay_alu instid0(VALU_DEP_1)
	v_mov_b32_dpp v24, v23 row_shr:4 row_mask:0xf bank_mask:0xf
	s_mov_b32 s9, exec_lo
	v_cmpx_lt_u32_e32 3, v21
	s_cbranch_execz .LBB158_200
; %bb.197:
	v_max_num_f32_e32 v21, v23, v23
	v_max_num_f32_e32 v25, v24, v24
	v_cmp_u_f32_e64 s7, v24, v24
	s_delay_alu instid0(VALU_DEP_2) | instskip(SKIP_2) | instid1(VALU_DEP_2)
	v_min_num_f32_e32 v26, v25, v21
	v_max_num_f32_e32 v21, v25, v21
	s_wait_alu 0xf1ff
	v_cndmask_b32_e64 v25, v26, v24, s7
	s_delay_alu instid0(VALU_DEP_2) | instskip(SKIP_2) | instid1(VALU_DEP_1)
	v_cndmask_b32_e64 v21, v21, v24, s7
	v_cmp_u_f32_e64 s7, v23, v23
	s_wait_alu 0xf1ff
	v_cndmask_b32_e64 v25, v25, v23, s7
	s_delay_alu instid0(VALU_DEP_3) | instskip(NEXT) | instid1(VALU_DEP_2)
	v_cndmask_b32_e64 v21, v21, v23, s7
	v_cmp_class_f32_e64 s10, v25, 0x1f8
	s_delay_alu instid0(VALU_DEP_2)
	v_cmp_neq_f32_e64 s7, v25, v21
	s_or_b32 s7, s7, s10
	s_wait_alu 0xfffe
	s_and_saveexec_b32 s10, s7
	s_cbranch_execz .LBB158_199
; %bb.198:
	v_sub_f32_e32 v23, v25, v21
	s_delay_alu instid0(VALU_DEP_1) | instskip(NEXT) | instid1(VALU_DEP_1)
	v_mul_f32_e32 v24, 0x3fb8aa3b, v23
	v_fma_f32 v25, 0x3fb8aa3b, v23, -v24
	v_rndne_f32_e32 v26, v24
	s_delay_alu instid0(VALU_DEP_1) | instskip(SKIP_1) | instid1(VALU_DEP_2)
	v_dual_sub_f32 v24, v24, v26 :: v_dual_fmamk_f32 v25, v23, 0x32a5705f, v25
	v_cmp_ngt_f32_e64 s7, 0xc2ce8ed0, v23
	v_add_f32_e32 v24, v24, v25
	v_cvt_i32_f32_e32 v25, v26
	s_delay_alu instid0(VALU_DEP_2) | instskip(NEXT) | instid1(TRANS32_DEP_1)
	v_exp_f32_e32 v24, v24
	v_ldexp_f32 v24, v24, v25
	s_wait_alu 0xf1ff
	s_delay_alu instid0(VALU_DEP_1) | instskip(SKIP_2) | instid1(VALU_DEP_1)
	v_cndmask_b32_e64 v24, 0, v24, s7
	v_cmp_nlt_f32_e64 s7, 0x42b17218, v23
	s_wait_alu 0xf1ff
	v_cndmask_b32_e64 v25, 0x7f800000, v24, s7
	s_delay_alu instid0(VALU_DEP_1) | instskip(NEXT) | instid1(VALU_DEP_1)
	v_add_f32_e32 v26, 1.0, v25
	v_cvt_f64_f32_e32 v[23:24], v26
	s_delay_alu instid0(VALU_DEP_1) | instskip(SKIP_1) | instid1(VALU_DEP_1)
	v_frexp_exp_i32_f64_e32 v23, v[23:24]
	v_frexp_mant_f32_e32 v24, v26
	v_cmp_gt_f32_e64 s7, 0x3f2aaaab, v24
	v_add_f32_e32 v24, -1.0, v26
	s_delay_alu instid0(VALU_DEP_1)
	v_sub_f32_e32 v28, v24, v26
	v_sub_f32_e32 v24, v25, v24
	s_wait_alu 0xf1ff
	v_subrev_co_ci_u32_e64 v23, null, 0, v23, s7
	s_mov_b32 s7, 0x3e9b6dac
	v_sub_nc_u32_e32 v27, 0, v23
	v_cvt_f32_i32_e32 v23, v23
	s_delay_alu instid0(VALU_DEP_2) | instskip(NEXT) | instid1(VALU_DEP_1)
	v_ldexp_f32 v26, v26, v27
	v_dual_add_f32 v29, 1.0, v26 :: v_dual_add_f32 v28, 1.0, v28
	s_delay_alu instid0(VALU_DEP_1) | instskip(NEXT) | instid1(VALU_DEP_2)
	v_add_f32_e32 v24, v24, v28
	v_add_f32_e32 v28, -1.0, v29
	s_delay_alu instid0(VALU_DEP_2) | instskip(NEXT) | instid1(VALU_DEP_2)
	v_ldexp_f32 v24, v24, v27
	v_dual_add_f32 v27, -1.0, v26 :: v_dual_sub_f32 v28, v26, v28
	s_delay_alu instid0(VALU_DEP_1) | instskip(NEXT) | instid1(VALU_DEP_2)
	v_add_f32_e32 v30, 1.0, v27
	v_add_f32_e32 v28, v24, v28
	s_delay_alu instid0(VALU_DEP_2) | instskip(NEXT) | instid1(VALU_DEP_2)
	v_sub_f32_e32 v26, v26, v30
	v_add_f32_e32 v30, v29, v28
	s_delay_alu instid0(VALU_DEP_2) | instskip(NEXT) | instid1(VALU_DEP_2)
	v_add_f32_e32 v24, v24, v26
	v_rcp_f32_e32 v26, v30
	v_sub_f32_e32 v29, v29, v30
	s_delay_alu instid0(VALU_DEP_1) | instskip(NEXT) | instid1(VALU_DEP_1)
	v_dual_add_f32 v31, v27, v24 :: v_dual_add_f32 v28, v28, v29
	v_sub_f32_e32 v27, v27, v31
	s_delay_alu instid0(TRANS32_DEP_1) | instskip(NEXT) | instid1(VALU_DEP_1)
	v_mul_f32_e32 v32, v31, v26
	v_dual_add_f32 v24, v24, v27 :: v_dual_mul_f32 v33, v30, v32
	s_delay_alu instid0(VALU_DEP_1) | instskip(NEXT) | instid1(VALU_DEP_1)
	v_fma_f32 v29, v32, v30, -v33
	v_fmac_f32_e32 v29, v32, v28
	s_delay_alu instid0(VALU_DEP_1) | instskip(NEXT) | instid1(VALU_DEP_1)
	v_add_f32_e32 v34, v33, v29
	v_sub_f32_e32 v35, v31, v34
	v_sub_f32_e32 v27, v34, v33
	s_delay_alu instid0(VALU_DEP_2) | instskip(NEXT) | instid1(VALU_DEP_2)
	v_sub_f32_e32 v31, v31, v35
	v_sub_f32_e32 v27, v27, v29
	s_delay_alu instid0(VALU_DEP_2) | instskip(NEXT) | instid1(VALU_DEP_1)
	v_sub_f32_e32 v31, v31, v34
	v_add_f32_e32 v24, v24, v31
	s_delay_alu instid0(VALU_DEP_1) | instskip(NEXT) | instid1(VALU_DEP_1)
	v_add_f32_e32 v24, v27, v24
	v_add_f32_e32 v27, v35, v24
	s_delay_alu instid0(VALU_DEP_1) | instskip(NEXT) | instid1(VALU_DEP_1)
	v_mul_f32_e32 v29, v26, v27
	v_dual_sub_f32 v34, v35, v27 :: v_dual_mul_f32 v31, v30, v29
	s_delay_alu instid0(VALU_DEP_1) | instskip(NEXT) | instid1(VALU_DEP_2)
	v_add_f32_e32 v24, v24, v34
	v_fma_f32 v30, v29, v30, -v31
	s_delay_alu instid0(VALU_DEP_1) | instskip(NEXT) | instid1(VALU_DEP_1)
	v_fmac_f32_e32 v30, v29, v28
	v_add_f32_e32 v28, v31, v30
	s_delay_alu instid0(VALU_DEP_1) | instskip(SKIP_1) | instid1(VALU_DEP_2)
	v_sub_f32_e32 v33, v27, v28
	v_sub_f32_e32 v31, v28, v31
	;; [unrolled: 1-line block ×3, first 2 shown]
	s_delay_alu instid0(VALU_DEP_1) | instskip(NEXT) | instid1(VALU_DEP_3)
	v_sub_f32_e32 v27, v27, v28
	v_sub_f32_e32 v28, v31, v30
	s_delay_alu instid0(VALU_DEP_2) | instskip(SKIP_1) | instid1(VALU_DEP_2)
	v_add_f32_e32 v24, v24, v27
	v_add_f32_e32 v27, v32, v29
	;; [unrolled: 1-line block ×3, first 2 shown]
	s_delay_alu instid0(VALU_DEP_2) | instskip(NEXT) | instid1(VALU_DEP_2)
	v_sub_f32_e32 v28, v27, v32
	v_add_f32_e32 v24, v33, v24
	s_delay_alu instid0(VALU_DEP_2) | instskip(NEXT) | instid1(VALU_DEP_2)
	v_sub_f32_e32 v28, v29, v28
	v_mul_f32_e32 v24, v26, v24
	s_delay_alu instid0(VALU_DEP_1) | instskip(NEXT) | instid1(VALU_DEP_1)
	v_add_f32_e32 v24, v28, v24
	v_add_f32_e32 v26, v27, v24
	s_delay_alu instid0(VALU_DEP_1) | instskip(SKIP_1) | instid1(VALU_DEP_1)
	v_mul_f32_e32 v28, v26, v26
	s_wait_alu 0xfffe
	v_fmaak_f32 v29, s7, v28, 0x3ecc95a3
	v_mul_f32_e32 v30, v26, v28
	v_cmp_neq_f32_e64 s7, 0x7f800000, v25
	s_delay_alu instid0(VALU_DEP_3) | instskip(SKIP_2) | instid1(VALU_DEP_3)
	v_fmaak_f32 v28, v28, v29, 0x3f2aaada
	v_ldexp_f32 v29, v26, 1
	v_sub_f32_e32 v26, v26, v27
	v_mul_f32_e32 v28, v30, v28
	v_mul_f32_e32 v30, 0x3f317218, v23
	s_delay_alu instid0(VALU_DEP_2) | instskip(NEXT) | instid1(VALU_DEP_1)
	v_dual_sub_f32 v24, v24, v26 :: v_dual_add_f32 v27, v29, v28
	v_ldexp_f32 v24, v24, 1
	s_delay_alu instid0(VALU_DEP_2) | instskip(NEXT) | instid1(VALU_DEP_4)
	v_sub_f32_e32 v26, v27, v29
	v_fma_f32 v29, 0x3f317218, v23, -v30
	s_delay_alu instid0(VALU_DEP_1) | instskip(NEXT) | instid1(VALU_DEP_1)
	v_dual_sub_f32 v26, v28, v26 :: v_dual_fmamk_f32 v23, v23, 0xb102e308, v29
	v_add_f32_e32 v24, v24, v26
	s_delay_alu instid0(VALU_DEP_2) | instskip(NEXT) | instid1(VALU_DEP_2)
	v_add_f32_e32 v26, v30, v23
	v_add_f32_e32 v28, v27, v24
	s_delay_alu instid0(VALU_DEP_2) | instskip(NEXT) | instid1(VALU_DEP_2)
	v_sub_f32_e32 v30, v26, v30
	v_add_f32_e32 v29, v26, v28
	v_sub_f32_e32 v27, v28, v27
	s_delay_alu instid0(VALU_DEP_3) | instskip(NEXT) | instid1(VALU_DEP_2)
	v_sub_f32_e32 v23, v23, v30
	v_dual_sub_f32 v31, v29, v26 :: v_dual_sub_f32 v24, v24, v27
	s_delay_alu instid0(VALU_DEP_1) | instskip(NEXT) | instid1(VALU_DEP_2)
	v_sub_f32_e32 v32, v29, v31
	v_dual_sub_f32 v27, v28, v31 :: v_dual_add_f32 v28, v23, v24
	s_delay_alu instid0(VALU_DEP_2) | instskip(NEXT) | instid1(VALU_DEP_1)
	v_sub_f32_e32 v26, v26, v32
	v_dual_add_f32 v26, v27, v26 :: v_dual_sub_f32 v27, v28, v23
	s_delay_alu instid0(VALU_DEP_1) | instskip(NEXT) | instid1(VALU_DEP_2)
	v_add_f32_e32 v26, v28, v26
	v_sub_f32_e32 v28, v28, v27
	v_sub_f32_e32 v24, v24, v27
	s_delay_alu instid0(VALU_DEP_2) | instskip(NEXT) | instid1(VALU_DEP_1)
	v_dual_add_f32 v30, v29, v26 :: v_dual_sub_f32 v23, v23, v28
	v_sub_f32_e32 v27, v30, v29
	s_delay_alu instid0(VALU_DEP_2) | instskip(NEXT) | instid1(VALU_DEP_2)
	v_add_f32_e32 v23, v24, v23
	v_sub_f32_e32 v24, v26, v27
	s_delay_alu instid0(VALU_DEP_1) | instskip(NEXT) | instid1(VALU_DEP_1)
	v_add_f32_e32 v23, v23, v24
	v_add_f32_e32 v23, v30, v23
	s_wait_alu 0xf1ff
	s_delay_alu instid0(VALU_DEP_1) | instskip(SKIP_2) | instid1(VALU_DEP_1)
	v_cndmask_b32_e64 v23, 0x7f800000, v23, s7
	v_cmp_gt_f32_e64 s7, 0x33800000, |v25|
	s_wait_alu 0xf1ff
	v_cndmask_b32_e64 v23, v23, v25, s7
	s_delay_alu instid0(VALU_DEP_1)
	v_add_f32_e32 v24, v21, v23
.LBB158_199:
	s_or_b32 exec_lo, exec_lo, s10
	s_delay_alu instid0(VALU_DEP_1)
	v_mov_b32_e32 v23, v24
.LBB158_200:
	s_or_b32 exec_lo, exec_lo, s9
	v_add_nc_u32_e32 v21, v16, v22
	ds_store_b32 v21, v23
.LBB158_201:
	s_or_b32 exec_lo, exec_lo, s8
	s_delay_alu instid0(SALU_CYCLE_1)
	s_mov_b32 s8, exec_lo
	s_wait_loadcnt_dscnt 0x0
	s_barrier_signal -1
	s_barrier_wait -1
	global_inv scope:SCOPE_SE
                                        ; implicit-def: $vgpr21
	v_cmpx_lt_u32_e32 31, v0
	s_cbranch_execz .LBB158_205
; %bb.202:
	v_lshl_add_u32 v20, v20, 2, -4
	ds_load_b32 v21, v20
	v_max_num_f32_e32 v20, v19, v19
	s_wait_dscnt 0x0
	v_max_num_f32_e32 v22, v21, v21
	v_cmp_u_f32_e64 s7, v21, v21
	s_delay_alu instid0(VALU_DEP_2) | instskip(SKIP_2) | instid1(VALU_DEP_2)
	v_min_num_f32_e32 v23, v22, v20
	v_max_num_f32_e32 v20, v22, v20
	s_wait_alu 0xf1ff
	v_cndmask_b32_e64 v22, v23, v21, s7
	s_delay_alu instid0(VALU_DEP_2) | instskip(SKIP_2) | instid1(VALU_DEP_1)
	v_cndmask_b32_e64 v20, v20, v21, s7
	v_cmp_u_f32_e64 s7, v19, v19
	s_wait_alu 0xf1ff
	v_cndmask_b32_e64 v22, v22, v19, s7
	s_delay_alu instid0(VALU_DEP_3) | instskip(SKIP_1) | instid1(VALU_DEP_3)
	v_cndmask_b32_e64 v20, v20, v19, s7
	v_mov_b32_e32 v19, v21
	v_cmp_class_f32_e64 s9, v22, 0x1f8
	s_delay_alu instid0(VALU_DEP_3)
	v_cmp_neq_f32_e64 s7, v22, v20
	s_or_b32 s7, s7, s9
	s_wait_alu 0xfffe
	s_and_saveexec_b32 s9, s7
	s_cbranch_execz .LBB158_204
; %bb.203:
	v_sub_f32_e32 v19, v22, v20
	s_delay_alu instid0(VALU_DEP_1) | instskip(SKIP_1) | instid1(VALU_DEP_2)
	v_mul_f32_e32 v22, 0x3fb8aa3b, v19
	v_cmp_ngt_f32_e64 s7, 0xc2ce8ed0, v19
	v_fma_f32 v23, 0x3fb8aa3b, v19, -v22
	v_rndne_f32_e32 v24, v22
	s_delay_alu instid0(VALU_DEP_1) | instskip(NEXT) | instid1(VALU_DEP_1)
	v_dual_fmamk_f32 v23, v19, 0x32a5705f, v23 :: v_dual_sub_f32 v22, v22, v24
	v_add_f32_e32 v22, v22, v23
	v_cvt_i32_f32_e32 v23, v24
	s_delay_alu instid0(VALU_DEP_2) | instskip(NEXT) | instid1(TRANS32_DEP_1)
	v_exp_f32_e32 v22, v22
	v_ldexp_f32 v22, v22, v23
	s_wait_alu 0xf1ff
	s_delay_alu instid0(VALU_DEP_1) | instskip(SKIP_2) | instid1(VALU_DEP_1)
	v_cndmask_b32_e64 v22, 0, v22, s7
	v_cmp_nlt_f32_e64 s7, 0x42b17218, v19
	s_wait_alu 0xf1ff
	v_cndmask_b32_e64 v19, 0x7f800000, v22, s7
	s_delay_alu instid0(VALU_DEP_1) | instskip(NEXT) | instid1(VALU_DEP_1)
	v_add_f32_e32 v24, 1.0, v19
	v_cvt_f64_f32_e32 v[22:23], v24
	s_delay_alu instid0(VALU_DEP_1) | instskip(SKIP_1) | instid1(VALU_DEP_1)
	v_frexp_exp_i32_f64_e32 v22, v[22:23]
	v_frexp_mant_f32_e32 v23, v24
	v_cmp_gt_f32_e64 s7, 0x3f2aaaab, v23
	v_add_f32_e32 v23, -1.0, v24
	s_delay_alu instid0(VALU_DEP_1) | instskip(NEXT) | instid1(VALU_DEP_1)
	v_sub_f32_e32 v26, v23, v24
	v_dual_sub_f32 v23, v19, v23 :: v_dual_add_f32 v26, 1.0, v26
	s_delay_alu instid0(VALU_DEP_1)
	v_add_f32_e32 v23, v23, v26
	s_wait_alu 0xf1ff
	v_subrev_co_ci_u32_e64 v22, null, 0, v22, s7
	s_mov_b32 s7, 0x3e9b6dac
	v_sub_nc_u32_e32 v25, 0, v22
	v_cvt_f32_i32_e32 v22, v22
	s_delay_alu instid0(VALU_DEP_2) | instskip(SKIP_1) | instid1(VALU_DEP_2)
	v_ldexp_f32 v24, v24, v25
	v_ldexp_f32 v23, v23, v25
	v_add_f32_e32 v27, 1.0, v24
	s_delay_alu instid0(VALU_DEP_1) | instskip(NEXT) | instid1(VALU_DEP_1)
	v_dual_add_f32 v25, -1.0, v24 :: v_dual_add_f32 v26, -1.0, v27
	v_add_f32_e32 v28, 1.0, v25
	s_delay_alu instid0(VALU_DEP_2) | instskip(NEXT) | instid1(VALU_DEP_2)
	v_sub_f32_e32 v26, v24, v26
	v_sub_f32_e32 v24, v24, v28
	s_delay_alu instid0(VALU_DEP_2) | instskip(NEXT) | instid1(VALU_DEP_2)
	v_add_f32_e32 v26, v23, v26
	v_add_f32_e32 v23, v23, v24
	s_delay_alu instid0(VALU_DEP_1) | instskip(NEXT) | instid1(VALU_DEP_1)
	v_dual_add_f32 v29, v25, v23 :: v_dual_add_f32 v28, v27, v26
	v_sub_f32_e32 v25, v25, v29
	s_delay_alu instid0(VALU_DEP_2) | instskip(SKIP_1) | instid1(VALU_DEP_1)
	v_rcp_f32_e32 v24, v28
	v_sub_f32_e32 v27, v27, v28
	v_dual_add_f32 v23, v23, v25 :: v_dual_add_f32 v26, v26, v27
	s_delay_alu instid0(TRANS32_DEP_1) | instskip(NEXT) | instid1(VALU_DEP_1)
	v_mul_f32_e32 v30, v29, v24
	v_mul_f32_e32 v31, v28, v30
	s_delay_alu instid0(VALU_DEP_1) | instskip(NEXT) | instid1(VALU_DEP_1)
	v_fma_f32 v27, v30, v28, -v31
	v_fmac_f32_e32 v27, v30, v26
	s_delay_alu instid0(VALU_DEP_1) | instskip(NEXT) | instid1(VALU_DEP_1)
	v_add_f32_e32 v32, v31, v27
	v_sub_f32_e32 v33, v29, v32
	s_delay_alu instid0(VALU_DEP_1) | instskip(SKIP_1) | instid1(VALU_DEP_2)
	v_sub_f32_e32 v29, v29, v33
	v_sub_f32_e32 v25, v32, v31
	;; [unrolled: 1-line block ×3, first 2 shown]
	s_delay_alu instid0(VALU_DEP_2) | instskip(NEXT) | instid1(VALU_DEP_2)
	v_sub_f32_e32 v25, v25, v27
	v_add_f32_e32 v23, v23, v29
	s_delay_alu instid0(VALU_DEP_1) | instskip(NEXT) | instid1(VALU_DEP_1)
	v_add_f32_e32 v23, v25, v23
	v_add_f32_e32 v25, v33, v23
	s_delay_alu instid0(VALU_DEP_1) | instskip(NEXT) | instid1(VALU_DEP_1)
	v_mul_f32_e32 v27, v24, v25
	v_dual_sub_f32 v32, v33, v25 :: v_dual_mul_f32 v29, v28, v27
	s_delay_alu instid0(VALU_DEP_1) | instskip(NEXT) | instid1(VALU_DEP_2)
	v_add_f32_e32 v23, v23, v32
	v_fma_f32 v28, v27, v28, -v29
	s_delay_alu instid0(VALU_DEP_1) | instskip(NEXT) | instid1(VALU_DEP_1)
	v_fmac_f32_e32 v28, v27, v26
	v_add_f32_e32 v26, v29, v28
	s_delay_alu instid0(VALU_DEP_1) | instskip(SKIP_1) | instid1(VALU_DEP_2)
	v_sub_f32_e32 v31, v25, v26
	v_sub_f32_e32 v29, v26, v29
	;; [unrolled: 1-line block ×3, first 2 shown]
	s_delay_alu instid0(VALU_DEP_1) | instskip(NEXT) | instid1(VALU_DEP_1)
	v_sub_f32_e32 v25, v25, v26
	v_dual_sub_f32 v26, v29, v28 :: v_dual_add_f32 v23, v23, v25
	v_add_f32_e32 v25, v30, v27
	s_delay_alu instid0(VALU_DEP_1) | instskip(NEXT) | instid1(VALU_DEP_1)
	v_dual_add_f32 v23, v26, v23 :: v_dual_sub_f32 v26, v25, v30
	v_add_f32_e32 v23, v31, v23
	s_delay_alu instid0(VALU_DEP_1) | instskip(NEXT) | instid1(VALU_DEP_1)
	v_dual_sub_f32 v26, v27, v26 :: v_dual_mul_f32 v23, v24, v23
	v_add_f32_e32 v23, v26, v23
	s_delay_alu instid0(VALU_DEP_1) | instskip(NEXT) | instid1(VALU_DEP_1)
	v_add_f32_e32 v24, v25, v23
	v_mul_f32_e32 v26, v24, v24
	s_wait_alu 0xfffe
	s_delay_alu instid0(VALU_DEP_1) | instskip(SKIP_2) | instid1(VALU_DEP_3)
	v_fmaak_f32 v27, s7, v26, 0x3ecc95a3
	v_mul_f32_e32 v28, v24, v26
	v_cmp_neq_f32_e64 s7, 0x7f800000, v19
	v_fmaak_f32 v26, v26, v27, 0x3f2aaada
	v_ldexp_f32 v27, v24, 1
	v_sub_f32_e32 v24, v24, v25
	s_delay_alu instid0(VALU_DEP_3) | instskip(NEXT) | instid1(VALU_DEP_2)
	v_mul_f32_e32 v26, v28, v26
	v_dual_mul_f32 v28, 0x3f317218, v22 :: v_dual_sub_f32 v23, v23, v24
	s_delay_alu instid0(VALU_DEP_2) | instskip(NEXT) | instid1(VALU_DEP_2)
	v_add_f32_e32 v25, v27, v26
	v_ldexp_f32 v23, v23, 1
	s_delay_alu instid0(VALU_DEP_2) | instskip(NEXT) | instid1(VALU_DEP_4)
	v_sub_f32_e32 v24, v25, v27
	v_fma_f32 v27, 0x3f317218, v22, -v28
	s_delay_alu instid0(VALU_DEP_2) | instskip(NEXT) | instid1(VALU_DEP_1)
	v_sub_f32_e32 v24, v26, v24
	v_dual_fmamk_f32 v22, v22, 0xb102e308, v27 :: v_dual_add_f32 v23, v23, v24
	s_delay_alu instid0(VALU_DEP_1) | instskip(NEXT) | instid1(VALU_DEP_1)
	v_add_f32_e32 v24, v28, v22
	v_sub_f32_e32 v28, v24, v28
	s_delay_alu instid0(VALU_DEP_1) | instskip(NEXT) | instid1(VALU_DEP_4)
	v_sub_f32_e32 v22, v22, v28
	v_add_f32_e32 v26, v25, v23
	s_delay_alu instid0(VALU_DEP_1) | instskip(NEXT) | instid1(VALU_DEP_1)
	v_sub_f32_e32 v25, v26, v25
	v_sub_f32_e32 v23, v23, v25
	v_add_f32_e32 v27, v24, v26
	s_delay_alu instid0(VALU_DEP_1) | instskip(NEXT) | instid1(VALU_DEP_1)
	v_sub_f32_e32 v29, v27, v24
	v_sub_f32_e32 v25, v26, v29
	s_delay_alu instid0(VALU_DEP_4) | instskip(SKIP_1) | instid1(VALU_DEP_1)
	v_add_f32_e32 v26, v22, v23
	v_sub_f32_e32 v30, v27, v29
	v_sub_f32_e32 v24, v24, v30
	s_delay_alu instid0(VALU_DEP_1) | instskip(NEXT) | instid1(VALU_DEP_1)
	v_dual_add_f32 v24, v25, v24 :: v_dual_sub_f32 v25, v26, v22
	v_dual_add_f32 v24, v26, v24 :: v_dual_sub_f32 v23, v23, v25
	v_sub_f32_e32 v26, v26, v25
	s_delay_alu instid0(VALU_DEP_2) | instskip(NEXT) | instid1(VALU_DEP_1)
	v_add_f32_e32 v28, v27, v24
	v_dual_sub_f32 v22, v22, v26 :: v_dual_sub_f32 v25, v28, v27
	s_delay_alu instid0(VALU_DEP_1) | instskip(NEXT) | instid1(VALU_DEP_1)
	v_dual_add_f32 v22, v23, v22 :: v_dual_sub_f32 v23, v24, v25
	v_add_f32_e32 v22, v22, v23
	s_delay_alu instid0(VALU_DEP_1) | instskip(SKIP_1) | instid1(VALU_DEP_1)
	v_add_f32_e32 v22, v28, v22
	s_wait_alu 0xf1ff
	v_cndmask_b32_e64 v22, 0x7f800000, v22, s7
	v_cmp_gt_f32_e64 s7, 0x33800000, |v19|
	s_wait_alu 0xf1ff
	s_delay_alu instid0(VALU_DEP_1) | instskip(NEXT) | instid1(VALU_DEP_1)
	v_cndmask_b32_e64 v19, v22, v19, s7
	v_add_f32_e32 v19, v20, v19
.LBB158_204:
	s_or_b32 exec_lo, exec_lo, s9
.LBB158_205:
	s_delay_alu instid0(SALU_CYCLE_1) | instskip(SKIP_1) | instid1(VALU_DEP_1)
	s_or_b32 exec_lo, exec_lo, s8
	v_add_nc_u32_e32 v20, -1, v18
	v_cmp_gt_i32_e64 s7, 0, v20
	s_wait_alu 0xf1ff
	s_delay_alu instid0(VALU_DEP_1) | instskip(NEXT) | instid1(VALU_DEP_1)
	v_cndmask_b32_e64 v20, v20, v18, s7
	v_lshlrev_b32_e32 v20, 2, v20
	ds_bpermute_b32 v19, v20, v19
	s_and_saveexec_b32 s7, s2
	s_cbranch_execz .LBB158_209
; %bb.206:
	v_cmp_eq_u32_e64 s2, 0, v18
	s_wait_dscnt 0x0
	s_wait_alu 0xf1ff
	s_delay_alu instid0(VALU_DEP_1) | instskip(NEXT) | instid1(VALU_DEP_1)
	v_cndmask_b32_e64 v5, v19, v21, s2
	v_max_num_f32_e32 v7, v5, v5
	v_cmp_u_f32_e64 s2, v5, v5
	s_delay_alu instid0(VALU_DEP_2) | instskip(SKIP_2) | instid1(VALU_DEP_2)
	v_min_num_f32_e32 v13, v7, v14
	v_max_num_f32_e32 v7, v7, v14
	s_wait_alu 0xf1ff
	v_cndmask_b32_e64 v13, v13, v5, s2
	s_delay_alu instid0(VALU_DEP_2) | instskip(NEXT) | instid1(VALU_DEP_2)
	v_cndmask_b32_e64 v14, v7, v5, s2
	v_cndmask_b32_e64 v7, v13, v1, s6
	s_delay_alu instid0(VALU_DEP_2) | instskip(NEXT) | instid1(VALU_DEP_2)
	v_cndmask_b32_e64 v1, v14, v1, s6
	v_cmp_class_f32_e64 s6, v7, 0x1f8
	s_delay_alu instid0(VALU_DEP_2)
	v_cmp_neq_f32_e64 s2, v7, v1
	s_or_b32 s2, s2, s6
	s_wait_alu 0xfffe
	s_and_saveexec_b32 s6, s2
	s_cbranch_execz .LBB158_208
; %bb.207:
	v_sub_f32_e32 v5, v7, v1
	s_delay_alu instid0(VALU_DEP_1) | instskip(SKIP_1) | instid1(VALU_DEP_2)
	v_mul_f32_e32 v7, 0x3fb8aa3b, v5
	v_cmp_ngt_f32_e64 s2, 0xc2ce8ed0, v5
	v_fma_f32 v13, 0x3fb8aa3b, v5, -v7
	v_rndne_f32_e32 v14, v7
	s_delay_alu instid0(VALU_DEP_2) | instskip(NEXT) | instid1(VALU_DEP_2)
	v_fmamk_f32 v13, v5, 0x32a5705f, v13
	v_sub_f32_e32 v7, v7, v14
	s_delay_alu instid0(VALU_DEP_1) | instskip(SKIP_1) | instid1(VALU_DEP_2)
	v_add_f32_e32 v7, v7, v13
	v_cvt_i32_f32_e32 v13, v14
	v_exp_f32_e32 v7, v7
	s_delay_alu instid0(TRANS32_DEP_1) | instskip(SKIP_1) | instid1(VALU_DEP_1)
	v_ldexp_f32 v7, v7, v13
	s_wait_alu 0xf1ff
	v_cndmask_b32_e64 v7, 0, v7, s2
	v_cmp_nlt_f32_e64 s2, 0x42b17218, v5
	s_wait_alu 0xf1ff
	s_delay_alu instid0(VALU_DEP_1) | instskip(NEXT) | instid1(VALU_DEP_1)
	v_cndmask_b32_e64 v5, 0x7f800000, v7, s2
	v_add_f32_e32 v7, 1.0, v5
	s_delay_alu instid0(VALU_DEP_1) | instskip(NEXT) | instid1(VALU_DEP_1)
	v_cvt_f64_f32_e32 v[13:14], v7
	v_frexp_exp_i32_f64_e32 v13, v[13:14]
	v_frexp_mant_f32_e32 v14, v7
	s_delay_alu instid0(VALU_DEP_1) | instskip(SKIP_1) | instid1(VALU_DEP_1)
	v_cmp_gt_f32_e64 s2, 0x3f2aaaab, v14
	v_add_f32_e32 v14, -1.0, v7
	v_dual_sub_f32 v19, v14, v7 :: v_dual_sub_f32 v14, v5, v14
	s_delay_alu instid0(VALU_DEP_1) | instskip(NEXT) | instid1(VALU_DEP_1)
	v_add_f32_e32 v19, 1.0, v19
	v_add_f32_e32 v14, v14, v19
	s_wait_alu 0xf1ff
	v_subrev_co_ci_u32_e64 v13, null, 0, v13, s2
	s_mov_b32 s2, 0x3e9b6dac
	v_sub_nc_u32_e32 v18, 0, v13
	v_cvt_f32_i32_e32 v13, v13
	s_delay_alu instid0(VALU_DEP_2) | instskip(SKIP_1) | instid1(VALU_DEP_2)
	v_ldexp_f32 v7, v7, v18
	v_ldexp_f32 v14, v14, v18
	v_add_f32_e32 v20, 1.0, v7
	s_delay_alu instid0(VALU_DEP_1) | instskip(NEXT) | instid1(VALU_DEP_1)
	v_dual_add_f32 v18, -1.0, v7 :: v_dual_add_f32 v19, -1.0, v20
	v_add_f32_e32 v21, 1.0, v18
	s_delay_alu instid0(VALU_DEP_2) | instskip(NEXT) | instid1(VALU_DEP_2)
	v_sub_f32_e32 v19, v7, v19
	v_sub_f32_e32 v7, v7, v21
	s_delay_alu instid0(VALU_DEP_1) | instskip(NEXT) | instid1(VALU_DEP_1)
	v_add_f32_e32 v7, v14, v7
	v_add_f32_e32 v22, v18, v7
	s_delay_alu instid0(VALU_DEP_1) | instskip(SKIP_1) | instid1(VALU_DEP_1)
	v_sub_f32_e32 v18, v18, v22
	v_add_f32_e32 v19, v14, v19
	v_add_f32_e32 v21, v20, v19
	s_delay_alu instid0(VALU_DEP_1) | instskip(SKIP_1) | instid1(VALU_DEP_1)
	v_rcp_f32_e32 v14, v21
	v_sub_f32_e32 v20, v20, v21
	v_add_f32_e32 v19, v19, v20
	s_delay_alu instid0(TRANS32_DEP_1) | instskip(NEXT) | instid1(VALU_DEP_1)
	v_mul_f32_e32 v23, v22, v14
	v_mul_f32_e32 v24, v21, v23
	s_delay_alu instid0(VALU_DEP_1) | instskip(NEXT) | instid1(VALU_DEP_1)
	v_fma_f32 v20, v23, v21, -v24
	v_fmac_f32_e32 v20, v23, v19
	v_add_f32_e32 v7, v7, v18
	s_delay_alu instid0(VALU_DEP_2) | instskip(NEXT) | instid1(VALU_DEP_1)
	v_add_f32_e32 v25, v24, v20
	v_sub_f32_e32 v26, v22, v25
	v_sub_f32_e32 v18, v25, v24
	s_delay_alu instid0(VALU_DEP_2) | instskip(NEXT) | instid1(VALU_DEP_2)
	v_sub_f32_e32 v22, v22, v26
	v_sub_f32_e32 v18, v18, v20
	s_delay_alu instid0(VALU_DEP_2) | instskip(NEXT) | instid1(VALU_DEP_1)
	v_sub_f32_e32 v22, v22, v25
	v_add_f32_e32 v7, v7, v22
	s_delay_alu instid0(VALU_DEP_1) | instskip(NEXT) | instid1(VALU_DEP_1)
	v_add_f32_e32 v7, v18, v7
	v_add_f32_e32 v18, v26, v7
	s_delay_alu instid0(VALU_DEP_1) | instskip(NEXT) | instid1(VALU_DEP_1)
	v_mul_f32_e32 v20, v14, v18
	v_dual_sub_f32 v25, v26, v18 :: v_dual_mul_f32 v22, v21, v20
	s_delay_alu instid0(VALU_DEP_1) | instskip(NEXT) | instid1(VALU_DEP_1)
	v_fma_f32 v21, v20, v21, -v22
	v_fmac_f32_e32 v21, v20, v19
	s_delay_alu instid0(VALU_DEP_1) | instskip(NEXT) | instid1(VALU_DEP_1)
	v_add_f32_e32 v19, v22, v21
	v_sub_f32_e32 v24, v18, v19
	v_sub_f32_e32 v22, v19, v22
	s_delay_alu instid0(VALU_DEP_2) | instskip(NEXT) | instid1(VALU_DEP_1)
	v_dual_sub_f32 v18, v18, v24 :: v_dual_add_f32 v7, v7, v25
	v_sub_f32_e32 v18, v18, v19
	s_delay_alu instid0(VALU_DEP_3) | instskip(NEXT) | instid1(VALU_DEP_2)
	v_sub_f32_e32 v19, v22, v21
	v_add_f32_e32 v7, v7, v18
	v_add_f32_e32 v18, v23, v20
	s_delay_alu instid0(VALU_DEP_2) | instskip(NEXT) | instid1(VALU_DEP_2)
	v_add_f32_e32 v7, v19, v7
	v_sub_f32_e32 v19, v18, v23
	s_delay_alu instid0(VALU_DEP_2) | instskip(NEXT) | instid1(VALU_DEP_2)
	v_add_f32_e32 v7, v24, v7
	v_sub_f32_e32 v19, v20, v19
	s_delay_alu instid0(VALU_DEP_2) | instskip(NEXT) | instid1(VALU_DEP_1)
	v_mul_f32_e32 v7, v14, v7
	v_add_f32_e32 v7, v19, v7
	s_delay_alu instid0(VALU_DEP_1) | instskip(NEXT) | instid1(VALU_DEP_1)
	v_add_f32_e32 v14, v18, v7
	v_mul_f32_e32 v19, v14, v14
	s_wait_alu 0xfffe
	s_delay_alu instid0(VALU_DEP_1) | instskip(SKIP_2) | instid1(VALU_DEP_3)
	v_fmaak_f32 v20, s2, v19, 0x3ecc95a3
	v_mul_f32_e32 v21, v14, v19
	v_cmp_neq_f32_e64 s2, 0x7f800000, v5
	v_fmaak_f32 v19, v19, v20, 0x3f2aaada
	v_ldexp_f32 v20, v14, 1
	s_delay_alu instid0(VALU_DEP_2) | instskip(NEXT) | instid1(VALU_DEP_1)
	v_dual_sub_f32 v14, v14, v18 :: v_dual_mul_f32 v19, v21, v19
	v_dual_sub_f32 v7, v7, v14 :: v_dual_add_f32 v18, v20, v19
	s_delay_alu instid0(VALU_DEP_1) | instskip(NEXT) | instid1(VALU_DEP_2)
	v_ldexp_f32 v7, v7, 1
	v_sub_f32_e32 v14, v18, v20
	s_delay_alu instid0(VALU_DEP_1) | instskip(NEXT) | instid1(VALU_DEP_1)
	v_sub_f32_e32 v14, v19, v14
	v_add_f32_e32 v7, v7, v14
	s_delay_alu instid0(VALU_DEP_1) | instskip(NEXT) | instid1(VALU_DEP_1)
	v_add_f32_e32 v19, v18, v7
	v_dual_mul_f32 v21, 0x3f317218, v13 :: v_dual_sub_f32 v18, v19, v18
	s_delay_alu instid0(VALU_DEP_1) | instskip(NEXT) | instid1(VALU_DEP_2)
	v_fma_f32 v20, 0x3f317218, v13, -v21
	v_sub_f32_e32 v7, v7, v18
	s_delay_alu instid0(VALU_DEP_2) | instskip(NEXT) | instid1(VALU_DEP_1)
	v_fmamk_f32 v13, v13, 0xb102e308, v20
	v_add_f32_e32 v14, v21, v13
	s_delay_alu instid0(VALU_DEP_1) | instskip(NEXT) | instid1(VALU_DEP_1)
	v_add_f32_e32 v20, v14, v19
	v_dual_sub_f32 v21, v14, v21 :: v_dual_sub_f32 v22, v20, v14
	s_delay_alu instid0(VALU_DEP_1) | instskip(NEXT) | instid1(VALU_DEP_1)
	v_dual_sub_f32 v13, v13, v21 :: v_dual_sub_f32 v18, v19, v22
	v_add_f32_e32 v19, v13, v7
	v_sub_f32_e32 v23, v20, v22
	s_delay_alu instid0(VALU_DEP_1) | instskip(NEXT) | instid1(VALU_DEP_1)
	v_sub_f32_e32 v14, v14, v23
	v_add_f32_e32 v14, v18, v14
	s_delay_alu instid0(VALU_DEP_4) | instskip(NEXT) | instid1(VALU_DEP_2)
	v_sub_f32_e32 v18, v19, v13
	v_add_f32_e32 v14, v19, v14
	s_delay_alu instid0(VALU_DEP_2) | instskip(SKIP_1) | instid1(VALU_DEP_3)
	v_sub_f32_e32 v19, v19, v18
	v_sub_f32_e32 v7, v7, v18
	v_add_f32_e32 v21, v20, v14
	s_delay_alu instid0(VALU_DEP_3) | instskip(NEXT) | instid1(VALU_DEP_1)
	v_sub_f32_e32 v13, v13, v19
	v_dual_sub_f32 v18, v21, v20 :: v_dual_add_f32 v7, v7, v13
	s_delay_alu instid0(VALU_DEP_1) | instskip(NEXT) | instid1(VALU_DEP_1)
	v_sub_f32_e32 v13, v14, v18
	v_add_f32_e32 v7, v7, v13
	s_delay_alu instid0(VALU_DEP_1) | instskip(SKIP_1) | instid1(VALU_DEP_1)
	v_add_f32_e32 v7, v21, v7
	s_wait_alu 0xf1ff
	v_cndmask_b32_e64 v7, 0x7f800000, v7, s2
	v_cmp_gt_f32_e64 s2, 0x33800000, |v5|
	s_wait_alu 0xf1ff
	s_delay_alu instid0(VALU_DEP_1) | instskip(NEXT) | instid1(VALU_DEP_1)
	v_cndmask_b32_e64 v5, v7, v5, s2
	v_add_f32_e32 v5, v1, v5
.LBB158_208:
	s_wait_alu 0xfffe
	s_or_b32 exec_lo, exec_lo, s6
	s_delay_alu instid0(VALU_DEP_1) | instskip(SKIP_1) | instid1(VALU_DEP_1)
	v_max_num_f32_e32 v1, v5, v5
	;;#ASMSTART
	;;#ASMEND
	v_min_num_f32_e32 v7, v1, v17
	v_max_num_f32_e32 v13, v1, v17
	v_mov_b32_e32 v1, v5
.LBB158_209:
	s_wait_alu 0xfffe
	s_or_b32 exec_lo, exec_lo, s7
	s_delay_alu instid0(VALU_DEP_1) | instskip(SKIP_1) | instid1(VALU_DEP_1)
	v_cmp_u_f32_e64 s2, v1, v1
	s_wait_alu 0xf1ff
	v_cndmask_b32_e64 v7, v7, v1, s2
	v_cndmask_b32_e64 v13, v13, v1, s2
	s_delay_alu instid0(VALU_DEP_2) | instskip(NEXT) | instid1(VALU_DEP_2)
	v_cndmask_b32_e32 v7, v7, v2, vcc_lo
	v_cndmask_b32_e32 v2, v13, v2, vcc_lo
	s_delay_alu instid0(VALU_DEP_2) | instskip(NEXT) | instid1(VALU_DEP_2)
	v_cmp_class_f32_e64 s2, v7, 0x1f8
	v_cmp_neq_f32_e32 vcc_lo, v7, v2
	s_or_b32 s6, vcc_lo, s2
	s_wait_alu 0xfffe
	s_and_saveexec_b32 s2, s6
	s_cbranch_execz .LBB158_211
; %bb.210:
	v_sub_f32_e32 v1, v7, v2
	s_mov_b32 s6, 0x3e9b6dac
	s_delay_alu instid0(VALU_DEP_1) | instskip(SKIP_1) | instid1(VALU_DEP_2)
	v_mul_f32_e32 v7, 0x3fb8aa3b, v1
	v_cmp_ngt_f32_e32 vcc_lo, 0xc2ce8ed0, v1
	v_fma_f32 v13, 0x3fb8aa3b, v1, -v7
	v_rndne_f32_e32 v14, v7
	s_delay_alu instid0(VALU_DEP_2) | instskip(NEXT) | instid1(VALU_DEP_2)
	v_fmamk_f32 v13, v1, 0x32a5705f, v13
	v_sub_f32_e32 v7, v7, v14
	s_delay_alu instid0(VALU_DEP_1) | instskip(SKIP_1) | instid1(VALU_DEP_2)
	v_add_f32_e32 v7, v7, v13
	v_cvt_i32_f32_e32 v13, v14
	v_exp_f32_e32 v7, v7
	s_delay_alu instid0(TRANS32_DEP_1) | instskip(SKIP_1) | instid1(VALU_DEP_1)
	v_ldexp_f32 v7, v7, v13
	s_wait_alu 0xfffd
	v_cndmask_b32_e32 v7, 0, v7, vcc_lo
	v_cmp_nlt_f32_e32 vcc_lo, 0x42b17218, v1
	s_wait_alu 0xfffd
	s_delay_alu instid0(VALU_DEP_2) | instskip(NEXT) | instid1(VALU_DEP_1)
	v_cndmask_b32_e32 v1, 0x7f800000, v7, vcc_lo
	v_add_f32_e32 v7, 1.0, v1
	s_delay_alu instid0(VALU_DEP_1) | instskip(NEXT) | instid1(VALU_DEP_1)
	v_cvt_f64_f32_e32 v[13:14], v7
	v_frexp_exp_i32_f64_e32 v13, v[13:14]
	v_frexp_mant_f32_e32 v14, v7
	s_delay_alu instid0(VALU_DEP_1) | instskip(SKIP_1) | instid1(VALU_DEP_1)
	v_cmp_gt_f32_e32 vcc_lo, 0x3f2aaaab, v14
	v_add_f32_e32 v14, -1.0, v7
	v_sub_f32_e32 v18, v14, v7
	v_sub_f32_e32 v14, v1, v14
	s_delay_alu instid0(VALU_DEP_2) | instskip(NEXT) | instid1(VALU_DEP_1)
	v_add_f32_e32 v18, 1.0, v18
	v_add_f32_e32 v14, v14, v18
	s_wait_alu 0xfffd
	v_subrev_co_ci_u32_e64 v13, null, 0, v13, vcc_lo
	s_delay_alu instid0(VALU_DEP_1) | instskip(SKIP_1) | instid1(VALU_DEP_2)
	v_sub_nc_u32_e32 v17, 0, v13
	v_cvt_f32_i32_e32 v13, v13
	v_ldexp_f32 v7, v7, v17
	v_ldexp_f32 v14, v14, v17
	s_delay_alu instid0(VALU_DEP_2) | instskip(SKIP_1) | instid1(VALU_DEP_1)
	v_add_f32_e32 v17, -1.0, v7
	s_wait_dscnt 0x0
	v_dual_add_f32 v19, 1.0, v7 :: v_dual_add_f32 v20, 1.0, v17
	s_delay_alu instid0(VALU_DEP_1) | instskip(NEXT) | instid1(VALU_DEP_1)
	v_add_f32_e32 v18, -1.0, v19
	v_sub_f32_e32 v18, v7, v18
	s_delay_alu instid0(VALU_DEP_3) | instskip(SKIP_1) | instid1(VALU_DEP_3)
	v_sub_f32_e32 v7, v7, v20
	v_cmp_neq_f32_e32 vcc_lo, 0x7f800000, v1
	v_add_f32_e32 v18, v14, v18
	s_delay_alu instid0(VALU_DEP_1) | instskip(NEXT) | instid1(VALU_DEP_1)
	v_add_f32_e32 v20, v19, v18
	v_sub_f32_e32 v19, v19, v20
	s_delay_alu instid0(VALU_DEP_1) | instskip(SKIP_2) | instid1(VALU_DEP_1)
	v_add_f32_e32 v18, v18, v19
	v_add_f32_e32 v7, v14, v7
	v_rcp_f32_e32 v14, v20
	v_add_f32_e32 v21, v17, v7
	s_delay_alu instid0(VALU_DEP_1)
	v_sub_f32_e32 v17, v17, v21
	s_delay_alu instid0(TRANS32_DEP_1) | instid1(VALU_DEP_1)
	v_dual_mul_f32 v22, v21, v14 :: v_dual_add_f32 v7, v7, v17
	s_delay_alu instid0(VALU_DEP_1) | instskip(NEXT) | instid1(VALU_DEP_1)
	v_mul_f32_e32 v23, v20, v22
	v_fma_f32 v19, v22, v20, -v23
	s_delay_alu instid0(VALU_DEP_1) | instskip(NEXT) | instid1(VALU_DEP_1)
	v_fmac_f32_e32 v19, v22, v18
	v_add_f32_e32 v24, v23, v19
	s_delay_alu instid0(VALU_DEP_1) | instskip(SKIP_1) | instid1(VALU_DEP_2)
	v_sub_f32_e32 v25, v21, v24
	v_sub_f32_e32 v17, v24, v23
	;; [unrolled: 1-line block ×3, first 2 shown]
	s_delay_alu instid0(VALU_DEP_2) | instskip(NEXT) | instid1(VALU_DEP_2)
	v_sub_f32_e32 v17, v17, v19
	v_sub_f32_e32 v21, v21, v24
	s_delay_alu instid0(VALU_DEP_1) | instskip(NEXT) | instid1(VALU_DEP_1)
	v_add_f32_e32 v7, v7, v21
	v_add_f32_e32 v7, v17, v7
	s_delay_alu instid0(VALU_DEP_1) | instskip(NEXT) | instid1(VALU_DEP_1)
	v_add_f32_e32 v17, v25, v7
	v_mul_f32_e32 v19, v14, v17
	s_delay_alu instid0(VALU_DEP_1) | instskip(NEXT) | instid1(VALU_DEP_1)
	v_dual_sub_f32 v24, v25, v17 :: v_dual_mul_f32 v21, v20, v19
	v_add_f32_e32 v7, v7, v24
	s_delay_alu instid0(VALU_DEP_2) | instskip(NEXT) | instid1(VALU_DEP_1)
	v_fma_f32 v20, v19, v20, -v21
	v_fmac_f32_e32 v20, v19, v18
	s_delay_alu instid0(VALU_DEP_1) | instskip(NEXT) | instid1(VALU_DEP_1)
	v_add_f32_e32 v18, v21, v20
	v_sub_f32_e32 v23, v17, v18
	v_sub_f32_e32 v21, v18, v21
	s_delay_alu instid0(VALU_DEP_2) | instskip(NEXT) | instid1(VALU_DEP_1)
	v_sub_f32_e32 v17, v17, v23
	v_sub_f32_e32 v17, v17, v18
	s_delay_alu instid0(VALU_DEP_1) | instskip(SKIP_1) | instid1(VALU_DEP_1)
	v_dual_sub_f32 v18, v21, v20 :: v_dual_add_f32 v7, v7, v17
	v_add_f32_e32 v17, v22, v19
	v_dual_add_f32 v7, v18, v7 :: v_dual_sub_f32 v18, v17, v22
	s_delay_alu instid0(VALU_DEP_1) | instskip(NEXT) | instid1(VALU_DEP_1)
	v_add_f32_e32 v7, v23, v7
	v_dual_sub_f32 v18, v19, v18 :: v_dual_mul_f32 v7, v14, v7
	s_delay_alu instid0(VALU_DEP_1) | instskip(NEXT) | instid1(VALU_DEP_1)
	v_add_f32_e32 v7, v18, v7
	v_add_f32_e32 v14, v17, v7
	s_delay_alu instid0(VALU_DEP_1) | instskip(SKIP_1) | instid1(VALU_DEP_1)
	v_mul_f32_e32 v18, v14, v14
	s_wait_alu 0xfffe
	v_fmaak_f32 v19, s6, v18, 0x3ecc95a3
	v_mul_f32_e32 v20, v14, v18
	s_delay_alu instid0(VALU_DEP_2) | instskip(SKIP_2) | instid1(VALU_DEP_3)
	v_fmaak_f32 v18, v18, v19, 0x3f2aaada
	v_ldexp_f32 v19, v14, 1
	v_sub_f32_e32 v14, v14, v17
	v_mul_f32_e32 v18, v20, v18
	s_delay_alu instid0(VALU_DEP_2) | instskip(NEXT) | instid1(VALU_DEP_2)
	v_dual_mul_f32 v20, 0x3f317218, v13 :: v_dual_sub_f32 v7, v7, v14
	v_add_f32_e32 v17, v19, v18
	s_delay_alu instid0(VALU_DEP_2) | instskip(NEXT) | instid1(VALU_DEP_2)
	v_ldexp_f32 v7, v7, 1
	v_sub_f32_e32 v14, v17, v19
	s_delay_alu instid0(VALU_DEP_4) | instskip(NEXT) | instid1(VALU_DEP_1)
	v_fma_f32 v19, 0x3f317218, v13, -v20
	v_dual_sub_f32 v14, v18, v14 :: v_dual_fmamk_f32 v13, v13, 0xb102e308, v19
	s_delay_alu instid0(VALU_DEP_1) | instskip(NEXT) | instid1(VALU_DEP_1)
	v_dual_add_f32 v7, v7, v14 :: v_dual_add_f32 v14, v20, v13
	v_add_f32_e32 v18, v17, v7
	s_delay_alu instid0(VALU_DEP_2) | instskip(NEXT) | instid1(VALU_DEP_2)
	v_sub_f32_e32 v20, v14, v20
	v_add_f32_e32 v19, v14, v18
	v_sub_f32_e32 v17, v18, v17
	s_delay_alu instid0(VALU_DEP_3) | instskip(NEXT) | instid1(VALU_DEP_3)
	v_sub_f32_e32 v13, v13, v20
	v_sub_f32_e32 v21, v19, v14
	s_delay_alu instid0(VALU_DEP_3) | instskip(NEXT) | instid1(VALU_DEP_2)
	v_sub_f32_e32 v7, v7, v17
	v_sub_f32_e32 v22, v19, v21
	s_delay_alu instid0(VALU_DEP_2) | instskip(NEXT) | instid1(VALU_DEP_2)
	v_dual_sub_f32 v17, v18, v21 :: v_dual_add_f32 v18, v13, v7
	v_sub_f32_e32 v14, v14, v22
	s_delay_alu instid0(VALU_DEP_1) | instskip(NEXT) | instid1(VALU_DEP_1)
	v_dual_add_f32 v14, v17, v14 :: v_dual_sub_f32 v17, v18, v13
	v_add_f32_e32 v14, v18, v14
	s_delay_alu instid0(VALU_DEP_2) | instskip(SKIP_1) | instid1(VALU_DEP_3)
	v_sub_f32_e32 v18, v18, v17
	v_sub_f32_e32 v7, v7, v17
	v_add_f32_e32 v20, v19, v14
	s_delay_alu instid0(VALU_DEP_3) | instskip(NEXT) | instid1(VALU_DEP_2)
	v_sub_f32_e32 v13, v13, v18
	v_sub_f32_e32 v17, v20, v19
	s_delay_alu instid0(VALU_DEP_2) | instskip(NEXT) | instid1(VALU_DEP_2)
	v_add_f32_e32 v7, v7, v13
	v_sub_f32_e32 v13, v14, v17
	s_delay_alu instid0(VALU_DEP_1) | instskip(NEXT) | instid1(VALU_DEP_1)
	v_add_f32_e32 v7, v7, v13
	v_add_f32_e32 v7, v20, v7
	s_wait_alu 0xfffd
	s_delay_alu instid0(VALU_DEP_1) | instskip(SKIP_2) | instid1(VALU_DEP_2)
	v_cndmask_b32_e32 v7, 0x7f800000, v7, vcc_lo
	v_cmp_gt_f32_e64 vcc_lo, 0x33800000, |v1|
	s_wait_alu 0xfffd
	v_cndmask_b32_e32 v1, v7, v1, vcc_lo
	s_delay_alu instid0(VALU_DEP_1)
	v_add_f32_e32 v1, v2, v1
.LBB158_211:
	s_wait_alu 0xfffe
	s_or_b32 exec_lo, exec_lo, s2
	s_delay_alu instid0(VALU_DEP_1) | instskip(SKIP_1) | instid1(VALU_DEP_2)
	v_max_num_f32_e32 v2, v1, v1
	v_cmp_u_f32_e32 vcc_lo, v1, v1
	v_min_num_f32_e32 v7, v2, v6
	v_max_num_f32_e32 v2, v2, v6
	s_wait_alu 0xfffd
	s_delay_alu instid0(VALU_DEP_2) | instskip(NEXT) | instid1(VALU_DEP_2)
	v_dual_cndmask_b32 v6, v7, v1 :: v_dual_mov_b32 v7, v1
	v_cndmask_b32_e32 v2, v2, v1, vcc_lo
	s_delay_alu instid0(VALU_DEP_2) | instskip(NEXT) | instid1(VALU_DEP_2)
	v_cndmask_b32_e64 v6, v6, v3, s1
	v_cndmask_b32_e64 v2, v2, v3, s1
	s_delay_alu instid0(VALU_DEP_2) | instskip(NEXT) | instid1(VALU_DEP_2)
	v_cmp_class_f32_e64 s1, v6, 0x1f8
	v_cmp_neq_f32_e32 vcc_lo, v6, v2
	s_or_b32 s2, vcc_lo, s1
	s_wait_alu 0xfffe
	s_and_saveexec_b32 s1, s2
	s_cbranch_execz .LBB158_213
; %bb.212:
	v_sub_f32_e32 v3, v6, v2
	s_mov_b32 s2, 0x3e9b6dac
	s_delay_alu instid0(VALU_DEP_1) | instskip(SKIP_1) | instid1(VALU_DEP_2)
	v_mul_f32_e32 v6, 0x3fb8aa3b, v3
	v_cmp_ngt_f32_e32 vcc_lo, 0xc2ce8ed0, v3
	v_fma_f32 v7, 0x3fb8aa3b, v3, -v6
	v_rndne_f32_e32 v13, v6
	s_delay_alu instid0(VALU_DEP_1) | instskip(NEXT) | instid1(VALU_DEP_1)
	v_dual_fmamk_f32 v7, v3, 0x32a5705f, v7 :: v_dual_sub_f32 v6, v6, v13
	v_add_f32_e32 v6, v6, v7
	v_cvt_i32_f32_e32 v7, v13
	s_delay_alu instid0(VALU_DEP_2) | instskip(NEXT) | instid1(TRANS32_DEP_1)
	v_exp_f32_e32 v6, v6
	v_ldexp_f32 v6, v6, v7
	s_wait_alu 0xfffd
	s_delay_alu instid0(VALU_DEP_1) | instskip(SKIP_2) | instid1(VALU_DEP_2)
	v_cndmask_b32_e32 v6, 0, v6, vcc_lo
	v_cmp_nlt_f32_e32 vcc_lo, 0x42b17218, v3
	s_wait_alu 0xfffd
	v_cndmask_b32_e32 v3, 0x7f800000, v6, vcc_lo
	s_delay_alu instid0(VALU_DEP_1) | instskip(NEXT) | instid1(VALU_DEP_1)
	v_add_f32_e32 v13, 1.0, v3
	v_cvt_f64_f32_e32 v[6:7], v13
	s_delay_alu instid0(VALU_DEP_1) | instskip(SKIP_1) | instid1(VALU_DEP_1)
	v_frexp_exp_i32_f64_e32 v6, v[6:7]
	v_frexp_mant_f32_e32 v7, v13
	v_cmp_gt_f32_e32 vcc_lo, 0x3f2aaaab, v7
	v_add_f32_e32 v7, -1.0, v13
	s_delay_alu instid0(VALU_DEP_1) | instskip(SKIP_1) | instid1(VALU_DEP_2)
	v_sub_f32_e32 v17, v7, v13
	v_sub_f32_e32 v7, v3, v7
	v_add_f32_e32 v17, 1.0, v17
	s_wait_alu 0xfffd
	v_subrev_co_ci_u32_e64 v6, null, 0, v6, vcc_lo
	s_delay_alu instid0(VALU_DEP_1) | instskip(SKIP_1) | instid1(VALU_DEP_2)
	v_sub_nc_u32_e32 v14, 0, v6
	v_cvt_f32_i32_e32 v6, v6
	v_ldexp_f32 v13, v13, v14
	s_delay_alu instid0(VALU_DEP_1) | instskip(SKIP_1) | instid1(VALU_DEP_2)
	v_add_f32_e32 v18, 1.0, v13
	v_add_f32_e32 v7, v7, v17
	v_add_f32_e32 v17, -1.0, v18
	s_delay_alu instid0(VALU_DEP_2) | instskip(SKIP_2) | instid1(VALU_DEP_4)
	v_ldexp_f32 v7, v7, v14
	v_add_f32_e32 v14, -1.0, v13
	v_cmp_neq_f32_e32 vcc_lo, 0x7f800000, v3
	v_sub_f32_e32 v17, v13, v17
	s_wait_dscnt 0x0
	s_delay_alu instid0(VALU_DEP_3) | instskip(NEXT) | instid1(VALU_DEP_2)
	v_add_f32_e32 v19, 1.0, v14
	v_add_f32_e32 v17, v7, v17
	s_delay_alu instid0(VALU_DEP_2) | instskip(NEXT) | instid1(VALU_DEP_2)
	v_sub_f32_e32 v13, v13, v19
	v_add_f32_e32 v19, v18, v17
	s_delay_alu instid0(VALU_DEP_2) | instskip(NEXT) | instid1(VALU_DEP_2)
	v_add_f32_e32 v7, v7, v13
	v_rcp_f32_e32 v13, v19
	v_sub_f32_e32 v18, v18, v19
	s_delay_alu instid0(VALU_DEP_1)
	v_dual_add_f32 v20, v14, v7 :: v_dual_add_f32 v17, v17, v18
	s_delay_alu instid0(TRANS32_DEP_1) | instid1(VALU_DEP_1)
	v_dual_sub_f32 v14, v14, v20 :: v_dual_mul_f32 v21, v20, v13
	s_delay_alu instid0(VALU_DEP_1) | instskip(NEXT) | instid1(VALU_DEP_2)
	v_add_f32_e32 v7, v7, v14
	v_mul_f32_e32 v22, v19, v21
	s_delay_alu instid0(VALU_DEP_1) | instskip(NEXT) | instid1(VALU_DEP_1)
	v_fma_f32 v18, v21, v19, -v22
	v_fmac_f32_e32 v18, v21, v17
	s_delay_alu instid0(VALU_DEP_1) | instskip(NEXT) | instid1(VALU_DEP_1)
	v_add_f32_e32 v23, v22, v18
	v_sub_f32_e32 v24, v20, v23
	v_sub_f32_e32 v14, v23, v22
	s_delay_alu instid0(VALU_DEP_2) | instskip(NEXT) | instid1(VALU_DEP_2)
	v_sub_f32_e32 v20, v20, v24
	v_sub_f32_e32 v14, v14, v18
	s_delay_alu instid0(VALU_DEP_2) | instskip(NEXT) | instid1(VALU_DEP_1)
	v_sub_f32_e32 v20, v20, v23
	v_add_f32_e32 v7, v7, v20
	s_delay_alu instid0(VALU_DEP_1) | instskip(NEXT) | instid1(VALU_DEP_1)
	v_add_f32_e32 v7, v14, v7
	v_add_f32_e32 v14, v24, v7
	s_delay_alu instid0(VALU_DEP_1) | instskip(NEXT) | instid1(VALU_DEP_1)
	v_mul_f32_e32 v18, v13, v14
	v_mul_f32_e32 v20, v19, v18
	s_delay_alu instid0(VALU_DEP_1) | instskip(NEXT) | instid1(VALU_DEP_1)
	v_fma_f32 v19, v18, v19, -v20
	v_fmac_f32_e32 v19, v18, v17
	s_delay_alu instid0(VALU_DEP_1) | instskip(NEXT) | instid1(VALU_DEP_1)
	v_add_f32_e32 v17, v20, v19
	v_dual_sub_f32 v23, v24, v14 :: v_dual_sub_f32 v22, v14, v17
	v_sub_f32_e32 v20, v17, v20
	s_delay_alu instid0(VALU_DEP_2) | instskip(NEXT) | instid1(VALU_DEP_1)
	v_sub_f32_e32 v14, v14, v22
	v_dual_sub_f32 v14, v14, v17 :: v_dual_add_f32 v7, v7, v23
	s_delay_alu instid0(VALU_DEP_1) | instskip(NEXT) | instid1(VALU_DEP_4)
	v_add_f32_e32 v7, v7, v14
	v_dual_add_f32 v14, v21, v18 :: v_dual_sub_f32 v17, v20, v19
	s_delay_alu instid0(VALU_DEP_1) | instskip(NEXT) | instid1(VALU_DEP_2)
	v_add_f32_e32 v7, v17, v7
	v_sub_f32_e32 v17, v14, v21
	s_delay_alu instid0(VALU_DEP_2) | instskip(NEXT) | instid1(VALU_DEP_2)
	v_add_f32_e32 v7, v22, v7
	v_sub_f32_e32 v17, v18, v17
	s_delay_alu instid0(VALU_DEP_2) | instskip(NEXT) | instid1(VALU_DEP_1)
	v_mul_f32_e32 v7, v13, v7
	v_add_f32_e32 v7, v17, v7
	s_delay_alu instid0(VALU_DEP_1) | instskip(NEXT) | instid1(VALU_DEP_1)
	v_add_f32_e32 v13, v14, v7
	v_mul_f32_e32 v17, v13, v13
	s_wait_alu 0xfffe
	s_delay_alu instid0(VALU_DEP_1) | instskip(SKIP_1) | instid1(VALU_DEP_2)
	v_fmaak_f32 v18, s2, v17, 0x3ecc95a3
	v_mul_f32_e32 v19, v13, v17
	v_fmaak_f32 v17, v17, v18, 0x3f2aaada
	v_ldexp_f32 v18, v13, 1
	v_sub_f32_e32 v13, v13, v14
	s_delay_alu instid0(VALU_DEP_3) | instskip(NEXT) | instid1(VALU_DEP_2)
	v_mul_f32_e32 v17, v19, v17
	v_sub_f32_e32 v7, v7, v13
	s_delay_alu instid0(VALU_DEP_2) | instskip(NEXT) | instid1(VALU_DEP_2)
	v_add_f32_e32 v14, v18, v17
	v_ldexp_f32 v7, v7, 1
	s_delay_alu instid0(VALU_DEP_2) | instskip(NEXT) | instid1(VALU_DEP_1)
	v_sub_f32_e32 v13, v14, v18
	v_sub_f32_e32 v13, v17, v13
	s_delay_alu instid0(VALU_DEP_1) | instskip(NEXT) | instid1(VALU_DEP_1)
	v_add_f32_e32 v7, v7, v13
	v_add_f32_e32 v17, v14, v7
	v_mul_f32_e32 v19, 0x3f317218, v6
	s_delay_alu instid0(VALU_DEP_2) | instskip(NEXT) | instid1(VALU_DEP_2)
	v_sub_f32_e32 v14, v17, v14
	v_fma_f32 v18, 0x3f317218, v6, -v19
	s_delay_alu instid0(VALU_DEP_1) | instskip(NEXT) | instid1(VALU_DEP_1)
	v_dual_sub_f32 v7, v7, v14 :: v_dual_fmamk_f32 v6, v6, 0xb102e308, v18
	v_add_f32_e32 v13, v19, v6
	s_delay_alu instid0(VALU_DEP_1) | instskip(NEXT) | instid1(VALU_DEP_1)
	v_add_f32_e32 v18, v13, v17
	v_sub_f32_e32 v20, v18, v13
	s_delay_alu instid0(VALU_DEP_1) | instskip(SKIP_2) | instid1(VALU_DEP_1)
	v_sub_f32_e32 v21, v18, v20
	v_sub_f32_e32 v14, v17, v20
	;; [unrolled: 1-line block ×3, first 2 shown]
	v_dual_sub_f32 v13, v13, v21 :: v_dual_sub_f32 v6, v6, v19
	s_delay_alu instid0(VALU_DEP_1) | instskip(NEXT) | instid1(VALU_DEP_2)
	v_add_f32_e32 v13, v14, v13
	v_add_f32_e32 v17, v6, v7
	s_delay_alu instid0(VALU_DEP_1) | instskip(NEXT) | instid1(VALU_DEP_3)
	v_sub_f32_e32 v14, v17, v6
	v_add_f32_e32 v13, v17, v13
	s_delay_alu instid0(VALU_DEP_2) | instskip(NEXT) | instid1(VALU_DEP_2)
	v_sub_f32_e32 v17, v17, v14
	v_add_f32_e32 v19, v18, v13
	s_delay_alu instid0(VALU_DEP_2) | instskip(NEXT) | instid1(VALU_DEP_2)
	v_dual_sub_f32 v7, v7, v14 :: v_dual_sub_f32 v6, v6, v17
	v_sub_f32_e32 v14, v19, v18
	s_delay_alu instid0(VALU_DEP_2) | instskip(NEXT) | instid1(VALU_DEP_2)
	v_add_f32_e32 v6, v7, v6
	v_sub_f32_e32 v7, v13, v14
	s_delay_alu instid0(VALU_DEP_1) | instskip(NEXT) | instid1(VALU_DEP_1)
	v_add_f32_e32 v6, v6, v7
	v_add_f32_e32 v6, v19, v6
	s_wait_alu 0xfffd
	s_delay_alu instid0(VALU_DEP_1) | instskip(SKIP_2) | instid1(VALU_DEP_2)
	v_cndmask_b32_e32 v6, 0x7f800000, v6, vcc_lo
	v_cmp_gt_f32_e64 vcc_lo, 0x33800000, |v3|
	s_wait_alu 0xfffd
	v_cndmask_b32_e32 v3, v6, v3, vcc_lo
	s_delay_alu instid0(VALU_DEP_1)
	v_add_f32_e32 v7, v2, v3
.LBB158_213:
	s_wait_alu 0xfffe
	s_or_b32 exec_lo, exec_lo, s1
	s_delay_alu instid0(VALU_DEP_1) | instskip(SKIP_1) | instid1(VALU_DEP_2)
	v_max_num_f32_e32 v2, v7, v7
	v_cmp_u_f32_e32 vcc_lo, v7, v7
	v_min_num_f32_e32 v3, v2, v8
	v_max_num_f32_e32 v2, v2, v8
	v_mov_b32_e32 v8, v7
	s_wait_alu 0xfffd
	s_delay_alu instid0(VALU_DEP_3) | instskip(NEXT) | instid1(VALU_DEP_3)
	v_cndmask_b32_e32 v3, v3, v7, vcc_lo
	v_cndmask_b32_e32 v2, v2, v7, vcc_lo
	s_delay_alu instid0(VALU_DEP_2) | instskip(NEXT) | instid1(VALU_DEP_2)
	v_cndmask_b32_e64 v3, v3, v4, s3
	v_cndmask_b32_e64 v2, v2, v4, s3
	s_delay_alu instid0(VALU_DEP_2) | instskip(NEXT) | instid1(VALU_DEP_2)
	v_cmp_class_f32_e64 s1, v3, 0x1f8
	v_cmp_neq_f32_e32 vcc_lo, v3, v2
	s_or_b32 s2, vcc_lo, s1
	s_wait_alu 0xfffe
	s_and_saveexec_b32 s1, s2
	s_cbranch_execz .LBB158_215
; %bb.214:
	v_sub_f32_e32 v3, v3, v2
	s_mov_b32 s2, 0x3e9b6dac
	s_delay_alu instid0(VALU_DEP_1) | instskip(NEXT) | instid1(VALU_DEP_1)
	v_mul_f32_e32 v4, 0x3fb8aa3b, v3
	v_fma_f32 v6, 0x3fb8aa3b, v3, -v4
	v_rndne_f32_e32 v8, v4
	s_delay_alu instid0(VALU_DEP_1) | instskip(NEXT) | instid1(VALU_DEP_3)
	v_sub_f32_e32 v4, v4, v8
	v_fmamk_f32 v6, v3, 0x32a5705f, v6
	v_cmp_ngt_f32_e32 vcc_lo, 0xc2ce8ed0, v3
	s_delay_alu instid0(VALU_DEP_2) | instskip(SKIP_1) | instid1(VALU_DEP_2)
	v_add_f32_e32 v4, v4, v6
	v_cvt_i32_f32_e32 v6, v8
	v_exp_f32_e32 v4, v4
	s_delay_alu instid0(TRANS32_DEP_1) | instskip(SKIP_1) | instid1(VALU_DEP_1)
	v_ldexp_f32 v4, v4, v6
	s_wait_alu 0xfffd
	v_cndmask_b32_e32 v4, 0, v4, vcc_lo
	v_cmp_nlt_f32_e32 vcc_lo, 0x42b17218, v3
	s_wait_alu 0xfffd
	s_delay_alu instid0(VALU_DEP_2) | instskip(NEXT) | instid1(VALU_DEP_1)
	v_cndmask_b32_e32 v6, 0x7f800000, v4, vcc_lo
	v_add_f32_e32 v8, 1.0, v6
	s_delay_alu instid0(VALU_DEP_1) | instskip(NEXT) | instid1(VALU_DEP_1)
	v_cvt_f64_f32_e32 v[3:4], v8
	v_frexp_exp_i32_f64_e32 v3, v[3:4]
	v_frexp_mant_f32_e32 v4, v8
	s_delay_alu instid0(VALU_DEP_1) | instskip(SKIP_1) | instid1(VALU_DEP_1)
	v_cmp_gt_f32_e32 vcc_lo, 0x3f2aaaab, v4
	v_add_f32_e32 v4, -1.0, v8
	v_sub_f32_e32 v14, v4, v8
	v_sub_f32_e32 v4, v6, v4
	s_delay_alu instid0(VALU_DEP_2) | instskip(NEXT) | instid1(VALU_DEP_1)
	v_add_f32_e32 v14, 1.0, v14
	v_add_f32_e32 v4, v4, v14
	s_wait_alu 0xfffd
	v_subrev_co_ci_u32_e64 v3, null, 0, v3, vcc_lo
	s_delay_alu instid0(VALU_DEP_1) | instskip(SKIP_1) | instid1(VALU_DEP_2)
	v_sub_nc_u32_e32 v13, 0, v3
	v_cvt_f32_i32_e32 v3, v3
	v_ldexp_f32 v8, v8, v13
	v_ldexp_f32 v4, v4, v13
	s_delay_alu instid0(VALU_DEP_2) | instskip(NEXT) | instid1(VALU_DEP_1)
	v_add_f32_e32 v17, 1.0, v8
	v_dual_add_f32 v13, -1.0, v8 :: v_dual_add_f32 v14, -1.0, v17
	s_delay_alu instid0(VALU_DEP_1) | instskip(NEXT) | instid1(VALU_DEP_2)
	v_add_f32_e32 v18, 1.0, v13
	v_sub_f32_e32 v14, v8, v14
	s_delay_alu instid0(VALU_DEP_2) | instskip(NEXT) | instid1(VALU_DEP_2)
	v_sub_f32_e32 v8, v8, v18
	v_add_f32_e32 v14, v4, v14
	s_delay_alu instid0(VALU_DEP_2) | instskip(NEXT) | instid1(VALU_DEP_2)
	v_add_f32_e32 v4, v4, v8
	v_add_f32_e32 v18, v17, v14
	s_wait_dscnt 0x0
	s_delay_alu instid0(VALU_DEP_2) | instskip(NEXT) | instid1(VALU_DEP_2)
	v_add_f32_e32 v19, v13, v4
	v_rcp_f32_e32 v8, v18
	v_sub_f32_e32 v17, v17, v18
	s_delay_alu instid0(VALU_DEP_1) | instskip(NEXT) | instid1(VALU_DEP_1)
	v_dual_sub_f32 v13, v13, v19 :: v_dual_add_f32 v14, v14, v17
	v_add_f32_e32 v4, v4, v13
	s_delay_alu instid0(TRANS32_DEP_1) | instskip(NEXT) | instid1(VALU_DEP_1)
	v_mul_f32_e32 v20, v19, v8
	v_mul_f32_e32 v21, v18, v20
	s_delay_alu instid0(VALU_DEP_1) | instskip(NEXT) | instid1(VALU_DEP_1)
	v_fma_f32 v17, v20, v18, -v21
	v_fmac_f32_e32 v17, v20, v14
	v_cmp_neq_f32_e32 vcc_lo, 0x7f800000, v6
	s_delay_alu instid0(VALU_DEP_2) | instskip(NEXT) | instid1(VALU_DEP_1)
	v_add_f32_e32 v22, v21, v17
	v_sub_f32_e32 v23, v19, v22
	v_sub_f32_e32 v13, v22, v21
	s_delay_alu instid0(VALU_DEP_2) | instskip(NEXT) | instid1(VALU_DEP_2)
	v_sub_f32_e32 v19, v19, v23
	v_sub_f32_e32 v13, v13, v17
	s_delay_alu instid0(VALU_DEP_2) | instskip(NEXT) | instid1(VALU_DEP_1)
	v_sub_f32_e32 v19, v19, v22
	v_add_f32_e32 v4, v4, v19
	s_delay_alu instid0(VALU_DEP_1) | instskip(NEXT) | instid1(VALU_DEP_1)
	v_add_f32_e32 v4, v13, v4
	v_add_f32_e32 v13, v23, v4
	s_delay_alu instid0(VALU_DEP_1) | instskip(SKIP_1) | instid1(VALU_DEP_1)
	v_mul_f32_e32 v17, v8, v13
	v_sub_f32_e32 v22, v23, v13
	v_dual_mul_f32 v19, v18, v17 :: v_dual_add_f32 v4, v4, v22
	s_delay_alu instid0(VALU_DEP_1) | instskip(NEXT) | instid1(VALU_DEP_1)
	v_fma_f32 v18, v17, v18, -v19
	v_fmac_f32_e32 v18, v17, v14
	s_delay_alu instid0(VALU_DEP_1) | instskip(NEXT) | instid1(VALU_DEP_1)
	v_add_f32_e32 v14, v19, v18
	v_sub_f32_e32 v21, v13, v14
	v_sub_f32_e32 v19, v14, v19
	s_delay_alu instid0(VALU_DEP_2) | instskip(NEXT) | instid1(VALU_DEP_1)
	v_sub_f32_e32 v13, v13, v21
	v_sub_f32_e32 v13, v13, v14
	s_delay_alu instid0(VALU_DEP_3) | instskip(NEXT) | instid1(VALU_DEP_2)
	v_sub_f32_e32 v14, v19, v18
	v_add_f32_e32 v4, v4, v13
	s_delay_alu instid0(VALU_DEP_1) | instskip(NEXT) | instid1(VALU_DEP_1)
	v_dual_add_f32 v13, v20, v17 :: v_dual_add_f32 v4, v14, v4
	v_sub_f32_e32 v14, v13, v20
	s_delay_alu instid0(VALU_DEP_2) | instskip(NEXT) | instid1(VALU_DEP_2)
	v_add_f32_e32 v4, v21, v4
	v_sub_f32_e32 v14, v17, v14
	s_delay_alu instid0(VALU_DEP_2) | instskip(NEXT) | instid1(VALU_DEP_1)
	v_mul_f32_e32 v4, v8, v4
	v_add_f32_e32 v4, v14, v4
	s_delay_alu instid0(VALU_DEP_1) | instskip(NEXT) | instid1(VALU_DEP_1)
	v_add_f32_e32 v8, v13, v4
	v_mul_f32_e32 v14, v8, v8
	s_wait_alu 0xfffe
	s_delay_alu instid0(VALU_DEP_1) | instskip(SKIP_1) | instid1(VALU_DEP_2)
	v_fmaak_f32 v17, s2, v14, 0x3ecc95a3
	v_mul_f32_e32 v18, v8, v14
	v_fmaak_f32 v14, v14, v17, 0x3f2aaada
	v_ldexp_f32 v17, v8, 1
	v_sub_f32_e32 v8, v8, v13
	s_delay_alu instid0(VALU_DEP_3) | instskip(SKIP_1) | instid1(VALU_DEP_2)
	v_mul_f32_e32 v14, v18, v14
	v_mul_f32_e32 v18, 0x3f317218, v3
	v_dual_sub_f32 v4, v4, v8 :: v_dual_add_f32 v13, v17, v14
	s_delay_alu instid0(VALU_DEP_1) | instskip(NEXT) | instid1(VALU_DEP_2)
	v_ldexp_f32 v4, v4, 1
	v_sub_f32_e32 v8, v13, v17
	s_delay_alu instid0(VALU_DEP_4) | instskip(NEXT) | instid1(VALU_DEP_1)
	v_fma_f32 v17, 0x3f317218, v3, -v18
	v_dual_sub_f32 v8, v14, v8 :: v_dual_fmamk_f32 v3, v3, 0xb102e308, v17
	s_delay_alu instid0(VALU_DEP_1) | instskip(NEXT) | instid1(VALU_DEP_2)
	v_add_f32_e32 v4, v4, v8
	v_add_f32_e32 v8, v18, v3
	s_delay_alu instid0(VALU_DEP_2) | instskip(NEXT) | instid1(VALU_DEP_2)
	v_add_f32_e32 v14, v13, v4
	v_sub_f32_e32 v18, v8, v18
	s_delay_alu instid0(VALU_DEP_2) | instskip(SKIP_1) | instid1(VALU_DEP_3)
	v_add_f32_e32 v17, v8, v14
	v_sub_f32_e32 v13, v14, v13
	v_sub_f32_e32 v3, v3, v18
	s_delay_alu instid0(VALU_DEP_2) | instskip(NEXT) | instid1(VALU_DEP_1)
	v_dual_sub_f32 v19, v17, v8 :: v_dual_sub_f32 v4, v4, v13
	v_sub_f32_e32 v20, v17, v19
	s_delay_alu instid0(VALU_DEP_2) | instskip(NEXT) | instid1(VALU_DEP_2)
	v_dual_sub_f32 v13, v14, v19 :: v_dual_add_f32 v14, v3, v4
	v_sub_f32_e32 v8, v8, v20
	s_delay_alu instid0(VALU_DEP_1) | instskip(NEXT) | instid1(VALU_DEP_1)
	v_dual_add_f32 v8, v13, v8 :: v_dual_sub_f32 v13, v14, v3
	v_add_f32_e32 v8, v14, v8
	s_delay_alu instid0(VALU_DEP_2) | instskip(SKIP_1) | instid1(VALU_DEP_2)
	v_sub_f32_e32 v14, v14, v13
	v_sub_f32_e32 v4, v4, v13
	v_dual_add_f32 v18, v17, v8 :: v_dual_sub_f32 v3, v3, v14
	s_delay_alu instid0(VALU_DEP_1) | instskip(NEXT) | instid1(VALU_DEP_2)
	v_sub_f32_e32 v13, v18, v17
	v_add_f32_e32 v3, v4, v3
	s_delay_alu instid0(VALU_DEP_2) | instskip(NEXT) | instid1(VALU_DEP_1)
	v_sub_f32_e32 v4, v8, v13
	v_add_f32_e32 v3, v3, v4
	s_delay_alu instid0(VALU_DEP_1) | instskip(SKIP_1) | instid1(VALU_DEP_1)
	v_add_f32_e32 v3, v18, v3
	s_wait_alu 0xfffd
	v_cndmask_b32_e32 v3, 0x7f800000, v3, vcc_lo
	v_cmp_gt_f32_e64 vcc_lo, 0x33800000, |v6|
	s_wait_alu 0xfffd
	s_delay_alu instid0(VALU_DEP_2) | instskip(NEXT) | instid1(VALU_DEP_1)
	v_cndmask_b32_e32 v3, v3, v6, vcc_lo
	v_add_f32_e32 v8, v2, v3
.LBB158_215:
	s_wait_alu 0xfffe
	s_or_b32 exec_lo, exec_lo, s1
	s_delay_alu instid0(VALU_DEP_1) | instskip(SKIP_1) | instid1(VALU_DEP_2)
	v_max_num_f32_e32 v2, v8, v8
	v_cmp_u_f32_e32 vcc_lo, v8, v8
	v_min_num_f32_e32 v3, v2, v9
	v_dual_max_num_f32 v2, v2, v9 :: v_dual_mov_b32 v9, v8
	s_wait_alu 0xfffd
	s_delay_alu instid0(VALU_DEP_2) | instskip(NEXT) | instid1(VALU_DEP_2)
	v_cndmask_b32_e32 v3, v3, v8, vcc_lo
	v_cndmask_b32_e32 v2, v2, v8, vcc_lo
	s_delay_alu instid0(VALU_DEP_2) | instskip(NEXT) | instid1(VALU_DEP_2)
	v_cndmask_b32_e64 v3, v3, v11, s4
	v_cndmask_b32_e64 v2, v2, v11, s4
	s_delay_alu instid0(VALU_DEP_2) | instskip(NEXT) | instid1(VALU_DEP_2)
	v_cmp_class_f32_e64 s1, v3, 0x1f8
	v_cmp_neq_f32_e32 vcc_lo, v3, v2
	s_or_b32 s2, vcc_lo, s1
	s_wait_alu 0xfffe
	s_and_saveexec_b32 s1, s2
	s_cbranch_execz .LBB158_217
; %bb.216:
	v_sub_f32_e32 v3, v3, v2
	s_mov_b32 s2, 0x3e9b6dac
	s_delay_alu instid0(VALU_DEP_1) | instskip(NEXT) | instid1(VALU_DEP_1)
	v_mul_f32_e32 v4, 0x3fb8aa3b, v3
	v_fma_f32 v6, 0x3fb8aa3b, v3, -v4
	v_rndne_f32_e32 v9, v4
	s_delay_alu instid0(VALU_DEP_1) | instskip(NEXT) | instid1(VALU_DEP_3)
	v_sub_f32_e32 v4, v4, v9
	v_fmamk_f32 v6, v3, 0x32a5705f, v6
	v_cmp_ngt_f32_e32 vcc_lo, 0xc2ce8ed0, v3
	s_delay_alu instid0(VALU_DEP_2) | instskip(SKIP_1) | instid1(VALU_DEP_2)
	v_add_f32_e32 v4, v4, v6
	v_cvt_i32_f32_e32 v6, v9
	v_exp_f32_e32 v4, v4
	s_delay_alu instid0(TRANS32_DEP_1) | instskip(SKIP_1) | instid1(VALU_DEP_1)
	v_ldexp_f32 v4, v4, v6
	s_wait_alu 0xfffd
	v_cndmask_b32_e32 v4, 0, v4, vcc_lo
	v_cmp_nlt_f32_e32 vcc_lo, 0x42b17218, v3
	s_wait_alu 0xfffd
	s_delay_alu instid0(VALU_DEP_2) | instskip(NEXT) | instid1(VALU_DEP_1)
	v_cndmask_b32_e32 v6, 0x7f800000, v4, vcc_lo
	v_add_f32_e32 v9, 1.0, v6
	s_delay_alu instid0(VALU_DEP_1) | instskip(NEXT) | instid1(VALU_DEP_1)
	v_cvt_f64_f32_e32 v[3:4], v9
	v_frexp_exp_i32_f64_e32 v3, v[3:4]
	v_frexp_mant_f32_e32 v4, v9
	s_delay_alu instid0(VALU_DEP_1) | instskip(SKIP_1) | instid1(VALU_DEP_1)
	v_cmp_gt_f32_e32 vcc_lo, 0x3f2aaaab, v4
	v_add_f32_e32 v4, -1.0, v9
	v_sub_f32_e32 v13, v4, v9
	s_delay_alu instid0(VALU_DEP_1) | instskip(SKIP_2) | instid1(VALU_DEP_1)
	v_add_f32_e32 v13, 1.0, v13
	s_wait_alu 0xfffd
	v_subrev_co_ci_u32_e64 v3, null, 0, v3, vcc_lo
	v_sub_nc_u32_e32 v11, 0, v3
	v_cvt_f32_i32_e32 v3, v3
	s_delay_alu instid0(VALU_DEP_2) | instskip(SKIP_1) | instid1(VALU_DEP_1)
	v_ldexp_f32 v9, v9, v11
	v_sub_f32_e32 v4, v6, v4
	v_add_f32_e32 v4, v4, v13
	s_delay_alu instid0(VALU_DEP_1) | instskip(NEXT) | instid1(VALU_DEP_4)
	v_ldexp_f32 v4, v4, v11
	v_add_f32_e32 v11, -1.0, v9
	v_add_f32_e32 v14, 1.0, v9
	v_cmp_neq_f32_e32 vcc_lo, 0x7f800000, v6
	s_delay_alu instid0(VALU_DEP_3) | instskip(NEXT) | instid1(VALU_DEP_3)
	v_add_f32_e32 v17, 1.0, v11
	v_add_f32_e32 v13, -1.0, v14
	s_delay_alu instid0(VALU_DEP_1) | instskip(NEXT) | instid1(VALU_DEP_3)
	v_sub_f32_e32 v13, v9, v13
	v_sub_f32_e32 v9, v9, v17
	s_delay_alu instid0(VALU_DEP_2) | instskip(NEXT) | instid1(VALU_DEP_2)
	v_add_f32_e32 v13, v4, v13
	v_add_f32_e32 v4, v4, v9
	s_delay_alu instid0(VALU_DEP_1) | instskip(NEXT) | instid1(VALU_DEP_1)
	v_add_f32_e32 v18, v11, v4
	v_sub_f32_e32 v11, v11, v18
	s_delay_alu instid0(VALU_DEP_1) | instskip(NEXT) | instid1(VALU_DEP_1)
	v_dual_add_f32 v17, v14, v13 :: v_dual_add_f32 v4, v4, v11
	v_rcp_f32_e32 v9, v17
	v_sub_f32_e32 v14, v14, v17
	s_delay_alu instid0(VALU_DEP_1) | instskip(SKIP_1) | instid1(TRANS32_DEP_1)
	v_add_f32_e32 v13, v13, v14
	s_wait_dscnt 0x0
	v_mul_f32_e32 v19, v18, v9
	s_delay_alu instid0(VALU_DEP_1) | instskip(NEXT) | instid1(VALU_DEP_1)
	v_mul_f32_e32 v20, v17, v19
	v_fma_f32 v14, v19, v17, -v20
	s_delay_alu instid0(VALU_DEP_1) | instskip(NEXT) | instid1(VALU_DEP_1)
	v_fmac_f32_e32 v14, v19, v13
	v_add_f32_e32 v21, v20, v14
	s_delay_alu instid0(VALU_DEP_1) | instskip(NEXT) | instid1(VALU_DEP_1)
	v_dual_sub_f32 v22, v18, v21 :: v_dual_sub_f32 v11, v21, v20
	v_sub_f32_e32 v18, v18, v22
	s_delay_alu instid0(VALU_DEP_1) | instskip(NEXT) | instid1(VALU_DEP_1)
	v_dual_sub_f32 v11, v11, v14 :: v_dual_sub_f32 v18, v18, v21
	v_add_f32_e32 v4, v4, v18
	s_delay_alu instid0(VALU_DEP_1) | instskip(NEXT) | instid1(VALU_DEP_1)
	v_add_f32_e32 v4, v11, v4
	v_add_f32_e32 v11, v22, v4
	s_delay_alu instid0(VALU_DEP_1) | instskip(NEXT) | instid1(VALU_DEP_1)
	v_mul_f32_e32 v14, v9, v11
	v_dual_sub_f32 v21, v22, v11 :: v_dual_mul_f32 v18, v17, v14
	s_delay_alu instid0(VALU_DEP_1) | instskip(NEXT) | instid1(VALU_DEP_2)
	v_add_f32_e32 v4, v4, v21
	v_fma_f32 v17, v14, v17, -v18
	s_delay_alu instid0(VALU_DEP_1) | instskip(NEXT) | instid1(VALU_DEP_1)
	v_fmac_f32_e32 v17, v14, v13
	v_add_f32_e32 v13, v18, v17
	s_delay_alu instid0(VALU_DEP_1) | instskip(NEXT) | instid1(VALU_DEP_1)
	v_sub_f32_e32 v20, v11, v13
	v_dual_sub_f32 v11, v11, v20 :: v_dual_sub_f32 v18, v13, v18
	s_delay_alu instid0(VALU_DEP_1) | instskip(NEXT) | instid1(VALU_DEP_1)
	v_sub_f32_e32 v11, v11, v13
	v_dual_sub_f32 v13, v18, v17 :: v_dual_add_f32 v4, v4, v11
	s_delay_alu instid0(VALU_DEP_1) | instskip(NEXT) | instid1(VALU_DEP_1)
	v_dual_add_f32 v11, v19, v14 :: v_dual_add_f32 v4, v13, v4
	v_sub_f32_e32 v13, v11, v19
	s_delay_alu instid0(VALU_DEP_1) | instskip(NEXT) | instid1(VALU_DEP_1)
	v_dual_sub_f32 v13, v14, v13 :: v_dual_add_f32 v4, v20, v4
	v_mul_f32_e32 v4, v9, v4
	s_delay_alu instid0(VALU_DEP_1) | instskip(NEXT) | instid1(VALU_DEP_1)
	v_add_f32_e32 v4, v13, v4
	v_add_f32_e32 v9, v11, v4
	s_delay_alu instid0(VALU_DEP_1) | instskip(SKIP_1) | instid1(VALU_DEP_1)
	v_mul_f32_e32 v13, v9, v9
	s_wait_alu 0xfffe
	v_fmaak_f32 v14, s2, v13, 0x3ecc95a3
	v_mul_f32_e32 v17, v9, v13
	s_delay_alu instid0(VALU_DEP_2) | instskip(SKIP_2) | instid1(VALU_DEP_3)
	v_fmaak_f32 v13, v13, v14, 0x3f2aaada
	v_ldexp_f32 v14, v9, 1
	v_sub_f32_e32 v9, v9, v11
	v_mul_f32_e32 v13, v17, v13
	v_mul_f32_e32 v17, 0x3f317218, v3
	s_delay_alu instid0(VALU_DEP_2) | instskip(NEXT) | instid1(VALU_DEP_1)
	v_add_f32_e32 v11, v14, v13
	v_dual_sub_f32 v4, v4, v9 :: v_dual_sub_f32 v9, v11, v14
	s_delay_alu instid0(VALU_DEP_3) | instskip(NEXT) | instid1(VALU_DEP_2)
	v_fma_f32 v14, 0x3f317218, v3, -v17
	v_ldexp_f32 v4, v4, 1
	s_delay_alu instid0(VALU_DEP_3) | instskip(NEXT) | instid1(VALU_DEP_1)
	v_sub_f32_e32 v9, v13, v9
	v_dual_fmamk_f32 v3, v3, 0xb102e308, v14 :: v_dual_add_f32 v4, v4, v9
	s_delay_alu instid0(VALU_DEP_1) | instskip(NEXT) | instid1(VALU_DEP_2)
	v_add_f32_e32 v9, v17, v3
	v_add_f32_e32 v13, v11, v4
	s_delay_alu instid0(VALU_DEP_2) | instskip(NEXT) | instid1(VALU_DEP_1)
	v_sub_f32_e32 v17, v9, v17
	v_sub_f32_e32 v3, v3, v17
	s_delay_alu instid0(VALU_DEP_3) | instskip(NEXT) | instid1(VALU_DEP_1)
	v_add_f32_e32 v14, v9, v13
	v_dual_sub_f32 v18, v14, v9 :: v_dual_sub_f32 v11, v13, v11
	s_delay_alu instid0(VALU_DEP_1) | instskip(NEXT) | instid1(VALU_DEP_1)
	v_dual_sub_f32 v4, v4, v11 :: v_dual_sub_f32 v11, v13, v18
	v_add_f32_e32 v13, v3, v4
	v_sub_f32_e32 v19, v14, v18
	s_delay_alu instid0(VALU_DEP_1) | instskip(NEXT) | instid1(VALU_DEP_1)
	v_sub_f32_e32 v9, v9, v19
	v_add_f32_e32 v9, v11, v9
	s_delay_alu instid0(VALU_DEP_4) | instskip(NEXT) | instid1(VALU_DEP_2)
	v_sub_f32_e32 v11, v13, v3
	v_add_f32_e32 v9, v13, v9
	s_delay_alu instid0(VALU_DEP_2) | instskip(NEXT) | instid1(VALU_DEP_2)
	v_sub_f32_e32 v13, v13, v11
	v_dual_sub_f32 v4, v4, v11 :: v_dual_add_f32 v17, v14, v9
	s_delay_alu instid0(VALU_DEP_2) | instskip(NEXT) | instid1(VALU_DEP_2)
	v_sub_f32_e32 v3, v3, v13
	v_sub_f32_e32 v11, v17, v14
	s_delay_alu instid0(VALU_DEP_2) | instskip(NEXT) | instid1(VALU_DEP_2)
	v_add_f32_e32 v3, v4, v3
	v_sub_f32_e32 v4, v9, v11
	s_delay_alu instid0(VALU_DEP_1) | instskip(NEXT) | instid1(VALU_DEP_1)
	v_add_f32_e32 v3, v3, v4
	v_add_f32_e32 v3, v17, v3
	s_wait_alu 0xfffd
	s_delay_alu instid0(VALU_DEP_1) | instskip(SKIP_2) | instid1(VALU_DEP_2)
	v_cndmask_b32_e32 v3, 0x7f800000, v3, vcc_lo
	v_cmp_gt_f32_e64 vcc_lo, 0x33800000, |v6|
	s_wait_alu 0xfffd
	v_cndmask_b32_e32 v3, v3, v6, vcc_lo
	s_delay_alu instid0(VALU_DEP_1)
	v_add_f32_e32 v9, v2, v3
.LBB158_217:
	s_wait_alu 0xfffe
	s_or_b32 exec_lo, exec_lo, s1
	s_delay_alu instid0(VALU_DEP_1) | instskip(SKIP_1) | instid1(VALU_DEP_2)
	v_max_num_f32_e32 v2, v9, v9
	v_cmp_u_f32_e32 vcc_lo, v9, v9
	v_min_num_f32_e32 v3, v2, v10
	v_max_num_f32_e32 v2, v2, v10
	s_wait_alu 0xfffd
	s_delay_alu instid0(VALU_DEP_2) | instskip(NEXT) | instid1(VALU_DEP_2)
	v_dual_mov_b32 v10, v9 :: v_dual_cndmask_b32 v3, v3, v9
	v_cndmask_b32_e32 v2, v2, v9, vcc_lo
	s_delay_alu instid0(VALU_DEP_2) | instskip(NEXT) | instid1(VALU_DEP_2)
	v_cndmask_b32_e64 v3, v3, v12, s5
	v_cndmask_b32_e64 v2, v2, v12, s5
	s_delay_alu instid0(VALU_DEP_2) | instskip(NEXT) | instid1(VALU_DEP_2)
	v_cmp_class_f32_e64 s1, v3, 0x1f8
	v_cmp_neq_f32_e32 vcc_lo, v3, v2
	s_or_b32 s2, vcc_lo, s1
	s_wait_alu 0xfffe
	s_and_saveexec_b32 s1, s2
	s_cbranch_execz .LBB158_219
; %bb.218:
	v_sub_f32_e32 v3, v3, v2
	s_mov_b32 s2, 0x3e9b6dac
	s_delay_alu instid0(VALU_DEP_1) | instskip(SKIP_1) | instid1(VALU_DEP_2)
	v_mul_f32_e32 v4, 0x3fb8aa3b, v3
	v_cmp_ngt_f32_e32 vcc_lo, 0xc2ce8ed0, v3
	v_fma_f32 v6, 0x3fb8aa3b, v3, -v4
	v_rndne_f32_e32 v10, v4
	s_delay_alu instid0(VALU_DEP_2) | instskip(NEXT) | instid1(VALU_DEP_2)
	v_fmamk_f32 v6, v3, 0x32a5705f, v6
	v_sub_f32_e32 v4, v4, v10
	s_delay_alu instid0(VALU_DEP_1) | instskip(SKIP_1) | instid1(VALU_DEP_2)
	v_add_f32_e32 v4, v4, v6
	v_cvt_i32_f32_e32 v6, v10
	v_exp_f32_e32 v4, v4
	s_delay_alu instid0(TRANS32_DEP_1) | instskip(SKIP_1) | instid1(VALU_DEP_1)
	v_ldexp_f32 v4, v4, v6
	s_wait_alu 0xfffd
	v_cndmask_b32_e32 v4, 0, v4, vcc_lo
	v_cmp_nlt_f32_e32 vcc_lo, 0x42b17218, v3
	s_wait_alu 0xfffd
	s_delay_alu instid0(VALU_DEP_2) | instskip(NEXT) | instid1(VALU_DEP_1)
	v_cndmask_b32_e32 v6, 0x7f800000, v4, vcc_lo
	v_add_f32_e32 v10, 1.0, v6
	s_delay_alu instid0(VALU_DEP_1) | instskip(NEXT) | instid1(VALU_DEP_1)
	v_cvt_f64_f32_e32 v[3:4], v10
	v_frexp_exp_i32_f64_e32 v3, v[3:4]
	v_frexp_mant_f32_e32 v4, v10
	s_delay_alu instid0(VALU_DEP_1) | instskip(SKIP_1) | instid1(VALU_DEP_1)
	v_cmp_gt_f32_e32 vcc_lo, 0x3f2aaaab, v4
	v_add_f32_e32 v4, -1.0, v10
	v_sub_f32_e32 v12, v4, v10
	v_sub_f32_e32 v4, v6, v4
	s_delay_alu instid0(VALU_DEP_2) | instskip(NEXT) | instid1(VALU_DEP_1)
	v_add_f32_e32 v12, 1.0, v12
	v_add_f32_e32 v4, v4, v12
	s_wait_alu 0xfffd
	v_subrev_co_ci_u32_e64 v3, null, 0, v3, vcc_lo
	s_delay_alu instid0(VALU_DEP_1) | instskip(SKIP_1) | instid1(VALU_DEP_2)
	v_sub_nc_u32_e32 v11, 0, v3
	v_cvt_f32_i32_e32 v3, v3
	v_ldexp_f32 v10, v10, v11
	v_ldexp_f32 v4, v4, v11
	s_delay_alu instid0(VALU_DEP_2) | instskip(NEXT) | instid1(VALU_DEP_1)
	v_add_f32_e32 v13, 1.0, v10
	v_dual_add_f32 v11, -1.0, v10 :: v_dual_add_f32 v12, -1.0, v13
	s_delay_alu instid0(VALU_DEP_1) | instskip(NEXT) | instid1(VALU_DEP_2)
	v_add_f32_e32 v14, 1.0, v11
	v_sub_f32_e32 v12, v10, v12
	s_delay_alu instid0(VALU_DEP_2) | instskip(NEXT) | instid1(VALU_DEP_2)
	v_sub_f32_e32 v10, v10, v14
	v_add_f32_e32 v12, v4, v12
	s_delay_alu instid0(VALU_DEP_1) | instskip(NEXT) | instid1(VALU_DEP_3)
	v_add_f32_e32 v14, v13, v12
	v_add_f32_e32 v4, v4, v10
	s_delay_alu instid0(VALU_DEP_2) | instskip(NEXT) | instid1(VALU_DEP_1)
	v_rcp_f32_e32 v10, v14
	v_add_f32_e32 v17, v11, v4
	v_sub_f32_e32 v13, v13, v14
	v_cmp_neq_f32_e32 vcc_lo, 0x7f800000, v6
	s_delay_alu instid0(VALU_DEP_3) | instskip(NEXT) | instid1(VALU_DEP_3)
	v_sub_f32_e32 v11, v11, v17
	v_add_f32_e32 v12, v12, v13
	s_delay_alu instid0(TRANS32_DEP_1) | instskip(SKIP_1) | instid1(VALU_DEP_1)
	v_mul_f32_e32 v18, v17, v10
	s_wait_dscnt 0x0
	v_dual_add_f32 v4, v4, v11 :: v_dual_mul_f32 v19, v14, v18
	s_delay_alu instid0(VALU_DEP_1) | instskip(NEXT) | instid1(VALU_DEP_1)
	v_fma_f32 v13, v18, v14, -v19
	v_fmac_f32_e32 v13, v18, v12
	s_delay_alu instid0(VALU_DEP_1) | instskip(NEXT) | instid1(VALU_DEP_1)
	v_add_f32_e32 v20, v19, v13
	v_sub_f32_e32 v21, v17, v20
	v_sub_f32_e32 v11, v20, v19
	s_delay_alu instid0(VALU_DEP_2) | instskip(NEXT) | instid1(VALU_DEP_2)
	v_sub_f32_e32 v17, v17, v21
	v_sub_f32_e32 v11, v11, v13
	s_delay_alu instid0(VALU_DEP_2) | instskip(NEXT) | instid1(VALU_DEP_1)
	v_sub_f32_e32 v17, v17, v20
	v_add_f32_e32 v4, v4, v17
	s_delay_alu instid0(VALU_DEP_1) | instskip(NEXT) | instid1(VALU_DEP_1)
	v_add_f32_e32 v4, v11, v4
	v_add_f32_e32 v11, v21, v4
	s_delay_alu instid0(VALU_DEP_1) | instskip(NEXT) | instid1(VALU_DEP_1)
	v_mul_f32_e32 v13, v10, v11
	v_dual_sub_f32 v20, v21, v11 :: v_dual_mul_f32 v17, v14, v13
	s_delay_alu instid0(VALU_DEP_1) | instskip(NEXT) | instid1(VALU_DEP_2)
	v_add_f32_e32 v4, v4, v20
	v_fma_f32 v14, v13, v14, -v17
	s_delay_alu instid0(VALU_DEP_1) | instskip(NEXT) | instid1(VALU_DEP_1)
	v_fmac_f32_e32 v14, v13, v12
	v_add_f32_e32 v12, v17, v14
	s_delay_alu instid0(VALU_DEP_1) | instskip(SKIP_1) | instid1(VALU_DEP_2)
	v_sub_f32_e32 v19, v11, v12
	v_sub_f32_e32 v17, v12, v17
	v_sub_f32_e32 v11, v11, v19
	s_delay_alu instid0(VALU_DEP_1) | instskip(NEXT) | instid1(VALU_DEP_1)
	v_dual_sub_f32 v11, v11, v12 :: v_dual_sub_f32 v12, v17, v14
	v_dual_add_f32 v4, v4, v11 :: v_dual_add_f32 v11, v18, v13
	s_delay_alu instid0(VALU_DEP_1) | instskip(NEXT) | instid1(VALU_DEP_2)
	v_add_f32_e32 v4, v12, v4
	v_sub_f32_e32 v12, v11, v18
	s_delay_alu instid0(VALU_DEP_2) | instskip(NEXT) | instid1(VALU_DEP_2)
	v_add_f32_e32 v4, v19, v4
	v_sub_f32_e32 v12, v13, v12
	s_delay_alu instid0(VALU_DEP_2) | instskip(NEXT) | instid1(VALU_DEP_1)
	v_mul_f32_e32 v4, v10, v4
	v_add_f32_e32 v4, v12, v4
	s_delay_alu instid0(VALU_DEP_1) | instskip(NEXT) | instid1(VALU_DEP_1)
	v_add_f32_e32 v10, v11, v4
	v_mul_f32_e32 v12, v10, v10
	s_wait_alu 0xfffe
	s_delay_alu instid0(VALU_DEP_1) | instskip(SKIP_1) | instid1(VALU_DEP_2)
	v_fmaak_f32 v13, s2, v12, 0x3ecc95a3
	v_mul_f32_e32 v14, v10, v12
	v_fmaak_f32 v12, v12, v13, 0x3f2aaada
	v_ldexp_f32 v13, v10, 1
	v_sub_f32_e32 v10, v10, v11
	s_delay_alu instid0(VALU_DEP_3) | instskip(SKIP_1) | instid1(VALU_DEP_2)
	v_mul_f32_e32 v12, v14, v12
	v_mul_f32_e32 v14, 0x3f317218, v3
	v_dual_sub_f32 v4, v4, v10 :: v_dual_add_f32 v11, v13, v12
	s_delay_alu instid0(VALU_DEP_1) | instskip(NEXT) | instid1(VALU_DEP_2)
	v_ldexp_f32 v4, v4, 1
	v_sub_f32_e32 v10, v11, v13
	s_delay_alu instid0(VALU_DEP_4) | instskip(NEXT) | instid1(VALU_DEP_1)
	v_fma_f32 v13, 0x3f317218, v3, -v14
	v_dual_sub_f32 v10, v12, v10 :: v_dual_fmamk_f32 v3, v3, 0xb102e308, v13
	s_delay_alu instid0(VALU_DEP_1) | instskip(NEXT) | instid1(VALU_DEP_2)
	v_add_f32_e32 v4, v4, v10
	v_add_f32_e32 v10, v14, v3
	s_delay_alu instid0(VALU_DEP_2) | instskip(NEXT) | instid1(VALU_DEP_2)
	v_add_f32_e32 v12, v11, v4
	v_sub_f32_e32 v14, v10, v14
	s_delay_alu instid0(VALU_DEP_2) | instskip(SKIP_1) | instid1(VALU_DEP_3)
	v_add_f32_e32 v13, v10, v12
	v_sub_f32_e32 v11, v12, v11
	v_sub_f32_e32 v3, v3, v14
	s_delay_alu instid0(VALU_DEP_2) | instskip(NEXT) | instid1(VALU_DEP_1)
	v_dual_sub_f32 v17, v13, v10 :: v_dual_sub_f32 v4, v4, v11
	v_sub_f32_e32 v18, v13, v17
	s_delay_alu instid0(VALU_DEP_2) | instskip(NEXT) | instid1(VALU_DEP_2)
	v_dual_sub_f32 v11, v12, v17 :: v_dual_add_f32 v12, v3, v4
	v_sub_f32_e32 v10, v10, v18
	s_delay_alu instid0(VALU_DEP_1) | instskip(NEXT) | instid1(VALU_DEP_1)
	v_dual_add_f32 v10, v11, v10 :: v_dual_sub_f32 v11, v12, v3
	v_add_f32_e32 v10, v12, v10
	s_delay_alu instid0(VALU_DEP_2) | instskip(SKIP_1) | instid1(VALU_DEP_2)
	v_sub_f32_e32 v12, v12, v11
	v_sub_f32_e32 v4, v4, v11
	v_dual_add_f32 v14, v13, v10 :: v_dual_sub_f32 v3, v3, v12
	s_delay_alu instid0(VALU_DEP_1) | instskip(NEXT) | instid1(VALU_DEP_2)
	v_sub_f32_e32 v11, v14, v13
	v_add_f32_e32 v3, v4, v3
	s_delay_alu instid0(VALU_DEP_2) | instskip(NEXT) | instid1(VALU_DEP_1)
	v_sub_f32_e32 v4, v10, v11
	v_add_f32_e32 v3, v3, v4
	s_delay_alu instid0(VALU_DEP_1) | instskip(SKIP_1) | instid1(VALU_DEP_1)
	v_add_f32_e32 v3, v14, v3
	s_wait_alu 0xfffd
	v_cndmask_b32_e32 v3, 0x7f800000, v3, vcc_lo
	v_cmp_gt_f32_e64 vcc_lo, 0x33800000, |v6|
	s_wait_alu 0xfffd
	s_delay_alu instid0(VALU_DEP_2) | instskip(NEXT) | instid1(VALU_DEP_1)
	v_cndmask_b32_e32 v3, v3, v6, vcc_lo
	v_add_f32_e32 v10, v2, v3
.LBB158_219:
	s_wait_alu 0xfffe
	s_or_b32 exec_lo, exec_lo, s1
	v_mov_b32_e32 v6, v1
	s_mov_b32 s1, exec_lo
	v_cmpx_eq_u32_e32 0xff, v0
	s_cbranch_execz .LBB158_221
; %bb.220:
	v_dual_mov_b32 v3, 0 :: v_dual_mov_b32 v2, 2
	v_mov_b32_e32 v1, v10
	global_store_b64 v3, v[1:2], s[28:29] offset:256 scope:SCOPE_DEV
.LBB158_221:
	s_wait_alu 0xfffe
	s_or_b32 exec_lo, exec_lo, s1
.LBB158_222:
	s_add_nc_u64 s[2:3], s[24:25], s[22:23]
	s_and_b32 vcc_lo, exec_lo, s0
	s_wait_alu 0xfffe
	s_add_nc_u64 s[2:3], s[2:3], s[30:31]
	s_mov_b32 s0, -1
	s_wait_storecnt 0x0
	s_wait_loadcnt_dscnt 0x0
	s_barrier_signal -1
	s_barrier_wait -1
	global_inv scope:SCOPE_SE
	s_cbranch_vccz .LBB158_224
; %bb.223:
	ds_store_2addr_b64 v16, v[5:6], v[7:8] offset1:1
	ds_store_b64 v16, v[9:10] offset:16
	s_wait_loadcnt_dscnt 0x0
	s_barrier_signal -1
	s_barrier_wait -1
	global_inv scope:SCOPE_SE
	ds_load_2addr_stride64_b32 v[1:2], v15 offset1:4
	ds_load_2addr_stride64_b32 v[3:4], v15 offset0:8 offset1:12
	ds_load_2addr_stride64_b32 v[11:12], v15 offset0:16 offset1:20
	s_mov_b32 s0, 0
	s_wait_dscnt 0x2
	s_clause 0x1
	global_store_b32 v15, v1, s[2:3]
	global_store_b32 v15, v2, s[2:3] offset:1024
	s_wait_dscnt 0x1
	s_clause 0x1
	global_store_b32 v15, v3, s[2:3] offset:2048
	global_store_b32 v15, v4, s[2:3] offset:3072
	s_wait_dscnt 0x0
	s_clause 0x1
	global_store_b32 v15, v11, s[2:3] offset:4096
	global_store_b32 v15, v12, s[2:3] offset:5120
.LBB158_224:
	s_wait_alu 0xfffe
	s_and_not1_b32 vcc_lo, exec_lo, s0
	s_wait_alu 0xfffe
	s_cbranch_vccnz .LBB158_257
; %bb.225:
	ds_store_2addr_b64 v16, v[5:6], v[7:8] offset1:1
	ds_store_b64 v16, v[9:10] offset:16
	s_wait_storecnt 0x0
	s_wait_loadcnt_dscnt 0x0
	s_barrier_signal -1
	s_barrier_wait -1
	global_inv scope:SCOPE_SE
	ds_load_2addr_stride64_b32 v[2:3], v15 offset1:4
	ds_load_2addr_stride64_b32 v[4:5], v15 offset0:8 offset1:12
	ds_load_2addr_stride64_b32 v[6:7], v15 offset0:16 offset1:20
	v_add_co_u32 v8, s0, s2, v15
	v_mov_b32_e32 v1, 0
	s_wait_alu 0xf1ff
	v_add_co_ci_u32_e64 v9, null, s3, 0, s0
	s_mov_b32 s0, exec_lo
	v_cmpx_gt_u32_e64 s20, v0
	s_cbranch_execz .LBB158_227
; %bb.226:
	s_wait_dscnt 0x2
	global_store_b32 v[8:9], v2, off
.LBB158_227:
	s_wait_alu 0xfffe
	s_or_b32 exec_lo, exec_lo, s0
	v_or_b32_e32 v10, 0x100, v0
	s_mov_b32 s0, exec_lo
	s_delay_alu instid0(VALU_DEP_1)
	v_cmpx_gt_u32_e64 s20, v10
	s_cbranch_execz .LBB158_229
; %bb.228:
	s_wait_dscnt 0x2
	global_store_b32 v[8:9], v3, off offset:1024
.LBB158_229:
	s_wait_alu 0xfffe
	s_or_b32 exec_lo, exec_lo, s0
	v_or_b32_e32 v10, 0x200, v0
	s_mov_b32 s0, exec_lo
	s_delay_alu instid0(VALU_DEP_1)
	v_cmpx_gt_u32_e64 s20, v10
	s_cbranch_execz .LBB158_231
; %bb.230:
	s_wait_dscnt 0x1
	global_store_b32 v[8:9], v4, off offset:2048
.LBB158_231:
	;; [unrolled: 11-line block ×5, first 2 shown]
	s_wait_alu 0xfffe
	s_or_b32 exec_lo, exec_lo, s0
	v_cmp_lt_u64_e64 s0, s[18:19], 2
	s_and_b32 vcc_lo, exec_lo, s0
	s_wait_alu 0xfffe
	s_cbranch_vccnz .LBB158_257
; %bb.238:
	s_add_nc_u64 s[0:1], s[20:21], -1
	s_mov_b32 s3, 0
	s_mov_b64 s[4:5], 0xaaaaaaab
	s_wait_alu 0xfffe
	s_mov_b32 s6, s0
	s_mov_b32 s7, s3
	;; [unrolled: 1-line block ×3, first 2 shown]
	s_wait_alu 0xfffe
	s_mul_u64 s[8:9], s[6:7], s[4:5]
	s_mul_u64 s[4:5], s[2:3], s[4:5]
	s_wait_alu 0xfffe
	s_mov_b32 s8, s9
	s_mov_b32 s9, s3
	s_mov_b64 s[10:11], 0xaaaaaaaa
	s_wait_alu 0xfffe
	s_add_nc_u64 s[4:5], s[4:5], s[8:9]
	s_mul_u64 s[6:7], s[6:7], s[10:11]
	s_wait_alu 0xfffe
	s_mov_b32 s8, s5
	s_mov_b32 s5, s3
	s_wait_alu 0xfffe
	s_add_nc_u64 s[4:5], s[6:7], s[4:5]
	s_mul_u64 s[6:7], s[2:3], s[10:11]
	s_wait_alu 0xfffe
	s_mov_b32 s4, s5
	s_mov_b32 s5, s3
	s_wait_alu 0xfffe
	s_add_nc_u64 s[2:3], s[8:9], s[4:5]
	s_wait_alu 0xfffe
	s_add_nc_u64 s[2:3], s[6:7], s[2:3]
	s_wait_alu 0xfffe
	s_lshr_b64 s[2:3], s[2:3], 2
	s_wait_alu 0xfffe
	v_cmp_eq_u64_e32 vcc_lo, s[2:3], v[0:1]
	s_and_saveexec_b32 s2, vcc_lo
	s_cbranch_execz .LBB158_257
; %bb.239:
	v_mul_u32_u24_e32 v1, 6, v0
	v_mul_hi_u32_u24_e32 v8, 6, v0
	s_delay_alu instid0(VALU_DEP_2) | instskip(SKIP_1) | instid1(VALU_DEP_2)
	v_sub_co_u32 v0, vcc_lo, s0, v1
	s_wait_alu 0xfffd
	v_sub_co_ci_u32_e64 v1, null, s1, v8, vcc_lo
	s_mov_b32 s0, exec_lo
	v_cmpx_lt_i64_e32 2, v[0:1]
	s_wait_alu 0xfffe
	s_xor_b32 s0, exec_lo, s0
	s_cbranch_execz .LBB158_249
; %bb.240:
	s_mov_b32 s1, exec_lo
	v_cmpx_lt_i64_e32 3, v[0:1]
	s_wait_alu 0xfffe
	s_xor_b32 s1, exec_lo, s1
	s_cbranch_execz .LBB158_246
; %bb.241:
	;; [unrolled: 6-line block ×3, first 2 shown]
	v_mov_b32_e32 v0, 0
	s_wait_dscnt 0x0
	global_store_b32 v0, v7, s[14:15]
                                        ; implicit-def: $vgpr6_vgpr7
.LBB158_243:
	s_wait_alu 0xfffe
	s_and_not1_saveexec_b32 s2, s2
	s_cbranch_execz .LBB158_245
; %bb.244:
	v_mov_b32_e32 v0, 0
	s_wait_dscnt 0x0
	global_store_b32 v0, v6, s[14:15]
.LBB158_245:
	s_wait_alu 0xfffe
	s_or_b32 exec_lo, exec_lo, s2
                                        ; implicit-def: $vgpr4_vgpr5
.LBB158_246:
	s_wait_alu 0xfffe
	s_and_not1_saveexec_b32 s1, s1
	s_cbranch_execz .LBB158_248
; %bb.247:
	v_mov_b32_e32 v0, 0
	s_wait_dscnt 0x1
	global_store_b32 v0, v5, s[14:15]
.LBB158_248:
	s_wait_alu 0xfffe
	s_or_b32 exec_lo, exec_lo, s1
                                        ; implicit-def: $vgpr0_vgpr1
                                        ; implicit-def: $vgpr4_vgpr5
                                        ; implicit-def: $vgpr2_vgpr3
.LBB158_249:
	s_wait_alu 0xfffe
	s_and_not1_saveexec_b32 s0, s0
	s_cbranch_execz .LBB158_257
; %bb.250:
	s_mov_b32 s0, exec_lo
	v_cmpx_lt_i64_e32 1, v[0:1]
	s_wait_alu 0xfffe
	s_xor_b32 s0, exec_lo, s0
	s_cbranch_execz .LBB158_252
; %bb.251:
	v_mov_b32_e32 v0, 0
                                        ; implicit-def: $vgpr2_vgpr3
	s_wait_dscnt 0x1
	global_store_b32 v0, v4, s[14:15]
                                        ; implicit-def: $vgpr0_vgpr1
.LBB158_252:
	s_wait_alu 0xfffe
	s_and_not1_saveexec_b32 s0, s0
	s_cbranch_execz .LBB158_257
; %bb.253:
	s_mov_b32 s0, exec_lo
	v_cmpx_ne_u64_e32 1, v[0:1]
	s_wait_alu 0xfffe
	s_xor_b32 s0, exec_lo, s0
	s_cbranch_execz .LBB158_255
; %bb.254:
	v_mov_b32_e32 v0, 0
	s_wait_dscnt 0x2
	global_store_b32 v0, v2, s[14:15]
                                        ; implicit-def: $vgpr2_vgpr3
.LBB158_255:
	s_wait_alu 0xfffe
	s_and_not1_saveexec_b32 s0, s0
	s_cbranch_execz .LBB158_257
; %bb.256:
	v_mov_b32_e32 v0, 0
	s_wait_dscnt 0x2
	global_store_b32 v0, v3, s[14:15]
.LBB158_257:
	s_endpgm
	.section	.rodata,"a",@progbits
	.p2align	6, 0x0
	.amdhsa_kernel _ZN7rocprim17ROCPRIM_400000_NS6detail17trampoline_kernelINS0_14default_configENS1_20scan_config_selectorIfEEZZNS1_9scan_implILNS1_25lookback_scan_determinismE0ELb0ELb0ES3_PKfPffZZZN2at6native31launch_logcumsumexp_cuda_kernelERKNSB_10TensorBaseESF_lENKUlvE_clEvENKUlvE0_clEvEUlffE_fEEDaPvRmT3_T4_T5_mT6_P12ihipStream_tbENKUlT_T0_E_clISt17integral_constantIbLb0EESV_IbLb1EEEEDaSR_SS_EUlSR_E_NS1_11comp_targetILNS1_3genE10ELNS1_11target_archE1201ELNS1_3gpuE5ELNS1_3repE0EEENS1_30default_config_static_selectorELNS0_4arch9wavefront6targetE0EEEvT1_
		.amdhsa_group_segment_fixed_size 6144
		.amdhsa_private_segment_fixed_size 0
		.amdhsa_kernarg_size 96
		.amdhsa_user_sgpr_count 2
		.amdhsa_user_sgpr_dispatch_ptr 0
		.amdhsa_user_sgpr_queue_ptr 0
		.amdhsa_user_sgpr_kernarg_segment_ptr 1
		.amdhsa_user_sgpr_dispatch_id 0
		.amdhsa_user_sgpr_private_segment_size 0
		.amdhsa_wavefront_size32 1
		.amdhsa_uses_dynamic_stack 0
		.amdhsa_enable_private_segment 0
		.amdhsa_system_sgpr_workgroup_id_x 1
		.amdhsa_system_sgpr_workgroup_id_y 0
		.amdhsa_system_sgpr_workgroup_id_z 0
		.amdhsa_system_sgpr_workgroup_info 0
		.amdhsa_system_vgpr_workitem_id 0
		.amdhsa_next_free_vgpr 48
		.amdhsa_next_free_sgpr 36
		.amdhsa_reserve_vcc 1
		.amdhsa_float_round_mode_32 0
		.amdhsa_float_round_mode_16_64 0
		.amdhsa_float_denorm_mode_32 3
		.amdhsa_float_denorm_mode_16_64 3
		.amdhsa_fp16_overflow 0
		.amdhsa_workgroup_processor_mode 1
		.amdhsa_memory_ordered 1
		.amdhsa_forward_progress 1
		.amdhsa_inst_pref_size 255
		.amdhsa_round_robin_scheduling 0
		.amdhsa_exception_fp_ieee_invalid_op 0
		.amdhsa_exception_fp_denorm_src 0
		.amdhsa_exception_fp_ieee_div_zero 0
		.amdhsa_exception_fp_ieee_overflow 0
		.amdhsa_exception_fp_ieee_underflow 0
		.amdhsa_exception_fp_ieee_inexact 0
		.amdhsa_exception_int_div_zero 0
	.end_amdhsa_kernel
	.section	.text._ZN7rocprim17ROCPRIM_400000_NS6detail17trampoline_kernelINS0_14default_configENS1_20scan_config_selectorIfEEZZNS1_9scan_implILNS1_25lookback_scan_determinismE0ELb0ELb0ES3_PKfPffZZZN2at6native31launch_logcumsumexp_cuda_kernelERKNSB_10TensorBaseESF_lENKUlvE_clEvENKUlvE0_clEvEUlffE_fEEDaPvRmT3_T4_T5_mT6_P12ihipStream_tbENKUlT_T0_E_clISt17integral_constantIbLb0EESV_IbLb1EEEEDaSR_SS_EUlSR_E_NS1_11comp_targetILNS1_3genE10ELNS1_11target_archE1201ELNS1_3gpuE5ELNS1_3repE0EEENS1_30default_config_static_selectorELNS0_4arch9wavefront6targetE0EEEvT1_,"axG",@progbits,_ZN7rocprim17ROCPRIM_400000_NS6detail17trampoline_kernelINS0_14default_configENS1_20scan_config_selectorIfEEZZNS1_9scan_implILNS1_25lookback_scan_determinismE0ELb0ELb0ES3_PKfPffZZZN2at6native31launch_logcumsumexp_cuda_kernelERKNSB_10TensorBaseESF_lENKUlvE_clEvENKUlvE0_clEvEUlffE_fEEDaPvRmT3_T4_T5_mT6_P12ihipStream_tbENKUlT_T0_E_clISt17integral_constantIbLb0EESV_IbLb1EEEEDaSR_SS_EUlSR_E_NS1_11comp_targetILNS1_3genE10ELNS1_11target_archE1201ELNS1_3gpuE5ELNS1_3repE0EEENS1_30default_config_static_selectorELNS0_4arch9wavefront6targetE0EEEvT1_,comdat
.Lfunc_end158:
	.size	_ZN7rocprim17ROCPRIM_400000_NS6detail17trampoline_kernelINS0_14default_configENS1_20scan_config_selectorIfEEZZNS1_9scan_implILNS1_25lookback_scan_determinismE0ELb0ELb0ES3_PKfPffZZZN2at6native31launch_logcumsumexp_cuda_kernelERKNSB_10TensorBaseESF_lENKUlvE_clEvENKUlvE0_clEvEUlffE_fEEDaPvRmT3_T4_T5_mT6_P12ihipStream_tbENKUlT_T0_E_clISt17integral_constantIbLb0EESV_IbLb1EEEEDaSR_SS_EUlSR_E_NS1_11comp_targetILNS1_3genE10ELNS1_11target_archE1201ELNS1_3gpuE5ELNS1_3repE0EEENS1_30default_config_static_selectorELNS0_4arch9wavefront6targetE0EEEvT1_, .Lfunc_end158-_ZN7rocprim17ROCPRIM_400000_NS6detail17trampoline_kernelINS0_14default_configENS1_20scan_config_selectorIfEEZZNS1_9scan_implILNS1_25lookback_scan_determinismE0ELb0ELb0ES3_PKfPffZZZN2at6native31launch_logcumsumexp_cuda_kernelERKNSB_10TensorBaseESF_lENKUlvE_clEvENKUlvE0_clEvEUlffE_fEEDaPvRmT3_T4_T5_mT6_P12ihipStream_tbENKUlT_T0_E_clISt17integral_constantIbLb0EESV_IbLb1EEEEDaSR_SS_EUlSR_E_NS1_11comp_targetILNS1_3genE10ELNS1_11target_archE1201ELNS1_3gpuE5ELNS1_3repE0EEENS1_30default_config_static_selectorELNS0_4arch9wavefront6targetE0EEEvT1_
                                        ; -- End function
	.set _ZN7rocprim17ROCPRIM_400000_NS6detail17trampoline_kernelINS0_14default_configENS1_20scan_config_selectorIfEEZZNS1_9scan_implILNS1_25lookback_scan_determinismE0ELb0ELb0ES3_PKfPffZZZN2at6native31launch_logcumsumexp_cuda_kernelERKNSB_10TensorBaseESF_lENKUlvE_clEvENKUlvE0_clEvEUlffE_fEEDaPvRmT3_T4_T5_mT6_P12ihipStream_tbENKUlT_T0_E_clISt17integral_constantIbLb0EESV_IbLb1EEEEDaSR_SS_EUlSR_E_NS1_11comp_targetILNS1_3genE10ELNS1_11target_archE1201ELNS1_3gpuE5ELNS1_3repE0EEENS1_30default_config_static_selectorELNS0_4arch9wavefront6targetE0EEEvT1_.num_vgpr, 48
	.set _ZN7rocprim17ROCPRIM_400000_NS6detail17trampoline_kernelINS0_14default_configENS1_20scan_config_selectorIfEEZZNS1_9scan_implILNS1_25lookback_scan_determinismE0ELb0ELb0ES3_PKfPffZZZN2at6native31launch_logcumsumexp_cuda_kernelERKNSB_10TensorBaseESF_lENKUlvE_clEvENKUlvE0_clEvEUlffE_fEEDaPvRmT3_T4_T5_mT6_P12ihipStream_tbENKUlT_T0_E_clISt17integral_constantIbLb0EESV_IbLb1EEEEDaSR_SS_EUlSR_E_NS1_11comp_targetILNS1_3genE10ELNS1_11target_archE1201ELNS1_3gpuE5ELNS1_3repE0EEENS1_30default_config_static_selectorELNS0_4arch9wavefront6targetE0EEEvT1_.num_agpr, 0
	.set _ZN7rocprim17ROCPRIM_400000_NS6detail17trampoline_kernelINS0_14default_configENS1_20scan_config_selectorIfEEZZNS1_9scan_implILNS1_25lookback_scan_determinismE0ELb0ELb0ES3_PKfPffZZZN2at6native31launch_logcumsumexp_cuda_kernelERKNSB_10TensorBaseESF_lENKUlvE_clEvENKUlvE0_clEvEUlffE_fEEDaPvRmT3_T4_T5_mT6_P12ihipStream_tbENKUlT_T0_E_clISt17integral_constantIbLb0EESV_IbLb1EEEEDaSR_SS_EUlSR_E_NS1_11comp_targetILNS1_3genE10ELNS1_11target_archE1201ELNS1_3gpuE5ELNS1_3repE0EEENS1_30default_config_static_selectorELNS0_4arch9wavefront6targetE0EEEvT1_.numbered_sgpr, 36
	.set _ZN7rocprim17ROCPRIM_400000_NS6detail17trampoline_kernelINS0_14default_configENS1_20scan_config_selectorIfEEZZNS1_9scan_implILNS1_25lookback_scan_determinismE0ELb0ELb0ES3_PKfPffZZZN2at6native31launch_logcumsumexp_cuda_kernelERKNSB_10TensorBaseESF_lENKUlvE_clEvENKUlvE0_clEvEUlffE_fEEDaPvRmT3_T4_T5_mT6_P12ihipStream_tbENKUlT_T0_E_clISt17integral_constantIbLb0EESV_IbLb1EEEEDaSR_SS_EUlSR_E_NS1_11comp_targetILNS1_3genE10ELNS1_11target_archE1201ELNS1_3gpuE5ELNS1_3repE0EEENS1_30default_config_static_selectorELNS0_4arch9wavefront6targetE0EEEvT1_.num_named_barrier, 0
	.set _ZN7rocprim17ROCPRIM_400000_NS6detail17trampoline_kernelINS0_14default_configENS1_20scan_config_selectorIfEEZZNS1_9scan_implILNS1_25lookback_scan_determinismE0ELb0ELb0ES3_PKfPffZZZN2at6native31launch_logcumsumexp_cuda_kernelERKNSB_10TensorBaseESF_lENKUlvE_clEvENKUlvE0_clEvEUlffE_fEEDaPvRmT3_T4_T5_mT6_P12ihipStream_tbENKUlT_T0_E_clISt17integral_constantIbLb0EESV_IbLb1EEEEDaSR_SS_EUlSR_E_NS1_11comp_targetILNS1_3genE10ELNS1_11target_archE1201ELNS1_3gpuE5ELNS1_3repE0EEENS1_30default_config_static_selectorELNS0_4arch9wavefront6targetE0EEEvT1_.private_seg_size, 0
	.set _ZN7rocprim17ROCPRIM_400000_NS6detail17trampoline_kernelINS0_14default_configENS1_20scan_config_selectorIfEEZZNS1_9scan_implILNS1_25lookback_scan_determinismE0ELb0ELb0ES3_PKfPffZZZN2at6native31launch_logcumsumexp_cuda_kernelERKNSB_10TensorBaseESF_lENKUlvE_clEvENKUlvE0_clEvEUlffE_fEEDaPvRmT3_T4_T5_mT6_P12ihipStream_tbENKUlT_T0_E_clISt17integral_constantIbLb0EESV_IbLb1EEEEDaSR_SS_EUlSR_E_NS1_11comp_targetILNS1_3genE10ELNS1_11target_archE1201ELNS1_3gpuE5ELNS1_3repE0EEENS1_30default_config_static_selectorELNS0_4arch9wavefront6targetE0EEEvT1_.uses_vcc, 1
	.set _ZN7rocprim17ROCPRIM_400000_NS6detail17trampoline_kernelINS0_14default_configENS1_20scan_config_selectorIfEEZZNS1_9scan_implILNS1_25lookback_scan_determinismE0ELb0ELb0ES3_PKfPffZZZN2at6native31launch_logcumsumexp_cuda_kernelERKNSB_10TensorBaseESF_lENKUlvE_clEvENKUlvE0_clEvEUlffE_fEEDaPvRmT3_T4_T5_mT6_P12ihipStream_tbENKUlT_T0_E_clISt17integral_constantIbLb0EESV_IbLb1EEEEDaSR_SS_EUlSR_E_NS1_11comp_targetILNS1_3genE10ELNS1_11target_archE1201ELNS1_3gpuE5ELNS1_3repE0EEENS1_30default_config_static_selectorELNS0_4arch9wavefront6targetE0EEEvT1_.uses_flat_scratch, 0
	.set _ZN7rocprim17ROCPRIM_400000_NS6detail17trampoline_kernelINS0_14default_configENS1_20scan_config_selectorIfEEZZNS1_9scan_implILNS1_25lookback_scan_determinismE0ELb0ELb0ES3_PKfPffZZZN2at6native31launch_logcumsumexp_cuda_kernelERKNSB_10TensorBaseESF_lENKUlvE_clEvENKUlvE0_clEvEUlffE_fEEDaPvRmT3_T4_T5_mT6_P12ihipStream_tbENKUlT_T0_E_clISt17integral_constantIbLb0EESV_IbLb1EEEEDaSR_SS_EUlSR_E_NS1_11comp_targetILNS1_3genE10ELNS1_11target_archE1201ELNS1_3gpuE5ELNS1_3repE0EEENS1_30default_config_static_selectorELNS0_4arch9wavefront6targetE0EEEvT1_.has_dyn_sized_stack, 0
	.set _ZN7rocprim17ROCPRIM_400000_NS6detail17trampoline_kernelINS0_14default_configENS1_20scan_config_selectorIfEEZZNS1_9scan_implILNS1_25lookback_scan_determinismE0ELb0ELb0ES3_PKfPffZZZN2at6native31launch_logcumsumexp_cuda_kernelERKNSB_10TensorBaseESF_lENKUlvE_clEvENKUlvE0_clEvEUlffE_fEEDaPvRmT3_T4_T5_mT6_P12ihipStream_tbENKUlT_T0_E_clISt17integral_constantIbLb0EESV_IbLb1EEEEDaSR_SS_EUlSR_E_NS1_11comp_targetILNS1_3genE10ELNS1_11target_archE1201ELNS1_3gpuE5ELNS1_3repE0EEENS1_30default_config_static_selectorELNS0_4arch9wavefront6targetE0EEEvT1_.has_recursion, 0
	.set _ZN7rocprim17ROCPRIM_400000_NS6detail17trampoline_kernelINS0_14default_configENS1_20scan_config_selectorIfEEZZNS1_9scan_implILNS1_25lookback_scan_determinismE0ELb0ELb0ES3_PKfPffZZZN2at6native31launch_logcumsumexp_cuda_kernelERKNSB_10TensorBaseESF_lENKUlvE_clEvENKUlvE0_clEvEUlffE_fEEDaPvRmT3_T4_T5_mT6_P12ihipStream_tbENKUlT_T0_E_clISt17integral_constantIbLb0EESV_IbLb1EEEEDaSR_SS_EUlSR_E_NS1_11comp_targetILNS1_3genE10ELNS1_11target_archE1201ELNS1_3gpuE5ELNS1_3repE0EEENS1_30default_config_static_selectorELNS0_4arch9wavefront6targetE0EEEvT1_.has_indirect_call, 0
	.section	.AMDGPU.csdata,"",@progbits
; Kernel info:
; codeLenInByte = 54680
; TotalNumSgprs: 38
; NumVgprs: 48
; ScratchSize: 0
; MemoryBound: 0
; FloatMode: 240
; IeeeMode: 1
; LDSByteSize: 6144 bytes/workgroup (compile time only)
; SGPRBlocks: 0
; VGPRBlocks: 5
; NumSGPRsForWavesPerEU: 38
; NumVGPRsForWavesPerEU: 48
; Occupancy: 16
; WaveLimiterHint : 1
; COMPUTE_PGM_RSRC2:SCRATCH_EN: 0
; COMPUTE_PGM_RSRC2:USER_SGPR: 2
; COMPUTE_PGM_RSRC2:TRAP_HANDLER: 0
; COMPUTE_PGM_RSRC2:TGID_X_EN: 1
; COMPUTE_PGM_RSRC2:TGID_Y_EN: 0
; COMPUTE_PGM_RSRC2:TGID_Z_EN: 0
; COMPUTE_PGM_RSRC2:TIDIG_COMP_CNT: 0
	.section	.text._ZN7rocprim17ROCPRIM_400000_NS6detail17trampoline_kernelINS0_14default_configENS1_20scan_config_selectorIfEEZZNS1_9scan_implILNS1_25lookback_scan_determinismE0ELb0ELb0ES3_PKfPffZZZN2at6native31launch_logcumsumexp_cuda_kernelERKNSB_10TensorBaseESF_lENKUlvE_clEvENKUlvE0_clEvEUlffE_fEEDaPvRmT3_T4_T5_mT6_P12ihipStream_tbENKUlT_T0_E_clISt17integral_constantIbLb0EESV_IbLb1EEEEDaSR_SS_EUlSR_E_NS1_11comp_targetILNS1_3genE10ELNS1_11target_archE1200ELNS1_3gpuE4ELNS1_3repE0EEENS1_30default_config_static_selectorELNS0_4arch9wavefront6targetE0EEEvT1_,"axG",@progbits,_ZN7rocprim17ROCPRIM_400000_NS6detail17trampoline_kernelINS0_14default_configENS1_20scan_config_selectorIfEEZZNS1_9scan_implILNS1_25lookback_scan_determinismE0ELb0ELb0ES3_PKfPffZZZN2at6native31launch_logcumsumexp_cuda_kernelERKNSB_10TensorBaseESF_lENKUlvE_clEvENKUlvE0_clEvEUlffE_fEEDaPvRmT3_T4_T5_mT6_P12ihipStream_tbENKUlT_T0_E_clISt17integral_constantIbLb0EESV_IbLb1EEEEDaSR_SS_EUlSR_E_NS1_11comp_targetILNS1_3genE10ELNS1_11target_archE1200ELNS1_3gpuE4ELNS1_3repE0EEENS1_30default_config_static_selectorELNS0_4arch9wavefront6targetE0EEEvT1_,comdat
	.globl	_ZN7rocprim17ROCPRIM_400000_NS6detail17trampoline_kernelINS0_14default_configENS1_20scan_config_selectorIfEEZZNS1_9scan_implILNS1_25lookback_scan_determinismE0ELb0ELb0ES3_PKfPffZZZN2at6native31launch_logcumsumexp_cuda_kernelERKNSB_10TensorBaseESF_lENKUlvE_clEvENKUlvE0_clEvEUlffE_fEEDaPvRmT3_T4_T5_mT6_P12ihipStream_tbENKUlT_T0_E_clISt17integral_constantIbLb0EESV_IbLb1EEEEDaSR_SS_EUlSR_E_NS1_11comp_targetILNS1_3genE10ELNS1_11target_archE1200ELNS1_3gpuE4ELNS1_3repE0EEENS1_30default_config_static_selectorELNS0_4arch9wavefront6targetE0EEEvT1_ ; -- Begin function _ZN7rocprim17ROCPRIM_400000_NS6detail17trampoline_kernelINS0_14default_configENS1_20scan_config_selectorIfEEZZNS1_9scan_implILNS1_25lookback_scan_determinismE0ELb0ELb0ES3_PKfPffZZZN2at6native31launch_logcumsumexp_cuda_kernelERKNSB_10TensorBaseESF_lENKUlvE_clEvENKUlvE0_clEvEUlffE_fEEDaPvRmT3_T4_T5_mT6_P12ihipStream_tbENKUlT_T0_E_clISt17integral_constantIbLb0EESV_IbLb1EEEEDaSR_SS_EUlSR_E_NS1_11comp_targetILNS1_3genE10ELNS1_11target_archE1200ELNS1_3gpuE4ELNS1_3repE0EEENS1_30default_config_static_selectorELNS0_4arch9wavefront6targetE0EEEvT1_
	.p2align	8
	.type	_ZN7rocprim17ROCPRIM_400000_NS6detail17trampoline_kernelINS0_14default_configENS1_20scan_config_selectorIfEEZZNS1_9scan_implILNS1_25lookback_scan_determinismE0ELb0ELb0ES3_PKfPffZZZN2at6native31launch_logcumsumexp_cuda_kernelERKNSB_10TensorBaseESF_lENKUlvE_clEvENKUlvE0_clEvEUlffE_fEEDaPvRmT3_T4_T5_mT6_P12ihipStream_tbENKUlT_T0_E_clISt17integral_constantIbLb0EESV_IbLb1EEEEDaSR_SS_EUlSR_E_NS1_11comp_targetILNS1_3genE10ELNS1_11target_archE1200ELNS1_3gpuE4ELNS1_3repE0EEENS1_30default_config_static_selectorELNS0_4arch9wavefront6targetE0EEEvT1_,@function
_ZN7rocprim17ROCPRIM_400000_NS6detail17trampoline_kernelINS0_14default_configENS1_20scan_config_selectorIfEEZZNS1_9scan_implILNS1_25lookback_scan_determinismE0ELb0ELb0ES3_PKfPffZZZN2at6native31launch_logcumsumexp_cuda_kernelERKNSB_10TensorBaseESF_lENKUlvE_clEvENKUlvE0_clEvEUlffE_fEEDaPvRmT3_T4_T5_mT6_P12ihipStream_tbENKUlT_T0_E_clISt17integral_constantIbLb0EESV_IbLb1EEEEDaSR_SS_EUlSR_E_NS1_11comp_targetILNS1_3genE10ELNS1_11target_archE1200ELNS1_3gpuE4ELNS1_3repE0EEENS1_30default_config_static_selectorELNS0_4arch9wavefront6targetE0EEEvT1_: ; @_ZN7rocprim17ROCPRIM_400000_NS6detail17trampoline_kernelINS0_14default_configENS1_20scan_config_selectorIfEEZZNS1_9scan_implILNS1_25lookback_scan_determinismE0ELb0ELb0ES3_PKfPffZZZN2at6native31launch_logcumsumexp_cuda_kernelERKNSB_10TensorBaseESF_lENKUlvE_clEvENKUlvE0_clEvEUlffE_fEEDaPvRmT3_T4_T5_mT6_P12ihipStream_tbENKUlT_T0_E_clISt17integral_constantIbLb0EESV_IbLb1EEEEDaSR_SS_EUlSR_E_NS1_11comp_targetILNS1_3genE10ELNS1_11target_archE1200ELNS1_3gpuE4ELNS1_3repE0EEENS1_30default_config_static_selectorELNS0_4arch9wavefront6targetE0EEEvT1_
; %bb.0:
	.section	.rodata,"a",@progbits
	.p2align	6, 0x0
	.amdhsa_kernel _ZN7rocprim17ROCPRIM_400000_NS6detail17trampoline_kernelINS0_14default_configENS1_20scan_config_selectorIfEEZZNS1_9scan_implILNS1_25lookback_scan_determinismE0ELb0ELb0ES3_PKfPffZZZN2at6native31launch_logcumsumexp_cuda_kernelERKNSB_10TensorBaseESF_lENKUlvE_clEvENKUlvE0_clEvEUlffE_fEEDaPvRmT3_T4_T5_mT6_P12ihipStream_tbENKUlT_T0_E_clISt17integral_constantIbLb0EESV_IbLb1EEEEDaSR_SS_EUlSR_E_NS1_11comp_targetILNS1_3genE10ELNS1_11target_archE1200ELNS1_3gpuE4ELNS1_3repE0EEENS1_30default_config_static_selectorELNS0_4arch9wavefront6targetE0EEEvT1_
		.amdhsa_group_segment_fixed_size 0
		.amdhsa_private_segment_fixed_size 0
		.amdhsa_kernarg_size 96
		.amdhsa_user_sgpr_count 2
		.amdhsa_user_sgpr_dispatch_ptr 0
		.amdhsa_user_sgpr_queue_ptr 0
		.amdhsa_user_sgpr_kernarg_segment_ptr 1
		.amdhsa_user_sgpr_dispatch_id 0
		.amdhsa_user_sgpr_private_segment_size 0
		.amdhsa_wavefront_size32 1
		.amdhsa_uses_dynamic_stack 0
		.amdhsa_enable_private_segment 0
		.amdhsa_system_sgpr_workgroup_id_x 1
		.amdhsa_system_sgpr_workgroup_id_y 0
		.amdhsa_system_sgpr_workgroup_id_z 0
		.amdhsa_system_sgpr_workgroup_info 0
		.amdhsa_system_vgpr_workitem_id 0
		.amdhsa_next_free_vgpr 1
		.amdhsa_next_free_sgpr 1
		.amdhsa_reserve_vcc 0
		.amdhsa_float_round_mode_32 0
		.amdhsa_float_round_mode_16_64 0
		.amdhsa_float_denorm_mode_32 3
		.amdhsa_float_denorm_mode_16_64 3
		.amdhsa_fp16_overflow 0
		.amdhsa_workgroup_processor_mode 1
		.amdhsa_memory_ordered 1
		.amdhsa_forward_progress 1
		.amdhsa_inst_pref_size 0
		.amdhsa_round_robin_scheduling 0
		.amdhsa_exception_fp_ieee_invalid_op 0
		.amdhsa_exception_fp_denorm_src 0
		.amdhsa_exception_fp_ieee_div_zero 0
		.amdhsa_exception_fp_ieee_overflow 0
		.amdhsa_exception_fp_ieee_underflow 0
		.amdhsa_exception_fp_ieee_inexact 0
		.amdhsa_exception_int_div_zero 0
	.end_amdhsa_kernel
	.section	.text._ZN7rocprim17ROCPRIM_400000_NS6detail17trampoline_kernelINS0_14default_configENS1_20scan_config_selectorIfEEZZNS1_9scan_implILNS1_25lookback_scan_determinismE0ELb0ELb0ES3_PKfPffZZZN2at6native31launch_logcumsumexp_cuda_kernelERKNSB_10TensorBaseESF_lENKUlvE_clEvENKUlvE0_clEvEUlffE_fEEDaPvRmT3_T4_T5_mT6_P12ihipStream_tbENKUlT_T0_E_clISt17integral_constantIbLb0EESV_IbLb1EEEEDaSR_SS_EUlSR_E_NS1_11comp_targetILNS1_3genE10ELNS1_11target_archE1200ELNS1_3gpuE4ELNS1_3repE0EEENS1_30default_config_static_selectorELNS0_4arch9wavefront6targetE0EEEvT1_,"axG",@progbits,_ZN7rocprim17ROCPRIM_400000_NS6detail17trampoline_kernelINS0_14default_configENS1_20scan_config_selectorIfEEZZNS1_9scan_implILNS1_25lookback_scan_determinismE0ELb0ELb0ES3_PKfPffZZZN2at6native31launch_logcumsumexp_cuda_kernelERKNSB_10TensorBaseESF_lENKUlvE_clEvENKUlvE0_clEvEUlffE_fEEDaPvRmT3_T4_T5_mT6_P12ihipStream_tbENKUlT_T0_E_clISt17integral_constantIbLb0EESV_IbLb1EEEEDaSR_SS_EUlSR_E_NS1_11comp_targetILNS1_3genE10ELNS1_11target_archE1200ELNS1_3gpuE4ELNS1_3repE0EEENS1_30default_config_static_selectorELNS0_4arch9wavefront6targetE0EEEvT1_,comdat
.Lfunc_end159:
	.size	_ZN7rocprim17ROCPRIM_400000_NS6detail17trampoline_kernelINS0_14default_configENS1_20scan_config_selectorIfEEZZNS1_9scan_implILNS1_25lookback_scan_determinismE0ELb0ELb0ES3_PKfPffZZZN2at6native31launch_logcumsumexp_cuda_kernelERKNSB_10TensorBaseESF_lENKUlvE_clEvENKUlvE0_clEvEUlffE_fEEDaPvRmT3_T4_T5_mT6_P12ihipStream_tbENKUlT_T0_E_clISt17integral_constantIbLb0EESV_IbLb1EEEEDaSR_SS_EUlSR_E_NS1_11comp_targetILNS1_3genE10ELNS1_11target_archE1200ELNS1_3gpuE4ELNS1_3repE0EEENS1_30default_config_static_selectorELNS0_4arch9wavefront6targetE0EEEvT1_, .Lfunc_end159-_ZN7rocprim17ROCPRIM_400000_NS6detail17trampoline_kernelINS0_14default_configENS1_20scan_config_selectorIfEEZZNS1_9scan_implILNS1_25lookback_scan_determinismE0ELb0ELb0ES3_PKfPffZZZN2at6native31launch_logcumsumexp_cuda_kernelERKNSB_10TensorBaseESF_lENKUlvE_clEvENKUlvE0_clEvEUlffE_fEEDaPvRmT3_T4_T5_mT6_P12ihipStream_tbENKUlT_T0_E_clISt17integral_constantIbLb0EESV_IbLb1EEEEDaSR_SS_EUlSR_E_NS1_11comp_targetILNS1_3genE10ELNS1_11target_archE1200ELNS1_3gpuE4ELNS1_3repE0EEENS1_30default_config_static_selectorELNS0_4arch9wavefront6targetE0EEEvT1_
                                        ; -- End function
	.set _ZN7rocprim17ROCPRIM_400000_NS6detail17trampoline_kernelINS0_14default_configENS1_20scan_config_selectorIfEEZZNS1_9scan_implILNS1_25lookback_scan_determinismE0ELb0ELb0ES3_PKfPffZZZN2at6native31launch_logcumsumexp_cuda_kernelERKNSB_10TensorBaseESF_lENKUlvE_clEvENKUlvE0_clEvEUlffE_fEEDaPvRmT3_T4_T5_mT6_P12ihipStream_tbENKUlT_T0_E_clISt17integral_constantIbLb0EESV_IbLb1EEEEDaSR_SS_EUlSR_E_NS1_11comp_targetILNS1_3genE10ELNS1_11target_archE1200ELNS1_3gpuE4ELNS1_3repE0EEENS1_30default_config_static_selectorELNS0_4arch9wavefront6targetE0EEEvT1_.num_vgpr, 0
	.set _ZN7rocprim17ROCPRIM_400000_NS6detail17trampoline_kernelINS0_14default_configENS1_20scan_config_selectorIfEEZZNS1_9scan_implILNS1_25lookback_scan_determinismE0ELb0ELb0ES3_PKfPffZZZN2at6native31launch_logcumsumexp_cuda_kernelERKNSB_10TensorBaseESF_lENKUlvE_clEvENKUlvE0_clEvEUlffE_fEEDaPvRmT3_T4_T5_mT6_P12ihipStream_tbENKUlT_T0_E_clISt17integral_constantIbLb0EESV_IbLb1EEEEDaSR_SS_EUlSR_E_NS1_11comp_targetILNS1_3genE10ELNS1_11target_archE1200ELNS1_3gpuE4ELNS1_3repE0EEENS1_30default_config_static_selectorELNS0_4arch9wavefront6targetE0EEEvT1_.num_agpr, 0
	.set _ZN7rocprim17ROCPRIM_400000_NS6detail17trampoline_kernelINS0_14default_configENS1_20scan_config_selectorIfEEZZNS1_9scan_implILNS1_25lookback_scan_determinismE0ELb0ELb0ES3_PKfPffZZZN2at6native31launch_logcumsumexp_cuda_kernelERKNSB_10TensorBaseESF_lENKUlvE_clEvENKUlvE0_clEvEUlffE_fEEDaPvRmT3_T4_T5_mT6_P12ihipStream_tbENKUlT_T0_E_clISt17integral_constantIbLb0EESV_IbLb1EEEEDaSR_SS_EUlSR_E_NS1_11comp_targetILNS1_3genE10ELNS1_11target_archE1200ELNS1_3gpuE4ELNS1_3repE0EEENS1_30default_config_static_selectorELNS0_4arch9wavefront6targetE0EEEvT1_.numbered_sgpr, 0
	.set _ZN7rocprim17ROCPRIM_400000_NS6detail17trampoline_kernelINS0_14default_configENS1_20scan_config_selectorIfEEZZNS1_9scan_implILNS1_25lookback_scan_determinismE0ELb0ELb0ES3_PKfPffZZZN2at6native31launch_logcumsumexp_cuda_kernelERKNSB_10TensorBaseESF_lENKUlvE_clEvENKUlvE0_clEvEUlffE_fEEDaPvRmT3_T4_T5_mT6_P12ihipStream_tbENKUlT_T0_E_clISt17integral_constantIbLb0EESV_IbLb1EEEEDaSR_SS_EUlSR_E_NS1_11comp_targetILNS1_3genE10ELNS1_11target_archE1200ELNS1_3gpuE4ELNS1_3repE0EEENS1_30default_config_static_selectorELNS0_4arch9wavefront6targetE0EEEvT1_.num_named_barrier, 0
	.set _ZN7rocprim17ROCPRIM_400000_NS6detail17trampoline_kernelINS0_14default_configENS1_20scan_config_selectorIfEEZZNS1_9scan_implILNS1_25lookback_scan_determinismE0ELb0ELb0ES3_PKfPffZZZN2at6native31launch_logcumsumexp_cuda_kernelERKNSB_10TensorBaseESF_lENKUlvE_clEvENKUlvE0_clEvEUlffE_fEEDaPvRmT3_T4_T5_mT6_P12ihipStream_tbENKUlT_T0_E_clISt17integral_constantIbLb0EESV_IbLb1EEEEDaSR_SS_EUlSR_E_NS1_11comp_targetILNS1_3genE10ELNS1_11target_archE1200ELNS1_3gpuE4ELNS1_3repE0EEENS1_30default_config_static_selectorELNS0_4arch9wavefront6targetE0EEEvT1_.private_seg_size, 0
	.set _ZN7rocprim17ROCPRIM_400000_NS6detail17trampoline_kernelINS0_14default_configENS1_20scan_config_selectorIfEEZZNS1_9scan_implILNS1_25lookback_scan_determinismE0ELb0ELb0ES3_PKfPffZZZN2at6native31launch_logcumsumexp_cuda_kernelERKNSB_10TensorBaseESF_lENKUlvE_clEvENKUlvE0_clEvEUlffE_fEEDaPvRmT3_T4_T5_mT6_P12ihipStream_tbENKUlT_T0_E_clISt17integral_constantIbLb0EESV_IbLb1EEEEDaSR_SS_EUlSR_E_NS1_11comp_targetILNS1_3genE10ELNS1_11target_archE1200ELNS1_3gpuE4ELNS1_3repE0EEENS1_30default_config_static_selectorELNS0_4arch9wavefront6targetE0EEEvT1_.uses_vcc, 0
	.set _ZN7rocprim17ROCPRIM_400000_NS6detail17trampoline_kernelINS0_14default_configENS1_20scan_config_selectorIfEEZZNS1_9scan_implILNS1_25lookback_scan_determinismE0ELb0ELb0ES3_PKfPffZZZN2at6native31launch_logcumsumexp_cuda_kernelERKNSB_10TensorBaseESF_lENKUlvE_clEvENKUlvE0_clEvEUlffE_fEEDaPvRmT3_T4_T5_mT6_P12ihipStream_tbENKUlT_T0_E_clISt17integral_constantIbLb0EESV_IbLb1EEEEDaSR_SS_EUlSR_E_NS1_11comp_targetILNS1_3genE10ELNS1_11target_archE1200ELNS1_3gpuE4ELNS1_3repE0EEENS1_30default_config_static_selectorELNS0_4arch9wavefront6targetE0EEEvT1_.uses_flat_scratch, 0
	.set _ZN7rocprim17ROCPRIM_400000_NS6detail17trampoline_kernelINS0_14default_configENS1_20scan_config_selectorIfEEZZNS1_9scan_implILNS1_25lookback_scan_determinismE0ELb0ELb0ES3_PKfPffZZZN2at6native31launch_logcumsumexp_cuda_kernelERKNSB_10TensorBaseESF_lENKUlvE_clEvENKUlvE0_clEvEUlffE_fEEDaPvRmT3_T4_T5_mT6_P12ihipStream_tbENKUlT_T0_E_clISt17integral_constantIbLb0EESV_IbLb1EEEEDaSR_SS_EUlSR_E_NS1_11comp_targetILNS1_3genE10ELNS1_11target_archE1200ELNS1_3gpuE4ELNS1_3repE0EEENS1_30default_config_static_selectorELNS0_4arch9wavefront6targetE0EEEvT1_.has_dyn_sized_stack, 0
	.set _ZN7rocprim17ROCPRIM_400000_NS6detail17trampoline_kernelINS0_14default_configENS1_20scan_config_selectorIfEEZZNS1_9scan_implILNS1_25lookback_scan_determinismE0ELb0ELb0ES3_PKfPffZZZN2at6native31launch_logcumsumexp_cuda_kernelERKNSB_10TensorBaseESF_lENKUlvE_clEvENKUlvE0_clEvEUlffE_fEEDaPvRmT3_T4_T5_mT6_P12ihipStream_tbENKUlT_T0_E_clISt17integral_constantIbLb0EESV_IbLb1EEEEDaSR_SS_EUlSR_E_NS1_11comp_targetILNS1_3genE10ELNS1_11target_archE1200ELNS1_3gpuE4ELNS1_3repE0EEENS1_30default_config_static_selectorELNS0_4arch9wavefront6targetE0EEEvT1_.has_recursion, 0
	.set _ZN7rocprim17ROCPRIM_400000_NS6detail17trampoline_kernelINS0_14default_configENS1_20scan_config_selectorIfEEZZNS1_9scan_implILNS1_25lookback_scan_determinismE0ELb0ELb0ES3_PKfPffZZZN2at6native31launch_logcumsumexp_cuda_kernelERKNSB_10TensorBaseESF_lENKUlvE_clEvENKUlvE0_clEvEUlffE_fEEDaPvRmT3_T4_T5_mT6_P12ihipStream_tbENKUlT_T0_E_clISt17integral_constantIbLb0EESV_IbLb1EEEEDaSR_SS_EUlSR_E_NS1_11comp_targetILNS1_3genE10ELNS1_11target_archE1200ELNS1_3gpuE4ELNS1_3repE0EEENS1_30default_config_static_selectorELNS0_4arch9wavefront6targetE0EEEvT1_.has_indirect_call, 0
	.section	.AMDGPU.csdata,"",@progbits
; Kernel info:
; codeLenInByte = 0
; TotalNumSgprs: 0
; NumVgprs: 0
; ScratchSize: 0
; MemoryBound: 0
; FloatMode: 240
; IeeeMode: 1
; LDSByteSize: 0 bytes/workgroup (compile time only)
; SGPRBlocks: 0
; VGPRBlocks: 0
; NumSGPRsForWavesPerEU: 1
; NumVGPRsForWavesPerEU: 1
; Occupancy: 16
; WaveLimiterHint : 0
; COMPUTE_PGM_RSRC2:SCRATCH_EN: 0
; COMPUTE_PGM_RSRC2:USER_SGPR: 2
; COMPUTE_PGM_RSRC2:TRAP_HANDLER: 0
; COMPUTE_PGM_RSRC2:TGID_X_EN: 1
; COMPUTE_PGM_RSRC2:TGID_Y_EN: 0
; COMPUTE_PGM_RSRC2:TGID_Z_EN: 0
; COMPUTE_PGM_RSRC2:TIDIG_COMP_CNT: 0
	.section	.text._ZN7rocprim17ROCPRIM_400000_NS6detail17trampoline_kernelINS0_14default_configENS1_20scan_config_selectorIfEEZZNS1_9scan_implILNS1_25lookback_scan_determinismE0ELb0ELb0ES3_PKfPffZZZN2at6native31launch_logcumsumexp_cuda_kernelERKNSB_10TensorBaseESF_lENKUlvE_clEvENKUlvE0_clEvEUlffE_fEEDaPvRmT3_T4_T5_mT6_P12ihipStream_tbENKUlT_T0_E_clISt17integral_constantIbLb0EESV_IbLb1EEEEDaSR_SS_EUlSR_E_NS1_11comp_targetILNS1_3genE9ELNS1_11target_archE1100ELNS1_3gpuE3ELNS1_3repE0EEENS1_30default_config_static_selectorELNS0_4arch9wavefront6targetE0EEEvT1_,"axG",@progbits,_ZN7rocprim17ROCPRIM_400000_NS6detail17trampoline_kernelINS0_14default_configENS1_20scan_config_selectorIfEEZZNS1_9scan_implILNS1_25lookback_scan_determinismE0ELb0ELb0ES3_PKfPffZZZN2at6native31launch_logcumsumexp_cuda_kernelERKNSB_10TensorBaseESF_lENKUlvE_clEvENKUlvE0_clEvEUlffE_fEEDaPvRmT3_T4_T5_mT6_P12ihipStream_tbENKUlT_T0_E_clISt17integral_constantIbLb0EESV_IbLb1EEEEDaSR_SS_EUlSR_E_NS1_11comp_targetILNS1_3genE9ELNS1_11target_archE1100ELNS1_3gpuE3ELNS1_3repE0EEENS1_30default_config_static_selectorELNS0_4arch9wavefront6targetE0EEEvT1_,comdat
	.globl	_ZN7rocprim17ROCPRIM_400000_NS6detail17trampoline_kernelINS0_14default_configENS1_20scan_config_selectorIfEEZZNS1_9scan_implILNS1_25lookback_scan_determinismE0ELb0ELb0ES3_PKfPffZZZN2at6native31launch_logcumsumexp_cuda_kernelERKNSB_10TensorBaseESF_lENKUlvE_clEvENKUlvE0_clEvEUlffE_fEEDaPvRmT3_T4_T5_mT6_P12ihipStream_tbENKUlT_T0_E_clISt17integral_constantIbLb0EESV_IbLb1EEEEDaSR_SS_EUlSR_E_NS1_11comp_targetILNS1_3genE9ELNS1_11target_archE1100ELNS1_3gpuE3ELNS1_3repE0EEENS1_30default_config_static_selectorELNS0_4arch9wavefront6targetE0EEEvT1_ ; -- Begin function _ZN7rocprim17ROCPRIM_400000_NS6detail17trampoline_kernelINS0_14default_configENS1_20scan_config_selectorIfEEZZNS1_9scan_implILNS1_25lookback_scan_determinismE0ELb0ELb0ES3_PKfPffZZZN2at6native31launch_logcumsumexp_cuda_kernelERKNSB_10TensorBaseESF_lENKUlvE_clEvENKUlvE0_clEvEUlffE_fEEDaPvRmT3_T4_T5_mT6_P12ihipStream_tbENKUlT_T0_E_clISt17integral_constantIbLb0EESV_IbLb1EEEEDaSR_SS_EUlSR_E_NS1_11comp_targetILNS1_3genE9ELNS1_11target_archE1100ELNS1_3gpuE3ELNS1_3repE0EEENS1_30default_config_static_selectorELNS0_4arch9wavefront6targetE0EEEvT1_
	.p2align	8
	.type	_ZN7rocprim17ROCPRIM_400000_NS6detail17trampoline_kernelINS0_14default_configENS1_20scan_config_selectorIfEEZZNS1_9scan_implILNS1_25lookback_scan_determinismE0ELb0ELb0ES3_PKfPffZZZN2at6native31launch_logcumsumexp_cuda_kernelERKNSB_10TensorBaseESF_lENKUlvE_clEvENKUlvE0_clEvEUlffE_fEEDaPvRmT3_T4_T5_mT6_P12ihipStream_tbENKUlT_T0_E_clISt17integral_constantIbLb0EESV_IbLb1EEEEDaSR_SS_EUlSR_E_NS1_11comp_targetILNS1_3genE9ELNS1_11target_archE1100ELNS1_3gpuE3ELNS1_3repE0EEENS1_30default_config_static_selectorELNS0_4arch9wavefront6targetE0EEEvT1_,@function
_ZN7rocprim17ROCPRIM_400000_NS6detail17trampoline_kernelINS0_14default_configENS1_20scan_config_selectorIfEEZZNS1_9scan_implILNS1_25lookback_scan_determinismE0ELb0ELb0ES3_PKfPffZZZN2at6native31launch_logcumsumexp_cuda_kernelERKNSB_10TensorBaseESF_lENKUlvE_clEvENKUlvE0_clEvEUlffE_fEEDaPvRmT3_T4_T5_mT6_P12ihipStream_tbENKUlT_T0_E_clISt17integral_constantIbLb0EESV_IbLb1EEEEDaSR_SS_EUlSR_E_NS1_11comp_targetILNS1_3genE9ELNS1_11target_archE1100ELNS1_3gpuE3ELNS1_3repE0EEENS1_30default_config_static_selectorELNS0_4arch9wavefront6targetE0EEEvT1_: ; @_ZN7rocprim17ROCPRIM_400000_NS6detail17trampoline_kernelINS0_14default_configENS1_20scan_config_selectorIfEEZZNS1_9scan_implILNS1_25lookback_scan_determinismE0ELb0ELb0ES3_PKfPffZZZN2at6native31launch_logcumsumexp_cuda_kernelERKNSB_10TensorBaseESF_lENKUlvE_clEvENKUlvE0_clEvEUlffE_fEEDaPvRmT3_T4_T5_mT6_P12ihipStream_tbENKUlT_T0_E_clISt17integral_constantIbLb0EESV_IbLb1EEEEDaSR_SS_EUlSR_E_NS1_11comp_targetILNS1_3genE9ELNS1_11target_archE1100ELNS1_3gpuE3ELNS1_3repE0EEENS1_30default_config_static_selectorELNS0_4arch9wavefront6targetE0EEEvT1_
; %bb.0:
	.section	.rodata,"a",@progbits
	.p2align	6, 0x0
	.amdhsa_kernel _ZN7rocprim17ROCPRIM_400000_NS6detail17trampoline_kernelINS0_14default_configENS1_20scan_config_selectorIfEEZZNS1_9scan_implILNS1_25lookback_scan_determinismE0ELb0ELb0ES3_PKfPffZZZN2at6native31launch_logcumsumexp_cuda_kernelERKNSB_10TensorBaseESF_lENKUlvE_clEvENKUlvE0_clEvEUlffE_fEEDaPvRmT3_T4_T5_mT6_P12ihipStream_tbENKUlT_T0_E_clISt17integral_constantIbLb0EESV_IbLb1EEEEDaSR_SS_EUlSR_E_NS1_11comp_targetILNS1_3genE9ELNS1_11target_archE1100ELNS1_3gpuE3ELNS1_3repE0EEENS1_30default_config_static_selectorELNS0_4arch9wavefront6targetE0EEEvT1_
		.amdhsa_group_segment_fixed_size 0
		.amdhsa_private_segment_fixed_size 0
		.amdhsa_kernarg_size 96
		.amdhsa_user_sgpr_count 2
		.amdhsa_user_sgpr_dispatch_ptr 0
		.amdhsa_user_sgpr_queue_ptr 0
		.amdhsa_user_sgpr_kernarg_segment_ptr 1
		.amdhsa_user_sgpr_dispatch_id 0
		.amdhsa_user_sgpr_private_segment_size 0
		.amdhsa_wavefront_size32 1
		.amdhsa_uses_dynamic_stack 0
		.amdhsa_enable_private_segment 0
		.amdhsa_system_sgpr_workgroup_id_x 1
		.amdhsa_system_sgpr_workgroup_id_y 0
		.amdhsa_system_sgpr_workgroup_id_z 0
		.amdhsa_system_sgpr_workgroup_info 0
		.amdhsa_system_vgpr_workitem_id 0
		.amdhsa_next_free_vgpr 1
		.amdhsa_next_free_sgpr 1
		.amdhsa_reserve_vcc 0
		.amdhsa_float_round_mode_32 0
		.amdhsa_float_round_mode_16_64 0
		.amdhsa_float_denorm_mode_32 3
		.amdhsa_float_denorm_mode_16_64 3
		.amdhsa_fp16_overflow 0
		.amdhsa_workgroup_processor_mode 1
		.amdhsa_memory_ordered 1
		.amdhsa_forward_progress 1
		.amdhsa_inst_pref_size 0
		.amdhsa_round_robin_scheduling 0
		.amdhsa_exception_fp_ieee_invalid_op 0
		.amdhsa_exception_fp_denorm_src 0
		.amdhsa_exception_fp_ieee_div_zero 0
		.amdhsa_exception_fp_ieee_overflow 0
		.amdhsa_exception_fp_ieee_underflow 0
		.amdhsa_exception_fp_ieee_inexact 0
		.amdhsa_exception_int_div_zero 0
	.end_amdhsa_kernel
	.section	.text._ZN7rocprim17ROCPRIM_400000_NS6detail17trampoline_kernelINS0_14default_configENS1_20scan_config_selectorIfEEZZNS1_9scan_implILNS1_25lookback_scan_determinismE0ELb0ELb0ES3_PKfPffZZZN2at6native31launch_logcumsumexp_cuda_kernelERKNSB_10TensorBaseESF_lENKUlvE_clEvENKUlvE0_clEvEUlffE_fEEDaPvRmT3_T4_T5_mT6_P12ihipStream_tbENKUlT_T0_E_clISt17integral_constantIbLb0EESV_IbLb1EEEEDaSR_SS_EUlSR_E_NS1_11comp_targetILNS1_3genE9ELNS1_11target_archE1100ELNS1_3gpuE3ELNS1_3repE0EEENS1_30default_config_static_selectorELNS0_4arch9wavefront6targetE0EEEvT1_,"axG",@progbits,_ZN7rocprim17ROCPRIM_400000_NS6detail17trampoline_kernelINS0_14default_configENS1_20scan_config_selectorIfEEZZNS1_9scan_implILNS1_25lookback_scan_determinismE0ELb0ELb0ES3_PKfPffZZZN2at6native31launch_logcumsumexp_cuda_kernelERKNSB_10TensorBaseESF_lENKUlvE_clEvENKUlvE0_clEvEUlffE_fEEDaPvRmT3_T4_T5_mT6_P12ihipStream_tbENKUlT_T0_E_clISt17integral_constantIbLb0EESV_IbLb1EEEEDaSR_SS_EUlSR_E_NS1_11comp_targetILNS1_3genE9ELNS1_11target_archE1100ELNS1_3gpuE3ELNS1_3repE0EEENS1_30default_config_static_selectorELNS0_4arch9wavefront6targetE0EEEvT1_,comdat
.Lfunc_end160:
	.size	_ZN7rocprim17ROCPRIM_400000_NS6detail17trampoline_kernelINS0_14default_configENS1_20scan_config_selectorIfEEZZNS1_9scan_implILNS1_25lookback_scan_determinismE0ELb0ELb0ES3_PKfPffZZZN2at6native31launch_logcumsumexp_cuda_kernelERKNSB_10TensorBaseESF_lENKUlvE_clEvENKUlvE0_clEvEUlffE_fEEDaPvRmT3_T4_T5_mT6_P12ihipStream_tbENKUlT_T0_E_clISt17integral_constantIbLb0EESV_IbLb1EEEEDaSR_SS_EUlSR_E_NS1_11comp_targetILNS1_3genE9ELNS1_11target_archE1100ELNS1_3gpuE3ELNS1_3repE0EEENS1_30default_config_static_selectorELNS0_4arch9wavefront6targetE0EEEvT1_, .Lfunc_end160-_ZN7rocprim17ROCPRIM_400000_NS6detail17trampoline_kernelINS0_14default_configENS1_20scan_config_selectorIfEEZZNS1_9scan_implILNS1_25lookback_scan_determinismE0ELb0ELb0ES3_PKfPffZZZN2at6native31launch_logcumsumexp_cuda_kernelERKNSB_10TensorBaseESF_lENKUlvE_clEvENKUlvE0_clEvEUlffE_fEEDaPvRmT3_T4_T5_mT6_P12ihipStream_tbENKUlT_T0_E_clISt17integral_constantIbLb0EESV_IbLb1EEEEDaSR_SS_EUlSR_E_NS1_11comp_targetILNS1_3genE9ELNS1_11target_archE1100ELNS1_3gpuE3ELNS1_3repE0EEENS1_30default_config_static_selectorELNS0_4arch9wavefront6targetE0EEEvT1_
                                        ; -- End function
	.set _ZN7rocprim17ROCPRIM_400000_NS6detail17trampoline_kernelINS0_14default_configENS1_20scan_config_selectorIfEEZZNS1_9scan_implILNS1_25lookback_scan_determinismE0ELb0ELb0ES3_PKfPffZZZN2at6native31launch_logcumsumexp_cuda_kernelERKNSB_10TensorBaseESF_lENKUlvE_clEvENKUlvE0_clEvEUlffE_fEEDaPvRmT3_T4_T5_mT6_P12ihipStream_tbENKUlT_T0_E_clISt17integral_constantIbLb0EESV_IbLb1EEEEDaSR_SS_EUlSR_E_NS1_11comp_targetILNS1_3genE9ELNS1_11target_archE1100ELNS1_3gpuE3ELNS1_3repE0EEENS1_30default_config_static_selectorELNS0_4arch9wavefront6targetE0EEEvT1_.num_vgpr, 0
	.set _ZN7rocprim17ROCPRIM_400000_NS6detail17trampoline_kernelINS0_14default_configENS1_20scan_config_selectorIfEEZZNS1_9scan_implILNS1_25lookback_scan_determinismE0ELb0ELb0ES3_PKfPffZZZN2at6native31launch_logcumsumexp_cuda_kernelERKNSB_10TensorBaseESF_lENKUlvE_clEvENKUlvE0_clEvEUlffE_fEEDaPvRmT3_T4_T5_mT6_P12ihipStream_tbENKUlT_T0_E_clISt17integral_constantIbLb0EESV_IbLb1EEEEDaSR_SS_EUlSR_E_NS1_11comp_targetILNS1_3genE9ELNS1_11target_archE1100ELNS1_3gpuE3ELNS1_3repE0EEENS1_30default_config_static_selectorELNS0_4arch9wavefront6targetE0EEEvT1_.num_agpr, 0
	.set _ZN7rocprim17ROCPRIM_400000_NS6detail17trampoline_kernelINS0_14default_configENS1_20scan_config_selectorIfEEZZNS1_9scan_implILNS1_25lookback_scan_determinismE0ELb0ELb0ES3_PKfPffZZZN2at6native31launch_logcumsumexp_cuda_kernelERKNSB_10TensorBaseESF_lENKUlvE_clEvENKUlvE0_clEvEUlffE_fEEDaPvRmT3_T4_T5_mT6_P12ihipStream_tbENKUlT_T0_E_clISt17integral_constantIbLb0EESV_IbLb1EEEEDaSR_SS_EUlSR_E_NS1_11comp_targetILNS1_3genE9ELNS1_11target_archE1100ELNS1_3gpuE3ELNS1_3repE0EEENS1_30default_config_static_selectorELNS0_4arch9wavefront6targetE0EEEvT1_.numbered_sgpr, 0
	.set _ZN7rocprim17ROCPRIM_400000_NS6detail17trampoline_kernelINS0_14default_configENS1_20scan_config_selectorIfEEZZNS1_9scan_implILNS1_25lookback_scan_determinismE0ELb0ELb0ES3_PKfPffZZZN2at6native31launch_logcumsumexp_cuda_kernelERKNSB_10TensorBaseESF_lENKUlvE_clEvENKUlvE0_clEvEUlffE_fEEDaPvRmT3_T4_T5_mT6_P12ihipStream_tbENKUlT_T0_E_clISt17integral_constantIbLb0EESV_IbLb1EEEEDaSR_SS_EUlSR_E_NS1_11comp_targetILNS1_3genE9ELNS1_11target_archE1100ELNS1_3gpuE3ELNS1_3repE0EEENS1_30default_config_static_selectorELNS0_4arch9wavefront6targetE0EEEvT1_.num_named_barrier, 0
	.set _ZN7rocprim17ROCPRIM_400000_NS6detail17trampoline_kernelINS0_14default_configENS1_20scan_config_selectorIfEEZZNS1_9scan_implILNS1_25lookback_scan_determinismE0ELb0ELb0ES3_PKfPffZZZN2at6native31launch_logcumsumexp_cuda_kernelERKNSB_10TensorBaseESF_lENKUlvE_clEvENKUlvE0_clEvEUlffE_fEEDaPvRmT3_T4_T5_mT6_P12ihipStream_tbENKUlT_T0_E_clISt17integral_constantIbLb0EESV_IbLb1EEEEDaSR_SS_EUlSR_E_NS1_11comp_targetILNS1_3genE9ELNS1_11target_archE1100ELNS1_3gpuE3ELNS1_3repE0EEENS1_30default_config_static_selectorELNS0_4arch9wavefront6targetE0EEEvT1_.private_seg_size, 0
	.set _ZN7rocprim17ROCPRIM_400000_NS6detail17trampoline_kernelINS0_14default_configENS1_20scan_config_selectorIfEEZZNS1_9scan_implILNS1_25lookback_scan_determinismE0ELb0ELb0ES3_PKfPffZZZN2at6native31launch_logcumsumexp_cuda_kernelERKNSB_10TensorBaseESF_lENKUlvE_clEvENKUlvE0_clEvEUlffE_fEEDaPvRmT3_T4_T5_mT6_P12ihipStream_tbENKUlT_T0_E_clISt17integral_constantIbLb0EESV_IbLb1EEEEDaSR_SS_EUlSR_E_NS1_11comp_targetILNS1_3genE9ELNS1_11target_archE1100ELNS1_3gpuE3ELNS1_3repE0EEENS1_30default_config_static_selectorELNS0_4arch9wavefront6targetE0EEEvT1_.uses_vcc, 0
	.set _ZN7rocprim17ROCPRIM_400000_NS6detail17trampoline_kernelINS0_14default_configENS1_20scan_config_selectorIfEEZZNS1_9scan_implILNS1_25lookback_scan_determinismE0ELb0ELb0ES3_PKfPffZZZN2at6native31launch_logcumsumexp_cuda_kernelERKNSB_10TensorBaseESF_lENKUlvE_clEvENKUlvE0_clEvEUlffE_fEEDaPvRmT3_T4_T5_mT6_P12ihipStream_tbENKUlT_T0_E_clISt17integral_constantIbLb0EESV_IbLb1EEEEDaSR_SS_EUlSR_E_NS1_11comp_targetILNS1_3genE9ELNS1_11target_archE1100ELNS1_3gpuE3ELNS1_3repE0EEENS1_30default_config_static_selectorELNS0_4arch9wavefront6targetE0EEEvT1_.uses_flat_scratch, 0
	.set _ZN7rocprim17ROCPRIM_400000_NS6detail17trampoline_kernelINS0_14default_configENS1_20scan_config_selectorIfEEZZNS1_9scan_implILNS1_25lookback_scan_determinismE0ELb0ELb0ES3_PKfPffZZZN2at6native31launch_logcumsumexp_cuda_kernelERKNSB_10TensorBaseESF_lENKUlvE_clEvENKUlvE0_clEvEUlffE_fEEDaPvRmT3_T4_T5_mT6_P12ihipStream_tbENKUlT_T0_E_clISt17integral_constantIbLb0EESV_IbLb1EEEEDaSR_SS_EUlSR_E_NS1_11comp_targetILNS1_3genE9ELNS1_11target_archE1100ELNS1_3gpuE3ELNS1_3repE0EEENS1_30default_config_static_selectorELNS0_4arch9wavefront6targetE0EEEvT1_.has_dyn_sized_stack, 0
	.set _ZN7rocprim17ROCPRIM_400000_NS6detail17trampoline_kernelINS0_14default_configENS1_20scan_config_selectorIfEEZZNS1_9scan_implILNS1_25lookback_scan_determinismE0ELb0ELb0ES3_PKfPffZZZN2at6native31launch_logcumsumexp_cuda_kernelERKNSB_10TensorBaseESF_lENKUlvE_clEvENKUlvE0_clEvEUlffE_fEEDaPvRmT3_T4_T5_mT6_P12ihipStream_tbENKUlT_T0_E_clISt17integral_constantIbLb0EESV_IbLb1EEEEDaSR_SS_EUlSR_E_NS1_11comp_targetILNS1_3genE9ELNS1_11target_archE1100ELNS1_3gpuE3ELNS1_3repE0EEENS1_30default_config_static_selectorELNS0_4arch9wavefront6targetE0EEEvT1_.has_recursion, 0
	.set _ZN7rocprim17ROCPRIM_400000_NS6detail17trampoline_kernelINS0_14default_configENS1_20scan_config_selectorIfEEZZNS1_9scan_implILNS1_25lookback_scan_determinismE0ELb0ELb0ES3_PKfPffZZZN2at6native31launch_logcumsumexp_cuda_kernelERKNSB_10TensorBaseESF_lENKUlvE_clEvENKUlvE0_clEvEUlffE_fEEDaPvRmT3_T4_T5_mT6_P12ihipStream_tbENKUlT_T0_E_clISt17integral_constantIbLb0EESV_IbLb1EEEEDaSR_SS_EUlSR_E_NS1_11comp_targetILNS1_3genE9ELNS1_11target_archE1100ELNS1_3gpuE3ELNS1_3repE0EEENS1_30default_config_static_selectorELNS0_4arch9wavefront6targetE0EEEvT1_.has_indirect_call, 0
	.section	.AMDGPU.csdata,"",@progbits
; Kernel info:
; codeLenInByte = 0
; TotalNumSgprs: 0
; NumVgprs: 0
; ScratchSize: 0
; MemoryBound: 0
; FloatMode: 240
; IeeeMode: 1
; LDSByteSize: 0 bytes/workgroup (compile time only)
; SGPRBlocks: 0
; VGPRBlocks: 0
; NumSGPRsForWavesPerEU: 1
; NumVGPRsForWavesPerEU: 1
; Occupancy: 16
; WaveLimiterHint : 0
; COMPUTE_PGM_RSRC2:SCRATCH_EN: 0
; COMPUTE_PGM_RSRC2:USER_SGPR: 2
; COMPUTE_PGM_RSRC2:TRAP_HANDLER: 0
; COMPUTE_PGM_RSRC2:TGID_X_EN: 1
; COMPUTE_PGM_RSRC2:TGID_Y_EN: 0
; COMPUTE_PGM_RSRC2:TGID_Z_EN: 0
; COMPUTE_PGM_RSRC2:TIDIG_COMP_CNT: 0
	.section	.text._ZN7rocprim17ROCPRIM_400000_NS6detail17trampoline_kernelINS0_14default_configENS1_20scan_config_selectorIfEEZZNS1_9scan_implILNS1_25lookback_scan_determinismE0ELb0ELb0ES3_PKfPffZZZN2at6native31launch_logcumsumexp_cuda_kernelERKNSB_10TensorBaseESF_lENKUlvE_clEvENKUlvE0_clEvEUlffE_fEEDaPvRmT3_T4_T5_mT6_P12ihipStream_tbENKUlT_T0_E_clISt17integral_constantIbLb0EESV_IbLb1EEEEDaSR_SS_EUlSR_E_NS1_11comp_targetILNS1_3genE8ELNS1_11target_archE1030ELNS1_3gpuE2ELNS1_3repE0EEENS1_30default_config_static_selectorELNS0_4arch9wavefront6targetE0EEEvT1_,"axG",@progbits,_ZN7rocprim17ROCPRIM_400000_NS6detail17trampoline_kernelINS0_14default_configENS1_20scan_config_selectorIfEEZZNS1_9scan_implILNS1_25lookback_scan_determinismE0ELb0ELb0ES3_PKfPffZZZN2at6native31launch_logcumsumexp_cuda_kernelERKNSB_10TensorBaseESF_lENKUlvE_clEvENKUlvE0_clEvEUlffE_fEEDaPvRmT3_T4_T5_mT6_P12ihipStream_tbENKUlT_T0_E_clISt17integral_constantIbLb0EESV_IbLb1EEEEDaSR_SS_EUlSR_E_NS1_11comp_targetILNS1_3genE8ELNS1_11target_archE1030ELNS1_3gpuE2ELNS1_3repE0EEENS1_30default_config_static_selectorELNS0_4arch9wavefront6targetE0EEEvT1_,comdat
	.globl	_ZN7rocprim17ROCPRIM_400000_NS6detail17trampoline_kernelINS0_14default_configENS1_20scan_config_selectorIfEEZZNS1_9scan_implILNS1_25lookback_scan_determinismE0ELb0ELb0ES3_PKfPffZZZN2at6native31launch_logcumsumexp_cuda_kernelERKNSB_10TensorBaseESF_lENKUlvE_clEvENKUlvE0_clEvEUlffE_fEEDaPvRmT3_T4_T5_mT6_P12ihipStream_tbENKUlT_T0_E_clISt17integral_constantIbLb0EESV_IbLb1EEEEDaSR_SS_EUlSR_E_NS1_11comp_targetILNS1_3genE8ELNS1_11target_archE1030ELNS1_3gpuE2ELNS1_3repE0EEENS1_30default_config_static_selectorELNS0_4arch9wavefront6targetE0EEEvT1_ ; -- Begin function _ZN7rocprim17ROCPRIM_400000_NS6detail17trampoline_kernelINS0_14default_configENS1_20scan_config_selectorIfEEZZNS1_9scan_implILNS1_25lookback_scan_determinismE0ELb0ELb0ES3_PKfPffZZZN2at6native31launch_logcumsumexp_cuda_kernelERKNSB_10TensorBaseESF_lENKUlvE_clEvENKUlvE0_clEvEUlffE_fEEDaPvRmT3_T4_T5_mT6_P12ihipStream_tbENKUlT_T0_E_clISt17integral_constantIbLb0EESV_IbLb1EEEEDaSR_SS_EUlSR_E_NS1_11comp_targetILNS1_3genE8ELNS1_11target_archE1030ELNS1_3gpuE2ELNS1_3repE0EEENS1_30default_config_static_selectorELNS0_4arch9wavefront6targetE0EEEvT1_
	.p2align	8
	.type	_ZN7rocprim17ROCPRIM_400000_NS6detail17trampoline_kernelINS0_14default_configENS1_20scan_config_selectorIfEEZZNS1_9scan_implILNS1_25lookback_scan_determinismE0ELb0ELb0ES3_PKfPffZZZN2at6native31launch_logcumsumexp_cuda_kernelERKNSB_10TensorBaseESF_lENKUlvE_clEvENKUlvE0_clEvEUlffE_fEEDaPvRmT3_T4_T5_mT6_P12ihipStream_tbENKUlT_T0_E_clISt17integral_constantIbLb0EESV_IbLb1EEEEDaSR_SS_EUlSR_E_NS1_11comp_targetILNS1_3genE8ELNS1_11target_archE1030ELNS1_3gpuE2ELNS1_3repE0EEENS1_30default_config_static_selectorELNS0_4arch9wavefront6targetE0EEEvT1_,@function
_ZN7rocprim17ROCPRIM_400000_NS6detail17trampoline_kernelINS0_14default_configENS1_20scan_config_selectorIfEEZZNS1_9scan_implILNS1_25lookback_scan_determinismE0ELb0ELb0ES3_PKfPffZZZN2at6native31launch_logcumsumexp_cuda_kernelERKNSB_10TensorBaseESF_lENKUlvE_clEvENKUlvE0_clEvEUlffE_fEEDaPvRmT3_T4_T5_mT6_P12ihipStream_tbENKUlT_T0_E_clISt17integral_constantIbLb0EESV_IbLb1EEEEDaSR_SS_EUlSR_E_NS1_11comp_targetILNS1_3genE8ELNS1_11target_archE1030ELNS1_3gpuE2ELNS1_3repE0EEENS1_30default_config_static_selectorELNS0_4arch9wavefront6targetE0EEEvT1_: ; @_ZN7rocprim17ROCPRIM_400000_NS6detail17trampoline_kernelINS0_14default_configENS1_20scan_config_selectorIfEEZZNS1_9scan_implILNS1_25lookback_scan_determinismE0ELb0ELb0ES3_PKfPffZZZN2at6native31launch_logcumsumexp_cuda_kernelERKNSB_10TensorBaseESF_lENKUlvE_clEvENKUlvE0_clEvEUlffE_fEEDaPvRmT3_T4_T5_mT6_P12ihipStream_tbENKUlT_T0_E_clISt17integral_constantIbLb0EESV_IbLb1EEEEDaSR_SS_EUlSR_E_NS1_11comp_targetILNS1_3genE8ELNS1_11target_archE1030ELNS1_3gpuE2ELNS1_3repE0EEENS1_30default_config_static_selectorELNS0_4arch9wavefront6targetE0EEEvT1_
; %bb.0:
	.section	.rodata,"a",@progbits
	.p2align	6, 0x0
	.amdhsa_kernel _ZN7rocprim17ROCPRIM_400000_NS6detail17trampoline_kernelINS0_14default_configENS1_20scan_config_selectorIfEEZZNS1_9scan_implILNS1_25lookback_scan_determinismE0ELb0ELb0ES3_PKfPffZZZN2at6native31launch_logcumsumexp_cuda_kernelERKNSB_10TensorBaseESF_lENKUlvE_clEvENKUlvE0_clEvEUlffE_fEEDaPvRmT3_T4_T5_mT6_P12ihipStream_tbENKUlT_T0_E_clISt17integral_constantIbLb0EESV_IbLb1EEEEDaSR_SS_EUlSR_E_NS1_11comp_targetILNS1_3genE8ELNS1_11target_archE1030ELNS1_3gpuE2ELNS1_3repE0EEENS1_30default_config_static_selectorELNS0_4arch9wavefront6targetE0EEEvT1_
		.amdhsa_group_segment_fixed_size 0
		.amdhsa_private_segment_fixed_size 0
		.amdhsa_kernarg_size 96
		.amdhsa_user_sgpr_count 2
		.amdhsa_user_sgpr_dispatch_ptr 0
		.amdhsa_user_sgpr_queue_ptr 0
		.amdhsa_user_sgpr_kernarg_segment_ptr 1
		.amdhsa_user_sgpr_dispatch_id 0
		.amdhsa_user_sgpr_private_segment_size 0
		.amdhsa_wavefront_size32 1
		.amdhsa_uses_dynamic_stack 0
		.amdhsa_enable_private_segment 0
		.amdhsa_system_sgpr_workgroup_id_x 1
		.amdhsa_system_sgpr_workgroup_id_y 0
		.amdhsa_system_sgpr_workgroup_id_z 0
		.amdhsa_system_sgpr_workgroup_info 0
		.amdhsa_system_vgpr_workitem_id 0
		.amdhsa_next_free_vgpr 1
		.amdhsa_next_free_sgpr 1
		.amdhsa_reserve_vcc 0
		.amdhsa_float_round_mode_32 0
		.amdhsa_float_round_mode_16_64 0
		.amdhsa_float_denorm_mode_32 3
		.amdhsa_float_denorm_mode_16_64 3
		.amdhsa_fp16_overflow 0
		.amdhsa_workgroup_processor_mode 1
		.amdhsa_memory_ordered 1
		.amdhsa_forward_progress 1
		.amdhsa_inst_pref_size 0
		.amdhsa_round_robin_scheduling 0
		.amdhsa_exception_fp_ieee_invalid_op 0
		.amdhsa_exception_fp_denorm_src 0
		.amdhsa_exception_fp_ieee_div_zero 0
		.amdhsa_exception_fp_ieee_overflow 0
		.amdhsa_exception_fp_ieee_underflow 0
		.amdhsa_exception_fp_ieee_inexact 0
		.amdhsa_exception_int_div_zero 0
	.end_amdhsa_kernel
	.section	.text._ZN7rocprim17ROCPRIM_400000_NS6detail17trampoline_kernelINS0_14default_configENS1_20scan_config_selectorIfEEZZNS1_9scan_implILNS1_25lookback_scan_determinismE0ELb0ELb0ES3_PKfPffZZZN2at6native31launch_logcumsumexp_cuda_kernelERKNSB_10TensorBaseESF_lENKUlvE_clEvENKUlvE0_clEvEUlffE_fEEDaPvRmT3_T4_T5_mT6_P12ihipStream_tbENKUlT_T0_E_clISt17integral_constantIbLb0EESV_IbLb1EEEEDaSR_SS_EUlSR_E_NS1_11comp_targetILNS1_3genE8ELNS1_11target_archE1030ELNS1_3gpuE2ELNS1_3repE0EEENS1_30default_config_static_selectorELNS0_4arch9wavefront6targetE0EEEvT1_,"axG",@progbits,_ZN7rocprim17ROCPRIM_400000_NS6detail17trampoline_kernelINS0_14default_configENS1_20scan_config_selectorIfEEZZNS1_9scan_implILNS1_25lookback_scan_determinismE0ELb0ELb0ES3_PKfPffZZZN2at6native31launch_logcumsumexp_cuda_kernelERKNSB_10TensorBaseESF_lENKUlvE_clEvENKUlvE0_clEvEUlffE_fEEDaPvRmT3_T4_T5_mT6_P12ihipStream_tbENKUlT_T0_E_clISt17integral_constantIbLb0EESV_IbLb1EEEEDaSR_SS_EUlSR_E_NS1_11comp_targetILNS1_3genE8ELNS1_11target_archE1030ELNS1_3gpuE2ELNS1_3repE0EEENS1_30default_config_static_selectorELNS0_4arch9wavefront6targetE0EEEvT1_,comdat
.Lfunc_end161:
	.size	_ZN7rocprim17ROCPRIM_400000_NS6detail17trampoline_kernelINS0_14default_configENS1_20scan_config_selectorIfEEZZNS1_9scan_implILNS1_25lookback_scan_determinismE0ELb0ELb0ES3_PKfPffZZZN2at6native31launch_logcumsumexp_cuda_kernelERKNSB_10TensorBaseESF_lENKUlvE_clEvENKUlvE0_clEvEUlffE_fEEDaPvRmT3_T4_T5_mT6_P12ihipStream_tbENKUlT_T0_E_clISt17integral_constantIbLb0EESV_IbLb1EEEEDaSR_SS_EUlSR_E_NS1_11comp_targetILNS1_3genE8ELNS1_11target_archE1030ELNS1_3gpuE2ELNS1_3repE0EEENS1_30default_config_static_selectorELNS0_4arch9wavefront6targetE0EEEvT1_, .Lfunc_end161-_ZN7rocprim17ROCPRIM_400000_NS6detail17trampoline_kernelINS0_14default_configENS1_20scan_config_selectorIfEEZZNS1_9scan_implILNS1_25lookback_scan_determinismE0ELb0ELb0ES3_PKfPffZZZN2at6native31launch_logcumsumexp_cuda_kernelERKNSB_10TensorBaseESF_lENKUlvE_clEvENKUlvE0_clEvEUlffE_fEEDaPvRmT3_T4_T5_mT6_P12ihipStream_tbENKUlT_T0_E_clISt17integral_constantIbLb0EESV_IbLb1EEEEDaSR_SS_EUlSR_E_NS1_11comp_targetILNS1_3genE8ELNS1_11target_archE1030ELNS1_3gpuE2ELNS1_3repE0EEENS1_30default_config_static_selectorELNS0_4arch9wavefront6targetE0EEEvT1_
                                        ; -- End function
	.set _ZN7rocprim17ROCPRIM_400000_NS6detail17trampoline_kernelINS0_14default_configENS1_20scan_config_selectorIfEEZZNS1_9scan_implILNS1_25lookback_scan_determinismE0ELb0ELb0ES3_PKfPffZZZN2at6native31launch_logcumsumexp_cuda_kernelERKNSB_10TensorBaseESF_lENKUlvE_clEvENKUlvE0_clEvEUlffE_fEEDaPvRmT3_T4_T5_mT6_P12ihipStream_tbENKUlT_T0_E_clISt17integral_constantIbLb0EESV_IbLb1EEEEDaSR_SS_EUlSR_E_NS1_11comp_targetILNS1_3genE8ELNS1_11target_archE1030ELNS1_3gpuE2ELNS1_3repE0EEENS1_30default_config_static_selectorELNS0_4arch9wavefront6targetE0EEEvT1_.num_vgpr, 0
	.set _ZN7rocprim17ROCPRIM_400000_NS6detail17trampoline_kernelINS0_14default_configENS1_20scan_config_selectorIfEEZZNS1_9scan_implILNS1_25lookback_scan_determinismE0ELb0ELb0ES3_PKfPffZZZN2at6native31launch_logcumsumexp_cuda_kernelERKNSB_10TensorBaseESF_lENKUlvE_clEvENKUlvE0_clEvEUlffE_fEEDaPvRmT3_T4_T5_mT6_P12ihipStream_tbENKUlT_T0_E_clISt17integral_constantIbLb0EESV_IbLb1EEEEDaSR_SS_EUlSR_E_NS1_11comp_targetILNS1_3genE8ELNS1_11target_archE1030ELNS1_3gpuE2ELNS1_3repE0EEENS1_30default_config_static_selectorELNS0_4arch9wavefront6targetE0EEEvT1_.num_agpr, 0
	.set _ZN7rocprim17ROCPRIM_400000_NS6detail17trampoline_kernelINS0_14default_configENS1_20scan_config_selectorIfEEZZNS1_9scan_implILNS1_25lookback_scan_determinismE0ELb0ELb0ES3_PKfPffZZZN2at6native31launch_logcumsumexp_cuda_kernelERKNSB_10TensorBaseESF_lENKUlvE_clEvENKUlvE0_clEvEUlffE_fEEDaPvRmT3_T4_T5_mT6_P12ihipStream_tbENKUlT_T0_E_clISt17integral_constantIbLb0EESV_IbLb1EEEEDaSR_SS_EUlSR_E_NS1_11comp_targetILNS1_3genE8ELNS1_11target_archE1030ELNS1_3gpuE2ELNS1_3repE0EEENS1_30default_config_static_selectorELNS0_4arch9wavefront6targetE0EEEvT1_.numbered_sgpr, 0
	.set _ZN7rocprim17ROCPRIM_400000_NS6detail17trampoline_kernelINS0_14default_configENS1_20scan_config_selectorIfEEZZNS1_9scan_implILNS1_25lookback_scan_determinismE0ELb0ELb0ES3_PKfPffZZZN2at6native31launch_logcumsumexp_cuda_kernelERKNSB_10TensorBaseESF_lENKUlvE_clEvENKUlvE0_clEvEUlffE_fEEDaPvRmT3_T4_T5_mT6_P12ihipStream_tbENKUlT_T0_E_clISt17integral_constantIbLb0EESV_IbLb1EEEEDaSR_SS_EUlSR_E_NS1_11comp_targetILNS1_3genE8ELNS1_11target_archE1030ELNS1_3gpuE2ELNS1_3repE0EEENS1_30default_config_static_selectorELNS0_4arch9wavefront6targetE0EEEvT1_.num_named_barrier, 0
	.set _ZN7rocprim17ROCPRIM_400000_NS6detail17trampoline_kernelINS0_14default_configENS1_20scan_config_selectorIfEEZZNS1_9scan_implILNS1_25lookback_scan_determinismE0ELb0ELb0ES3_PKfPffZZZN2at6native31launch_logcumsumexp_cuda_kernelERKNSB_10TensorBaseESF_lENKUlvE_clEvENKUlvE0_clEvEUlffE_fEEDaPvRmT3_T4_T5_mT6_P12ihipStream_tbENKUlT_T0_E_clISt17integral_constantIbLb0EESV_IbLb1EEEEDaSR_SS_EUlSR_E_NS1_11comp_targetILNS1_3genE8ELNS1_11target_archE1030ELNS1_3gpuE2ELNS1_3repE0EEENS1_30default_config_static_selectorELNS0_4arch9wavefront6targetE0EEEvT1_.private_seg_size, 0
	.set _ZN7rocprim17ROCPRIM_400000_NS6detail17trampoline_kernelINS0_14default_configENS1_20scan_config_selectorIfEEZZNS1_9scan_implILNS1_25lookback_scan_determinismE0ELb0ELb0ES3_PKfPffZZZN2at6native31launch_logcumsumexp_cuda_kernelERKNSB_10TensorBaseESF_lENKUlvE_clEvENKUlvE0_clEvEUlffE_fEEDaPvRmT3_T4_T5_mT6_P12ihipStream_tbENKUlT_T0_E_clISt17integral_constantIbLb0EESV_IbLb1EEEEDaSR_SS_EUlSR_E_NS1_11comp_targetILNS1_3genE8ELNS1_11target_archE1030ELNS1_3gpuE2ELNS1_3repE0EEENS1_30default_config_static_selectorELNS0_4arch9wavefront6targetE0EEEvT1_.uses_vcc, 0
	.set _ZN7rocprim17ROCPRIM_400000_NS6detail17trampoline_kernelINS0_14default_configENS1_20scan_config_selectorIfEEZZNS1_9scan_implILNS1_25lookback_scan_determinismE0ELb0ELb0ES3_PKfPffZZZN2at6native31launch_logcumsumexp_cuda_kernelERKNSB_10TensorBaseESF_lENKUlvE_clEvENKUlvE0_clEvEUlffE_fEEDaPvRmT3_T4_T5_mT6_P12ihipStream_tbENKUlT_T0_E_clISt17integral_constantIbLb0EESV_IbLb1EEEEDaSR_SS_EUlSR_E_NS1_11comp_targetILNS1_3genE8ELNS1_11target_archE1030ELNS1_3gpuE2ELNS1_3repE0EEENS1_30default_config_static_selectorELNS0_4arch9wavefront6targetE0EEEvT1_.uses_flat_scratch, 0
	.set _ZN7rocprim17ROCPRIM_400000_NS6detail17trampoline_kernelINS0_14default_configENS1_20scan_config_selectorIfEEZZNS1_9scan_implILNS1_25lookback_scan_determinismE0ELb0ELb0ES3_PKfPffZZZN2at6native31launch_logcumsumexp_cuda_kernelERKNSB_10TensorBaseESF_lENKUlvE_clEvENKUlvE0_clEvEUlffE_fEEDaPvRmT3_T4_T5_mT6_P12ihipStream_tbENKUlT_T0_E_clISt17integral_constantIbLb0EESV_IbLb1EEEEDaSR_SS_EUlSR_E_NS1_11comp_targetILNS1_3genE8ELNS1_11target_archE1030ELNS1_3gpuE2ELNS1_3repE0EEENS1_30default_config_static_selectorELNS0_4arch9wavefront6targetE0EEEvT1_.has_dyn_sized_stack, 0
	.set _ZN7rocprim17ROCPRIM_400000_NS6detail17trampoline_kernelINS0_14default_configENS1_20scan_config_selectorIfEEZZNS1_9scan_implILNS1_25lookback_scan_determinismE0ELb0ELb0ES3_PKfPffZZZN2at6native31launch_logcumsumexp_cuda_kernelERKNSB_10TensorBaseESF_lENKUlvE_clEvENKUlvE0_clEvEUlffE_fEEDaPvRmT3_T4_T5_mT6_P12ihipStream_tbENKUlT_T0_E_clISt17integral_constantIbLb0EESV_IbLb1EEEEDaSR_SS_EUlSR_E_NS1_11comp_targetILNS1_3genE8ELNS1_11target_archE1030ELNS1_3gpuE2ELNS1_3repE0EEENS1_30default_config_static_selectorELNS0_4arch9wavefront6targetE0EEEvT1_.has_recursion, 0
	.set _ZN7rocprim17ROCPRIM_400000_NS6detail17trampoline_kernelINS0_14default_configENS1_20scan_config_selectorIfEEZZNS1_9scan_implILNS1_25lookback_scan_determinismE0ELb0ELb0ES3_PKfPffZZZN2at6native31launch_logcumsumexp_cuda_kernelERKNSB_10TensorBaseESF_lENKUlvE_clEvENKUlvE0_clEvEUlffE_fEEDaPvRmT3_T4_T5_mT6_P12ihipStream_tbENKUlT_T0_E_clISt17integral_constantIbLb0EESV_IbLb1EEEEDaSR_SS_EUlSR_E_NS1_11comp_targetILNS1_3genE8ELNS1_11target_archE1030ELNS1_3gpuE2ELNS1_3repE0EEENS1_30default_config_static_selectorELNS0_4arch9wavefront6targetE0EEEvT1_.has_indirect_call, 0
	.section	.AMDGPU.csdata,"",@progbits
; Kernel info:
; codeLenInByte = 0
; TotalNumSgprs: 0
; NumVgprs: 0
; ScratchSize: 0
; MemoryBound: 0
; FloatMode: 240
; IeeeMode: 1
; LDSByteSize: 0 bytes/workgroup (compile time only)
; SGPRBlocks: 0
; VGPRBlocks: 0
; NumSGPRsForWavesPerEU: 1
; NumVGPRsForWavesPerEU: 1
; Occupancy: 16
; WaveLimiterHint : 0
; COMPUTE_PGM_RSRC2:SCRATCH_EN: 0
; COMPUTE_PGM_RSRC2:USER_SGPR: 2
; COMPUTE_PGM_RSRC2:TRAP_HANDLER: 0
; COMPUTE_PGM_RSRC2:TGID_X_EN: 1
; COMPUTE_PGM_RSRC2:TGID_Y_EN: 0
; COMPUTE_PGM_RSRC2:TGID_Z_EN: 0
; COMPUTE_PGM_RSRC2:TIDIG_COMP_CNT: 0
	.section	.text._ZN7rocprim17ROCPRIM_400000_NS6detail17trampoline_kernelINS0_14default_configENS1_20scan_config_selectorIfEEZZNS1_9scan_implILNS1_25lookback_scan_determinismE0ELb0ELb0ES3_PKfPffZZZN2at6native31launch_logcumsumexp_cuda_kernelERKNSB_10TensorBaseESF_lENKUlvE_clEvENKUlvE0_clEvEUlffE_fEEDaPvRmT3_T4_T5_mT6_P12ihipStream_tbENKUlT_T0_E_clISt17integral_constantIbLb0EESV_IbLb1EEEEDaSR_SS_EUlSR_E0_NS1_11comp_targetILNS1_3genE0ELNS1_11target_archE4294967295ELNS1_3gpuE0ELNS1_3repE0EEENS1_30default_config_static_selectorELNS0_4arch9wavefront6targetE0EEEvT1_,"axG",@progbits,_ZN7rocprim17ROCPRIM_400000_NS6detail17trampoline_kernelINS0_14default_configENS1_20scan_config_selectorIfEEZZNS1_9scan_implILNS1_25lookback_scan_determinismE0ELb0ELb0ES3_PKfPffZZZN2at6native31launch_logcumsumexp_cuda_kernelERKNSB_10TensorBaseESF_lENKUlvE_clEvENKUlvE0_clEvEUlffE_fEEDaPvRmT3_T4_T5_mT6_P12ihipStream_tbENKUlT_T0_E_clISt17integral_constantIbLb0EESV_IbLb1EEEEDaSR_SS_EUlSR_E0_NS1_11comp_targetILNS1_3genE0ELNS1_11target_archE4294967295ELNS1_3gpuE0ELNS1_3repE0EEENS1_30default_config_static_selectorELNS0_4arch9wavefront6targetE0EEEvT1_,comdat
	.globl	_ZN7rocprim17ROCPRIM_400000_NS6detail17trampoline_kernelINS0_14default_configENS1_20scan_config_selectorIfEEZZNS1_9scan_implILNS1_25lookback_scan_determinismE0ELb0ELb0ES3_PKfPffZZZN2at6native31launch_logcumsumexp_cuda_kernelERKNSB_10TensorBaseESF_lENKUlvE_clEvENKUlvE0_clEvEUlffE_fEEDaPvRmT3_T4_T5_mT6_P12ihipStream_tbENKUlT_T0_E_clISt17integral_constantIbLb0EESV_IbLb1EEEEDaSR_SS_EUlSR_E0_NS1_11comp_targetILNS1_3genE0ELNS1_11target_archE4294967295ELNS1_3gpuE0ELNS1_3repE0EEENS1_30default_config_static_selectorELNS0_4arch9wavefront6targetE0EEEvT1_ ; -- Begin function _ZN7rocprim17ROCPRIM_400000_NS6detail17trampoline_kernelINS0_14default_configENS1_20scan_config_selectorIfEEZZNS1_9scan_implILNS1_25lookback_scan_determinismE0ELb0ELb0ES3_PKfPffZZZN2at6native31launch_logcumsumexp_cuda_kernelERKNSB_10TensorBaseESF_lENKUlvE_clEvENKUlvE0_clEvEUlffE_fEEDaPvRmT3_T4_T5_mT6_P12ihipStream_tbENKUlT_T0_E_clISt17integral_constantIbLb0EESV_IbLb1EEEEDaSR_SS_EUlSR_E0_NS1_11comp_targetILNS1_3genE0ELNS1_11target_archE4294967295ELNS1_3gpuE0ELNS1_3repE0EEENS1_30default_config_static_selectorELNS0_4arch9wavefront6targetE0EEEvT1_
	.p2align	8
	.type	_ZN7rocprim17ROCPRIM_400000_NS6detail17trampoline_kernelINS0_14default_configENS1_20scan_config_selectorIfEEZZNS1_9scan_implILNS1_25lookback_scan_determinismE0ELb0ELb0ES3_PKfPffZZZN2at6native31launch_logcumsumexp_cuda_kernelERKNSB_10TensorBaseESF_lENKUlvE_clEvENKUlvE0_clEvEUlffE_fEEDaPvRmT3_T4_T5_mT6_P12ihipStream_tbENKUlT_T0_E_clISt17integral_constantIbLb0EESV_IbLb1EEEEDaSR_SS_EUlSR_E0_NS1_11comp_targetILNS1_3genE0ELNS1_11target_archE4294967295ELNS1_3gpuE0ELNS1_3repE0EEENS1_30default_config_static_selectorELNS0_4arch9wavefront6targetE0EEEvT1_,@function
_ZN7rocprim17ROCPRIM_400000_NS6detail17trampoline_kernelINS0_14default_configENS1_20scan_config_selectorIfEEZZNS1_9scan_implILNS1_25lookback_scan_determinismE0ELb0ELb0ES3_PKfPffZZZN2at6native31launch_logcumsumexp_cuda_kernelERKNSB_10TensorBaseESF_lENKUlvE_clEvENKUlvE0_clEvEUlffE_fEEDaPvRmT3_T4_T5_mT6_P12ihipStream_tbENKUlT_T0_E_clISt17integral_constantIbLb0EESV_IbLb1EEEEDaSR_SS_EUlSR_E0_NS1_11comp_targetILNS1_3genE0ELNS1_11target_archE4294967295ELNS1_3gpuE0ELNS1_3repE0EEENS1_30default_config_static_selectorELNS0_4arch9wavefront6targetE0EEEvT1_: ; @_ZN7rocprim17ROCPRIM_400000_NS6detail17trampoline_kernelINS0_14default_configENS1_20scan_config_selectorIfEEZZNS1_9scan_implILNS1_25lookback_scan_determinismE0ELb0ELb0ES3_PKfPffZZZN2at6native31launch_logcumsumexp_cuda_kernelERKNSB_10TensorBaseESF_lENKUlvE_clEvENKUlvE0_clEvEUlffE_fEEDaPvRmT3_T4_T5_mT6_P12ihipStream_tbENKUlT_T0_E_clISt17integral_constantIbLb0EESV_IbLb1EEEEDaSR_SS_EUlSR_E0_NS1_11comp_targetILNS1_3genE0ELNS1_11target_archE4294967295ELNS1_3gpuE0ELNS1_3repE0EEENS1_30default_config_static_selectorELNS0_4arch9wavefront6targetE0EEEvT1_
; %bb.0:
	.section	.rodata,"a",@progbits
	.p2align	6, 0x0
	.amdhsa_kernel _ZN7rocprim17ROCPRIM_400000_NS6detail17trampoline_kernelINS0_14default_configENS1_20scan_config_selectorIfEEZZNS1_9scan_implILNS1_25lookback_scan_determinismE0ELb0ELb0ES3_PKfPffZZZN2at6native31launch_logcumsumexp_cuda_kernelERKNSB_10TensorBaseESF_lENKUlvE_clEvENKUlvE0_clEvEUlffE_fEEDaPvRmT3_T4_T5_mT6_P12ihipStream_tbENKUlT_T0_E_clISt17integral_constantIbLb0EESV_IbLb1EEEEDaSR_SS_EUlSR_E0_NS1_11comp_targetILNS1_3genE0ELNS1_11target_archE4294967295ELNS1_3gpuE0ELNS1_3repE0EEENS1_30default_config_static_selectorELNS0_4arch9wavefront6targetE0EEEvT1_
		.amdhsa_group_segment_fixed_size 0
		.amdhsa_private_segment_fixed_size 0
		.amdhsa_kernarg_size 32
		.amdhsa_user_sgpr_count 2
		.amdhsa_user_sgpr_dispatch_ptr 0
		.amdhsa_user_sgpr_queue_ptr 0
		.amdhsa_user_sgpr_kernarg_segment_ptr 1
		.amdhsa_user_sgpr_dispatch_id 0
		.amdhsa_user_sgpr_private_segment_size 0
		.amdhsa_wavefront_size32 1
		.amdhsa_uses_dynamic_stack 0
		.amdhsa_enable_private_segment 0
		.amdhsa_system_sgpr_workgroup_id_x 1
		.amdhsa_system_sgpr_workgroup_id_y 0
		.amdhsa_system_sgpr_workgroup_id_z 0
		.amdhsa_system_sgpr_workgroup_info 0
		.amdhsa_system_vgpr_workitem_id 0
		.amdhsa_next_free_vgpr 1
		.amdhsa_next_free_sgpr 1
		.amdhsa_reserve_vcc 0
		.amdhsa_float_round_mode_32 0
		.amdhsa_float_round_mode_16_64 0
		.amdhsa_float_denorm_mode_32 3
		.amdhsa_float_denorm_mode_16_64 3
		.amdhsa_fp16_overflow 0
		.amdhsa_workgroup_processor_mode 1
		.amdhsa_memory_ordered 1
		.amdhsa_forward_progress 1
		.amdhsa_inst_pref_size 0
		.amdhsa_round_robin_scheduling 0
		.amdhsa_exception_fp_ieee_invalid_op 0
		.amdhsa_exception_fp_denorm_src 0
		.amdhsa_exception_fp_ieee_div_zero 0
		.amdhsa_exception_fp_ieee_overflow 0
		.amdhsa_exception_fp_ieee_underflow 0
		.amdhsa_exception_fp_ieee_inexact 0
		.amdhsa_exception_int_div_zero 0
	.end_amdhsa_kernel
	.section	.text._ZN7rocprim17ROCPRIM_400000_NS6detail17trampoline_kernelINS0_14default_configENS1_20scan_config_selectorIfEEZZNS1_9scan_implILNS1_25lookback_scan_determinismE0ELb0ELb0ES3_PKfPffZZZN2at6native31launch_logcumsumexp_cuda_kernelERKNSB_10TensorBaseESF_lENKUlvE_clEvENKUlvE0_clEvEUlffE_fEEDaPvRmT3_T4_T5_mT6_P12ihipStream_tbENKUlT_T0_E_clISt17integral_constantIbLb0EESV_IbLb1EEEEDaSR_SS_EUlSR_E0_NS1_11comp_targetILNS1_3genE0ELNS1_11target_archE4294967295ELNS1_3gpuE0ELNS1_3repE0EEENS1_30default_config_static_selectorELNS0_4arch9wavefront6targetE0EEEvT1_,"axG",@progbits,_ZN7rocprim17ROCPRIM_400000_NS6detail17trampoline_kernelINS0_14default_configENS1_20scan_config_selectorIfEEZZNS1_9scan_implILNS1_25lookback_scan_determinismE0ELb0ELb0ES3_PKfPffZZZN2at6native31launch_logcumsumexp_cuda_kernelERKNSB_10TensorBaseESF_lENKUlvE_clEvENKUlvE0_clEvEUlffE_fEEDaPvRmT3_T4_T5_mT6_P12ihipStream_tbENKUlT_T0_E_clISt17integral_constantIbLb0EESV_IbLb1EEEEDaSR_SS_EUlSR_E0_NS1_11comp_targetILNS1_3genE0ELNS1_11target_archE4294967295ELNS1_3gpuE0ELNS1_3repE0EEENS1_30default_config_static_selectorELNS0_4arch9wavefront6targetE0EEEvT1_,comdat
.Lfunc_end162:
	.size	_ZN7rocprim17ROCPRIM_400000_NS6detail17trampoline_kernelINS0_14default_configENS1_20scan_config_selectorIfEEZZNS1_9scan_implILNS1_25lookback_scan_determinismE0ELb0ELb0ES3_PKfPffZZZN2at6native31launch_logcumsumexp_cuda_kernelERKNSB_10TensorBaseESF_lENKUlvE_clEvENKUlvE0_clEvEUlffE_fEEDaPvRmT3_T4_T5_mT6_P12ihipStream_tbENKUlT_T0_E_clISt17integral_constantIbLb0EESV_IbLb1EEEEDaSR_SS_EUlSR_E0_NS1_11comp_targetILNS1_3genE0ELNS1_11target_archE4294967295ELNS1_3gpuE0ELNS1_3repE0EEENS1_30default_config_static_selectorELNS0_4arch9wavefront6targetE0EEEvT1_, .Lfunc_end162-_ZN7rocprim17ROCPRIM_400000_NS6detail17trampoline_kernelINS0_14default_configENS1_20scan_config_selectorIfEEZZNS1_9scan_implILNS1_25lookback_scan_determinismE0ELb0ELb0ES3_PKfPffZZZN2at6native31launch_logcumsumexp_cuda_kernelERKNSB_10TensorBaseESF_lENKUlvE_clEvENKUlvE0_clEvEUlffE_fEEDaPvRmT3_T4_T5_mT6_P12ihipStream_tbENKUlT_T0_E_clISt17integral_constantIbLb0EESV_IbLb1EEEEDaSR_SS_EUlSR_E0_NS1_11comp_targetILNS1_3genE0ELNS1_11target_archE4294967295ELNS1_3gpuE0ELNS1_3repE0EEENS1_30default_config_static_selectorELNS0_4arch9wavefront6targetE0EEEvT1_
                                        ; -- End function
	.set _ZN7rocprim17ROCPRIM_400000_NS6detail17trampoline_kernelINS0_14default_configENS1_20scan_config_selectorIfEEZZNS1_9scan_implILNS1_25lookback_scan_determinismE0ELb0ELb0ES3_PKfPffZZZN2at6native31launch_logcumsumexp_cuda_kernelERKNSB_10TensorBaseESF_lENKUlvE_clEvENKUlvE0_clEvEUlffE_fEEDaPvRmT3_T4_T5_mT6_P12ihipStream_tbENKUlT_T0_E_clISt17integral_constantIbLb0EESV_IbLb1EEEEDaSR_SS_EUlSR_E0_NS1_11comp_targetILNS1_3genE0ELNS1_11target_archE4294967295ELNS1_3gpuE0ELNS1_3repE0EEENS1_30default_config_static_selectorELNS0_4arch9wavefront6targetE0EEEvT1_.num_vgpr, 0
	.set _ZN7rocprim17ROCPRIM_400000_NS6detail17trampoline_kernelINS0_14default_configENS1_20scan_config_selectorIfEEZZNS1_9scan_implILNS1_25lookback_scan_determinismE0ELb0ELb0ES3_PKfPffZZZN2at6native31launch_logcumsumexp_cuda_kernelERKNSB_10TensorBaseESF_lENKUlvE_clEvENKUlvE0_clEvEUlffE_fEEDaPvRmT3_T4_T5_mT6_P12ihipStream_tbENKUlT_T0_E_clISt17integral_constantIbLb0EESV_IbLb1EEEEDaSR_SS_EUlSR_E0_NS1_11comp_targetILNS1_3genE0ELNS1_11target_archE4294967295ELNS1_3gpuE0ELNS1_3repE0EEENS1_30default_config_static_selectorELNS0_4arch9wavefront6targetE0EEEvT1_.num_agpr, 0
	.set _ZN7rocprim17ROCPRIM_400000_NS6detail17trampoline_kernelINS0_14default_configENS1_20scan_config_selectorIfEEZZNS1_9scan_implILNS1_25lookback_scan_determinismE0ELb0ELb0ES3_PKfPffZZZN2at6native31launch_logcumsumexp_cuda_kernelERKNSB_10TensorBaseESF_lENKUlvE_clEvENKUlvE0_clEvEUlffE_fEEDaPvRmT3_T4_T5_mT6_P12ihipStream_tbENKUlT_T0_E_clISt17integral_constantIbLb0EESV_IbLb1EEEEDaSR_SS_EUlSR_E0_NS1_11comp_targetILNS1_3genE0ELNS1_11target_archE4294967295ELNS1_3gpuE0ELNS1_3repE0EEENS1_30default_config_static_selectorELNS0_4arch9wavefront6targetE0EEEvT1_.numbered_sgpr, 0
	.set _ZN7rocprim17ROCPRIM_400000_NS6detail17trampoline_kernelINS0_14default_configENS1_20scan_config_selectorIfEEZZNS1_9scan_implILNS1_25lookback_scan_determinismE0ELb0ELb0ES3_PKfPffZZZN2at6native31launch_logcumsumexp_cuda_kernelERKNSB_10TensorBaseESF_lENKUlvE_clEvENKUlvE0_clEvEUlffE_fEEDaPvRmT3_T4_T5_mT6_P12ihipStream_tbENKUlT_T0_E_clISt17integral_constantIbLb0EESV_IbLb1EEEEDaSR_SS_EUlSR_E0_NS1_11comp_targetILNS1_3genE0ELNS1_11target_archE4294967295ELNS1_3gpuE0ELNS1_3repE0EEENS1_30default_config_static_selectorELNS0_4arch9wavefront6targetE0EEEvT1_.num_named_barrier, 0
	.set _ZN7rocprim17ROCPRIM_400000_NS6detail17trampoline_kernelINS0_14default_configENS1_20scan_config_selectorIfEEZZNS1_9scan_implILNS1_25lookback_scan_determinismE0ELb0ELb0ES3_PKfPffZZZN2at6native31launch_logcumsumexp_cuda_kernelERKNSB_10TensorBaseESF_lENKUlvE_clEvENKUlvE0_clEvEUlffE_fEEDaPvRmT3_T4_T5_mT6_P12ihipStream_tbENKUlT_T0_E_clISt17integral_constantIbLb0EESV_IbLb1EEEEDaSR_SS_EUlSR_E0_NS1_11comp_targetILNS1_3genE0ELNS1_11target_archE4294967295ELNS1_3gpuE0ELNS1_3repE0EEENS1_30default_config_static_selectorELNS0_4arch9wavefront6targetE0EEEvT1_.private_seg_size, 0
	.set _ZN7rocprim17ROCPRIM_400000_NS6detail17trampoline_kernelINS0_14default_configENS1_20scan_config_selectorIfEEZZNS1_9scan_implILNS1_25lookback_scan_determinismE0ELb0ELb0ES3_PKfPffZZZN2at6native31launch_logcumsumexp_cuda_kernelERKNSB_10TensorBaseESF_lENKUlvE_clEvENKUlvE0_clEvEUlffE_fEEDaPvRmT3_T4_T5_mT6_P12ihipStream_tbENKUlT_T0_E_clISt17integral_constantIbLb0EESV_IbLb1EEEEDaSR_SS_EUlSR_E0_NS1_11comp_targetILNS1_3genE0ELNS1_11target_archE4294967295ELNS1_3gpuE0ELNS1_3repE0EEENS1_30default_config_static_selectorELNS0_4arch9wavefront6targetE0EEEvT1_.uses_vcc, 0
	.set _ZN7rocprim17ROCPRIM_400000_NS6detail17trampoline_kernelINS0_14default_configENS1_20scan_config_selectorIfEEZZNS1_9scan_implILNS1_25lookback_scan_determinismE0ELb0ELb0ES3_PKfPffZZZN2at6native31launch_logcumsumexp_cuda_kernelERKNSB_10TensorBaseESF_lENKUlvE_clEvENKUlvE0_clEvEUlffE_fEEDaPvRmT3_T4_T5_mT6_P12ihipStream_tbENKUlT_T0_E_clISt17integral_constantIbLb0EESV_IbLb1EEEEDaSR_SS_EUlSR_E0_NS1_11comp_targetILNS1_3genE0ELNS1_11target_archE4294967295ELNS1_3gpuE0ELNS1_3repE0EEENS1_30default_config_static_selectorELNS0_4arch9wavefront6targetE0EEEvT1_.uses_flat_scratch, 0
	.set _ZN7rocprim17ROCPRIM_400000_NS6detail17trampoline_kernelINS0_14default_configENS1_20scan_config_selectorIfEEZZNS1_9scan_implILNS1_25lookback_scan_determinismE0ELb0ELb0ES3_PKfPffZZZN2at6native31launch_logcumsumexp_cuda_kernelERKNSB_10TensorBaseESF_lENKUlvE_clEvENKUlvE0_clEvEUlffE_fEEDaPvRmT3_T4_T5_mT6_P12ihipStream_tbENKUlT_T0_E_clISt17integral_constantIbLb0EESV_IbLb1EEEEDaSR_SS_EUlSR_E0_NS1_11comp_targetILNS1_3genE0ELNS1_11target_archE4294967295ELNS1_3gpuE0ELNS1_3repE0EEENS1_30default_config_static_selectorELNS0_4arch9wavefront6targetE0EEEvT1_.has_dyn_sized_stack, 0
	.set _ZN7rocprim17ROCPRIM_400000_NS6detail17trampoline_kernelINS0_14default_configENS1_20scan_config_selectorIfEEZZNS1_9scan_implILNS1_25lookback_scan_determinismE0ELb0ELb0ES3_PKfPffZZZN2at6native31launch_logcumsumexp_cuda_kernelERKNSB_10TensorBaseESF_lENKUlvE_clEvENKUlvE0_clEvEUlffE_fEEDaPvRmT3_T4_T5_mT6_P12ihipStream_tbENKUlT_T0_E_clISt17integral_constantIbLb0EESV_IbLb1EEEEDaSR_SS_EUlSR_E0_NS1_11comp_targetILNS1_3genE0ELNS1_11target_archE4294967295ELNS1_3gpuE0ELNS1_3repE0EEENS1_30default_config_static_selectorELNS0_4arch9wavefront6targetE0EEEvT1_.has_recursion, 0
	.set _ZN7rocprim17ROCPRIM_400000_NS6detail17trampoline_kernelINS0_14default_configENS1_20scan_config_selectorIfEEZZNS1_9scan_implILNS1_25lookback_scan_determinismE0ELb0ELb0ES3_PKfPffZZZN2at6native31launch_logcumsumexp_cuda_kernelERKNSB_10TensorBaseESF_lENKUlvE_clEvENKUlvE0_clEvEUlffE_fEEDaPvRmT3_T4_T5_mT6_P12ihipStream_tbENKUlT_T0_E_clISt17integral_constantIbLb0EESV_IbLb1EEEEDaSR_SS_EUlSR_E0_NS1_11comp_targetILNS1_3genE0ELNS1_11target_archE4294967295ELNS1_3gpuE0ELNS1_3repE0EEENS1_30default_config_static_selectorELNS0_4arch9wavefront6targetE0EEEvT1_.has_indirect_call, 0
	.section	.AMDGPU.csdata,"",@progbits
; Kernel info:
; codeLenInByte = 0
; TotalNumSgprs: 0
; NumVgprs: 0
; ScratchSize: 0
; MemoryBound: 0
; FloatMode: 240
; IeeeMode: 1
; LDSByteSize: 0 bytes/workgroup (compile time only)
; SGPRBlocks: 0
; VGPRBlocks: 0
; NumSGPRsForWavesPerEU: 1
; NumVGPRsForWavesPerEU: 1
; Occupancy: 16
; WaveLimiterHint : 0
; COMPUTE_PGM_RSRC2:SCRATCH_EN: 0
; COMPUTE_PGM_RSRC2:USER_SGPR: 2
; COMPUTE_PGM_RSRC2:TRAP_HANDLER: 0
; COMPUTE_PGM_RSRC2:TGID_X_EN: 1
; COMPUTE_PGM_RSRC2:TGID_Y_EN: 0
; COMPUTE_PGM_RSRC2:TGID_Z_EN: 0
; COMPUTE_PGM_RSRC2:TIDIG_COMP_CNT: 0
	.section	.text._ZN7rocprim17ROCPRIM_400000_NS6detail17trampoline_kernelINS0_14default_configENS1_20scan_config_selectorIfEEZZNS1_9scan_implILNS1_25lookback_scan_determinismE0ELb0ELb0ES3_PKfPffZZZN2at6native31launch_logcumsumexp_cuda_kernelERKNSB_10TensorBaseESF_lENKUlvE_clEvENKUlvE0_clEvEUlffE_fEEDaPvRmT3_T4_T5_mT6_P12ihipStream_tbENKUlT_T0_E_clISt17integral_constantIbLb0EESV_IbLb1EEEEDaSR_SS_EUlSR_E0_NS1_11comp_targetILNS1_3genE5ELNS1_11target_archE942ELNS1_3gpuE9ELNS1_3repE0EEENS1_30default_config_static_selectorELNS0_4arch9wavefront6targetE0EEEvT1_,"axG",@progbits,_ZN7rocprim17ROCPRIM_400000_NS6detail17trampoline_kernelINS0_14default_configENS1_20scan_config_selectorIfEEZZNS1_9scan_implILNS1_25lookback_scan_determinismE0ELb0ELb0ES3_PKfPffZZZN2at6native31launch_logcumsumexp_cuda_kernelERKNSB_10TensorBaseESF_lENKUlvE_clEvENKUlvE0_clEvEUlffE_fEEDaPvRmT3_T4_T5_mT6_P12ihipStream_tbENKUlT_T0_E_clISt17integral_constantIbLb0EESV_IbLb1EEEEDaSR_SS_EUlSR_E0_NS1_11comp_targetILNS1_3genE5ELNS1_11target_archE942ELNS1_3gpuE9ELNS1_3repE0EEENS1_30default_config_static_selectorELNS0_4arch9wavefront6targetE0EEEvT1_,comdat
	.globl	_ZN7rocprim17ROCPRIM_400000_NS6detail17trampoline_kernelINS0_14default_configENS1_20scan_config_selectorIfEEZZNS1_9scan_implILNS1_25lookback_scan_determinismE0ELb0ELb0ES3_PKfPffZZZN2at6native31launch_logcumsumexp_cuda_kernelERKNSB_10TensorBaseESF_lENKUlvE_clEvENKUlvE0_clEvEUlffE_fEEDaPvRmT3_T4_T5_mT6_P12ihipStream_tbENKUlT_T0_E_clISt17integral_constantIbLb0EESV_IbLb1EEEEDaSR_SS_EUlSR_E0_NS1_11comp_targetILNS1_3genE5ELNS1_11target_archE942ELNS1_3gpuE9ELNS1_3repE0EEENS1_30default_config_static_selectorELNS0_4arch9wavefront6targetE0EEEvT1_ ; -- Begin function _ZN7rocprim17ROCPRIM_400000_NS6detail17trampoline_kernelINS0_14default_configENS1_20scan_config_selectorIfEEZZNS1_9scan_implILNS1_25lookback_scan_determinismE0ELb0ELb0ES3_PKfPffZZZN2at6native31launch_logcumsumexp_cuda_kernelERKNSB_10TensorBaseESF_lENKUlvE_clEvENKUlvE0_clEvEUlffE_fEEDaPvRmT3_T4_T5_mT6_P12ihipStream_tbENKUlT_T0_E_clISt17integral_constantIbLb0EESV_IbLb1EEEEDaSR_SS_EUlSR_E0_NS1_11comp_targetILNS1_3genE5ELNS1_11target_archE942ELNS1_3gpuE9ELNS1_3repE0EEENS1_30default_config_static_selectorELNS0_4arch9wavefront6targetE0EEEvT1_
	.p2align	8
	.type	_ZN7rocprim17ROCPRIM_400000_NS6detail17trampoline_kernelINS0_14default_configENS1_20scan_config_selectorIfEEZZNS1_9scan_implILNS1_25lookback_scan_determinismE0ELb0ELb0ES3_PKfPffZZZN2at6native31launch_logcumsumexp_cuda_kernelERKNSB_10TensorBaseESF_lENKUlvE_clEvENKUlvE0_clEvEUlffE_fEEDaPvRmT3_T4_T5_mT6_P12ihipStream_tbENKUlT_T0_E_clISt17integral_constantIbLb0EESV_IbLb1EEEEDaSR_SS_EUlSR_E0_NS1_11comp_targetILNS1_3genE5ELNS1_11target_archE942ELNS1_3gpuE9ELNS1_3repE0EEENS1_30default_config_static_selectorELNS0_4arch9wavefront6targetE0EEEvT1_,@function
_ZN7rocprim17ROCPRIM_400000_NS6detail17trampoline_kernelINS0_14default_configENS1_20scan_config_selectorIfEEZZNS1_9scan_implILNS1_25lookback_scan_determinismE0ELb0ELb0ES3_PKfPffZZZN2at6native31launch_logcumsumexp_cuda_kernelERKNSB_10TensorBaseESF_lENKUlvE_clEvENKUlvE0_clEvEUlffE_fEEDaPvRmT3_T4_T5_mT6_P12ihipStream_tbENKUlT_T0_E_clISt17integral_constantIbLb0EESV_IbLb1EEEEDaSR_SS_EUlSR_E0_NS1_11comp_targetILNS1_3genE5ELNS1_11target_archE942ELNS1_3gpuE9ELNS1_3repE0EEENS1_30default_config_static_selectorELNS0_4arch9wavefront6targetE0EEEvT1_: ; @_ZN7rocprim17ROCPRIM_400000_NS6detail17trampoline_kernelINS0_14default_configENS1_20scan_config_selectorIfEEZZNS1_9scan_implILNS1_25lookback_scan_determinismE0ELb0ELb0ES3_PKfPffZZZN2at6native31launch_logcumsumexp_cuda_kernelERKNSB_10TensorBaseESF_lENKUlvE_clEvENKUlvE0_clEvEUlffE_fEEDaPvRmT3_T4_T5_mT6_P12ihipStream_tbENKUlT_T0_E_clISt17integral_constantIbLb0EESV_IbLb1EEEEDaSR_SS_EUlSR_E0_NS1_11comp_targetILNS1_3genE5ELNS1_11target_archE942ELNS1_3gpuE9ELNS1_3repE0EEENS1_30default_config_static_selectorELNS0_4arch9wavefront6targetE0EEEvT1_
; %bb.0:
	.section	.rodata,"a",@progbits
	.p2align	6, 0x0
	.amdhsa_kernel _ZN7rocprim17ROCPRIM_400000_NS6detail17trampoline_kernelINS0_14default_configENS1_20scan_config_selectorIfEEZZNS1_9scan_implILNS1_25lookback_scan_determinismE0ELb0ELb0ES3_PKfPffZZZN2at6native31launch_logcumsumexp_cuda_kernelERKNSB_10TensorBaseESF_lENKUlvE_clEvENKUlvE0_clEvEUlffE_fEEDaPvRmT3_T4_T5_mT6_P12ihipStream_tbENKUlT_T0_E_clISt17integral_constantIbLb0EESV_IbLb1EEEEDaSR_SS_EUlSR_E0_NS1_11comp_targetILNS1_3genE5ELNS1_11target_archE942ELNS1_3gpuE9ELNS1_3repE0EEENS1_30default_config_static_selectorELNS0_4arch9wavefront6targetE0EEEvT1_
		.amdhsa_group_segment_fixed_size 0
		.amdhsa_private_segment_fixed_size 0
		.amdhsa_kernarg_size 32
		.amdhsa_user_sgpr_count 2
		.amdhsa_user_sgpr_dispatch_ptr 0
		.amdhsa_user_sgpr_queue_ptr 0
		.amdhsa_user_sgpr_kernarg_segment_ptr 1
		.amdhsa_user_sgpr_dispatch_id 0
		.amdhsa_user_sgpr_private_segment_size 0
		.amdhsa_wavefront_size32 1
		.amdhsa_uses_dynamic_stack 0
		.amdhsa_enable_private_segment 0
		.amdhsa_system_sgpr_workgroup_id_x 1
		.amdhsa_system_sgpr_workgroup_id_y 0
		.amdhsa_system_sgpr_workgroup_id_z 0
		.amdhsa_system_sgpr_workgroup_info 0
		.amdhsa_system_vgpr_workitem_id 0
		.amdhsa_next_free_vgpr 1
		.amdhsa_next_free_sgpr 1
		.amdhsa_reserve_vcc 0
		.amdhsa_float_round_mode_32 0
		.amdhsa_float_round_mode_16_64 0
		.amdhsa_float_denorm_mode_32 3
		.amdhsa_float_denorm_mode_16_64 3
		.amdhsa_fp16_overflow 0
		.amdhsa_workgroup_processor_mode 1
		.amdhsa_memory_ordered 1
		.amdhsa_forward_progress 1
		.amdhsa_inst_pref_size 0
		.amdhsa_round_robin_scheduling 0
		.amdhsa_exception_fp_ieee_invalid_op 0
		.amdhsa_exception_fp_denorm_src 0
		.amdhsa_exception_fp_ieee_div_zero 0
		.amdhsa_exception_fp_ieee_overflow 0
		.amdhsa_exception_fp_ieee_underflow 0
		.amdhsa_exception_fp_ieee_inexact 0
		.amdhsa_exception_int_div_zero 0
	.end_amdhsa_kernel
	.section	.text._ZN7rocprim17ROCPRIM_400000_NS6detail17trampoline_kernelINS0_14default_configENS1_20scan_config_selectorIfEEZZNS1_9scan_implILNS1_25lookback_scan_determinismE0ELb0ELb0ES3_PKfPffZZZN2at6native31launch_logcumsumexp_cuda_kernelERKNSB_10TensorBaseESF_lENKUlvE_clEvENKUlvE0_clEvEUlffE_fEEDaPvRmT3_T4_T5_mT6_P12ihipStream_tbENKUlT_T0_E_clISt17integral_constantIbLb0EESV_IbLb1EEEEDaSR_SS_EUlSR_E0_NS1_11comp_targetILNS1_3genE5ELNS1_11target_archE942ELNS1_3gpuE9ELNS1_3repE0EEENS1_30default_config_static_selectorELNS0_4arch9wavefront6targetE0EEEvT1_,"axG",@progbits,_ZN7rocprim17ROCPRIM_400000_NS6detail17trampoline_kernelINS0_14default_configENS1_20scan_config_selectorIfEEZZNS1_9scan_implILNS1_25lookback_scan_determinismE0ELb0ELb0ES3_PKfPffZZZN2at6native31launch_logcumsumexp_cuda_kernelERKNSB_10TensorBaseESF_lENKUlvE_clEvENKUlvE0_clEvEUlffE_fEEDaPvRmT3_T4_T5_mT6_P12ihipStream_tbENKUlT_T0_E_clISt17integral_constantIbLb0EESV_IbLb1EEEEDaSR_SS_EUlSR_E0_NS1_11comp_targetILNS1_3genE5ELNS1_11target_archE942ELNS1_3gpuE9ELNS1_3repE0EEENS1_30default_config_static_selectorELNS0_4arch9wavefront6targetE0EEEvT1_,comdat
.Lfunc_end163:
	.size	_ZN7rocprim17ROCPRIM_400000_NS6detail17trampoline_kernelINS0_14default_configENS1_20scan_config_selectorIfEEZZNS1_9scan_implILNS1_25lookback_scan_determinismE0ELb0ELb0ES3_PKfPffZZZN2at6native31launch_logcumsumexp_cuda_kernelERKNSB_10TensorBaseESF_lENKUlvE_clEvENKUlvE0_clEvEUlffE_fEEDaPvRmT3_T4_T5_mT6_P12ihipStream_tbENKUlT_T0_E_clISt17integral_constantIbLb0EESV_IbLb1EEEEDaSR_SS_EUlSR_E0_NS1_11comp_targetILNS1_3genE5ELNS1_11target_archE942ELNS1_3gpuE9ELNS1_3repE0EEENS1_30default_config_static_selectorELNS0_4arch9wavefront6targetE0EEEvT1_, .Lfunc_end163-_ZN7rocprim17ROCPRIM_400000_NS6detail17trampoline_kernelINS0_14default_configENS1_20scan_config_selectorIfEEZZNS1_9scan_implILNS1_25lookback_scan_determinismE0ELb0ELb0ES3_PKfPffZZZN2at6native31launch_logcumsumexp_cuda_kernelERKNSB_10TensorBaseESF_lENKUlvE_clEvENKUlvE0_clEvEUlffE_fEEDaPvRmT3_T4_T5_mT6_P12ihipStream_tbENKUlT_T0_E_clISt17integral_constantIbLb0EESV_IbLb1EEEEDaSR_SS_EUlSR_E0_NS1_11comp_targetILNS1_3genE5ELNS1_11target_archE942ELNS1_3gpuE9ELNS1_3repE0EEENS1_30default_config_static_selectorELNS0_4arch9wavefront6targetE0EEEvT1_
                                        ; -- End function
	.set _ZN7rocprim17ROCPRIM_400000_NS6detail17trampoline_kernelINS0_14default_configENS1_20scan_config_selectorIfEEZZNS1_9scan_implILNS1_25lookback_scan_determinismE0ELb0ELb0ES3_PKfPffZZZN2at6native31launch_logcumsumexp_cuda_kernelERKNSB_10TensorBaseESF_lENKUlvE_clEvENKUlvE0_clEvEUlffE_fEEDaPvRmT3_T4_T5_mT6_P12ihipStream_tbENKUlT_T0_E_clISt17integral_constantIbLb0EESV_IbLb1EEEEDaSR_SS_EUlSR_E0_NS1_11comp_targetILNS1_3genE5ELNS1_11target_archE942ELNS1_3gpuE9ELNS1_3repE0EEENS1_30default_config_static_selectorELNS0_4arch9wavefront6targetE0EEEvT1_.num_vgpr, 0
	.set _ZN7rocprim17ROCPRIM_400000_NS6detail17trampoline_kernelINS0_14default_configENS1_20scan_config_selectorIfEEZZNS1_9scan_implILNS1_25lookback_scan_determinismE0ELb0ELb0ES3_PKfPffZZZN2at6native31launch_logcumsumexp_cuda_kernelERKNSB_10TensorBaseESF_lENKUlvE_clEvENKUlvE0_clEvEUlffE_fEEDaPvRmT3_T4_T5_mT6_P12ihipStream_tbENKUlT_T0_E_clISt17integral_constantIbLb0EESV_IbLb1EEEEDaSR_SS_EUlSR_E0_NS1_11comp_targetILNS1_3genE5ELNS1_11target_archE942ELNS1_3gpuE9ELNS1_3repE0EEENS1_30default_config_static_selectorELNS0_4arch9wavefront6targetE0EEEvT1_.num_agpr, 0
	.set _ZN7rocprim17ROCPRIM_400000_NS6detail17trampoline_kernelINS0_14default_configENS1_20scan_config_selectorIfEEZZNS1_9scan_implILNS1_25lookback_scan_determinismE0ELb0ELb0ES3_PKfPffZZZN2at6native31launch_logcumsumexp_cuda_kernelERKNSB_10TensorBaseESF_lENKUlvE_clEvENKUlvE0_clEvEUlffE_fEEDaPvRmT3_T4_T5_mT6_P12ihipStream_tbENKUlT_T0_E_clISt17integral_constantIbLb0EESV_IbLb1EEEEDaSR_SS_EUlSR_E0_NS1_11comp_targetILNS1_3genE5ELNS1_11target_archE942ELNS1_3gpuE9ELNS1_3repE0EEENS1_30default_config_static_selectorELNS0_4arch9wavefront6targetE0EEEvT1_.numbered_sgpr, 0
	.set _ZN7rocprim17ROCPRIM_400000_NS6detail17trampoline_kernelINS0_14default_configENS1_20scan_config_selectorIfEEZZNS1_9scan_implILNS1_25lookback_scan_determinismE0ELb0ELb0ES3_PKfPffZZZN2at6native31launch_logcumsumexp_cuda_kernelERKNSB_10TensorBaseESF_lENKUlvE_clEvENKUlvE0_clEvEUlffE_fEEDaPvRmT3_T4_T5_mT6_P12ihipStream_tbENKUlT_T0_E_clISt17integral_constantIbLb0EESV_IbLb1EEEEDaSR_SS_EUlSR_E0_NS1_11comp_targetILNS1_3genE5ELNS1_11target_archE942ELNS1_3gpuE9ELNS1_3repE0EEENS1_30default_config_static_selectorELNS0_4arch9wavefront6targetE0EEEvT1_.num_named_barrier, 0
	.set _ZN7rocprim17ROCPRIM_400000_NS6detail17trampoline_kernelINS0_14default_configENS1_20scan_config_selectorIfEEZZNS1_9scan_implILNS1_25lookback_scan_determinismE0ELb0ELb0ES3_PKfPffZZZN2at6native31launch_logcumsumexp_cuda_kernelERKNSB_10TensorBaseESF_lENKUlvE_clEvENKUlvE0_clEvEUlffE_fEEDaPvRmT3_T4_T5_mT6_P12ihipStream_tbENKUlT_T0_E_clISt17integral_constantIbLb0EESV_IbLb1EEEEDaSR_SS_EUlSR_E0_NS1_11comp_targetILNS1_3genE5ELNS1_11target_archE942ELNS1_3gpuE9ELNS1_3repE0EEENS1_30default_config_static_selectorELNS0_4arch9wavefront6targetE0EEEvT1_.private_seg_size, 0
	.set _ZN7rocprim17ROCPRIM_400000_NS6detail17trampoline_kernelINS0_14default_configENS1_20scan_config_selectorIfEEZZNS1_9scan_implILNS1_25lookback_scan_determinismE0ELb0ELb0ES3_PKfPffZZZN2at6native31launch_logcumsumexp_cuda_kernelERKNSB_10TensorBaseESF_lENKUlvE_clEvENKUlvE0_clEvEUlffE_fEEDaPvRmT3_T4_T5_mT6_P12ihipStream_tbENKUlT_T0_E_clISt17integral_constantIbLb0EESV_IbLb1EEEEDaSR_SS_EUlSR_E0_NS1_11comp_targetILNS1_3genE5ELNS1_11target_archE942ELNS1_3gpuE9ELNS1_3repE0EEENS1_30default_config_static_selectorELNS0_4arch9wavefront6targetE0EEEvT1_.uses_vcc, 0
	.set _ZN7rocprim17ROCPRIM_400000_NS6detail17trampoline_kernelINS0_14default_configENS1_20scan_config_selectorIfEEZZNS1_9scan_implILNS1_25lookback_scan_determinismE0ELb0ELb0ES3_PKfPffZZZN2at6native31launch_logcumsumexp_cuda_kernelERKNSB_10TensorBaseESF_lENKUlvE_clEvENKUlvE0_clEvEUlffE_fEEDaPvRmT3_T4_T5_mT6_P12ihipStream_tbENKUlT_T0_E_clISt17integral_constantIbLb0EESV_IbLb1EEEEDaSR_SS_EUlSR_E0_NS1_11comp_targetILNS1_3genE5ELNS1_11target_archE942ELNS1_3gpuE9ELNS1_3repE0EEENS1_30default_config_static_selectorELNS0_4arch9wavefront6targetE0EEEvT1_.uses_flat_scratch, 0
	.set _ZN7rocprim17ROCPRIM_400000_NS6detail17trampoline_kernelINS0_14default_configENS1_20scan_config_selectorIfEEZZNS1_9scan_implILNS1_25lookback_scan_determinismE0ELb0ELb0ES3_PKfPffZZZN2at6native31launch_logcumsumexp_cuda_kernelERKNSB_10TensorBaseESF_lENKUlvE_clEvENKUlvE0_clEvEUlffE_fEEDaPvRmT3_T4_T5_mT6_P12ihipStream_tbENKUlT_T0_E_clISt17integral_constantIbLb0EESV_IbLb1EEEEDaSR_SS_EUlSR_E0_NS1_11comp_targetILNS1_3genE5ELNS1_11target_archE942ELNS1_3gpuE9ELNS1_3repE0EEENS1_30default_config_static_selectorELNS0_4arch9wavefront6targetE0EEEvT1_.has_dyn_sized_stack, 0
	.set _ZN7rocprim17ROCPRIM_400000_NS6detail17trampoline_kernelINS0_14default_configENS1_20scan_config_selectorIfEEZZNS1_9scan_implILNS1_25lookback_scan_determinismE0ELb0ELb0ES3_PKfPffZZZN2at6native31launch_logcumsumexp_cuda_kernelERKNSB_10TensorBaseESF_lENKUlvE_clEvENKUlvE0_clEvEUlffE_fEEDaPvRmT3_T4_T5_mT6_P12ihipStream_tbENKUlT_T0_E_clISt17integral_constantIbLb0EESV_IbLb1EEEEDaSR_SS_EUlSR_E0_NS1_11comp_targetILNS1_3genE5ELNS1_11target_archE942ELNS1_3gpuE9ELNS1_3repE0EEENS1_30default_config_static_selectorELNS0_4arch9wavefront6targetE0EEEvT1_.has_recursion, 0
	.set _ZN7rocprim17ROCPRIM_400000_NS6detail17trampoline_kernelINS0_14default_configENS1_20scan_config_selectorIfEEZZNS1_9scan_implILNS1_25lookback_scan_determinismE0ELb0ELb0ES3_PKfPffZZZN2at6native31launch_logcumsumexp_cuda_kernelERKNSB_10TensorBaseESF_lENKUlvE_clEvENKUlvE0_clEvEUlffE_fEEDaPvRmT3_T4_T5_mT6_P12ihipStream_tbENKUlT_T0_E_clISt17integral_constantIbLb0EESV_IbLb1EEEEDaSR_SS_EUlSR_E0_NS1_11comp_targetILNS1_3genE5ELNS1_11target_archE942ELNS1_3gpuE9ELNS1_3repE0EEENS1_30default_config_static_selectorELNS0_4arch9wavefront6targetE0EEEvT1_.has_indirect_call, 0
	.section	.AMDGPU.csdata,"",@progbits
; Kernel info:
; codeLenInByte = 0
; TotalNumSgprs: 0
; NumVgprs: 0
; ScratchSize: 0
; MemoryBound: 0
; FloatMode: 240
; IeeeMode: 1
; LDSByteSize: 0 bytes/workgroup (compile time only)
; SGPRBlocks: 0
; VGPRBlocks: 0
; NumSGPRsForWavesPerEU: 1
; NumVGPRsForWavesPerEU: 1
; Occupancy: 16
; WaveLimiterHint : 0
; COMPUTE_PGM_RSRC2:SCRATCH_EN: 0
; COMPUTE_PGM_RSRC2:USER_SGPR: 2
; COMPUTE_PGM_RSRC2:TRAP_HANDLER: 0
; COMPUTE_PGM_RSRC2:TGID_X_EN: 1
; COMPUTE_PGM_RSRC2:TGID_Y_EN: 0
; COMPUTE_PGM_RSRC2:TGID_Z_EN: 0
; COMPUTE_PGM_RSRC2:TIDIG_COMP_CNT: 0
	.section	.text._ZN7rocprim17ROCPRIM_400000_NS6detail17trampoline_kernelINS0_14default_configENS1_20scan_config_selectorIfEEZZNS1_9scan_implILNS1_25lookback_scan_determinismE0ELb0ELb0ES3_PKfPffZZZN2at6native31launch_logcumsumexp_cuda_kernelERKNSB_10TensorBaseESF_lENKUlvE_clEvENKUlvE0_clEvEUlffE_fEEDaPvRmT3_T4_T5_mT6_P12ihipStream_tbENKUlT_T0_E_clISt17integral_constantIbLb0EESV_IbLb1EEEEDaSR_SS_EUlSR_E0_NS1_11comp_targetILNS1_3genE4ELNS1_11target_archE910ELNS1_3gpuE8ELNS1_3repE0EEENS1_30default_config_static_selectorELNS0_4arch9wavefront6targetE0EEEvT1_,"axG",@progbits,_ZN7rocprim17ROCPRIM_400000_NS6detail17trampoline_kernelINS0_14default_configENS1_20scan_config_selectorIfEEZZNS1_9scan_implILNS1_25lookback_scan_determinismE0ELb0ELb0ES3_PKfPffZZZN2at6native31launch_logcumsumexp_cuda_kernelERKNSB_10TensorBaseESF_lENKUlvE_clEvENKUlvE0_clEvEUlffE_fEEDaPvRmT3_T4_T5_mT6_P12ihipStream_tbENKUlT_T0_E_clISt17integral_constantIbLb0EESV_IbLb1EEEEDaSR_SS_EUlSR_E0_NS1_11comp_targetILNS1_3genE4ELNS1_11target_archE910ELNS1_3gpuE8ELNS1_3repE0EEENS1_30default_config_static_selectorELNS0_4arch9wavefront6targetE0EEEvT1_,comdat
	.globl	_ZN7rocprim17ROCPRIM_400000_NS6detail17trampoline_kernelINS0_14default_configENS1_20scan_config_selectorIfEEZZNS1_9scan_implILNS1_25lookback_scan_determinismE0ELb0ELb0ES3_PKfPffZZZN2at6native31launch_logcumsumexp_cuda_kernelERKNSB_10TensorBaseESF_lENKUlvE_clEvENKUlvE0_clEvEUlffE_fEEDaPvRmT3_T4_T5_mT6_P12ihipStream_tbENKUlT_T0_E_clISt17integral_constantIbLb0EESV_IbLb1EEEEDaSR_SS_EUlSR_E0_NS1_11comp_targetILNS1_3genE4ELNS1_11target_archE910ELNS1_3gpuE8ELNS1_3repE0EEENS1_30default_config_static_selectorELNS0_4arch9wavefront6targetE0EEEvT1_ ; -- Begin function _ZN7rocprim17ROCPRIM_400000_NS6detail17trampoline_kernelINS0_14default_configENS1_20scan_config_selectorIfEEZZNS1_9scan_implILNS1_25lookback_scan_determinismE0ELb0ELb0ES3_PKfPffZZZN2at6native31launch_logcumsumexp_cuda_kernelERKNSB_10TensorBaseESF_lENKUlvE_clEvENKUlvE0_clEvEUlffE_fEEDaPvRmT3_T4_T5_mT6_P12ihipStream_tbENKUlT_T0_E_clISt17integral_constantIbLb0EESV_IbLb1EEEEDaSR_SS_EUlSR_E0_NS1_11comp_targetILNS1_3genE4ELNS1_11target_archE910ELNS1_3gpuE8ELNS1_3repE0EEENS1_30default_config_static_selectorELNS0_4arch9wavefront6targetE0EEEvT1_
	.p2align	8
	.type	_ZN7rocprim17ROCPRIM_400000_NS6detail17trampoline_kernelINS0_14default_configENS1_20scan_config_selectorIfEEZZNS1_9scan_implILNS1_25lookback_scan_determinismE0ELb0ELb0ES3_PKfPffZZZN2at6native31launch_logcumsumexp_cuda_kernelERKNSB_10TensorBaseESF_lENKUlvE_clEvENKUlvE0_clEvEUlffE_fEEDaPvRmT3_T4_T5_mT6_P12ihipStream_tbENKUlT_T0_E_clISt17integral_constantIbLb0EESV_IbLb1EEEEDaSR_SS_EUlSR_E0_NS1_11comp_targetILNS1_3genE4ELNS1_11target_archE910ELNS1_3gpuE8ELNS1_3repE0EEENS1_30default_config_static_selectorELNS0_4arch9wavefront6targetE0EEEvT1_,@function
_ZN7rocprim17ROCPRIM_400000_NS6detail17trampoline_kernelINS0_14default_configENS1_20scan_config_selectorIfEEZZNS1_9scan_implILNS1_25lookback_scan_determinismE0ELb0ELb0ES3_PKfPffZZZN2at6native31launch_logcumsumexp_cuda_kernelERKNSB_10TensorBaseESF_lENKUlvE_clEvENKUlvE0_clEvEUlffE_fEEDaPvRmT3_T4_T5_mT6_P12ihipStream_tbENKUlT_T0_E_clISt17integral_constantIbLb0EESV_IbLb1EEEEDaSR_SS_EUlSR_E0_NS1_11comp_targetILNS1_3genE4ELNS1_11target_archE910ELNS1_3gpuE8ELNS1_3repE0EEENS1_30default_config_static_selectorELNS0_4arch9wavefront6targetE0EEEvT1_: ; @_ZN7rocprim17ROCPRIM_400000_NS6detail17trampoline_kernelINS0_14default_configENS1_20scan_config_selectorIfEEZZNS1_9scan_implILNS1_25lookback_scan_determinismE0ELb0ELb0ES3_PKfPffZZZN2at6native31launch_logcumsumexp_cuda_kernelERKNSB_10TensorBaseESF_lENKUlvE_clEvENKUlvE0_clEvEUlffE_fEEDaPvRmT3_T4_T5_mT6_P12ihipStream_tbENKUlT_T0_E_clISt17integral_constantIbLb0EESV_IbLb1EEEEDaSR_SS_EUlSR_E0_NS1_11comp_targetILNS1_3genE4ELNS1_11target_archE910ELNS1_3gpuE8ELNS1_3repE0EEENS1_30default_config_static_selectorELNS0_4arch9wavefront6targetE0EEEvT1_
; %bb.0:
	.section	.rodata,"a",@progbits
	.p2align	6, 0x0
	.amdhsa_kernel _ZN7rocprim17ROCPRIM_400000_NS6detail17trampoline_kernelINS0_14default_configENS1_20scan_config_selectorIfEEZZNS1_9scan_implILNS1_25lookback_scan_determinismE0ELb0ELb0ES3_PKfPffZZZN2at6native31launch_logcumsumexp_cuda_kernelERKNSB_10TensorBaseESF_lENKUlvE_clEvENKUlvE0_clEvEUlffE_fEEDaPvRmT3_T4_T5_mT6_P12ihipStream_tbENKUlT_T0_E_clISt17integral_constantIbLb0EESV_IbLb1EEEEDaSR_SS_EUlSR_E0_NS1_11comp_targetILNS1_3genE4ELNS1_11target_archE910ELNS1_3gpuE8ELNS1_3repE0EEENS1_30default_config_static_selectorELNS0_4arch9wavefront6targetE0EEEvT1_
		.amdhsa_group_segment_fixed_size 0
		.amdhsa_private_segment_fixed_size 0
		.amdhsa_kernarg_size 32
		.amdhsa_user_sgpr_count 2
		.amdhsa_user_sgpr_dispatch_ptr 0
		.amdhsa_user_sgpr_queue_ptr 0
		.amdhsa_user_sgpr_kernarg_segment_ptr 1
		.amdhsa_user_sgpr_dispatch_id 0
		.amdhsa_user_sgpr_private_segment_size 0
		.amdhsa_wavefront_size32 1
		.amdhsa_uses_dynamic_stack 0
		.amdhsa_enable_private_segment 0
		.amdhsa_system_sgpr_workgroup_id_x 1
		.amdhsa_system_sgpr_workgroup_id_y 0
		.amdhsa_system_sgpr_workgroup_id_z 0
		.amdhsa_system_sgpr_workgroup_info 0
		.amdhsa_system_vgpr_workitem_id 0
		.amdhsa_next_free_vgpr 1
		.amdhsa_next_free_sgpr 1
		.amdhsa_reserve_vcc 0
		.amdhsa_float_round_mode_32 0
		.amdhsa_float_round_mode_16_64 0
		.amdhsa_float_denorm_mode_32 3
		.amdhsa_float_denorm_mode_16_64 3
		.amdhsa_fp16_overflow 0
		.amdhsa_workgroup_processor_mode 1
		.amdhsa_memory_ordered 1
		.amdhsa_forward_progress 1
		.amdhsa_inst_pref_size 0
		.amdhsa_round_robin_scheduling 0
		.amdhsa_exception_fp_ieee_invalid_op 0
		.amdhsa_exception_fp_denorm_src 0
		.amdhsa_exception_fp_ieee_div_zero 0
		.amdhsa_exception_fp_ieee_overflow 0
		.amdhsa_exception_fp_ieee_underflow 0
		.amdhsa_exception_fp_ieee_inexact 0
		.amdhsa_exception_int_div_zero 0
	.end_amdhsa_kernel
	.section	.text._ZN7rocprim17ROCPRIM_400000_NS6detail17trampoline_kernelINS0_14default_configENS1_20scan_config_selectorIfEEZZNS1_9scan_implILNS1_25lookback_scan_determinismE0ELb0ELb0ES3_PKfPffZZZN2at6native31launch_logcumsumexp_cuda_kernelERKNSB_10TensorBaseESF_lENKUlvE_clEvENKUlvE0_clEvEUlffE_fEEDaPvRmT3_T4_T5_mT6_P12ihipStream_tbENKUlT_T0_E_clISt17integral_constantIbLb0EESV_IbLb1EEEEDaSR_SS_EUlSR_E0_NS1_11comp_targetILNS1_3genE4ELNS1_11target_archE910ELNS1_3gpuE8ELNS1_3repE0EEENS1_30default_config_static_selectorELNS0_4arch9wavefront6targetE0EEEvT1_,"axG",@progbits,_ZN7rocprim17ROCPRIM_400000_NS6detail17trampoline_kernelINS0_14default_configENS1_20scan_config_selectorIfEEZZNS1_9scan_implILNS1_25lookback_scan_determinismE0ELb0ELb0ES3_PKfPffZZZN2at6native31launch_logcumsumexp_cuda_kernelERKNSB_10TensorBaseESF_lENKUlvE_clEvENKUlvE0_clEvEUlffE_fEEDaPvRmT3_T4_T5_mT6_P12ihipStream_tbENKUlT_T0_E_clISt17integral_constantIbLb0EESV_IbLb1EEEEDaSR_SS_EUlSR_E0_NS1_11comp_targetILNS1_3genE4ELNS1_11target_archE910ELNS1_3gpuE8ELNS1_3repE0EEENS1_30default_config_static_selectorELNS0_4arch9wavefront6targetE0EEEvT1_,comdat
.Lfunc_end164:
	.size	_ZN7rocprim17ROCPRIM_400000_NS6detail17trampoline_kernelINS0_14default_configENS1_20scan_config_selectorIfEEZZNS1_9scan_implILNS1_25lookback_scan_determinismE0ELb0ELb0ES3_PKfPffZZZN2at6native31launch_logcumsumexp_cuda_kernelERKNSB_10TensorBaseESF_lENKUlvE_clEvENKUlvE0_clEvEUlffE_fEEDaPvRmT3_T4_T5_mT6_P12ihipStream_tbENKUlT_T0_E_clISt17integral_constantIbLb0EESV_IbLb1EEEEDaSR_SS_EUlSR_E0_NS1_11comp_targetILNS1_3genE4ELNS1_11target_archE910ELNS1_3gpuE8ELNS1_3repE0EEENS1_30default_config_static_selectorELNS0_4arch9wavefront6targetE0EEEvT1_, .Lfunc_end164-_ZN7rocprim17ROCPRIM_400000_NS6detail17trampoline_kernelINS0_14default_configENS1_20scan_config_selectorIfEEZZNS1_9scan_implILNS1_25lookback_scan_determinismE0ELb0ELb0ES3_PKfPffZZZN2at6native31launch_logcumsumexp_cuda_kernelERKNSB_10TensorBaseESF_lENKUlvE_clEvENKUlvE0_clEvEUlffE_fEEDaPvRmT3_T4_T5_mT6_P12ihipStream_tbENKUlT_T0_E_clISt17integral_constantIbLb0EESV_IbLb1EEEEDaSR_SS_EUlSR_E0_NS1_11comp_targetILNS1_3genE4ELNS1_11target_archE910ELNS1_3gpuE8ELNS1_3repE0EEENS1_30default_config_static_selectorELNS0_4arch9wavefront6targetE0EEEvT1_
                                        ; -- End function
	.set _ZN7rocprim17ROCPRIM_400000_NS6detail17trampoline_kernelINS0_14default_configENS1_20scan_config_selectorIfEEZZNS1_9scan_implILNS1_25lookback_scan_determinismE0ELb0ELb0ES3_PKfPffZZZN2at6native31launch_logcumsumexp_cuda_kernelERKNSB_10TensorBaseESF_lENKUlvE_clEvENKUlvE0_clEvEUlffE_fEEDaPvRmT3_T4_T5_mT6_P12ihipStream_tbENKUlT_T0_E_clISt17integral_constantIbLb0EESV_IbLb1EEEEDaSR_SS_EUlSR_E0_NS1_11comp_targetILNS1_3genE4ELNS1_11target_archE910ELNS1_3gpuE8ELNS1_3repE0EEENS1_30default_config_static_selectorELNS0_4arch9wavefront6targetE0EEEvT1_.num_vgpr, 0
	.set _ZN7rocprim17ROCPRIM_400000_NS6detail17trampoline_kernelINS0_14default_configENS1_20scan_config_selectorIfEEZZNS1_9scan_implILNS1_25lookback_scan_determinismE0ELb0ELb0ES3_PKfPffZZZN2at6native31launch_logcumsumexp_cuda_kernelERKNSB_10TensorBaseESF_lENKUlvE_clEvENKUlvE0_clEvEUlffE_fEEDaPvRmT3_T4_T5_mT6_P12ihipStream_tbENKUlT_T0_E_clISt17integral_constantIbLb0EESV_IbLb1EEEEDaSR_SS_EUlSR_E0_NS1_11comp_targetILNS1_3genE4ELNS1_11target_archE910ELNS1_3gpuE8ELNS1_3repE0EEENS1_30default_config_static_selectorELNS0_4arch9wavefront6targetE0EEEvT1_.num_agpr, 0
	.set _ZN7rocprim17ROCPRIM_400000_NS6detail17trampoline_kernelINS0_14default_configENS1_20scan_config_selectorIfEEZZNS1_9scan_implILNS1_25lookback_scan_determinismE0ELb0ELb0ES3_PKfPffZZZN2at6native31launch_logcumsumexp_cuda_kernelERKNSB_10TensorBaseESF_lENKUlvE_clEvENKUlvE0_clEvEUlffE_fEEDaPvRmT3_T4_T5_mT6_P12ihipStream_tbENKUlT_T0_E_clISt17integral_constantIbLb0EESV_IbLb1EEEEDaSR_SS_EUlSR_E0_NS1_11comp_targetILNS1_3genE4ELNS1_11target_archE910ELNS1_3gpuE8ELNS1_3repE0EEENS1_30default_config_static_selectorELNS0_4arch9wavefront6targetE0EEEvT1_.numbered_sgpr, 0
	.set _ZN7rocprim17ROCPRIM_400000_NS6detail17trampoline_kernelINS0_14default_configENS1_20scan_config_selectorIfEEZZNS1_9scan_implILNS1_25lookback_scan_determinismE0ELb0ELb0ES3_PKfPffZZZN2at6native31launch_logcumsumexp_cuda_kernelERKNSB_10TensorBaseESF_lENKUlvE_clEvENKUlvE0_clEvEUlffE_fEEDaPvRmT3_T4_T5_mT6_P12ihipStream_tbENKUlT_T0_E_clISt17integral_constantIbLb0EESV_IbLb1EEEEDaSR_SS_EUlSR_E0_NS1_11comp_targetILNS1_3genE4ELNS1_11target_archE910ELNS1_3gpuE8ELNS1_3repE0EEENS1_30default_config_static_selectorELNS0_4arch9wavefront6targetE0EEEvT1_.num_named_barrier, 0
	.set _ZN7rocprim17ROCPRIM_400000_NS6detail17trampoline_kernelINS0_14default_configENS1_20scan_config_selectorIfEEZZNS1_9scan_implILNS1_25lookback_scan_determinismE0ELb0ELb0ES3_PKfPffZZZN2at6native31launch_logcumsumexp_cuda_kernelERKNSB_10TensorBaseESF_lENKUlvE_clEvENKUlvE0_clEvEUlffE_fEEDaPvRmT3_T4_T5_mT6_P12ihipStream_tbENKUlT_T0_E_clISt17integral_constantIbLb0EESV_IbLb1EEEEDaSR_SS_EUlSR_E0_NS1_11comp_targetILNS1_3genE4ELNS1_11target_archE910ELNS1_3gpuE8ELNS1_3repE0EEENS1_30default_config_static_selectorELNS0_4arch9wavefront6targetE0EEEvT1_.private_seg_size, 0
	.set _ZN7rocprim17ROCPRIM_400000_NS6detail17trampoline_kernelINS0_14default_configENS1_20scan_config_selectorIfEEZZNS1_9scan_implILNS1_25lookback_scan_determinismE0ELb0ELb0ES3_PKfPffZZZN2at6native31launch_logcumsumexp_cuda_kernelERKNSB_10TensorBaseESF_lENKUlvE_clEvENKUlvE0_clEvEUlffE_fEEDaPvRmT3_T4_T5_mT6_P12ihipStream_tbENKUlT_T0_E_clISt17integral_constantIbLb0EESV_IbLb1EEEEDaSR_SS_EUlSR_E0_NS1_11comp_targetILNS1_3genE4ELNS1_11target_archE910ELNS1_3gpuE8ELNS1_3repE0EEENS1_30default_config_static_selectorELNS0_4arch9wavefront6targetE0EEEvT1_.uses_vcc, 0
	.set _ZN7rocprim17ROCPRIM_400000_NS6detail17trampoline_kernelINS0_14default_configENS1_20scan_config_selectorIfEEZZNS1_9scan_implILNS1_25lookback_scan_determinismE0ELb0ELb0ES3_PKfPffZZZN2at6native31launch_logcumsumexp_cuda_kernelERKNSB_10TensorBaseESF_lENKUlvE_clEvENKUlvE0_clEvEUlffE_fEEDaPvRmT3_T4_T5_mT6_P12ihipStream_tbENKUlT_T0_E_clISt17integral_constantIbLb0EESV_IbLb1EEEEDaSR_SS_EUlSR_E0_NS1_11comp_targetILNS1_3genE4ELNS1_11target_archE910ELNS1_3gpuE8ELNS1_3repE0EEENS1_30default_config_static_selectorELNS0_4arch9wavefront6targetE0EEEvT1_.uses_flat_scratch, 0
	.set _ZN7rocprim17ROCPRIM_400000_NS6detail17trampoline_kernelINS0_14default_configENS1_20scan_config_selectorIfEEZZNS1_9scan_implILNS1_25lookback_scan_determinismE0ELb0ELb0ES3_PKfPffZZZN2at6native31launch_logcumsumexp_cuda_kernelERKNSB_10TensorBaseESF_lENKUlvE_clEvENKUlvE0_clEvEUlffE_fEEDaPvRmT3_T4_T5_mT6_P12ihipStream_tbENKUlT_T0_E_clISt17integral_constantIbLb0EESV_IbLb1EEEEDaSR_SS_EUlSR_E0_NS1_11comp_targetILNS1_3genE4ELNS1_11target_archE910ELNS1_3gpuE8ELNS1_3repE0EEENS1_30default_config_static_selectorELNS0_4arch9wavefront6targetE0EEEvT1_.has_dyn_sized_stack, 0
	.set _ZN7rocprim17ROCPRIM_400000_NS6detail17trampoline_kernelINS0_14default_configENS1_20scan_config_selectorIfEEZZNS1_9scan_implILNS1_25lookback_scan_determinismE0ELb0ELb0ES3_PKfPffZZZN2at6native31launch_logcumsumexp_cuda_kernelERKNSB_10TensorBaseESF_lENKUlvE_clEvENKUlvE0_clEvEUlffE_fEEDaPvRmT3_T4_T5_mT6_P12ihipStream_tbENKUlT_T0_E_clISt17integral_constantIbLb0EESV_IbLb1EEEEDaSR_SS_EUlSR_E0_NS1_11comp_targetILNS1_3genE4ELNS1_11target_archE910ELNS1_3gpuE8ELNS1_3repE0EEENS1_30default_config_static_selectorELNS0_4arch9wavefront6targetE0EEEvT1_.has_recursion, 0
	.set _ZN7rocprim17ROCPRIM_400000_NS6detail17trampoline_kernelINS0_14default_configENS1_20scan_config_selectorIfEEZZNS1_9scan_implILNS1_25lookback_scan_determinismE0ELb0ELb0ES3_PKfPffZZZN2at6native31launch_logcumsumexp_cuda_kernelERKNSB_10TensorBaseESF_lENKUlvE_clEvENKUlvE0_clEvEUlffE_fEEDaPvRmT3_T4_T5_mT6_P12ihipStream_tbENKUlT_T0_E_clISt17integral_constantIbLb0EESV_IbLb1EEEEDaSR_SS_EUlSR_E0_NS1_11comp_targetILNS1_3genE4ELNS1_11target_archE910ELNS1_3gpuE8ELNS1_3repE0EEENS1_30default_config_static_selectorELNS0_4arch9wavefront6targetE0EEEvT1_.has_indirect_call, 0
	.section	.AMDGPU.csdata,"",@progbits
; Kernel info:
; codeLenInByte = 0
; TotalNumSgprs: 0
; NumVgprs: 0
; ScratchSize: 0
; MemoryBound: 0
; FloatMode: 240
; IeeeMode: 1
; LDSByteSize: 0 bytes/workgroup (compile time only)
; SGPRBlocks: 0
; VGPRBlocks: 0
; NumSGPRsForWavesPerEU: 1
; NumVGPRsForWavesPerEU: 1
; Occupancy: 16
; WaveLimiterHint : 0
; COMPUTE_PGM_RSRC2:SCRATCH_EN: 0
; COMPUTE_PGM_RSRC2:USER_SGPR: 2
; COMPUTE_PGM_RSRC2:TRAP_HANDLER: 0
; COMPUTE_PGM_RSRC2:TGID_X_EN: 1
; COMPUTE_PGM_RSRC2:TGID_Y_EN: 0
; COMPUTE_PGM_RSRC2:TGID_Z_EN: 0
; COMPUTE_PGM_RSRC2:TIDIG_COMP_CNT: 0
	.section	.text._ZN7rocprim17ROCPRIM_400000_NS6detail17trampoline_kernelINS0_14default_configENS1_20scan_config_selectorIfEEZZNS1_9scan_implILNS1_25lookback_scan_determinismE0ELb0ELb0ES3_PKfPffZZZN2at6native31launch_logcumsumexp_cuda_kernelERKNSB_10TensorBaseESF_lENKUlvE_clEvENKUlvE0_clEvEUlffE_fEEDaPvRmT3_T4_T5_mT6_P12ihipStream_tbENKUlT_T0_E_clISt17integral_constantIbLb0EESV_IbLb1EEEEDaSR_SS_EUlSR_E0_NS1_11comp_targetILNS1_3genE3ELNS1_11target_archE908ELNS1_3gpuE7ELNS1_3repE0EEENS1_30default_config_static_selectorELNS0_4arch9wavefront6targetE0EEEvT1_,"axG",@progbits,_ZN7rocprim17ROCPRIM_400000_NS6detail17trampoline_kernelINS0_14default_configENS1_20scan_config_selectorIfEEZZNS1_9scan_implILNS1_25lookback_scan_determinismE0ELb0ELb0ES3_PKfPffZZZN2at6native31launch_logcumsumexp_cuda_kernelERKNSB_10TensorBaseESF_lENKUlvE_clEvENKUlvE0_clEvEUlffE_fEEDaPvRmT3_T4_T5_mT6_P12ihipStream_tbENKUlT_T0_E_clISt17integral_constantIbLb0EESV_IbLb1EEEEDaSR_SS_EUlSR_E0_NS1_11comp_targetILNS1_3genE3ELNS1_11target_archE908ELNS1_3gpuE7ELNS1_3repE0EEENS1_30default_config_static_selectorELNS0_4arch9wavefront6targetE0EEEvT1_,comdat
	.globl	_ZN7rocprim17ROCPRIM_400000_NS6detail17trampoline_kernelINS0_14default_configENS1_20scan_config_selectorIfEEZZNS1_9scan_implILNS1_25lookback_scan_determinismE0ELb0ELb0ES3_PKfPffZZZN2at6native31launch_logcumsumexp_cuda_kernelERKNSB_10TensorBaseESF_lENKUlvE_clEvENKUlvE0_clEvEUlffE_fEEDaPvRmT3_T4_T5_mT6_P12ihipStream_tbENKUlT_T0_E_clISt17integral_constantIbLb0EESV_IbLb1EEEEDaSR_SS_EUlSR_E0_NS1_11comp_targetILNS1_3genE3ELNS1_11target_archE908ELNS1_3gpuE7ELNS1_3repE0EEENS1_30default_config_static_selectorELNS0_4arch9wavefront6targetE0EEEvT1_ ; -- Begin function _ZN7rocprim17ROCPRIM_400000_NS6detail17trampoline_kernelINS0_14default_configENS1_20scan_config_selectorIfEEZZNS1_9scan_implILNS1_25lookback_scan_determinismE0ELb0ELb0ES3_PKfPffZZZN2at6native31launch_logcumsumexp_cuda_kernelERKNSB_10TensorBaseESF_lENKUlvE_clEvENKUlvE0_clEvEUlffE_fEEDaPvRmT3_T4_T5_mT6_P12ihipStream_tbENKUlT_T0_E_clISt17integral_constantIbLb0EESV_IbLb1EEEEDaSR_SS_EUlSR_E0_NS1_11comp_targetILNS1_3genE3ELNS1_11target_archE908ELNS1_3gpuE7ELNS1_3repE0EEENS1_30default_config_static_selectorELNS0_4arch9wavefront6targetE0EEEvT1_
	.p2align	8
	.type	_ZN7rocprim17ROCPRIM_400000_NS6detail17trampoline_kernelINS0_14default_configENS1_20scan_config_selectorIfEEZZNS1_9scan_implILNS1_25lookback_scan_determinismE0ELb0ELb0ES3_PKfPffZZZN2at6native31launch_logcumsumexp_cuda_kernelERKNSB_10TensorBaseESF_lENKUlvE_clEvENKUlvE0_clEvEUlffE_fEEDaPvRmT3_T4_T5_mT6_P12ihipStream_tbENKUlT_T0_E_clISt17integral_constantIbLb0EESV_IbLb1EEEEDaSR_SS_EUlSR_E0_NS1_11comp_targetILNS1_3genE3ELNS1_11target_archE908ELNS1_3gpuE7ELNS1_3repE0EEENS1_30default_config_static_selectorELNS0_4arch9wavefront6targetE0EEEvT1_,@function
_ZN7rocprim17ROCPRIM_400000_NS6detail17trampoline_kernelINS0_14default_configENS1_20scan_config_selectorIfEEZZNS1_9scan_implILNS1_25lookback_scan_determinismE0ELb0ELb0ES3_PKfPffZZZN2at6native31launch_logcumsumexp_cuda_kernelERKNSB_10TensorBaseESF_lENKUlvE_clEvENKUlvE0_clEvEUlffE_fEEDaPvRmT3_T4_T5_mT6_P12ihipStream_tbENKUlT_T0_E_clISt17integral_constantIbLb0EESV_IbLb1EEEEDaSR_SS_EUlSR_E0_NS1_11comp_targetILNS1_3genE3ELNS1_11target_archE908ELNS1_3gpuE7ELNS1_3repE0EEENS1_30default_config_static_selectorELNS0_4arch9wavefront6targetE0EEEvT1_: ; @_ZN7rocprim17ROCPRIM_400000_NS6detail17trampoline_kernelINS0_14default_configENS1_20scan_config_selectorIfEEZZNS1_9scan_implILNS1_25lookback_scan_determinismE0ELb0ELb0ES3_PKfPffZZZN2at6native31launch_logcumsumexp_cuda_kernelERKNSB_10TensorBaseESF_lENKUlvE_clEvENKUlvE0_clEvEUlffE_fEEDaPvRmT3_T4_T5_mT6_P12ihipStream_tbENKUlT_T0_E_clISt17integral_constantIbLb0EESV_IbLb1EEEEDaSR_SS_EUlSR_E0_NS1_11comp_targetILNS1_3genE3ELNS1_11target_archE908ELNS1_3gpuE7ELNS1_3repE0EEENS1_30default_config_static_selectorELNS0_4arch9wavefront6targetE0EEEvT1_
; %bb.0:
	.section	.rodata,"a",@progbits
	.p2align	6, 0x0
	.amdhsa_kernel _ZN7rocprim17ROCPRIM_400000_NS6detail17trampoline_kernelINS0_14default_configENS1_20scan_config_selectorIfEEZZNS1_9scan_implILNS1_25lookback_scan_determinismE0ELb0ELb0ES3_PKfPffZZZN2at6native31launch_logcumsumexp_cuda_kernelERKNSB_10TensorBaseESF_lENKUlvE_clEvENKUlvE0_clEvEUlffE_fEEDaPvRmT3_T4_T5_mT6_P12ihipStream_tbENKUlT_T0_E_clISt17integral_constantIbLb0EESV_IbLb1EEEEDaSR_SS_EUlSR_E0_NS1_11comp_targetILNS1_3genE3ELNS1_11target_archE908ELNS1_3gpuE7ELNS1_3repE0EEENS1_30default_config_static_selectorELNS0_4arch9wavefront6targetE0EEEvT1_
		.amdhsa_group_segment_fixed_size 0
		.amdhsa_private_segment_fixed_size 0
		.amdhsa_kernarg_size 32
		.amdhsa_user_sgpr_count 2
		.amdhsa_user_sgpr_dispatch_ptr 0
		.amdhsa_user_sgpr_queue_ptr 0
		.amdhsa_user_sgpr_kernarg_segment_ptr 1
		.amdhsa_user_sgpr_dispatch_id 0
		.amdhsa_user_sgpr_private_segment_size 0
		.amdhsa_wavefront_size32 1
		.amdhsa_uses_dynamic_stack 0
		.amdhsa_enable_private_segment 0
		.amdhsa_system_sgpr_workgroup_id_x 1
		.amdhsa_system_sgpr_workgroup_id_y 0
		.amdhsa_system_sgpr_workgroup_id_z 0
		.amdhsa_system_sgpr_workgroup_info 0
		.amdhsa_system_vgpr_workitem_id 0
		.amdhsa_next_free_vgpr 1
		.amdhsa_next_free_sgpr 1
		.amdhsa_reserve_vcc 0
		.amdhsa_float_round_mode_32 0
		.amdhsa_float_round_mode_16_64 0
		.amdhsa_float_denorm_mode_32 3
		.amdhsa_float_denorm_mode_16_64 3
		.amdhsa_fp16_overflow 0
		.amdhsa_workgroup_processor_mode 1
		.amdhsa_memory_ordered 1
		.amdhsa_forward_progress 1
		.amdhsa_inst_pref_size 0
		.amdhsa_round_robin_scheduling 0
		.amdhsa_exception_fp_ieee_invalid_op 0
		.amdhsa_exception_fp_denorm_src 0
		.amdhsa_exception_fp_ieee_div_zero 0
		.amdhsa_exception_fp_ieee_overflow 0
		.amdhsa_exception_fp_ieee_underflow 0
		.amdhsa_exception_fp_ieee_inexact 0
		.amdhsa_exception_int_div_zero 0
	.end_amdhsa_kernel
	.section	.text._ZN7rocprim17ROCPRIM_400000_NS6detail17trampoline_kernelINS0_14default_configENS1_20scan_config_selectorIfEEZZNS1_9scan_implILNS1_25lookback_scan_determinismE0ELb0ELb0ES3_PKfPffZZZN2at6native31launch_logcumsumexp_cuda_kernelERKNSB_10TensorBaseESF_lENKUlvE_clEvENKUlvE0_clEvEUlffE_fEEDaPvRmT3_T4_T5_mT6_P12ihipStream_tbENKUlT_T0_E_clISt17integral_constantIbLb0EESV_IbLb1EEEEDaSR_SS_EUlSR_E0_NS1_11comp_targetILNS1_3genE3ELNS1_11target_archE908ELNS1_3gpuE7ELNS1_3repE0EEENS1_30default_config_static_selectorELNS0_4arch9wavefront6targetE0EEEvT1_,"axG",@progbits,_ZN7rocprim17ROCPRIM_400000_NS6detail17trampoline_kernelINS0_14default_configENS1_20scan_config_selectorIfEEZZNS1_9scan_implILNS1_25lookback_scan_determinismE0ELb0ELb0ES3_PKfPffZZZN2at6native31launch_logcumsumexp_cuda_kernelERKNSB_10TensorBaseESF_lENKUlvE_clEvENKUlvE0_clEvEUlffE_fEEDaPvRmT3_T4_T5_mT6_P12ihipStream_tbENKUlT_T0_E_clISt17integral_constantIbLb0EESV_IbLb1EEEEDaSR_SS_EUlSR_E0_NS1_11comp_targetILNS1_3genE3ELNS1_11target_archE908ELNS1_3gpuE7ELNS1_3repE0EEENS1_30default_config_static_selectorELNS0_4arch9wavefront6targetE0EEEvT1_,comdat
.Lfunc_end165:
	.size	_ZN7rocprim17ROCPRIM_400000_NS6detail17trampoline_kernelINS0_14default_configENS1_20scan_config_selectorIfEEZZNS1_9scan_implILNS1_25lookback_scan_determinismE0ELb0ELb0ES3_PKfPffZZZN2at6native31launch_logcumsumexp_cuda_kernelERKNSB_10TensorBaseESF_lENKUlvE_clEvENKUlvE0_clEvEUlffE_fEEDaPvRmT3_T4_T5_mT6_P12ihipStream_tbENKUlT_T0_E_clISt17integral_constantIbLb0EESV_IbLb1EEEEDaSR_SS_EUlSR_E0_NS1_11comp_targetILNS1_3genE3ELNS1_11target_archE908ELNS1_3gpuE7ELNS1_3repE0EEENS1_30default_config_static_selectorELNS0_4arch9wavefront6targetE0EEEvT1_, .Lfunc_end165-_ZN7rocprim17ROCPRIM_400000_NS6detail17trampoline_kernelINS0_14default_configENS1_20scan_config_selectorIfEEZZNS1_9scan_implILNS1_25lookback_scan_determinismE0ELb0ELb0ES3_PKfPffZZZN2at6native31launch_logcumsumexp_cuda_kernelERKNSB_10TensorBaseESF_lENKUlvE_clEvENKUlvE0_clEvEUlffE_fEEDaPvRmT3_T4_T5_mT6_P12ihipStream_tbENKUlT_T0_E_clISt17integral_constantIbLb0EESV_IbLb1EEEEDaSR_SS_EUlSR_E0_NS1_11comp_targetILNS1_3genE3ELNS1_11target_archE908ELNS1_3gpuE7ELNS1_3repE0EEENS1_30default_config_static_selectorELNS0_4arch9wavefront6targetE0EEEvT1_
                                        ; -- End function
	.set _ZN7rocprim17ROCPRIM_400000_NS6detail17trampoline_kernelINS0_14default_configENS1_20scan_config_selectorIfEEZZNS1_9scan_implILNS1_25lookback_scan_determinismE0ELb0ELb0ES3_PKfPffZZZN2at6native31launch_logcumsumexp_cuda_kernelERKNSB_10TensorBaseESF_lENKUlvE_clEvENKUlvE0_clEvEUlffE_fEEDaPvRmT3_T4_T5_mT6_P12ihipStream_tbENKUlT_T0_E_clISt17integral_constantIbLb0EESV_IbLb1EEEEDaSR_SS_EUlSR_E0_NS1_11comp_targetILNS1_3genE3ELNS1_11target_archE908ELNS1_3gpuE7ELNS1_3repE0EEENS1_30default_config_static_selectorELNS0_4arch9wavefront6targetE0EEEvT1_.num_vgpr, 0
	.set _ZN7rocprim17ROCPRIM_400000_NS6detail17trampoline_kernelINS0_14default_configENS1_20scan_config_selectorIfEEZZNS1_9scan_implILNS1_25lookback_scan_determinismE0ELb0ELb0ES3_PKfPffZZZN2at6native31launch_logcumsumexp_cuda_kernelERKNSB_10TensorBaseESF_lENKUlvE_clEvENKUlvE0_clEvEUlffE_fEEDaPvRmT3_T4_T5_mT6_P12ihipStream_tbENKUlT_T0_E_clISt17integral_constantIbLb0EESV_IbLb1EEEEDaSR_SS_EUlSR_E0_NS1_11comp_targetILNS1_3genE3ELNS1_11target_archE908ELNS1_3gpuE7ELNS1_3repE0EEENS1_30default_config_static_selectorELNS0_4arch9wavefront6targetE0EEEvT1_.num_agpr, 0
	.set _ZN7rocprim17ROCPRIM_400000_NS6detail17trampoline_kernelINS0_14default_configENS1_20scan_config_selectorIfEEZZNS1_9scan_implILNS1_25lookback_scan_determinismE0ELb0ELb0ES3_PKfPffZZZN2at6native31launch_logcumsumexp_cuda_kernelERKNSB_10TensorBaseESF_lENKUlvE_clEvENKUlvE0_clEvEUlffE_fEEDaPvRmT3_T4_T5_mT6_P12ihipStream_tbENKUlT_T0_E_clISt17integral_constantIbLb0EESV_IbLb1EEEEDaSR_SS_EUlSR_E0_NS1_11comp_targetILNS1_3genE3ELNS1_11target_archE908ELNS1_3gpuE7ELNS1_3repE0EEENS1_30default_config_static_selectorELNS0_4arch9wavefront6targetE0EEEvT1_.numbered_sgpr, 0
	.set _ZN7rocprim17ROCPRIM_400000_NS6detail17trampoline_kernelINS0_14default_configENS1_20scan_config_selectorIfEEZZNS1_9scan_implILNS1_25lookback_scan_determinismE0ELb0ELb0ES3_PKfPffZZZN2at6native31launch_logcumsumexp_cuda_kernelERKNSB_10TensorBaseESF_lENKUlvE_clEvENKUlvE0_clEvEUlffE_fEEDaPvRmT3_T4_T5_mT6_P12ihipStream_tbENKUlT_T0_E_clISt17integral_constantIbLb0EESV_IbLb1EEEEDaSR_SS_EUlSR_E0_NS1_11comp_targetILNS1_3genE3ELNS1_11target_archE908ELNS1_3gpuE7ELNS1_3repE0EEENS1_30default_config_static_selectorELNS0_4arch9wavefront6targetE0EEEvT1_.num_named_barrier, 0
	.set _ZN7rocprim17ROCPRIM_400000_NS6detail17trampoline_kernelINS0_14default_configENS1_20scan_config_selectorIfEEZZNS1_9scan_implILNS1_25lookback_scan_determinismE0ELb0ELb0ES3_PKfPffZZZN2at6native31launch_logcumsumexp_cuda_kernelERKNSB_10TensorBaseESF_lENKUlvE_clEvENKUlvE0_clEvEUlffE_fEEDaPvRmT3_T4_T5_mT6_P12ihipStream_tbENKUlT_T0_E_clISt17integral_constantIbLb0EESV_IbLb1EEEEDaSR_SS_EUlSR_E0_NS1_11comp_targetILNS1_3genE3ELNS1_11target_archE908ELNS1_3gpuE7ELNS1_3repE0EEENS1_30default_config_static_selectorELNS0_4arch9wavefront6targetE0EEEvT1_.private_seg_size, 0
	.set _ZN7rocprim17ROCPRIM_400000_NS6detail17trampoline_kernelINS0_14default_configENS1_20scan_config_selectorIfEEZZNS1_9scan_implILNS1_25lookback_scan_determinismE0ELb0ELb0ES3_PKfPffZZZN2at6native31launch_logcumsumexp_cuda_kernelERKNSB_10TensorBaseESF_lENKUlvE_clEvENKUlvE0_clEvEUlffE_fEEDaPvRmT3_T4_T5_mT6_P12ihipStream_tbENKUlT_T0_E_clISt17integral_constantIbLb0EESV_IbLb1EEEEDaSR_SS_EUlSR_E0_NS1_11comp_targetILNS1_3genE3ELNS1_11target_archE908ELNS1_3gpuE7ELNS1_3repE0EEENS1_30default_config_static_selectorELNS0_4arch9wavefront6targetE0EEEvT1_.uses_vcc, 0
	.set _ZN7rocprim17ROCPRIM_400000_NS6detail17trampoline_kernelINS0_14default_configENS1_20scan_config_selectorIfEEZZNS1_9scan_implILNS1_25lookback_scan_determinismE0ELb0ELb0ES3_PKfPffZZZN2at6native31launch_logcumsumexp_cuda_kernelERKNSB_10TensorBaseESF_lENKUlvE_clEvENKUlvE0_clEvEUlffE_fEEDaPvRmT3_T4_T5_mT6_P12ihipStream_tbENKUlT_T0_E_clISt17integral_constantIbLb0EESV_IbLb1EEEEDaSR_SS_EUlSR_E0_NS1_11comp_targetILNS1_3genE3ELNS1_11target_archE908ELNS1_3gpuE7ELNS1_3repE0EEENS1_30default_config_static_selectorELNS0_4arch9wavefront6targetE0EEEvT1_.uses_flat_scratch, 0
	.set _ZN7rocprim17ROCPRIM_400000_NS6detail17trampoline_kernelINS0_14default_configENS1_20scan_config_selectorIfEEZZNS1_9scan_implILNS1_25lookback_scan_determinismE0ELb0ELb0ES3_PKfPffZZZN2at6native31launch_logcumsumexp_cuda_kernelERKNSB_10TensorBaseESF_lENKUlvE_clEvENKUlvE0_clEvEUlffE_fEEDaPvRmT3_T4_T5_mT6_P12ihipStream_tbENKUlT_T0_E_clISt17integral_constantIbLb0EESV_IbLb1EEEEDaSR_SS_EUlSR_E0_NS1_11comp_targetILNS1_3genE3ELNS1_11target_archE908ELNS1_3gpuE7ELNS1_3repE0EEENS1_30default_config_static_selectorELNS0_4arch9wavefront6targetE0EEEvT1_.has_dyn_sized_stack, 0
	.set _ZN7rocprim17ROCPRIM_400000_NS6detail17trampoline_kernelINS0_14default_configENS1_20scan_config_selectorIfEEZZNS1_9scan_implILNS1_25lookback_scan_determinismE0ELb0ELb0ES3_PKfPffZZZN2at6native31launch_logcumsumexp_cuda_kernelERKNSB_10TensorBaseESF_lENKUlvE_clEvENKUlvE0_clEvEUlffE_fEEDaPvRmT3_T4_T5_mT6_P12ihipStream_tbENKUlT_T0_E_clISt17integral_constantIbLb0EESV_IbLb1EEEEDaSR_SS_EUlSR_E0_NS1_11comp_targetILNS1_3genE3ELNS1_11target_archE908ELNS1_3gpuE7ELNS1_3repE0EEENS1_30default_config_static_selectorELNS0_4arch9wavefront6targetE0EEEvT1_.has_recursion, 0
	.set _ZN7rocprim17ROCPRIM_400000_NS6detail17trampoline_kernelINS0_14default_configENS1_20scan_config_selectorIfEEZZNS1_9scan_implILNS1_25lookback_scan_determinismE0ELb0ELb0ES3_PKfPffZZZN2at6native31launch_logcumsumexp_cuda_kernelERKNSB_10TensorBaseESF_lENKUlvE_clEvENKUlvE0_clEvEUlffE_fEEDaPvRmT3_T4_T5_mT6_P12ihipStream_tbENKUlT_T0_E_clISt17integral_constantIbLb0EESV_IbLb1EEEEDaSR_SS_EUlSR_E0_NS1_11comp_targetILNS1_3genE3ELNS1_11target_archE908ELNS1_3gpuE7ELNS1_3repE0EEENS1_30default_config_static_selectorELNS0_4arch9wavefront6targetE0EEEvT1_.has_indirect_call, 0
	.section	.AMDGPU.csdata,"",@progbits
; Kernel info:
; codeLenInByte = 0
; TotalNumSgprs: 0
; NumVgprs: 0
; ScratchSize: 0
; MemoryBound: 0
; FloatMode: 240
; IeeeMode: 1
; LDSByteSize: 0 bytes/workgroup (compile time only)
; SGPRBlocks: 0
; VGPRBlocks: 0
; NumSGPRsForWavesPerEU: 1
; NumVGPRsForWavesPerEU: 1
; Occupancy: 16
; WaveLimiterHint : 0
; COMPUTE_PGM_RSRC2:SCRATCH_EN: 0
; COMPUTE_PGM_RSRC2:USER_SGPR: 2
; COMPUTE_PGM_RSRC2:TRAP_HANDLER: 0
; COMPUTE_PGM_RSRC2:TGID_X_EN: 1
; COMPUTE_PGM_RSRC2:TGID_Y_EN: 0
; COMPUTE_PGM_RSRC2:TGID_Z_EN: 0
; COMPUTE_PGM_RSRC2:TIDIG_COMP_CNT: 0
	.section	.text._ZN7rocprim17ROCPRIM_400000_NS6detail17trampoline_kernelINS0_14default_configENS1_20scan_config_selectorIfEEZZNS1_9scan_implILNS1_25lookback_scan_determinismE0ELb0ELb0ES3_PKfPffZZZN2at6native31launch_logcumsumexp_cuda_kernelERKNSB_10TensorBaseESF_lENKUlvE_clEvENKUlvE0_clEvEUlffE_fEEDaPvRmT3_T4_T5_mT6_P12ihipStream_tbENKUlT_T0_E_clISt17integral_constantIbLb0EESV_IbLb1EEEEDaSR_SS_EUlSR_E0_NS1_11comp_targetILNS1_3genE2ELNS1_11target_archE906ELNS1_3gpuE6ELNS1_3repE0EEENS1_30default_config_static_selectorELNS0_4arch9wavefront6targetE0EEEvT1_,"axG",@progbits,_ZN7rocprim17ROCPRIM_400000_NS6detail17trampoline_kernelINS0_14default_configENS1_20scan_config_selectorIfEEZZNS1_9scan_implILNS1_25lookback_scan_determinismE0ELb0ELb0ES3_PKfPffZZZN2at6native31launch_logcumsumexp_cuda_kernelERKNSB_10TensorBaseESF_lENKUlvE_clEvENKUlvE0_clEvEUlffE_fEEDaPvRmT3_T4_T5_mT6_P12ihipStream_tbENKUlT_T0_E_clISt17integral_constantIbLb0EESV_IbLb1EEEEDaSR_SS_EUlSR_E0_NS1_11comp_targetILNS1_3genE2ELNS1_11target_archE906ELNS1_3gpuE6ELNS1_3repE0EEENS1_30default_config_static_selectorELNS0_4arch9wavefront6targetE0EEEvT1_,comdat
	.globl	_ZN7rocprim17ROCPRIM_400000_NS6detail17trampoline_kernelINS0_14default_configENS1_20scan_config_selectorIfEEZZNS1_9scan_implILNS1_25lookback_scan_determinismE0ELb0ELb0ES3_PKfPffZZZN2at6native31launch_logcumsumexp_cuda_kernelERKNSB_10TensorBaseESF_lENKUlvE_clEvENKUlvE0_clEvEUlffE_fEEDaPvRmT3_T4_T5_mT6_P12ihipStream_tbENKUlT_T0_E_clISt17integral_constantIbLb0EESV_IbLb1EEEEDaSR_SS_EUlSR_E0_NS1_11comp_targetILNS1_3genE2ELNS1_11target_archE906ELNS1_3gpuE6ELNS1_3repE0EEENS1_30default_config_static_selectorELNS0_4arch9wavefront6targetE0EEEvT1_ ; -- Begin function _ZN7rocprim17ROCPRIM_400000_NS6detail17trampoline_kernelINS0_14default_configENS1_20scan_config_selectorIfEEZZNS1_9scan_implILNS1_25lookback_scan_determinismE0ELb0ELb0ES3_PKfPffZZZN2at6native31launch_logcumsumexp_cuda_kernelERKNSB_10TensorBaseESF_lENKUlvE_clEvENKUlvE0_clEvEUlffE_fEEDaPvRmT3_T4_T5_mT6_P12ihipStream_tbENKUlT_T0_E_clISt17integral_constantIbLb0EESV_IbLb1EEEEDaSR_SS_EUlSR_E0_NS1_11comp_targetILNS1_3genE2ELNS1_11target_archE906ELNS1_3gpuE6ELNS1_3repE0EEENS1_30default_config_static_selectorELNS0_4arch9wavefront6targetE0EEEvT1_
	.p2align	8
	.type	_ZN7rocprim17ROCPRIM_400000_NS6detail17trampoline_kernelINS0_14default_configENS1_20scan_config_selectorIfEEZZNS1_9scan_implILNS1_25lookback_scan_determinismE0ELb0ELb0ES3_PKfPffZZZN2at6native31launch_logcumsumexp_cuda_kernelERKNSB_10TensorBaseESF_lENKUlvE_clEvENKUlvE0_clEvEUlffE_fEEDaPvRmT3_T4_T5_mT6_P12ihipStream_tbENKUlT_T0_E_clISt17integral_constantIbLb0EESV_IbLb1EEEEDaSR_SS_EUlSR_E0_NS1_11comp_targetILNS1_3genE2ELNS1_11target_archE906ELNS1_3gpuE6ELNS1_3repE0EEENS1_30default_config_static_selectorELNS0_4arch9wavefront6targetE0EEEvT1_,@function
_ZN7rocprim17ROCPRIM_400000_NS6detail17trampoline_kernelINS0_14default_configENS1_20scan_config_selectorIfEEZZNS1_9scan_implILNS1_25lookback_scan_determinismE0ELb0ELb0ES3_PKfPffZZZN2at6native31launch_logcumsumexp_cuda_kernelERKNSB_10TensorBaseESF_lENKUlvE_clEvENKUlvE0_clEvEUlffE_fEEDaPvRmT3_T4_T5_mT6_P12ihipStream_tbENKUlT_T0_E_clISt17integral_constantIbLb0EESV_IbLb1EEEEDaSR_SS_EUlSR_E0_NS1_11comp_targetILNS1_3genE2ELNS1_11target_archE906ELNS1_3gpuE6ELNS1_3repE0EEENS1_30default_config_static_selectorELNS0_4arch9wavefront6targetE0EEEvT1_: ; @_ZN7rocprim17ROCPRIM_400000_NS6detail17trampoline_kernelINS0_14default_configENS1_20scan_config_selectorIfEEZZNS1_9scan_implILNS1_25lookback_scan_determinismE0ELb0ELb0ES3_PKfPffZZZN2at6native31launch_logcumsumexp_cuda_kernelERKNSB_10TensorBaseESF_lENKUlvE_clEvENKUlvE0_clEvEUlffE_fEEDaPvRmT3_T4_T5_mT6_P12ihipStream_tbENKUlT_T0_E_clISt17integral_constantIbLb0EESV_IbLb1EEEEDaSR_SS_EUlSR_E0_NS1_11comp_targetILNS1_3genE2ELNS1_11target_archE906ELNS1_3gpuE6ELNS1_3repE0EEENS1_30default_config_static_selectorELNS0_4arch9wavefront6targetE0EEEvT1_
; %bb.0:
	.section	.rodata,"a",@progbits
	.p2align	6, 0x0
	.amdhsa_kernel _ZN7rocprim17ROCPRIM_400000_NS6detail17trampoline_kernelINS0_14default_configENS1_20scan_config_selectorIfEEZZNS1_9scan_implILNS1_25lookback_scan_determinismE0ELb0ELb0ES3_PKfPffZZZN2at6native31launch_logcumsumexp_cuda_kernelERKNSB_10TensorBaseESF_lENKUlvE_clEvENKUlvE0_clEvEUlffE_fEEDaPvRmT3_T4_T5_mT6_P12ihipStream_tbENKUlT_T0_E_clISt17integral_constantIbLb0EESV_IbLb1EEEEDaSR_SS_EUlSR_E0_NS1_11comp_targetILNS1_3genE2ELNS1_11target_archE906ELNS1_3gpuE6ELNS1_3repE0EEENS1_30default_config_static_selectorELNS0_4arch9wavefront6targetE0EEEvT1_
		.amdhsa_group_segment_fixed_size 0
		.amdhsa_private_segment_fixed_size 0
		.amdhsa_kernarg_size 32
		.amdhsa_user_sgpr_count 2
		.amdhsa_user_sgpr_dispatch_ptr 0
		.amdhsa_user_sgpr_queue_ptr 0
		.amdhsa_user_sgpr_kernarg_segment_ptr 1
		.amdhsa_user_sgpr_dispatch_id 0
		.amdhsa_user_sgpr_private_segment_size 0
		.amdhsa_wavefront_size32 1
		.amdhsa_uses_dynamic_stack 0
		.amdhsa_enable_private_segment 0
		.amdhsa_system_sgpr_workgroup_id_x 1
		.amdhsa_system_sgpr_workgroup_id_y 0
		.amdhsa_system_sgpr_workgroup_id_z 0
		.amdhsa_system_sgpr_workgroup_info 0
		.amdhsa_system_vgpr_workitem_id 0
		.amdhsa_next_free_vgpr 1
		.amdhsa_next_free_sgpr 1
		.amdhsa_reserve_vcc 0
		.amdhsa_float_round_mode_32 0
		.amdhsa_float_round_mode_16_64 0
		.amdhsa_float_denorm_mode_32 3
		.amdhsa_float_denorm_mode_16_64 3
		.amdhsa_fp16_overflow 0
		.amdhsa_workgroup_processor_mode 1
		.amdhsa_memory_ordered 1
		.amdhsa_forward_progress 1
		.amdhsa_inst_pref_size 0
		.amdhsa_round_robin_scheduling 0
		.amdhsa_exception_fp_ieee_invalid_op 0
		.amdhsa_exception_fp_denorm_src 0
		.amdhsa_exception_fp_ieee_div_zero 0
		.amdhsa_exception_fp_ieee_overflow 0
		.amdhsa_exception_fp_ieee_underflow 0
		.amdhsa_exception_fp_ieee_inexact 0
		.amdhsa_exception_int_div_zero 0
	.end_amdhsa_kernel
	.section	.text._ZN7rocprim17ROCPRIM_400000_NS6detail17trampoline_kernelINS0_14default_configENS1_20scan_config_selectorIfEEZZNS1_9scan_implILNS1_25lookback_scan_determinismE0ELb0ELb0ES3_PKfPffZZZN2at6native31launch_logcumsumexp_cuda_kernelERKNSB_10TensorBaseESF_lENKUlvE_clEvENKUlvE0_clEvEUlffE_fEEDaPvRmT3_T4_T5_mT6_P12ihipStream_tbENKUlT_T0_E_clISt17integral_constantIbLb0EESV_IbLb1EEEEDaSR_SS_EUlSR_E0_NS1_11comp_targetILNS1_3genE2ELNS1_11target_archE906ELNS1_3gpuE6ELNS1_3repE0EEENS1_30default_config_static_selectorELNS0_4arch9wavefront6targetE0EEEvT1_,"axG",@progbits,_ZN7rocprim17ROCPRIM_400000_NS6detail17trampoline_kernelINS0_14default_configENS1_20scan_config_selectorIfEEZZNS1_9scan_implILNS1_25lookback_scan_determinismE0ELb0ELb0ES3_PKfPffZZZN2at6native31launch_logcumsumexp_cuda_kernelERKNSB_10TensorBaseESF_lENKUlvE_clEvENKUlvE0_clEvEUlffE_fEEDaPvRmT3_T4_T5_mT6_P12ihipStream_tbENKUlT_T0_E_clISt17integral_constantIbLb0EESV_IbLb1EEEEDaSR_SS_EUlSR_E0_NS1_11comp_targetILNS1_3genE2ELNS1_11target_archE906ELNS1_3gpuE6ELNS1_3repE0EEENS1_30default_config_static_selectorELNS0_4arch9wavefront6targetE0EEEvT1_,comdat
.Lfunc_end166:
	.size	_ZN7rocprim17ROCPRIM_400000_NS6detail17trampoline_kernelINS0_14default_configENS1_20scan_config_selectorIfEEZZNS1_9scan_implILNS1_25lookback_scan_determinismE0ELb0ELb0ES3_PKfPffZZZN2at6native31launch_logcumsumexp_cuda_kernelERKNSB_10TensorBaseESF_lENKUlvE_clEvENKUlvE0_clEvEUlffE_fEEDaPvRmT3_T4_T5_mT6_P12ihipStream_tbENKUlT_T0_E_clISt17integral_constantIbLb0EESV_IbLb1EEEEDaSR_SS_EUlSR_E0_NS1_11comp_targetILNS1_3genE2ELNS1_11target_archE906ELNS1_3gpuE6ELNS1_3repE0EEENS1_30default_config_static_selectorELNS0_4arch9wavefront6targetE0EEEvT1_, .Lfunc_end166-_ZN7rocprim17ROCPRIM_400000_NS6detail17trampoline_kernelINS0_14default_configENS1_20scan_config_selectorIfEEZZNS1_9scan_implILNS1_25lookback_scan_determinismE0ELb0ELb0ES3_PKfPffZZZN2at6native31launch_logcumsumexp_cuda_kernelERKNSB_10TensorBaseESF_lENKUlvE_clEvENKUlvE0_clEvEUlffE_fEEDaPvRmT3_T4_T5_mT6_P12ihipStream_tbENKUlT_T0_E_clISt17integral_constantIbLb0EESV_IbLb1EEEEDaSR_SS_EUlSR_E0_NS1_11comp_targetILNS1_3genE2ELNS1_11target_archE906ELNS1_3gpuE6ELNS1_3repE0EEENS1_30default_config_static_selectorELNS0_4arch9wavefront6targetE0EEEvT1_
                                        ; -- End function
	.set _ZN7rocprim17ROCPRIM_400000_NS6detail17trampoline_kernelINS0_14default_configENS1_20scan_config_selectorIfEEZZNS1_9scan_implILNS1_25lookback_scan_determinismE0ELb0ELb0ES3_PKfPffZZZN2at6native31launch_logcumsumexp_cuda_kernelERKNSB_10TensorBaseESF_lENKUlvE_clEvENKUlvE0_clEvEUlffE_fEEDaPvRmT3_T4_T5_mT6_P12ihipStream_tbENKUlT_T0_E_clISt17integral_constantIbLb0EESV_IbLb1EEEEDaSR_SS_EUlSR_E0_NS1_11comp_targetILNS1_3genE2ELNS1_11target_archE906ELNS1_3gpuE6ELNS1_3repE0EEENS1_30default_config_static_selectorELNS0_4arch9wavefront6targetE0EEEvT1_.num_vgpr, 0
	.set _ZN7rocprim17ROCPRIM_400000_NS6detail17trampoline_kernelINS0_14default_configENS1_20scan_config_selectorIfEEZZNS1_9scan_implILNS1_25lookback_scan_determinismE0ELb0ELb0ES3_PKfPffZZZN2at6native31launch_logcumsumexp_cuda_kernelERKNSB_10TensorBaseESF_lENKUlvE_clEvENKUlvE0_clEvEUlffE_fEEDaPvRmT3_T4_T5_mT6_P12ihipStream_tbENKUlT_T0_E_clISt17integral_constantIbLb0EESV_IbLb1EEEEDaSR_SS_EUlSR_E0_NS1_11comp_targetILNS1_3genE2ELNS1_11target_archE906ELNS1_3gpuE6ELNS1_3repE0EEENS1_30default_config_static_selectorELNS0_4arch9wavefront6targetE0EEEvT1_.num_agpr, 0
	.set _ZN7rocprim17ROCPRIM_400000_NS6detail17trampoline_kernelINS0_14default_configENS1_20scan_config_selectorIfEEZZNS1_9scan_implILNS1_25lookback_scan_determinismE0ELb0ELb0ES3_PKfPffZZZN2at6native31launch_logcumsumexp_cuda_kernelERKNSB_10TensorBaseESF_lENKUlvE_clEvENKUlvE0_clEvEUlffE_fEEDaPvRmT3_T4_T5_mT6_P12ihipStream_tbENKUlT_T0_E_clISt17integral_constantIbLb0EESV_IbLb1EEEEDaSR_SS_EUlSR_E0_NS1_11comp_targetILNS1_3genE2ELNS1_11target_archE906ELNS1_3gpuE6ELNS1_3repE0EEENS1_30default_config_static_selectorELNS0_4arch9wavefront6targetE0EEEvT1_.numbered_sgpr, 0
	.set _ZN7rocprim17ROCPRIM_400000_NS6detail17trampoline_kernelINS0_14default_configENS1_20scan_config_selectorIfEEZZNS1_9scan_implILNS1_25lookback_scan_determinismE0ELb0ELb0ES3_PKfPffZZZN2at6native31launch_logcumsumexp_cuda_kernelERKNSB_10TensorBaseESF_lENKUlvE_clEvENKUlvE0_clEvEUlffE_fEEDaPvRmT3_T4_T5_mT6_P12ihipStream_tbENKUlT_T0_E_clISt17integral_constantIbLb0EESV_IbLb1EEEEDaSR_SS_EUlSR_E0_NS1_11comp_targetILNS1_3genE2ELNS1_11target_archE906ELNS1_3gpuE6ELNS1_3repE0EEENS1_30default_config_static_selectorELNS0_4arch9wavefront6targetE0EEEvT1_.num_named_barrier, 0
	.set _ZN7rocprim17ROCPRIM_400000_NS6detail17trampoline_kernelINS0_14default_configENS1_20scan_config_selectorIfEEZZNS1_9scan_implILNS1_25lookback_scan_determinismE0ELb0ELb0ES3_PKfPffZZZN2at6native31launch_logcumsumexp_cuda_kernelERKNSB_10TensorBaseESF_lENKUlvE_clEvENKUlvE0_clEvEUlffE_fEEDaPvRmT3_T4_T5_mT6_P12ihipStream_tbENKUlT_T0_E_clISt17integral_constantIbLb0EESV_IbLb1EEEEDaSR_SS_EUlSR_E0_NS1_11comp_targetILNS1_3genE2ELNS1_11target_archE906ELNS1_3gpuE6ELNS1_3repE0EEENS1_30default_config_static_selectorELNS0_4arch9wavefront6targetE0EEEvT1_.private_seg_size, 0
	.set _ZN7rocprim17ROCPRIM_400000_NS6detail17trampoline_kernelINS0_14default_configENS1_20scan_config_selectorIfEEZZNS1_9scan_implILNS1_25lookback_scan_determinismE0ELb0ELb0ES3_PKfPffZZZN2at6native31launch_logcumsumexp_cuda_kernelERKNSB_10TensorBaseESF_lENKUlvE_clEvENKUlvE0_clEvEUlffE_fEEDaPvRmT3_T4_T5_mT6_P12ihipStream_tbENKUlT_T0_E_clISt17integral_constantIbLb0EESV_IbLb1EEEEDaSR_SS_EUlSR_E0_NS1_11comp_targetILNS1_3genE2ELNS1_11target_archE906ELNS1_3gpuE6ELNS1_3repE0EEENS1_30default_config_static_selectorELNS0_4arch9wavefront6targetE0EEEvT1_.uses_vcc, 0
	.set _ZN7rocprim17ROCPRIM_400000_NS6detail17trampoline_kernelINS0_14default_configENS1_20scan_config_selectorIfEEZZNS1_9scan_implILNS1_25lookback_scan_determinismE0ELb0ELb0ES3_PKfPffZZZN2at6native31launch_logcumsumexp_cuda_kernelERKNSB_10TensorBaseESF_lENKUlvE_clEvENKUlvE0_clEvEUlffE_fEEDaPvRmT3_T4_T5_mT6_P12ihipStream_tbENKUlT_T0_E_clISt17integral_constantIbLb0EESV_IbLb1EEEEDaSR_SS_EUlSR_E0_NS1_11comp_targetILNS1_3genE2ELNS1_11target_archE906ELNS1_3gpuE6ELNS1_3repE0EEENS1_30default_config_static_selectorELNS0_4arch9wavefront6targetE0EEEvT1_.uses_flat_scratch, 0
	.set _ZN7rocprim17ROCPRIM_400000_NS6detail17trampoline_kernelINS0_14default_configENS1_20scan_config_selectorIfEEZZNS1_9scan_implILNS1_25lookback_scan_determinismE0ELb0ELb0ES3_PKfPffZZZN2at6native31launch_logcumsumexp_cuda_kernelERKNSB_10TensorBaseESF_lENKUlvE_clEvENKUlvE0_clEvEUlffE_fEEDaPvRmT3_T4_T5_mT6_P12ihipStream_tbENKUlT_T0_E_clISt17integral_constantIbLb0EESV_IbLb1EEEEDaSR_SS_EUlSR_E0_NS1_11comp_targetILNS1_3genE2ELNS1_11target_archE906ELNS1_3gpuE6ELNS1_3repE0EEENS1_30default_config_static_selectorELNS0_4arch9wavefront6targetE0EEEvT1_.has_dyn_sized_stack, 0
	.set _ZN7rocprim17ROCPRIM_400000_NS6detail17trampoline_kernelINS0_14default_configENS1_20scan_config_selectorIfEEZZNS1_9scan_implILNS1_25lookback_scan_determinismE0ELb0ELb0ES3_PKfPffZZZN2at6native31launch_logcumsumexp_cuda_kernelERKNSB_10TensorBaseESF_lENKUlvE_clEvENKUlvE0_clEvEUlffE_fEEDaPvRmT3_T4_T5_mT6_P12ihipStream_tbENKUlT_T0_E_clISt17integral_constantIbLb0EESV_IbLb1EEEEDaSR_SS_EUlSR_E0_NS1_11comp_targetILNS1_3genE2ELNS1_11target_archE906ELNS1_3gpuE6ELNS1_3repE0EEENS1_30default_config_static_selectorELNS0_4arch9wavefront6targetE0EEEvT1_.has_recursion, 0
	.set _ZN7rocprim17ROCPRIM_400000_NS6detail17trampoline_kernelINS0_14default_configENS1_20scan_config_selectorIfEEZZNS1_9scan_implILNS1_25lookback_scan_determinismE0ELb0ELb0ES3_PKfPffZZZN2at6native31launch_logcumsumexp_cuda_kernelERKNSB_10TensorBaseESF_lENKUlvE_clEvENKUlvE0_clEvEUlffE_fEEDaPvRmT3_T4_T5_mT6_P12ihipStream_tbENKUlT_T0_E_clISt17integral_constantIbLb0EESV_IbLb1EEEEDaSR_SS_EUlSR_E0_NS1_11comp_targetILNS1_3genE2ELNS1_11target_archE906ELNS1_3gpuE6ELNS1_3repE0EEENS1_30default_config_static_selectorELNS0_4arch9wavefront6targetE0EEEvT1_.has_indirect_call, 0
	.section	.AMDGPU.csdata,"",@progbits
; Kernel info:
; codeLenInByte = 0
; TotalNumSgprs: 0
; NumVgprs: 0
; ScratchSize: 0
; MemoryBound: 0
; FloatMode: 240
; IeeeMode: 1
; LDSByteSize: 0 bytes/workgroup (compile time only)
; SGPRBlocks: 0
; VGPRBlocks: 0
; NumSGPRsForWavesPerEU: 1
; NumVGPRsForWavesPerEU: 1
; Occupancy: 16
; WaveLimiterHint : 0
; COMPUTE_PGM_RSRC2:SCRATCH_EN: 0
; COMPUTE_PGM_RSRC2:USER_SGPR: 2
; COMPUTE_PGM_RSRC2:TRAP_HANDLER: 0
; COMPUTE_PGM_RSRC2:TGID_X_EN: 1
; COMPUTE_PGM_RSRC2:TGID_Y_EN: 0
; COMPUTE_PGM_RSRC2:TGID_Z_EN: 0
; COMPUTE_PGM_RSRC2:TIDIG_COMP_CNT: 0
	.section	.text._ZN7rocprim17ROCPRIM_400000_NS6detail17trampoline_kernelINS0_14default_configENS1_20scan_config_selectorIfEEZZNS1_9scan_implILNS1_25lookback_scan_determinismE0ELb0ELb0ES3_PKfPffZZZN2at6native31launch_logcumsumexp_cuda_kernelERKNSB_10TensorBaseESF_lENKUlvE_clEvENKUlvE0_clEvEUlffE_fEEDaPvRmT3_T4_T5_mT6_P12ihipStream_tbENKUlT_T0_E_clISt17integral_constantIbLb0EESV_IbLb1EEEEDaSR_SS_EUlSR_E0_NS1_11comp_targetILNS1_3genE10ELNS1_11target_archE1201ELNS1_3gpuE5ELNS1_3repE0EEENS1_30default_config_static_selectorELNS0_4arch9wavefront6targetE0EEEvT1_,"axG",@progbits,_ZN7rocprim17ROCPRIM_400000_NS6detail17trampoline_kernelINS0_14default_configENS1_20scan_config_selectorIfEEZZNS1_9scan_implILNS1_25lookback_scan_determinismE0ELb0ELb0ES3_PKfPffZZZN2at6native31launch_logcumsumexp_cuda_kernelERKNSB_10TensorBaseESF_lENKUlvE_clEvENKUlvE0_clEvEUlffE_fEEDaPvRmT3_T4_T5_mT6_P12ihipStream_tbENKUlT_T0_E_clISt17integral_constantIbLb0EESV_IbLb1EEEEDaSR_SS_EUlSR_E0_NS1_11comp_targetILNS1_3genE10ELNS1_11target_archE1201ELNS1_3gpuE5ELNS1_3repE0EEENS1_30default_config_static_selectorELNS0_4arch9wavefront6targetE0EEEvT1_,comdat
	.globl	_ZN7rocprim17ROCPRIM_400000_NS6detail17trampoline_kernelINS0_14default_configENS1_20scan_config_selectorIfEEZZNS1_9scan_implILNS1_25lookback_scan_determinismE0ELb0ELb0ES3_PKfPffZZZN2at6native31launch_logcumsumexp_cuda_kernelERKNSB_10TensorBaseESF_lENKUlvE_clEvENKUlvE0_clEvEUlffE_fEEDaPvRmT3_T4_T5_mT6_P12ihipStream_tbENKUlT_T0_E_clISt17integral_constantIbLb0EESV_IbLb1EEEEDaSR_SS_EUlSR_E0_NS1_11comp_targetILNS1_3genE10ELNS1_11target_archE1201ELNS1_3gpuE5ELNS1_3repE0EEENS1_30default_config_static_selectorELNS0_4arch9wavefront6targetE0EEEvT1_ ; -- Begin function _ZN7rocprim17ROCPRIM_400000_NS6detail17trampoline_kernelINS0_14default_configENS1_20scan_config_selectorIfEEZZNS1_9scan_implILNS1_25lookback_scan_determinismE0ELb0ELb0ES3_PKfPffZZZN2at6native31launch_logcumsumexp_cuda_kernelERKNSB_10TensorBaseESF_lENKUlvE_clEvENKUlvE0_clEvEUlffE_fEEDaPvRmT3_T4_T5_mT6_P12ihipStream_tbENKUlT_T0_E_clISt17integral_constantIbLb0EESV_IbLb1EEEEDaSR_SS_EUlSR_E0_NS1_11comp_targetILNS1_3genE10ELNS1_11target_archE1201ELNS1_3gpuE5ELNS1_3repE0EEENS1_30default_config_static_selectorELNS0_4arch9wavefront6targetE0EEEvT1_
	.p2align	8
	.type	_ZN7rocprim17ROCPRIM_400000_NS6detail17trampoline_kernelINS0_14default_configENS1_20scan_config_selectorIfEEZZNS1_9scan_implILNS1_25lookback_scan_determinismE0ELb0ELb0ES3_PKfPffZZZN2at6native31launch_logcumsumexp_cuda_kernelERKNSB_10TensorBaseESF_lENKUlvE_clEvENKUlvE0_clEvEUlffE_fEEDaPvRmT3_T4_T5_mT6_P12ihipStream_tbENKUlT_T0_E_clISt17integral_constantIbLb0EESV_IbLb1EEEEDaSR_SS_EUlSR_E0_NS1_11comp_targetILNS1_3genE10ELNS1_11target_archE1201ELNS1_3gpuE5ELNS1_3repE0EEENS1_30default_config_static_selectorELNS0_4arch9wavefront6targetE0EEEvT1_,@function
_ZN7rocprim17ROCPRIM_400000_NS6detail17trampoline_kernelINS0_14default_configENS1_20scan_config_selectorIfEEZZNS1_9scan_implILNS1_25lookback_scan_determinismE0ELb0ELb0ES3_PKfPffZZZN2at6native31launch_logcumsumexp_cuda_kernelERKNSB_10TensorBaseESF_lENKUlvE_clEvENKUlvE0_clEvEUlffE_fEEDaPvRmT3_T4_T5_mT6_P12ihipStream_tbENKUlT_T0_E_clISt17integral_constantIbLb0EESV_IbLb1EEEEDaSR_SS_EUlSR_E0_NS1_11comp_targetILNS1_3genE10ELNS1_11target_archE1201ELNS1_3gpuE5ELNS1_3repE0EEENS1_30default_config_static_selectorELNS0_4arch9wavefront6targetE0EEEvT1_: ; @_ZN7rocprim17ROCPRIM_400000_NS6detail17trampoline_kernelINS0_14default_configENS1_20scan_config_selectorIfEEZZNS1_9scan_implILNS1_25lookback_scan_determinismE0ELb0ELb0ES3_PKfPffZZZN2at6native31launch_logcumsumexp_cuda_kernelERKNSB_10TensorBaseESF_lENKUlvE_clEvENKUlvE0_clEvEUlffE_fEEDaPvRmT3_T4_T5_mT6_P12ihipStream_tbENKUlT_T0_E_clISt17integral_constantIbLb0EESV_IbLb1EEEEDaSR_SS_EUlSR_E0_NS1_11comp_targetILNS1_3genE10ELNS1_11target_archE1201ELNS1_3gpuE5ELNS1_3repE0EEENS1_30default_config_static_selectorELNS0_4arch9wavefront6targetE0EEEvT1_
; %bb.0:
	s_load_b128 s[12:15], s[0:1], 0x0
	v_lshlrev_b32_e32 v7, 2, v0
	s_wait_kmcnt 0x0
	s_load_b32 s4, s[12:13], 0x0
	v_cmp_gt_u32_e32 vcc_lo, s14, v0
	s_wait_kmcnt 0x0
	s_mov_b32 s5, s4
	s_mov_b32 s6, s4
	;; [unrolled: 1-line block ×5, first 2 shown]
	v_dual_mov_b32 v8, s4 :: v_dual_mov_b32 v1, s4
	v_dual_mov_b32 v2, s5 :: v_dual_mov_b32 v3, s6
	v_dual_mov_b32 v4, s7 :: v_dual_mov_b32 v5, s8
	v_mov_b32_e32 v6, s9
	s_and_saveexec_b32 s2, vcc_lo
	s_cbranch_execz .LBB167_2
; %bb.1:
	global_load_b32 v8, v7, s[12:13]
	v_dual_mov_b32 v1, s4 :: v_dual_mov_b32 v2, s5
	v_dual_mov_b32 v3, s6 :: v_dual_mov_b32 v4, s7
	;; [unrolled: 1-line block ×3, first 2 shown]
.LBB167_2:
	s_or_b32 exec_lo, exec_lo, s2
	v_or_b32_e32 v1, 0x100, v0
	s_delay_alu instid0(VALU_DEP_1)
	v_cmp_gt_u32_e64 s2, s14, v1
	s_and_saveexec_b32 s3, s2
	s_cbranch_execz .LBB167_4
; %bb.3:
	global_load_b32 v2, v7, s[12:13] offset:1024
.LBB167_4:
	s_or_b32 exec_lo, exec_lo, s3
	v_or_b32_e32 v1, 0x200, v0
	s_delay_alu instid0(VALU_DEP_1)
	v_cmp_gt_u32_e64 s3, s14, v1
	s_and_saveexec_b32 s4, s3
	s_cbranch_execz .LBB167_6
; %bb.5:
	global_load_b32 v3, v7, s[12:13] offset:2048
.LBB167_6:
	s_wait_alu 0xfffe
	s_or_b32 exec_lo, exec_lo, s4
	v_or_b32_e32 v1, 0x300, v0
	s_delay_alu instid0(VALU_DEP_1)
	v_cmp_gt_u32_e64 s4, s14, v1
	s_and_saveexec_b32 s5, s4
	s_cbranch_execz .LBB167_8
; %bb.7:
	global_load_b32 v4, v7, s[12:13] offset:3072
.LBB167_8:
	s_wait_alu 0xfffe
	;; [unrolled: 10-line block ×3, first 2 shown]
	s_or_b32 exec_lo, exec_lo, s6
	v_or_b32_e32 v1, 0x500, v0
	s_delay_alu instid0(VALU_DEP_1)
	v_cmp_gt_u32_e64 s6, s14, v1
	v_cmp_le_u32_e64 s7, s14, v1
	s_and_saveexec_b32 s8, s7
	s_wait_alu 0xfffe
	s_xor_b32 s7, exec_lo, s8
	s_wait_alu 0xfffe
	s_and_not1_saveexec_b32 s7, s7
	s_cbranch_execz .LBB167_12
; %bb.11:
	v_lshlrev_b32_e32 v1, 2, v0
	global_load_b32 v6, v1, s[12:13] offset:5120
.LBB167_12:
	s_wait_alu 0xfffe
	s_or_b32 exec_lo, exec_lo, s7
	s_wait_loadcnt 0x0
	ds_store_2addr_stride64_b32 v7, v8, v2 offset1:4
	ds_store_2addr_stride64_b32 v7, v3, v4 offset0:8 offset1:12
	ds_store_2addr_stride64_b32 v7, v5, v6 offset0:16 offset1:20
	v_mad_u32_u24 v5, v0, 20, v7
	s_wait_dscnt 0x0
	s_barrier_signal -1
	s_barrier_wait -1
	global_inv scope:SCOPE_SE
	ds_load_2addr_b64 v[1:4], v5 offset1:1
	ds_load_b64 v[5:6], v5 offset:16
	s_wait_loadcnt_dscnt 0x0
	s_barrier_signal -1
	s_barrier_wait -1
	global_inv scope:SCOPE_SE
	v_dual_max_num_f32 v12, v2, v2 :: v_dual_max_num_f32 v15, v1, v1
	v_cmp_u_f32_e64 s12, v1, v1
	v_cmp_u_f32_e64 s7, v2, v2
	s_delay_alu instid0(VALU_DEP_3) | instskip(SKIP_1) | instid1(VALU_DEP_2)
	v_dual_mov_b32 v18, v1 :: v_dual_min_num_f32 v13, v15, v12
	v_max_num_f32_e32 v14, v15, v12
	v_cndmask_b32_e64 v8, v13, v1, s12
	s_delay_alu instid0(VALU_DEP_2) | instskip(SKIP_1) | instid1(VALU_DEP_2)
	v_cndmask_b32_e64 v10, v14, v1, s12
	s_wait_alu 0xf1ff
	v_cndmask_b32_e64 v9, v8, v2, s7
	s_delay_alu instid0(VALU_DEP_2) | instskip(NEXT) | instid1(VALU_DEP_2)
	v_cndmask_b32_e64 v8, v10, v2, s7
	v_cmp_class_f32_e64 s9, v9, 0x1f8
	s_delay_alu instid0(VALU_DEP_2)
	v_cmp_neq_f32_e64 s8, v9, v8
	s_or_b32 s8, s8, s9
	s_wait_alu 0xfffe
	s_and_saveexec_b32 s9, s8
	s_cbranch_execz .LBB167_14
; %bb.13:
	v_sub_f32_e32 v9, v9, v8
	s_delay_alu instid0(VALU_DEP_1) | instskip(NEXT) | instid1(VALU_DEP_1)
	v_mul_f32_e32 v10, 0x3fb8aa3b, v9
	v_fma_f32 v11, 0x3fb8aa3b, v9, -v10
	v_rndne_f32_e32 v16, v10
	s_delay_alu instid0(VALU_DEP_1) | instskip(NEXT) | instid1(VALU_DEP_1)
	v_dual_fmamk_f32 v11, v9, 0x32a5705f, v11 :: v_dual_sub_f32 v10, v10, v16
	v_add_f32_e32 v10, v10, v11
	v_cvt_i32_f32_e32 v11, v16
	v_cmp_ngt_f32_e64 s8, 0xc2ce8ed0, v9
	s_delay_alu instid0(VALU_DEP_3) | instskip(NEXT) | instid1(TRANS32_DEP_1)
	v_exp_f32_e32 v10, v10
	v_ldexp_f32 v10, v10, v11
	s_wait_alu 0xf1ff
	s_delay_alu instid0(VALU_DEP_1) | instskip(SKIP_2) | instid1(VALU_DEP_1)
	v_cndmask_b32_e64 v10, 0, v10, s8
	v_cmp_nlt_f32_e64 s8, 0x42b17218, v9
	s_wait_alu 0xf1ff
	v_cndmask_b32_e64 v11, 0x7f800000, v10, s8
	s_delay_alu instid0(VALU_DEP_1) | instskip(NEXT) | instid1(VALU_DEP_1)
	v_add_f32_e32 v16, 1.0, v11
	v_cvt_f64_f32_e32 v[9:10], v16
	s_delay_alu instid0(VALU_DEP_1) | instskip(SKIP_1) | instid1(VALU_DEP_1)
	v_frexp_exp_i32_f64_e32 v9, v[9:10]
	v_frexp_mant_f32_e32 v10, v16
	v_cmp_gt_f32_e64 s8, 0x3f2aaaab, v10
	v_add_f32_e32 v10, -1.0, v16
	s_delay_alu instid0(VALU_DEP_1) | instskip(SKIP_1) | instid1(VALU_DEP_3)
	v_sub_f32_e32 v18, v10, v16
	s_wait_alu 0xf1ff
	v_subrev_co_ci_u32_e64 v9, null, 0, v9, s8
	s_mov_b32 s8, 0x3e9b6dac
	v_sub_nc_u32_e32 v17, 0, v9
	v_cvt_f32_i32_e32 v9, v9
	s_delay_alu instid0(VALU_DEP_2) | instskip(NEXT) | instid1(VALU_DEP_1)
	v_ldexp_f32 v16, v16, v17
	v_dual_sub_f32 v10, v11, v10 :: v_dual_add_f32 v19, 1.0, v16
	v_add_f32_e32 v18, 1.0, v18
	s_delay_alu instid0(VALU_DEP_1) | instskip(NEXT) | instid1(VALU_DEP_3)
	v_add_f32_e32 v10, v10, v18
	v_add_f32_e32 v18, -1.0, v19
	s_delay_alu instid0(VALU_DEP_2) | instskip(NEXT) | instid1(VALU_DEP_2)
	v_ldexp_f32 v10, v10, v17
	v_dual_add_f32 v17, -1.0, v16 :: v_dual_sub_f32 v18, v16, v18
	s_delay_alu instid0(VALU_DEP_1) | instskip(NEXT) | instid1(VALU_DEP_2)
	v_add_f32_e32 v20, 1.0, v17
	v_add_f32_e32 v18, v10, v18
	s_delay_alu instid0(VALU_DEP_2) | instskip(NEXT) | instid1(VALU_DEP_2)
	v_sub_f32_e32 v16, v16, v20
	v_add_f32_e32 v20, v19, v18
	s_delay_alu instid0(VALU_DEP_2) | instskip(NEXT) | instid1(VALU_DEP_2)
	v_add_f32_e32 v10, v10, v16
	v_rcp_f32_e32 v16, v20
	v_sub_f32_e32 v19, v19, v20
	s_delay_alu instid0(VALU_DEP_1) | instskip(NEXT) | instid1(VALU_DEP_1)
	v_dual_add_f32 v21, v17, v10 :: v_dual_add_f32 v18, v18, v19
	v_sub_f32_e32 v17, v17, v21
	s_delay_alu instid0(TRANS32_DEP_1) | instskip(NEXT) | instid1(VALU_DEP_1)
	v_mul_f32_e32 v22, v21, v16
	v_dual_add_f32 v10, v10, v17 :: v_dual_mul_f32 v23, v20, v22
	s_delay_alu instid0(VALU_DEP_1) | instskip(NEXT) | instid1(VALU_DEP_1)
	v_fma_f32 v19, v22, v20, -v23
	v_fmac_f32_e32 v19, v22, v18
	s_delay_alu instid0(VALU_DEP_1) | instskip(NEXT) | instid1(VALU_DEP_1)
	v_add_f32_e32 v24, v23, v19
	v_sub_f32_e32 v25, v21, v24
	v_sub_f32_e32 v17, v24, v23
	s_delay_alu instid0(VALU_DEP_2) | instskip(NEXT) | instid1(VALU_DEP_2)
	v_sub_f32_e32 v21, v21, v25
	v_sub_f32_e32 v17, v17, v19
	s_delay_alu instid0(VALU_DEP_2) | instskip(NEXT) | instid1(VALU_DEP_1)
	v_sub_f32_e32 v21, v21, v24
	v_add_f32_e32 v10, v10, v21
	s_delay_alu instid0(VALU_DEP_1) | instskip(NEXT) | instid1(VALU_DEP_1)
	v_add_f32_e32 v10, v17, v10
	v_add_f32_e32 v17, v25, v10
	s_delay_alu instid0(VALU_DEP_1) | instskip(NEXT) | instid1(VALU_DEP_1)
	v_mul_f32_e32 v19, v16, v17
	v_dual_sub_f32 v24, v25, v17 :: v_dual_mul_f32 v21, v20, v19
	s_delay_alu instid0(VALU_DEP_1) | instskip(NEXT) | instid1(VALU_DEP_2)
	v_add_f32_e32 v10, v10, v24
	v_fma_f32 v20, v19, v20, -v21
	s_delay_alu instid0(VALU_DEP_1) | instskip(NEXT) | instid1(VALU_DEP_1)
	v_fmac_f32_e32 v20, v19, v18
	v_add_f32_e32 v18, v21, v20
	s_delay_alu instid0(VALU_DEP_1) | instskip(SKIP_1) | instid1(VALU_DEP_2)
	v_sub_f32_e32 v23, v17, v18
	v_sub_f32_e32 v21, v18, v21
	v_sub_f32_e32 v17, v17, v23
	s_delay_alu instid0(VALU_DEP_1) | instskip(NEXT) | instid1(VALU_DEP_3)
	v_sub_f32_e32 v17, v17, v18
	v_sub_f32_e32 v18, v21, v20
	s_delay_alu instid0(VALU_DEP_2) | instskip(SKIP_1) | instid1(VALU_DEP_2)
	v_add_f32_e32 v10, v10, v17
	v_add_f32_e32 v17, v22, v19
	;; [unrolled: 1-line block ×3, first 2 shown]
	s_delay_alu instid0(VALU_DEP_2) | instskip(NEXT) | instid1(VALU_DEP_2)
	v_sub_f32_e32 v18, v17, v22
	v_add_f32_e32 v10, v23, v10
	s_delay_alu instid0(VALU_DEP_2) | instskip(NEXT) | instid1(VALU_DEP_2)
	v_sub_f32_e32 v18, v19, v18
	v_mul_f32_e32 v10, v16, v10
	s_delay_alu instid0(VALU_DEP_1) | instskip(NEXT) | instid1(VALU_DEP_1)
	v_add_f32_e32 v10, v18, v10
	v_add_f32_e32 v16, v17, v10
	s_delay_alu instid0(VALU_DEP_1) | instskip(SKIP_1) | instid1(VALU_DEP_1)
	v_mul_f32_e32 v18, v16, v16
	s_wait_alu 0xfffe
	v_fmaak_f32 v19, s8, v18, 0x3ecc95a3
	v_mul_f32_e32 v20, v16, v18
	v_cmp_neq_f32_e64 s8, 0x7f800000, v11
	s_delay_alu instid0(VALU_DEP_3) | instskip(SKIP_2) | instid1(VALU_DEP_3)
	v_fmaak_f32 v18, v18, v19, 0x3f2aaada
	v_ldexp_f32 v19, v16, 1
	v_sub_f32_e32 v16, v16, v17
	v_mul_f32_e32 v18, v20, v18
	v_mul_f32_e32 v20, 0x3f317218, v9
	s_delay_alu instid0(VALU_DEP_2) | instskip(NEXT) | instid1(VALU_DEP_1)
	v_dual_sub_f32 v10, v10, v16 :: v_dual_add_f32 v17, v19, v18
	v_ldexp_f32 v10, v10, 1
	s_delay_alu instid0(VALU_DEP_2) | instskip(NEXT) | instid1(VALU_DEP_4)
	v_sub_f32_e32 v16, v17, v19
	v_fma_f32 v19, 0x3f317218, v9, -v20
	s_delay_alu instid0(VALU_DEP_1) | instskip(NEXT) | instid1(VALU_DEP_1)
	v_dual_sub_f32 v16, v18, v16 :: v_dual_fmamk_f32 v9, v9, 0xb102e308, v19
	v_add_f32_e32 v10, v10, v16
	s_delay_alu instid0(VALU_DEP_2) | instskip(NEXT) | instid1(VALU_DEP_2)
	v_add_f32_e32 v16, v20, v9
	v_add_f32_e32 v18, v17, v10
	s_delay_alu instid0(VALU_DEP_2) | instskip(NEXT) | instid1(VALU_DEP_2)
	v_sub_f32_e32 v20, v16, v20
	v_add_f32_e32 v19, v16, v18
	v_sub_f32_e32 v17, v18, v17
	s_delay_alu instid0(VALU_DEP_3) | instskip(NEXT) | instid1(VALU_DEP_2)
	v_sub_f32_e32 v9, v9, v20
	v_dual_sub_f32 v21, v19, v16 :: v_dual_sub_f32 v10, v10, v17
	s_delay_alu instid0(VALU_DEP_1) | instskip(NEXT) | instid1(VALU_DEP_2)
	v_sub_f32_e32 v22, v19, v21
	v_dual_sub_f32 v17, v18, v21 :: v_dual_add_f32 v18, v9, v10
	s_delay_alu instid0(VALU_DEP_2) | instskip(NEXT) | instid1(VALU_DEP_1)
	v_sub_f32_e32 v16, v16, v22
	v_dual_add_f32 v16, v17, v16 :: v_dual_sub_f32 v17, v18, v9
	s_delay_alu instid0(VALU_DEP_1) | instskip(NEXT) | instid1(VALU_DEP_2)
	v_add_f32_e32 v16, v18, v16
	v_sub_f32_e32 v18, v18, v17
	v_sub_f32_e32 v10, v10, v17
	s_delay_alu instid0(VALU_DEP_2) | instskip(NEXT) | instid1(VALU_DEP_1)
	v_dual_add_f32 v20, v19, v16 :: v_dual_sub_f32 v9, v9, v18
	v_sub_f32_e32 v17, v20, v19
	s_delay_alu instid0(VALU_DEP_2) | instskip(NEXT) | instid1(VALU_DEP_2)
	v_add_f32_e32 v9, v10, v9
	v_sub_f32_e32 v10, v16, v17
	s_delay_alu instid0(VALU_DEP_1) | instskip(NEXT) | instid1(VALU_DEP_1)
	v_add_f32_e32 v9, v9, v10
	v_add_f32_e32 v9, v20, v9
	s_wait_alu 0xf1ff
	s_delay_alu instid0(VALU_DEP_1) | instskip(SKIP_2) | instid1(VALU_DEP_1)
	v_cndmask_b32_e64 v9, 0x7f800000, v9, s8
	v_cmp_gt_f32_e64 s8, 0x33800000, |v11|
	s_wait_alu 0xf1ff
	v_cndmask_b32_e64 v9, v9, v11, s8
	s_delay_alu instid0(VALU_DEP_1)
	v_add_f32_e32 v18, v8, v9
.LBB167_14:
	s_wait_alu 0xfffe
	s_or_b32 exec_lo, exec_lo, s9
	s_delay_alu instid0(VALU_DEP_1) | instskip(SKIP_1) | instid1(VALU_DEP_2)
	v_dual_max_num_f32 v9, v18, v18 :: v_dual_max_num_f32 v8, v3, v3
	v_cmp_u_f32_e64 s8, v18, v18
	v_min_num_f32_e32 v10, v9, v8
	v_max_num_f32_e32 v9, v9, v8
	s_wait_alu 0xf1ff
	s_delay_alu instid0(VALU_DEP_2) | instskip(NEXT) | instid1(VALU_DEP_2)
	v_cndmask_b32_e64 v10, v10, v18, s8
	v_cndmask_b32_e64 v9, v9, v18, s8
	v_cmp_u_f32_e64 s8, v3, v3
	s_wait_alu 0xf1ff
	s_delay_alu instid0(VALU_DEP_1) | instskip(NEXT) | instid1(VALU_DEP_3)
	v_cndmask_b32_e64 v10, v10, v3, s8
	v_cndmask_b32_e64 v9, v9, v3, s8
	s_delay_alu instid0(VALU_DEP_2) | instskip(NEXT) | instid1(VALU_DEP_2)
	v_cmp_class_f32_e64 s10, v10, 0x1f8
	v_cmp_neq_f32_e64 s9, v10, v9
	s_or_b32 s9, s9, s10
	s_wait_alu 0xfffe
	s_and_saveexec_b32 s10, s9
	s_cbranch_execz .LBB167_16
; %bb.15:
	v_sub_f32_e32 v10, v10, v9
	s_delay_alu instid0(VALU_DEP_1) | instskip(NEXT) | instid1(VALU_DEP_1)
	v_mul_f32_e32 v11, 0x3fb8aa3b, v10
	v_fma_f32 v16, 0x3fb8aa3b, v10, -v11
	v_rndne_f32_e32 v17, v11
	s_delay_alu instid0(VALU_DEP_1) | instskip(NEXT) | instid1(VALU_DEP_1)
	v_dual_fmamk_f32 v16, v10, 0x32a5705f, v16 :: v_dual_sub_f32 v11, v11, v17
	v_add_f32_e32 v11, v11, v16
	v_cvt_i32_f32_e32 v16, v17
	v_cmp_ngt_f32_e64 s9, 0xc2ce8ed0, v10
	s_delay_alu instid0(VALU_DEP_3) | instskip(NEXT) | instid1(TRANS32_DEP_1)
	v_exp_f32_e32 v11, v11
	v_ldexp_f32 v11, v11, v16
	s_wait_alu 0xf1ff
	s_delay_alu instid0(VALU_DEP_1) | instskip(SKIP_2) | instid1(VALU_DEP_1)
	v_cndmask_b32_e64 v11, 0, v11, s9
	v_cmp_nlt_f32_e64 s9, 0x42b17218, v10
	s_wait_alu 0xf1ff
	v_cndmask_b32_e64 v16, 0x7f800000, v11, s9
	s_delay_alu instid0(VALU_DEP_1) | instskip(NEXT) | instid1(VALU_DEP_1)
	v_add_f32_e32 v17, 1.0, v16
	v_cvt_f64_f32_e32 v[10:11], v17
	s_delay_alu instid0(VALU_DEP_1) | instskip(SKIP_1) | instid1(VALU_DEP_1)
	v_frexp_exp_i32_f64_e32 v10, v[10:11]
	v_frexp_mant_f32_e32 v11, v17
	v_cmp_gt_f32_e64 s9, 0x3f2aaaab, v11
	v_add_f32_e32 v11, -1.0, v17
	s_delay_alu instid0(VALU_DEP_1) | instskip(SKIP_1) | instid1(VALU_DEP_3)
	v_sub_f32_e32 v19, v11, v17
	s_wait_alu 0xf1ff
	v_subrev_co_ci_u32_e64 v10, null, 0, v10, s9
	s_mov_b32 s9, 0x3e9b6dac
	v_sub_nc_u32_e32 v18, 0, v10
	v_cvt_f32_i32_e32 v10, v10
	s_delay_alu instid0(VALU_DEP_2) | instskip(NEXT) | instid1(VALU_DEP_1)
	v_ldexp_f32 v17, v17, v18
	v_dual_sub_f32 v11, v16, v11 :: v_dual_add_f32 v20, 1.0, v17
	v_add_f32_e32 v19, 1.0, v19
	s_delay_alu instid0(VALU_DEP_1) | instskip(NEXT) | instid1(VALU_DEP_3)
	v_add_f32_e32 v11, v11, v19
	v_add_f32_e32 v19, -1.0, v20
	s_delay_alu instid0(VALU_DEP_2) | instskip(NEXT) | instid1(VALU_DEP_2)
	v_ldexp_f32 v11, v11, v18
	v_dual_add_f32 v18, -1.0, v17 :: v_dual_sub_f32 v19, v17, v19
	s_delay_alu instid0(VALU_DEP_1) | instskip(NEXT) | instid1(VALU_DEP_2)
	v_add_f32_e32 v21, 1.0, v18
	v_add_f32_e32 v19, v11, v19
	s_delay_alu instid0(VALU_DEP_2) | instskip(NEXT) | instid1(VALU_DEP_2)
	v_sub_f32_e32 v17, v17, v21
	v_add_f32_e32 v21, v20, v19
	s_delay_alu instid0(VALU_DEP_2) | instskip(NEXT) | instid1(VALU_DEP_2)
	v_add_f32_e32 v11, v11, v17
	v_rcp_f32_e32 v17, v21
	v_sub_f32_e32 v20, v20, v21
	s_delay_alu instid0(VALU_DEP_1) | instskip(NEXT) | instid1(VALU_DEP_1)
	v_dual_add_f32 v22, v18, v11 :: v_dual_add_f32 v19, v19, v20
	v_sub_f32_e32 v18, v18, v22
	s_delay_alu instid0(TRANS32_DEP_1) | instskip(NEXT) | instid1(VALU_DEP_1)
	v_mul_f32_e32 v23, v22, v17
	v_dual_add_f32 v11, v11, v18 :: v_dual_mul_f32 v24, v21, v23
	s_delay_alu instid0(VALU_DEP_1) | instskip(NEXT) | instid1(VALU_DEP_1)
	v_fma_f32 v20, v23, v21, -v24
	v_fmac_f32_e32 v20, v23, v19
	s_delay_alu instid0(VALU_DEP_1) | instskip(NEXT) | instid1(VALU_DEP_1)
	v_add_f32_e32 v25, v24, v20
	v_sub_f32_e32 v26, v22, v25
	v_sub_f32_e32 v18, v25, v24
	s_delay_alu instid0(VALU_DEP_2) | instskip(NEXT) | instid1(VALU_DEP_2)
	v_sub_f32_e32 v22, v22, v26
	v_sub_f32_e32 v18, v18, v20
	s_delay_alu instid0(VALU_DEP_2) | instskip(NEXT) | instid1(VALU_DEP_1)
	v_sub_f32_e32 v22, v22, v25
	v_add_f32_e32 v11, v11, v22
	s_delay_alu instid0(VALU_DEP_1) | instskip(NEXT) | instid1(VALU_DEP_1)
	v_add_f32_e32 v11, v18, v11
	v_add_f32_e32 v18, v26, v11
	s_delay_alu instid0(VALU_DEP_1) | instskip(NEXT) | instid1(VALU_DEP_1)
	v_mul_f32_e32 v20, v17, v18
	v_dual_sub_f32 v25, v26, v18 :: v_dual_mul_f32 v22, v21, v20
	s_delay_alu instid0(VALU_DEP_1) | instskip(NEXT) | instid1(VALU_DEP_2)
	v_add_f32_e32 v11, v11, v25
	v_fma_f32 v21, v20, v21, -v22
	s_delay_alu instid0(VALU_DEP_1) | instskip(NEXT) | instid1(VALU_DEP_1)
	v_fmac_f32_e32 v21, v20, v19
	v_add_f32_e32 v19, v22, v21
	s_delay_alu instid0(VALU_DEP_1) | instskip(SKIP_1) | instid1(VALU_DEP_2)
	v_sub_f32_e32 v24, v18, v19
	v_sub_f32_e32 v22, v19, v22
	;; [unrolled: 1-line block ×3, first 2 shown]
	s_delay_alu instid0(VALU_DEP_1) | instskip(NEXT) | instid1(VALU_DEP_3)
	v_sub_f32_e32 v18, v18, v19
	v_sub_f32_e32 v19, v22, v21
	s_delay_alu instid0(VALU_DEP_2) | instskip(SKIP_1) | instid1(VALU_DEP_2)
	v_add_f32_e32 v11, v11, v18
	v_add_f32_e32 v18, v23, v20
	;; [unrolled: 1-line block ×3, first 2 shown]
	s_delay_alu instid0(VALU_DEP_2) | instskip(NEXT) | instid1(VALU_DEP_2)
	v_sub_f32_e32 v19, v18, v23
	v_add_f32_e32 v11, v24, v11
	s_delay_alu instid0(VALU_DEP_2) | instskip(NEXT) | instid1(VALU_DEP_2)
	v_sub_f32_e32 v19, v20, v19
	v_mul_f32_e32 v11, v17, v11
	s_delay_alu instid0(VALU_DEP_1) | instskip(NEXT) | instid1(VALU_DEP_1)
	v_add_f32_e32 v11, v19, v11
	v_add_f32_e32 v17, v18, v11
	s_delay_alu instid0(VALU_DEP_1) | instskip(SKIP_1) | instid1(VALU_DEP_1)
	v_mul_f32_e32 v19, v17, v17
	s_wait_alu 0xfffe
	v_fmaak_f32 v20, s9, v19, 0x3ecc95a3
	v_mul_f32_e32 v21, v17, v19
	v_cmp_neq_f32_e64 s9, 0x7f800000, v16
	s_delay_alu instid0(VALU_DEP_3) | instskip(SKIP_2) | instid1(VALU_DEP_3)
	v_fmaak_f32 v19, v19, v20, 0x3f2aaada
	v_ldexp_f32 v20, v17, 1
	v_sub_f32_e32 v17, v17, v18
	v_mul_f32_e32 v19, v21, v19
	v_mul_f32_e32 v21, 0x3f317218, v10
	s_delay_alu instid0(VALU_DEP_2) | instskip(NEXT) | instid1(VALU_DEP_1)
	v_dual_sub_f32 v11, v11, v17 :: v_dual_add_f32 v18, v20, v19
	v_ldexp_f32 v11, v11, 1
	s_delay_alu instid0(VALU_DEP_2) | instskip(NEXT) | instid1(VALU_DEP_4)
	v_sub_f32_e32 v17, v18, v20
	v_fma_f32 v20, 0x3f317218, v10, -v21
	s_delay_alu instid0(VALU_DEP_1) | instskip(NEXT) | instid1(VALU_DEP_1)
	v_dual_sub_f32 v17, v19, v17 :: v_dual_fmamk_f32 v10, v10, 0xb102e308, v20
	v_add_f32_e32 v11, v11, v17
	s_delay_alu instid0(VALU_DEP_2) | instskip(NEXT) | instid1(VALU_DEP_2)
	v_add_f32_e32 v17, v21, v10
	v_add_f32_e32 v19, v18, v11
	s_delay_alu instid0(VALU_DEP_2) | instskip(NEXT) | instid1(VALU_DEP_2)
	v_sub_f32_e32 v21, v17, v21
	v_add_f32_e32 v20, v17, v19
	v_sub_f32_e32 v18, v19, v18
	s_delay_alu instid0(VALU_DEP_3) | instskip(NEXT) | instid1(VALU_DEP_2)
	v_sub_f32_e32 v10, v10, v21
	v_dual_sub_f32 v22, v20, v17 :: v_dual_sub_f32 v11, v11, v18
	s_delay_alu instid0(VALU_DEP_1) | instskip(NEXT) | instid1(VALU_DEP_2)
	v_sub_f32_e32 v23, v20, v22
	v_dual_sub_f32 v18, v19, v22 :: v_dual_add_f32 v19, v10, v11
	s_delay_alu instid0(VALU_DEP_2) | instskip(NEXT) | instid1(VALU_DEP_1)
	v_sub_f32_e32 v17, v17, v23
	v_dual_add_f32 v17, v18, v17 :: v_dual_sub_f32 v18, v19, v10
	s_delay_alu instid0(VALU_DEP_1) | instskip(NEXT) | instid1(VALU_DEP_2)
	v_add_f32_e32 v17, v19, v17
	v_sub_f32_e32 v19, v19, v18
	v_sub_f32_e32 v11, v11, v18
	s_delay_alu instid0(VALU_DEP_2) | instskip(NEXT) | instid1(VALU_DEP_1)
	v_dual_add_f32 v21, v20, v17 :: v_dual_sub_f32 v10, v10, v19
	v_sub_f32_e32 v18, v21, v20
	s_delay_alu instid0(VALU_DEP_2) | instskip(NEXT) | instid1(VALU_DEP_2)
	v_add_f32_e32 v10, v11, v10
	v_sub_f32_e32 v11, v17, v18
	s_delay_alu instid0(VALU_DEP_1) | instskip(NEXT) | instid1(VALU_DEP_1)
	v_add_f32_e32 v10, v10, v11
	v_add_f32_e32 v10, v21, v10
	s_wait_alu 0xf1ff
	s_delay_alu instid0(VALU_DEP_1) | instskip(SKIP_2) | instid1(VALU_DEP_1)
	v_cndmask_b32_e64 v10, 0x7f800000, v10, s9
	v_cmp_gt_f32_e64 s9, 0x33800000, |v16|
	s_wait_alu 0xf1ff
	v_cndmask_b32_e64 v10, v10, v16, s9
	s_delay_alu instid0(VALU_DEP_1)
	v_add_f32_e32 v18, v9, v10
.LBB167_16:
	s_or_b32 exec_lo, exec_lo, s10
	s_delay_alu instid0(VALU_DEP_1) | instskip(SKIP_1) | instid1(VALU_DEP_2)
	v_dual_max_num_f32 v10, v18, v18 :: v_dual_max_num_f32 v9, v4, v4
	v_cmp_u_f32_e64 s9, v18, v18
	v_min_num_f32_e32 v11, v10, v9
	v_max_num_f32_e32 v10, v10, v9
	s_wait_alu 0xf1ff
	s_delay_alu instid0(VALU_DEP_2) | instskip(NEXT) | instid1(VALU_DEP_2)
	v_cndmask_b32_e64 v11, v11, v18, s9
	v_cndmask_b32_e64 v10, v10, v18, s9
	v_cmp_u_f32_e64 s9, v4, v4
	s_wait_alu 0xf1ff
	s_delay_alu instid0(VALU_DEP_1) | instskip(NEXT) | instid1(VALU_DEP_3)
	v_cndmask_b32_e64 v11, v11, v4, s9
	v_cndmask_b32_e64 v10, v10, v4, s9
	s_delay_alu instid0(VALU_DEP_2) | instskip(NEXT) | instid1(VALU_DEP_2)
	v_cmp_class_f32_e64 s11, v11, 0x1f8
	v_cmp_neq_f32_e64 s10, v11, v10
	s_or_b32 s10, s10, s11
	s_delay_alu instid0(SALU_CYCLE_1)
	s_and_saveexec_b32 s11, s10
	s_cbranch_execz .LBB167_18
; %bb.17:
	v_sub_f32_e32 v11, v11, v10
	s_delay_alu instid0(VALU_DEP_1) | instskip(NEXT) | instid1(VALU_DEP_1)
	v_mul_f32_e32 v16, 0x3fb8aa3b, v11
	v_fma_f32 v17, 0x3fb8aa3b, v11, -v16
	v_rndne_f32_e32 v18, v16
	s_delay_alu instid0(VALU_DEP_1) | instskip(NEXT) | instid1(VALU_DEP_1)
	v_dual_fmamk_f32 v17, v11, 0x32a5705f, v17 :: v_dual_sub_f32 v16, v16, v18
	v_add_f32_e32 v16, v16, v17
	v_cvt_i32_f32_e32 v17, v18
	v_cmp_ngt_f32_e64 s10, 0xc2ce8ed0, v11
	s_delay_alu instid0(VALU_DEP_3) | instskip(NEXT) | instid1(TRANS32_DEP_1)
	v_exp_f32_e32 v16, v16
	v_ldexp_f32 v16, v16, v17
	s_delay_alu instid0(VALU_DEP_1) | instskip(SKIP_2) | instid1(VALU_DEP_1)
	v_cndmask_b32_e64 v16, 0, v16, s10
	v_cmp_nlt_f32_e64 s10, 0x42b17218, v11
	s_wait_alu 0xf1ff
	v_cndmask_b32_e64 v11, 0x7f800000, v16, s10
	s_delay_alu instid0(VALU_DEP_1) | instskip(NEXT) | instid1(VALU_DEP_1)
	v_add_f32_e32 v18, 1.0, v11
	v_cvt_f64_f32_e32 v[16:17], v18
	s_delay_alu instid0(VALU_DEP_1) | instskip(SKIP_1) | instid1(VALU_DEP_1)
	v_frexp_exp_i32_f64_e32 v16, v[16:17]
	v_frexp_mant_f32_e32 v17, v18
	v_cmp_gt_f32_e64 s10, 0x3f2aaaab, v17
	v_add_f32_e32 v17, -1.0, v18
	s_delay_alu instid0(VALU_DEP_1) | instskip(SKIP_1) | instid1(VALU_DEP_3)
	v_dual_sub_f32 v20, v17, v18 :: v_dual_sub_f32 v17, v11, v17
	s_wait_alu 0xf1ff
	v_subrev_co_ci_u32_e64 v16, null, 0, v16, s10
	s_mov_b32 s10, 0x3e9b6dac
	v_sub_nc_u32_e32 v19, 0, v16
	v_cvt_f32_i32_e32 v16, v16
	s_delay_alu instid0(VALU_DEP_2) | instskip(NEXT) | instid1(VALU_DEP_1)
	v_ldexp_f32 v18, v18, v19
	v_dual_add_f32 v20, 1.0, v20 :: v_dual_add_f32 v21, 1.0, v18
	s_delay_alu instid0(VALU_DEP_1) | instskip(NEXT) | instid1(VALU_DEP_1)
	v_dual_add_f32 v17, v17, v20 :: v_dual_add_f32 v20, -1.0, v21
	v_ldexp_f32 v17, v17, v19
	s_delay_alu instid0(VALU_DEP_2) | instskip(NEXT) | instid1(VALU_DEP_1)
	v_dual_add_f32 v19, -1.0, v18 :: v_dual_sub_f32 v20, v18, v20
	v_add_f32_e32 v22, 1.0, v19
	s_delay_alu instid0(VALU_DEP_2) | instskip(NEXT) | instid1(VALU_DEP_2)
	v_add_f32_e32 v20, v17, v20
	v_sub_f32_e32 v18, v18, v22
	s_delay_alu instid0(VALU_DEP_1) | instskip(NEXT) | instid1(VALU_DEP_1)
	v_add_f32_e32 v17, v17, v18
	v_dual_add_f32 v23, v19, v17 :: v_dual_add_f32 v22, v21, v20
	s_delay_alu instid0(VALU_DEP_1) | instskip(NEXT) | instid1(VALU_DEP_2)
	v_sub_f32_e32 v19, v19, v23
	v_rcp_f32_e32 v18, v22
	v_sub_f32_e32 v21, v21, v22
	s_delay_alu instid0(VALU_DEP_1) | instskip(NEXT) | instid1(TRANS32_DEP_1)
	v_dual_add_f32 v17, v17, v19 :: v_dual_add_f32 v20, v20, v21
	v_mul_f32_e32 v24, v23, v18
	s_delay_alu instid0(VALU_DEP_1) | instskip(NEXT) | instid1(VALU_DEP_1)
	v_mul_f32_e32 v25, v22, v24
	v_fma_f32 v21, v24, v22, -v25
	s_delay_alu instid0(VALU_DEP_1) | instskip(NEXT) | instid1(VALU_DEP_1)
	v_fmac_f32_e32 v21, v24, v20
	v_add_f32_e32 v26, v25, v21
	s_delay_alu instid0(VALU_DEP_1) | instskip(NEXT) | instid1(VALU_DEP_1)
	v_sub_f32_e32 v27, v23, v26
	v_sub_f32_e32 v23, v23, v27
	v_sub_f32_e32 v19, v26, v25
	s_delay_alu instid0(VALU_DEP_2) | instskip(NEXT) | instid1(VALU_DEP_2)
	v_sub_f32_e32 v23, v23, v26
	v_sub_f32_e32 v19, v19, v21
	s_delay_alu instid0(VALU_DEP_2) | instskip(NEXT) | instid1(VALU_DEP_1)
	v_add_f32_e32 v17, v17, v23
	v_add_f32_e32 v17, v19, v17
	s_delay_alu instid0(VALU_DEP_1) | instskip(NEXT) | instid1(VALU_DEP_1)
	v_add_f32_e32 v19, v27, v17
	v_mul_f32_e32 v21, v18, v19
	s_delay_alu instid0(VALU_DEP_1) | instskip(NEXT) | instid1(VALU_DEP_1)
	v_dual_sub_f32 v26, v27, v19 :: v_dual_mul_f32 v23, v22, v21
	v_add_f32_e32 v17, v17, v26
	s_delay_alu instid0(VALU_DEP_2) | instskip(NEXT) | instid1(VALU_DEP_1)
	v_fma_f32 v22, v21, v22, -v23
	v_fmac_f32_e32 v22, v21, v20
	s_delay_alu instid0(VALU_DEP_1) | instskip(NEXT) | instid1(VALU_DEP_1)
	v_add_f32_e32 v20, v23, v22
	v_sub_f32_e32 v25, v19, v20
	v_sub_f32_e32 v23, v20, v23
	s_delay_alu instid0(VALU_DEP_2) | instskip(NEXT) | instid1(VALU_DEP_1)
	v_sub_f32_e32 v19, v19, v25
	v_sub_f32_e32 v19, v19, v20
	s_delay_alu instid0(VALU_DEP_1) | instskip(SKIP_1) | instid1(VALU_DEP_1)
	v_dual_sub_f32 v20, v23, v22 :: v_dual_add_f32 v17, v17, v19
	v_add_f32_e32 v19, v24, v21
	v_dual_add_f32 v17, v20, v17 :: v_dual_sub_f32 v20, v19, v24
	s_delay_alu instid0(VALU_DEP_1) | instskip(NEXT) | instid1(VALU_DEP_1)
	v_add_f32_e32 v17, v25, v17
	v_dual_sub_f32 v20, v21, v20 :: v_dual_mul_f32 v17, v18, v17
	s_delay_alu instid0(VALU_DEP_1) | instskip(NEXT) | instid1(VALU_DEP_1)
	v_add_f32_e32 v17, v20, v17
	v_add_f32_e32 v18, v19, v17
	s_delay_alu instid0(VALU_DEP_1) | instskip(SKIP_1) | instid1(VALU_DEP_1)
	v_mul_f32_e32 v20, v18, v18
	s_wait_alu 0xfffe
	v_fmaak_f32 v21, s10, v20, 0x3ecc95a3
	v_mul_f32_e32 v22, v18, v20
	v_cmp_neq_f32_e64 s10, 0x7f800000, v11
	s_delay_alu instid0(VALU_DEP_3) | instskip(SKIP_2) | instid1(VALU_DEP_3)
	v_fmaak_f32 v20, v20, v21, 0x3f2aaada
	v_ldexp_f32 v21, v18, 1
	v_sub_f32_e32 v18, v18, v19
	v_mul_f32_e32 v20, v22, v20
	s_delay_alu instid0(VALU_DEP_2) | instskip(NEXT) | instid1(VALU_DEP_2)
	v_dual_mul_f32 v22, 0x3f317218, v16 :: v_dual_sub_f32 v17, v17, v18
	v_add_f32_e32 v19, v21, v20
	s_delay_alu instid0(VALU_DEP_2) | instskip(NEXT) | instid1(VALU_DEP_2)
	v_ldexp_f32 v17, v17, 1
	v_sub_f32_e32 v18, v19, v21
	s_delay_alu instid0(VALU_DEP_4) | instskip(NEXT) | instid1(VALU_DEP_2)
	v_fma_f32 v21, 0x3f317218, v16, -v22
	v_sub_f32_e32 v18, v20, v18
	s_delay_alu instid0(VALU_DEP_1) | instskip(NEXT) | instid1(VALU_DEP_1)
	v_dual_fmamk_f32 v16, v16, 0xb102e308, v21 :: v_dual_add_f32 v17, v17, v18
	v_add_f32_e32 v18, v22, v16
	s_delay_alu instid0(VALU_DEP_1) | instskip(NEXT) | instid1(VALU_DEP_1)
	v_sub_f32_e32 v22, v18, v22
	v_sub_f32_e32 v16, v16, v22
	s_delay_alu instid0(VALU_DEP_4) | instskip(NEXT) | instid1(VALU_DEP_1)
	v_add_f32_e32 v20, v19, v17
	v_sub_f32_e32 v19, v20, v19
	s_delay_alu instid0(VALU_DEP_1) | instskip(SKIP_1) | instid1(VALU_DEP_1)
	v_sub_f32_e32 v17, v17, v19
	v_add_f32_e32 v21, v18, v20
	v_sub_f32_e32 v23, v21, v18
	s_delay_alu instid0(VALU_DEP_1) | instskip(NEXT) | instid1(VALU_DEP_4)
	v_sub_f32_e32 v19, v20, v23
	v_add_f32_e32 v20, v16, v17
	v_sub_f32_e32 v24, v21, v23
	s_delay_alu instid0(VALU_DEP_1) | instskip(NEXT) | instid1(VALU_DEP_1)
	v_sub_f32_e32 v18, v18, v24
	v_dual_add_f32 v18, v19, v18 :: v_dual_sub_f32 v19, v20, v16
	s_delay_alu instid0(VALU_DEP_1) | instskip(SKIP_1) | instid1(VALU_DEP_2)
	v_dual_add_f32 v18, v20, v18 :: v_dual_sub_f32 v17, v17, v19
	v_sub_f32_e32 v20, v20, v19
	v_add_f32_e32 v22, v21, v18
	s_delay_alu instid0(VALU_DEP_1) | instskip(NEXT) | instid1(VALU_DEP_1)
	v_dual_sub_f32 v16, v16, v20 :: v_dual_sub_f32 v19, v22, v21
	v_dual_add_f32 v16, v17, v16 :: v_dual_sub_f32 v17, v18, v19
	s_delay_alu instid0(VALU_DEP_1) | instskip(NEXT) | instid1(VALU_DEP_1)
	v_add_f32_e32 v16, v16, v17
	v_add_f32_e32 v16, v22, v16
	s_wait_alu 0xf1ff
	s_delay_alu instid0(VALU_DEP_1) | instskip(SKIP_2) | instid1(VALU_DEP_1)
	v_cndmask_b32_e64 v16, 0x7f800000, v16, s10
	v_cmp_gt_f32_e64 s10, 0x33800000, |v11|
	s_wait_alu 0xf1ff
	v_cndmask_b32_e64 v11, v16, v11, s10
	s_delay_alu instid0(VALU_DEP_1)
	v_add_f32_e32 v18, v10, v11
.LBB167_18:
	s_or_b32 exec_lo, exec_lo, s11
	s_delay_alu instid0(VALU_DEP_1) | instskip(SKIP_1) | instid1(VALU_DEP_2)
	v_dual_max_num_f32 v11, v18, v18 :: v_dual_max_num_f32 v10, v5, v5
	v_cmp_u_f32_e64 s10, v18, v18
	v_min_num_f32_e32 v16, v11, v10
	v_max_num_f32_e32 v11, v11, v10
	s_wait_alu 0xf1ff
	s_delay_alu instid0(VALU_DEP_2) | instskip(NEXT) | instid1(VALU_DEP_2)
	v_cndmask_b32_e64 v16, v16, v18, s10
	v_cndmask_b32_e64 v11, v11, v18, s10
	v_cmp_u_f32_e64 s10, v5, v5
	s_wait_alu 0xf1ff
	s_delay_alu instid0(VALU_DEP_1) | instskip(NEXT) | instid1(VALU_DEP_3)
	v_cndmask_b32_e64 v16, v16, v5, s10
	v_cndmask_b32_e64 v11, v11, v5, s10
	s_delay_alu instid0(VALU_DEP_2) | instskip(NEXT) | instid1(VALU_DEP_2)
	v_cmp_class_f32_e64 s13, v16, 0x1f8
	v_cmp_neq_f32_e64 s11, v16, v11
	s_or_b32 s11, s11, s13
	s_wait_alu 0xfffe
	s_and_saveexec_b32 s13, s11
	s_cbranch_execz .LBB167_20
; %bb.19:
	v_sub_f32_e32 v16, v16, v11
	s_delay_alu instid0(VALU_DEP_1) | instskip(NEXT) | instid1(VALU_DEP_1)
	v_mul_f32_e32 v17, 0x3fb8aa3b, v16
	v_fma_f32 v18, 0x3fb8aa3b, v16, -v17
	v_rndne_f32_e32 v19, v17
	s_delay_alu instid0(VALU_DEP_1) | instskip(NEXT) | instid1(VALU_DEP_1)
	v_dual_fmamk_f32 v18, v16, 0x32a5705f, v18 :: v_dual_sub_f32 v17, v17, v19
	v_add_f32_e32 v17, v17, v18
	v_cvt_i32_f32_e32 v18, v19
	v_cmp_ngt_f32_e64 s11, 0xc2ce8ed0, v16
	s_delay_alu instid0(VALU_DEP_3) | instskip(NEXT) | instid1(TRANS32_DEP_1)
	v_exp_f32_e32 v17, v17
	v_ldexp_f32 v17, v17, v18
	s_wait_alu 0xf1ff
	s_delay_alu instid0(VALU_DEP_1) | instskip(SKIP_2) | instid1(VALU_DEP_1)
	v_cndmask_b32_e64 v17, 0, v17, s11
	v_cmp_nlt_f32_e64 s11, 0x42b17218, v16
	s_wait_alu 0xf1ff
	v_cndmask_b32_e64 v18, 0x7f800000, v17, s11
	s_delay_alu instid0(VALU_DEP_1) | instskip(NEXT) | instid1(VALU_DEP_1)
	v_add_f32_e32 v19, 1.0, v18
	v_cvt_f64_f32_e32 v[16:17], v19
	s_delay_alu instid0(VALU_DEP_1) | instskip(SKIP_1) | instid1(VALU_DEP_1)
	v_frexp_exp_i32_f64_e32 v16, v[16:17]
	v_frexp_mant_f32_e32 v17, v19
	v_cmp_gt_f32_e64 s11, 0x3f2aaaab, v17
	v_add_f32_e32 v17, -1.0, v19
	s_delay_alu instid0(VALU_DEP_1) | instskip(SKIP_1) | instid1(VALU_DEP_3)
	v_sub_f32_e32 v21, v17, v19
	s_wait_alu 0xf1ff
	v_subrev_co_ci_u32_e64 v16, null, 0, v16, s11
	s_mov_b32 s11, 0x3e9b6dac
	v_sub_nc_u32_e32 v20, 0, v16
	v_cvt_f32_i32_e32 v16, v16
	s_delay_alu instid0(VALU_DEP_2) | instskip(NEXT) | instid1(VALU_DEP_1)
	v_ldexp_f32 v19, v19, v20
	v_dual_sub_f32 v17, v18, v17 :: v_dual_add_f32 v22, 1.0, v19
	v_add_f32_e32 v21, 1.0, v21
	s_delay_alu instid0(VALU_DEP_1) | instskip(NEXT) | instid1(VALU_DEP_3)
	v_add_f32_e32 v17, v17, v21
	v_add_f32_e32 v21, -1.0, v22
	s_delay_alu instid0(VALU_DEP_2) | instskip(NEXT) | instid1(VALU_DEP_2)
	v_ldexp_f32 v17, v17, v20
	v_dual_add_f32 v20, -1.0, v19 :: v_dual_sub_f32 v21, v19, v21
	s_delay_alu instid0(VALU_DEP_1) | instskip(NEXT) | instid1(VALU_DEP_2)
	v_add_f32_e32 v23, 1.0, v20
	v_add_f32_e32 v21, v17, v21
	s_delay_alu instid0(VALU_DEP_2) | instskip(NEXT) | instid1(VALU_DEP_2)
	v_sub_f32_e32 v19, v19, v23
	v_add_f32_e32 v23, v22, v21
	s_delay_alu instid0(VALU_DEP_2) | instskip(NEXT) | instid1(VALU_DEP_2)
	v_add_f32_e32 v17, v17, v19
	v_rcp_f32_e32 v19, v23
	v_sub_f32_e32 v22, v22, v23
	s_delay_alu instid0(VALU_DEP_1) | instskip(NEXT) | instid1(VALU_DEP_1)
	v_dual_add_f32 v24, v20, v17 :: v_dual_add_f32 v21, v21, v22
	v_sub_f32_e32 v20, v20, v24
	s_delay_alu instid0(TRANS32_DEP_1) | instskip(NEXT) | instid1(VALU_DEP_1)
	v_mul_f32_e32 v25, v24, v19
	v_dual_add_f32 v17, v17, v20 :: v_dual_mul_f32 v26, v23, v25
	s_delay_alu instid0(VALU_DEP_1) | instskip(NEXT) | instid1(VALU_DEP_1)
	v_fma_f32 v22, v25, v23, -v26
	v_fmac_f32_e32 v22, v25, v21
	s_delay_alu instid0(VALU_DEP_1) | instskip(NEXT) | instid1(VALU_DEP_1)
	v_add_f32_e32 v27, v26, v22
	v_sub_f32_e32 v28, v24, v27
	v_sub_f32_e32 v20, v27, v26
	s_delay_alu instid0(VALU_DEP_2) | instskip(NEXT) | instid1(VALU_DEP_2)
	v_sub_f32_e32 v24, v24, v28
	v_sub_f32_e32 v20, v20, v22
	s_delay_alu instid0(VALU_DEP_2) | instskip(NEXT) | instid1(VALU_DEP_1)
	v_sub_f32_e32 v24, v24, v27
	v_add_f32_e32 v17, v17, v24
	s_delay_alu instid0(VALU_DEP_1) | instskip(NEXT) | instid1(VALU_DEP_1)
	v_add_f32_e32 v17, v20, v17
	v_add_f32_e32 v20, v28, v17
	s_delay_alu instid0(VALU_DEP_1) | instskip(NEXT) | instid1(VALU_DEP_1)
	v_mul_f32_e32 v22, v19, v20
	v_dual_sub_f32 v27, v28, v20 :: v_dual_mul_f32 v24, v23, v22
	s_delay_alu instid0(VALU_DEP_1) | instskip(NEXT) | instid1(VALU_DEP_2)
	v_add_f32_e32 v17, v17, v27
	v_fma_f32 v23, v22, v23, -v24
	s_delay_alu instid0(VALU_DEP_1) | instskip(NEXT) | instid1(VALU_DEP_1)
	v_fmac_f32_e32 v23, v22, v21
	v_add_f32_e32 v21, v24, v23
	s_delay_alu instid0(VALU_DEP_1) | instskip(SKIP_1) | instid1(VALU_DEP_2)
	v_sub_f32_e32 v26, v20, v21
	v_sub_f32_e32 v24, v21, v24
	;; [unrolled: 1-line block ×3, first 2 shown]
	s_delay_alu instid0(VALU_DEP_1) | instskip(NEXT) | instid1(VALU_DEP_3)
	v_sub_f32_e32 v20, v20, v21
	v_sub_f32_e32 v21, v24, v23
	s_delay_alu instid0(VALU_DEP_2) | instskip(SKIP_1) | instid1(VALU_DEP_2)
	v_add_f32_e32 v17, v17, v20
	v_add_f32_e32 v20, v25, v22
	;; [unrolled: 1-line block ×3, first 2 shown]
	s_delay_alu instid0(VALU_DEP_2) | instskip(NEXT) | instid1(VALU_DEP_2)
	v_sub_f32_e32 v21, v20, v25
	v_add_f32_e32 v17, v26, v17
	s_delay_alu instid0(VALU_DEP_2) | instskip(NEXT) | instid1(VALU_DEP_2)
	v_sub_f32_e32 v21, v22, v21
	v_mul_f32_e32 v17, v19, v17
	s_delay_alu instid0(VALU_DEP_1) | instskip(NEXT) | instid1(VALU_DEP_1)
	v_add_f32_e32 v17, v21, v17
	v_add_f32_e32 v19, v20, v17
	s_delay_alu instid0(VALU_DEP_1) | instskip(SKIP_1) | instid1(VALU_DEP_1)
	v_mul_f32_e32 v21, v19, v19
	s_wait_alu 0xfffe
	v_fmaak_f32 v22, s11, v21, 0x3ecc95a3
	v_mul_f32_e32 v23, v19, v21
	v_cmp_neq_f32_e64 s11, 0x7f800000, v18
	s_delay_alu instid0(VALU_DEP_3) | instskip(SKIP_2) | instid1(VALU_DEP_3)
	v_fmaak_f32 v21, v21, v22, 0x3f2aaada
	v_ldexp_f32 v22, v19, 1
	v_sub_f32_e32 v19, v19, v20
	v_mul_f32_e32 v21, v23, v21
	v_mul_f32_e32 v23, 0x3f317218, v16
	s_delay_alu instid0(VALU_DEP_2) | instskip(NEXT) | instid1(VALU_DEP_1)
	v_dual_sub_f32 v17, v17, v19 :: v_dual_add_f32 v20, v22, v21
	v_ldexp_f32 v17, v17, 1
	s_delay_alu instid0(VALU_DEP_2) | instskip(NEXT) | instid1(VALU_DEP_4)
	v_sub_f32_e32 v19, v20, v22
	v_fma_f32 v22, 0x3f317218, v16, -v23
	s_delay_alu instid0(VALU_DEP_1) | instskip(NEXT) | instid1(VALU_DEP_1)
	v_dual_sub_f32 v19, v21, v19 :: v_dual_fmamk_f32 v16, v16, 0xb102e308, v22
	v_add_f32_e32 v17, v17, v19
	s_delay_alu instid0(VALU_DEP_2) | instskip(NEXT) | instid1(VALU_DEP_2)
	v_add_f32_e32 v19, v23, v16
	v_add_f32_e32 v21, v20, v17
	s_delay_alu instid0(VALU_DEP_2) | instskip(NEXT) | instid1(VALU_DEP_2)
	v_sub_f32_e32 v23, v19, v23
	v_add_f32_e32 v22, v19, v21
	v_sub_f32_e32 v20, v21, v20
	s_delay_alu instid0(VALU_DEP_3) | instskip(NEXT) | instid1(VALU_DEP_2)
	v_sub_f32_e32 v16, v16, v23
	v_dual_sub_f32 v24, v22, v19 :: v_dual_sub_f32 v17, v17, v20
	s_delay_alu instid0(VALU_DEP_1) | instskip(NEXT) | instid1(VALU_DEP_2)
	v_sub_f32_e32 v25, v22, v24
	v_dual_sub_f32 v20, v21, v24 :: v_dual_add_f32 v21, v16, v17
	s_delay_alu instid0(VALU_DEP_2) | instskip(NEXT) | instid1(VALU_DEP_1)
	v_sub_f32_e32 v19, v19, v25
	v_dual_add_f32 v19, v20, v19 :: v_dual_sub_f32 v20, v21, v16
	s_delay_alu instid0(VALU_DEP_1) | instskip(NEXT) | instid1(VALU_DEP_2)
	v_add_f32_e32 v19, v21, v19
	v_sub_f32_e32 v21, v21, v20
	v_sub_f32_e32 v17, v17, v20
	s_delay_alu instid0(VALU_DEP_2) | instskip(NEXT) | instid1(VALU_DEP_1)
	v_dual_add_f32 v23, v22, v19 :: v_dual_sub_f32 v16, v16, v21
	v_sub_f32_e32 v20, v23, v22
	s_delay_alu instid0(VALU_DEP_2) | instskip(NEXT) | instid1(VALU_DEP_2)
	v_add_f32_e32 v16, v17, v16
	v_sub_f32_e32 v17, v19, v20
	s_delay_alu instid0(VALU_DEP_1) | instskip(NEXT) | instid1(VALU_DEP_1)
	v_add_f32_e32 v16, v16, v17
	v_add_f32_e32 v16, v23, v16
	s_wait_alu 0xf1ff
	s_delay_alu instid0(VALU_DEP_1) | instskip(SKIP_2) | instid1(VALU_DEP_1)
	v_cndmask_b32_e64 v16, 0x7f800000, v16, s11
	v_cmp_gt_f32_e64 s11, 0x33800000, |v18|
	s_wait_alu 0xf1ff
	v_cndmask_b32_e64 v16, v16, v18, s11
	s_delay_alu instid0(VALU_DEP_1)
	v_add_f32_e32 v18, v11, v16
.LBB167_20:
	s_wait_alu 0xfffe
	s_or_b32 exec_lo, exec_lo, s13
	s_delay_alu instid0(VALU_DEP_1) | instskip(SKIP_2) | instid1(VALU_DEP_2)
	v_max_num_f32_e32 v16, v18, v18
	v_max_num_f32_e32 v11, v6, v6
	v_cmp_u_f32_e64 s11, v18, v18
	v_min_num_f32_e32 v17, v16, v11
	v_max_num_f32_e32 v16, v16, v11
	s_wait_alu 0xf1ff
	s_delay_alu instid0(VALU_DEP_2) | instskip(NEXT) | instid1(VALU_DEP_2)
	v_cndmask_b32_e64 v17, v17, v18, s11
	v_cndmask_b32_e64 v16, v16, v18, s11
	v_cmp_u_f32_e64 s11, v6, v6
	s_wait_alu 0xf1ff
	s_delay_alu instid0(VALU_DEP_1) | instskip(NEXT) | instid1(VALU_DEP_3)
	v_cndmask_b32_e64 v17, v17, v6, s11
	v_cndmask_b32_e64 v16, v16, v6, s11
	s_delay_alu instid0(VALU_DEP_2) | instskip(NEXT) | instid1(VALU_DEP_2)
	v_cmp_class_f32_e64 s14, v17, 0x1f8
	v_cmp_neq_f32_e64 s13, v17, v16
	s_or_b32 s13, s13, s14
	s_wait_alu 0xfffe
	s_and_saveexec_b32 s14, s13
	s_cbranch_execz .LBB167_22
; %bb.21:
	v_sub_f32_e32 v17, v17, v16
	s_delay_alu instid0(VALU_DEP_1) | instskip(NEXT) | instid1(VALU_DEP_1)
	v_mul_f32_e32 v18, 0x3fb8aa3b, v17
	v_fma_f32 v19, 0x3fb8aa3b, v17, -v18
	v_rndne_f32_e32 v20, v18
	s_delay_alu instid0(VALU_DEP_1) | instskip(NEXT) | instid1(VALU_DEP_1)
	v_dual_fmamk_f32 v19, v17, 0x32a5705f, v19 :: v_dual_sub_f32 v18, v18, v20
	v_add_f32_e32 v18, v18, v19
	v_cvt_i32_f32_e32 v19, v20
	v_cmp_ngt_f32_e64 s13, 0xc2ce8ed0, v17
	s_delay_alu instid0(VALU_DEP_3) | instskip(NEXT) | instid1(TRANS32_DEP_1)
	v_exp_f32_e32 v18, v18
	v_ldexp_f32 v18, v18, v19
	s_wait_alu 0xf1ff
	s_delay_alu instid0(VALU_DEP_1) | instskip(SKIP_2) | instid1(VALU_DEP_1)
	v_cndmask_b32_e64 v18, 0, v18, s13
	v_cmp_nlt_f32_e64 s13, 0x42b17218, v17
	s_wait_alu 0xf1ff
	v_cndmask_b32_e64 v19, 0x7f800000, v18, s13
	s_delay_alu instid0(VALU_DEP_1) | instskip(NEXT) | instid1(VALU_DEP_1)
	v_add_f32_e32 v20, 1.0, v19
	v_cvt_f64_f32_e32 v[17:18], v20
	s_delay_alu instid0(VALU_DEP_1) | instskip(SKIP_1) | instid1(VALU_DEP_1)
	v_frexp_exp_i32_f64_e32 v17, v[17:18]
	v_frexp_mant_f32_e32 v18, v20
	v_cmp_gt_f32_e64 s13, 0x3f2aaaab, v18
	v_add_f32_e32 v18, -1.0, v20
	s_delay_alu instid0(VALU_DEP_1) | instskip(SKIP_1) | instid1(VALU_DEP_3)
	v_sub_f32_e32 v22, v18, v20
	s_wait_alu 0xf1ff
	v_subrev_co_ci_u32_e64 v17, null, 0, v17, s13
	s_mov_b32 s13, 0x3e9b6dac
	v_sub_nc_u32_e32 v21, 0, v17
	v_cvt_f32_i32_e32 v17, v17
	s_delay_alu instid0(VALU_DEP_2) | instskip(NEXT) | instid1(VALU_DEP_1)
	v_ldexp_f32 v20, v20, v21
	v_dual_sub_f32 v18, v19, v18 :: v_dual_add_f32 v23, 1.0, v20
	v_add_f32_e32 v22, 1.0, v22
	s_delay_alu instid0(VALU_DEP_1) | instskip(NEXT) | instid1(VALU_DEP_3)
	v_add_f32_e32 v18, v18, v22
	v_add_f32_e32 v22, -1.0, v23
	s_delay_alu instid0(VALU_DEP_2) | instskip(NEXT) | instid1(VALU_DEP_2)
	v_ldexp_f32 v18, v18, v21
	v_dual_add_f32 v21, -1.0, v20 :: v_dual_sub_f32 v22, v20, v22
	s_delay_alu instid0(VALU_DEP_1) | instskip(NEXT) | instid1(VALU_DEP_2)
	v_add_f32_e32 v24, 1.0, v21
	v_add_f32_e32 v22, v18, v22
	s_delay_alu instid0(VALU_DEP_2) | instskip(NEXT) | instid1(VALU_DEP_2)
	v_sub_f32_e32 v20, v20, v24
	v_add_f32_e32 v24, v23, v22
	s_delay_alu instid0(VALU_DEP_2) | instskip(NEXT) | instid1(VALU_DEP_2)
	v_add_f32_e32 v18, v18, v20
	v_rcp_f32_e32 v20, v24
	v_sub_f32_e32 v23, v23, v24
	s_delay_alu instid0(VALU_DEP_1) | instskip(NEXT) | instid1(VALU_DEP_1)
	v_dual_add_f32 v25, v21, v18 :: v_dual_add_f32 v22, v22, v23
	v_sub_f32_e32 v21, v21, v25
	s_delay_alu instid0(TRANS32_DEP_1) | instskip(NEXT) | instid1(VALU_DEP_1)
	v_mul_f32_e32 v26, v25, v20
	v_dual_add_f32 v18, v18, v21 :: v_dual_mul_f32 v27, v24, v26
	s_delay_alu instid0(VALU_DEP_1) | instskip(NEXT) | instid1(VALU_DEP_1)
	v_fma_f32 v23, v26, v24, -v27
	v_fmac_f32_e32 v23, v26, v22
	s_delay_alu instid0(VALU_DEP_1) | instskip(NEXT) | instid1(VALU_DEP_1)
	v_add_f32_e32 v28, v27, v23
	v_sub_f32_e32 v29, v25, v28
	v_sub_f32_e32 v21, v28, v27
	s_delay_alu instid0(VALU_DEP_2) | instskip(NEXT) | instid1(VALU_DEP_2)
	v_sub_f32_e32 v25, v25, v29
	v_sub_f32_e32 v21, v21, v23
	s_delay_alu instid0(VALU_DEP_2) | instskip(NEXT) | instid1(VALU_DEP_1)
	v_sub_f32_e32 v25, v25, v28
	v_add_f32_e32 v18, v18, v25
	s_delay_alu instid0(VALU_DEP_1) | instskip(NEXT) | instid1(VALU_DEP_1)
	v_add_f32_e32 v18, v21, v18
	v_add_f32_e32 v21, v29, v18
	s_delay_alu instid0(VALU_DEP_1) | instskip(NEXT) | instid1(VALU_DEP_1)
	v_mul_f32_e32 v23, v20, v21
	v_dual_sub_f32 v28, v29, v21 :: v_dual_mul_f32 v25, v24, v23
	s_delay_alu instid0(VALU_DEP_1) | instskip(NEXT) | instid1(VALU_DEP_2)
	v_add_f32_e32 v18, v18, v28
	v_fma_f32 v24, v23, v24, -v25
	s_delay_alu instid0(VALU_DEP_1) | instskip(NEXT) | instid1(VALU_DEP_1)
	v_fmac_f32_e32 v24, v23, v22
	v_add_f32_e32 v22, v25, v24
	s_delay_alu instid0(VALU_DEP_1) | instskip(SKIP_1) | instid1(VALU_DEP_2)
	v_sub_f32_e32 v27, v21, v22
	v_sub_f32_e32 v25, v22, v25
	;; [unrolled: 1-line block ×3, first 2 shown]
	s_delay_alu instid0(VALU_DEP_1) | instskip(NEXT) | instid1(VALU_DEP_3)
	v_sub_f32_e32 v21, v21, v22
	v_sub_f32_e32 v22, v25, v24
	s_delay_alu instid0(VALU_DEP_2) | instskip(SKIP_1) | instid1(VALU_DEP_2)
	v_add_f32_e32 v18, v18, v21
	v_add_f32_e32 v21, v26, v23
	;; [unrolled: 1-line block ×3, first 2 shown]
	s_delay_alu instid0(VALU_DEP_2) | instskip(NEXT) | instid1(VALU_DEP_2)
	v_sub_f32_e32 v22, v21, v26
	v_add_f32_e32 v18, v27, v18
	s_delay_alu instid0(VALU_DEP_2) | instskip(NEXT) | instid1(VALU_DEP_2)
	v_sub_f32_e32 v22, v23, v22
	v_mul_f32_e32 v18, v20, v18
	s_delay_alu instid0(VALU_DEP_1) | instskip(NEXT) | instid1(VALU_DEP_1)
	v_add_f32_e32 v18, v22, v18
	v_add_f32_e32 v20, v21, v18
	s_delay_alu instid0(VALU_DEP_1) | instskip(SKIP_1) | instid1(VALU_DEP_1)
	v_mul_f32_e32 v22, v20, v20
	s_wait_alu 0xfffe
	v_fmaak_f32 v23, s13, v22, 0x3ecc95a3
	v_mul_f32_e32 v24, v20, v22
	v_cmp_neq_f32_e64 s13, 0x7f800000, v19
	s_delay_alu instid0(VALU_DEP_3) | instskip(SKIP_2) | instid1(VALU_DEP_3)
	v_fmaak_f32 v22, v22, v23, 0x3f2aaada
	v_ldexp_f32 v23, v20, 1
	v_sub_f32_e32 v20, v20, v21
	v_mul_f32_e32 v22, v24, v22
	v_mul_f32_e32 v24, 0x3f317218, v17
	s_delay_alu instid0(VALU_DEP_2) | instskip(NEXT) | instid1(VALU_DEP_1)
	v_dual_sub_f32 v18, v18, v20 :: v_dual_add_f32 v21, v23, v22
	v_ldexp_f32 v18, v18, 1
	s_delay_alu instid0(VALU_DEP_2) | instskip(NEXT) | instid1(VALU_DEP_4)
	v_sub_f32_e32 v20, v21, v23
	v_fma_f32 v23, 0x3f317218, v17, -v24
	s_delay_alu instid0(VALU_DEP_1) | instskip(NEXT) | instid1(VALU_DEP_1)
	v_dual_sub_f32 v20, v22, v20 :: v_dual_fmamk_f32 v17, v17, 0xb102e308, v23
	v_add_f32_e32 v18, v18, v20
	s_delay_alu instid0(VALU_DEP_2) | instskip(NEXT) | instid1(VALU_DEP_2)
	v_add_f32_e32 v20, v24, v17
	v_add_f32_e32 v22, v21, v18
	s_delay_alu instid0(VALU_DEP_2) | instskip(NEXT) | instid1(VALU_DEP_2)
	v_sub_f32_e32 v24, v20, v24
	v_add_f32_e32 v23, v20, v22
	v_sub_f32_e32 v21, v22, v21
	s_delay_alu instid0(VALU_DEP_3) | instskip(NEXT) | instid1(VALU_DEP_2)
	v_sub_f32_e32 v17, v17, v24
	v_dual_sub_f32 v25, v23, v20 :: v_dual_sub_f32 v18, v18, v21
	s_delay_alu instid0(VALU_DEP_1) | instskip(NEXT) | instid1(VALU_DEP_2)
	v_sub_f32_e32 v26, v23, v25
	v_dual_sub_f32 v21, v22, v25 :: v_dual_add_f32 v22, v17, v18
	s_delay_alu instid0(VALU_DEP_2) | instskip(NEXT) | instid1(VALU_DEP_1)
	v_sub_f32_e32 v20, v20, v26
	v_dual_add_f32 v20, v21, v20 :: v_dual_sub_f32 v21, v22, v17
	s_delay_alu instid0(VALU_DEP_1) | instskip(NEXT) | instid1(VALU_DEP_2)
	v_add_f32_e32 v20, v22, v20
	v_sub_f32_e32 v22, v22, v21
	v_sub_f32_e32 v18, v18, v21
	s_delay_alu instid0(VALU_DEP_2) | instskip(NEXT) | instid1(VALU_DEP_1)
	v_dual_add_f32 v24, v23, v20 :: v_dual_sub_f32 v17, v17, v22
	v_sub_f32_e32 v21, v24, v23
	s_delay_alu instid0(VALU_DEP_2) | instskip(NEXT) | instid1(VALU_DEP_2)
	v_add_f32_e32 v17, v18, v17
	v_sub_f32_e32 v18, v20, v21
	s_delay_alu instid0(VALU_DEP_1) | instskip(NEXT) | instid1(VALU_DEP_1)
	v_add_f32_e32 v17, v17, v18
	v_add_f32_e32 v17, v24, v17
	s_wait_alu 0xf1ff
	s_delay_alu instid0(VALU_DEP_1) | instskip(SKIP_2) | instid1(VALU_DEP_1)
	v_cndmask_b32_e64 v17, 0x7f800000, v17, s13
	v_cmp_gt_f32_e64 s13, 0x33800000, |v19|
	s_wait_alu 0xf1ff
	v_cndmask_b32_e64 v17, v17, v19, s13
	s_delay_alu instid0(VALU_DEP_1)
	v_add_f32_e32 v18, v16, v17
.LBB167_22:
	s_wait_alu 0xfffe
	s_or_b32 exec_lo, exec_lo, s14
	s_load_b64 s[14:15], s[0:1], 0x18
	v_mbcnt_lo_u32_b32 v17, -1, 0
	v_mov_b32_dpp v20, v18 row_shr:1 row_mask:0xf bank_mask:0xf
	s_mov_b32 s1, exec_lo
	s_delay_alu instid0(VALU_DEP_2) | instskip(NEXT) | instid1(VALU_DEP_1)
	v_and_b32_e32 v19, 15, v17
	v_cmpx_ne_u32_e32 0, v19
	s_cbranch_execz .LBB167_26
; %bb.23:
	v_dual_max_num_f32 v16, v18, v18 :: v_dual_max_num_f32 v21, v20, v20
	v_cmp_u_f32_e64 s0, v20, v20
	s_delay_alu instid0(VALU_DEP_2) | instskip(SKIP_1) | instid1(VALU_DEP_2)
	v_min_num_f32_e32 v22, v21, v16
	v_max_num_f32_e32 v16, v21, v16
	v_cndmask_b32_e64 v21, v22, v20, s0
	s_delay_alu instid0(VALU_DEP_2) | instskip(SKIP_2) | instid1(VALU_DEP_1)
	v_cndmask_b32_e64 v16, v16, v20, s0
	v_cmp_u_f32_e64 s0, v18, v18
	s_wait_alu 0xf1ff
	v_cndmask_b32_e64 v21, v21, v18, s0
	s_delay_alu instid0(VALU_DEP_3) | instskip(NEXT) | instid1(VALU_DEP_2)
	v_cndmask_b32_e64 v16, v16, v18, s0
	v_cmp_class_f32_e64 s13, v21, 0x1f8
	s_delay_alu instid0(VALU_DEP_2)
	v_cmp_neq_f32_e64 s0, v21, v16
	s_or_b32 s0, s0, s13
	s_wait_alu 0xfffe
	s_and_saveexec_b32 s13, s0
	s_cbranch_execz .LBB167_25
; %bb.24:
	v_sub_f32_e32 v18, v21, v16
	s_delay_alu instid0(VALU_DEP_1) | instskip(SKIP_1) | instid1(VALU_DEP_2)
	v_mul_f32_e32 v20, 0x3fb8aa3b, v18
	v_cmp_ngt_f32_e64 s0, 0xc2ce8ed0, v18
	v_fma_f32 v21, 0x3fb8aa3b, v18, -v20
	v_rndne_f32_e32 v22, v20
	s_delay_alu instid0(VALU_DEP_1) | instskip(NEXT) | instid1(VALU_DEP_1)
	v_dual_fmamk_f32 v21, v18, 0x32a5705f, v21 :: v_dual_sub_f32 v20, v20, v22
	v_add_f32_e32 v20, v20, v21
	v_cvt_i32_f32_e32 v21, v22
	s_delay_alu instid0(VALU_DEP_2) | instskip(NEXT) | instid1(TRANS32_DEP_1)
	v_exp_f32_e32 v20, v20
	v_ldexp_f32 v20, v20, v21
	s_wait_alu 0xf1ff
	s_delay_alu instid0(VALU_DEP_1) | instskip(SKIP_2) | instid1(VALU_DEP_1)
	v_cndmask_b32_e64 v20, 0, v20, s0
	v_cmp_nlt_f32_e64 s0, 0x42b17218, v18
	s_wait_alu 0xf1ff
	v_cndmask_b32_e64 v18, 0x7f800000, v20, s0
	s_delay_alu instid0(VALU_DEP_1) | instskip(NEXT) | instid1(VALU_DEP_1)
	v_add_f32_e32 v22, 1.0, v18
	v_cvt_f64_f32_e32 v[20:21], v22
	s_delay_alu instid0(VALU_DEP_1) | instskip(SKIP_1) | instid1(VALU_DEP_1)
	v_frexp_exp_i32_f64_e32 v20, v[20:21]
	v_frexp_mant_f32_e32 v21, v22
	v_cmp_gt_f32_e64 s0, 0x3f2aaaab, v21
	v_add_f32_e32 v21, -1.0, v22
	s_delay_alu instid0(VALU_DEP_1) | instskip(NEXT) | instid1(VALU_DEP_1)
	v_dual_sub_f32 v24, v21, v22 :: v_dual_sub_f32 v21, v18, v21
	v_add_f32_e32 v24, 1.0, v24
	s_delay_alu instid0(VALU_DEP_1)
	v_add_f32_e32 v21, v21, v24
	s_wait_alu 0xf1ff
	v_subrev_co_ci_u32_e64 v20, null, 0, v20, s0
	s_mov_b32 s0, 0x3e9b6dac
	v_sub_nc_u32_e32 v23, 0, v20
	v_cvt_f32_i32_e32 v20, v20
	s_delay_alu instid0(VALU_DEP_2) | instskip(SKIP_1) | instid1(VALU_DEP_2)
	v_ldexp_f32 v22, v22, v23
	v_ldexp_f32 v21, v21, v23
	v_add_f32_e32 v25, 1.0, v22
	s_delay_alu instid0(VALU_DEP_1) | instskip(NEXT) | instid1(VALU_DEP_1)
	v_dual_add_f32 v23, -1.0, v22 :: v_dual_add_f32 v24, -1.0, v25
	v_add_f32_e32 v26, 1.0, v23
	s_delay_alu instid0(VALU_DEP_2) | instskip(NEXT) | instid1(VALU_DEP_2)
	v_sub_f32_e32 v24, v22, v24
	v_sub_f32_e32 v22, v22, v26
	s_delay_alu instid0(VALU_DEP_2) | instskip(NEXT) | instid1(VALU_DEP_2)
	v_add_f32_e32 v24, v21, v24
	v_add_f32_e32 v21, v21, v22
	s_delay_alu instid0(VALU_DEP_1) | instskip(NEXT) | instid1(VALU_DEP_1)
	v_dual_add_f32 v27, v23, v21 :: v_dual_add_f32 v26, v25, v24
	v_sub_f32_e32 v23, v23, v27
	s_delay_alu instid0(VALU_DEP_2) | instskip(SKIP_1) | instid1(VALU_DEP_1)
	v_rcp_f32_e32 v22, v26
	v_sub_f32_e32 v25, v25, v26
	v_dual_add_f32 v21, v21, v23 :: v_dual_add_f32 v24, v24, v25
	s_delay_alu instid0(TRANS32_DEP_1) | instskip(NEXT) | instid1(VALU_DEP_1)
	v_mul_f32_e32 v28, v27, v22
	v_mul_f32_e32 v29, v26, v28
	s_delay_alu instid0(VALU_DEP_1) | instskip(NEXT) | instid1(VALU_DEP_1)
	v_fma_f32 v25, v28, v26, -v29
	v_fmac_f32_e32 v25, v28, v24
	s_delay_alu instid0(VALU_DEP_1) | instskip(NEXT) | instid1(VALU_DEP_1)
	v_add_f32_e32 v30, v29, v25
	v_sub_f32_e32 v31, v27, v30
	v_sub_f32_e32 v23, v30, v29
	s_delay_alu instid0(VALU_DEP_2) | instskip(NEXT) | instid1(VALU_DEP_2)
	v_sub_f32_e32 v27, v27, v31
	v_sub_f32_e32 v23, v23, v25
	s_delay_alu instid0(VALU_DEP_2) | instskip(NEXT) | instid1(VALU_DEP_1)
	v_sub_f32_e32 v27, v27, v30
	v_add_f32_e32 v21, v21, v27
	s_delay_alu instid0(VALU_DEP_1) | instskip(NEXT) | instid1(VALU_DEP_1)
	v_add_f32_e32 v21, v23, v21
	v_add_f32_e32 v23, v31, v21
	s_delay_alu instid0(VALU_DEP_1) | instskip(NEXT) | instid1(VALU_DEP_1)
	v_mul_f32_e32 v25, v22, v23
	v_dual_sub_f32 v30, v31, v23 :: v_dual_mul_f32 v27, v26, v25
	s_delay_alu instid0(VALU_DEP_1) | instskip(NEXT) | instid1(VALU_DEP_2)
	v_add_f32_e32 v21, v21, v30
	v_fma_f32 v26, v25, v26, -v27
	s_delay_alu instid0(VALU_DEP_1) | instskip(NEXT) | instid1(VALU_DEP_1)
	v_fmac_f32_e32 v26, v25, v24
	v_add_f32_e32 v24, v27, v26
	s_delay_alu instid0(VALU_DEP_1) | instskip(NEXT) | instid1(VALU_DEP_1)
	v_sub_f32_e32 v29, v23, v24
	v_sub_f32_e32 v23, v23, v29
	s_delay_alu instid0(VALU_DEP_1) | instskip(NEXT) | instid1(VALU_DEP_1)
	v_sub_f32_e32 v23, v23, v24
	v_add_f32_e32 v21, v21, v23
	v_add_f32_e32 v23, v28, v25
	v_sub_f32_e32 v27, v24, v27
	s_delay_alu instid0(VALU_DEP_1) | instskip(NEXT) | instid1(VALU_DEP_1)
	v_sub_f32_e32 v24, v27, v26
	v_dual_add_f32 v21, v24, v21 :: v_dual_sub_f32 v24, v23, v28
	s_delay_alu instid0(VALU_DEP_1) | instskip(NEXT) | instid1(VALU_DEP_1)
	v_add_f32_e32 v21, v29, v21
	v_dual_sub_f32 v24, v25, v24 :: v_dual_mul_f32 v21, v22, v21
	s_delay_alu instid0(VALU_DEP_1) | instskip(NEXT) | instid1(VALU_DEP_1)
	v_add_f32_e32 v21, v24, v21
	v_add_f32_e32 v22, v23, v21
	s_delay_alu instid0(VALU_DEP_1) | instskip(SKIP_1) | instid1(VALU_DEP_1)
	v_mul_f32_e32 v24, v22, v22
	s_wait_alu 0xfffe
	v_fmaak_f32 v25, s0, v24, 0x3ecc95a3
	v_mul_f32_e32 v26, v22, v24
	v_cmp_neq_f32_e64 s0, 0x7f800000, v18
	s_delay_alu instid0(VALU_DEP_3) | instskip(SKIP_2) | instid1(VALU_DEP_3)
	v_fmaak_f32 v24, v24, v25, 0x3f2aaada
	v_ldexp_f32 v25, v22, 1
	v_sub_f32_e32 v22, v22, v23
	v_mul_f32_e32 v24, v26, v24
	s_delay_alu instid0(VALU_DEP_2) | instskip(NEXT) | instid1(VALU_DEP_2)
	v_dual_mul_f32 v26, 0x3f317218, v20 :: v_dual_sub_f32 v21, v21, v22
	v_add_f32_e32 v23, v25, v24
	s_delay_alu instid0(VALU_DEP_2) | instskip(NEXT) | instid1(VALU_DEP_2)
	v_ldexp_f32 v21, v21, 1
	v_sub_f32_e32 v22, v23, v25
	s_delay_alu instid0(VALU_DEP_4) | instskip(NEXT) | instid1(VALU_DEP_2)
	v_fma_f32 v25, 0x3f317218, v20, -v26
	v_sub_f32_e32 v22, v24, v22
	s_delay_alu instid0(VALU_DEP_1) | instskip(NEXT) | instid1(VALU_DEP_1)
	v_dual_fmamk_f32 v20, v20, 0xb102e308, v25 :: v_dual_add_f32 v21, v21, v22
	v_add_f32_e32 v22, v26, v20
	s_delay_alu instid0(VALU_DEP_1) | instskip(NEXT) | instid1(VALU_DEP_1)
	v_sub_f32_e32 v26, v22, v26
	v_sub_f32_e32 v20, v20, v26
	s_delay_alu instid0(VALU_DEP_4) | instskip(NEXT) | instid1(VALU_DEP_1)
	v_add_f32_e32 v24, v23, v21
	v_sub_f32_e32 v23, v24, v23
	s_delay_alu instid0(VALU_DEP_1) | instskip(SKIP_1) | instid1(VALU_DEP_1)
	v_sub_f32_e32 v21, v21, v23
	v_add_f32_e32 v25, v22, v24
	v_sub_f32_e32 v27, v25, v22
	s_delay_alu instid0(VALU_DEP_1) | instskip(NEXT) | instid1(VALU_DEP_4)
	v_sub_f32_e32 v23, v24, v27
	v_add_f32_e32 v24, v20, v21
	v_sub_f32_e32 v28, v25, v27
	s_delay_alu instid0(VALU_DEP_1) | instskip(NEXT) | instid1(VALU_DEP_1)
	v_sub_f32_e32 v22, v22, v28
	v_dual_add_f32 v22, v23, v22 :: v_dual_sub_f32 v23, v24, v20
	s_delay_alu instid0(VALU_DEP_1) | instskip(SKIP_1) | instid1(VALU_DEP_2)
	v_dual_add_f32 v22, v24, v22 :: v_dual_sub_f32 v21, v21, v23
	v_sub_f32_e32 v24, v24, v23
	v_add_f32_e32 v26, v25, v22
	s_delay_alu instid0(VALU_DEP_1) | instskip(NEXT) | instid1(VALU_DEP_1)
	v_dual_sub_f32 v20, v20, v24 :: v_dual_sub_f32 v23, v26, v25
	v_dual_add_f32 v20, v21, v20 :: v_dual_sub_f32 v21, v22, v23
	s_delay_alu instid0(VALU_DEP_1) | instskip(NEXT) | instid1(VALU_DEP_1)
	v_add_f32_e32 v20, v20, v21
	v_add_f32_e32 v20, v26, v20
	s_wait_alu 0xf1ff
	s_delay_alu instid0(VALU_DEP_1) | instskip(SKIP_2) | instid1(VALU_DEP_1)
	v_cndmask_b32_e64 v20, 0x7f800000, v20, s0
	v_cmp_gt_f32_e64 s0, 0x33800000, |v18|
	s_wait_alu 0xf1ff
	v_cndmask_b32_e64 v18, v20, v18, s0
	s_delay_alu instid0(VALU_DEP_1)
	v_add_f32_e32 v20, v16, v18
.LBB167_25:
	s_wait_alu 0xfffe
	s_or_b32 exec_lo, exec_lo, s13
	s_delay_alu instid0(VALU_DEP_1)
	v_mov_b32_e32 v18, v20
.LBB167_26:
	s_or_b32 exec_lo, exec_lo, s1
	v_mul_u32_u24_e32 v16, 20, v0
	s_delay_alu instid0(VALU_DEP_2)
	v_mov_b32_dpp v20, v18 row_shr:2 row_mask:0xf bank_mask:0xf
	s_mov_b32 s1, exec_lo
	v_cmpx_lt_u32_e32 1, v19
	s_cbranch_execz .LBB167_30
; %bb.27:
	s_delay_alu instid0(VALU_DEP_2) | instskip(SKIP_1) | instid1(VALU_DEP_2)
	v_dual_max_num_f32 v21, v18, v18 :: v_dual_max_num_f32 v22, v20, v20
	v_cmp_u_f32_e64 s0, v20, v20
	v_min_num_f32_e32 v23, v22, v21
	v_max_num_f32_e32 v21, v22, v21
	s_wait_alu 0xf1ff
	s_delay_alu instid0(VALU_DEP_2) | instskip(NEXT) | instid1(VALU_DEP_2)
	v_cndmask_b32_e64 v22, v23, v20, s0
	v_cndmask_b32_e64 v23, v21, v20, s0
	v_cmp_u_f32_e64 s0, v18, v18
	s_wait_alu 0xf1ff
	s_delay_alu instid0(VALU_DEP_1) | instskip(NEXT) | instid1(VALU_DEP_3)
	v_cndmask_b32_e64 v21, v22, v18, s0
	v_cndmask_b32_e64 v18, v23, v18, s0
	s_delay_alu instid0(VALU_DEP_2) | instskip(NEXT) | instid1(VALU_DEP_2)
	v_cmp_class_f32_e64 s13, v21, 0x1f8
	v_cmp_neq_f32_e64 s0, v21, v18
	s_or_b32 s0, s0, s13
	s_wait_alu 0xfffe
	s_and_saveexec_b32 s13, s0
	s_cbranch_execz .LBB167_29
; %bb.28:
	v_sub_f32_e32 v20, v21, v18
	s_delay_alu instid0(VALU_DEP_1) | instskip(SKIP_1) | instid1(VALU_DEP_2)
	v_mul_f32_e32 v21, 0x3fb8aa3b, v20
	v_cmp_ngt_f32_e64 s0, 0xc2ce8ed0, v20
	v_fma_f32 v22, 0x3fb8aa3b, v20, -v21
	v_rndne_f32_e32 v23, v21
	s_delay_alu instid0(VALU_DEP_1) | instskip(NEXT) | instid1(VALU_DEP_1)
	v_dual_fmamk_f32 v22, v20, 0x32a5705f, v22 :: v_dual_sub_f32 v21, v21, v23
	v_add_f32_e32 v21, v21, v22
	v_cvt_i32_f32_e32 v22, v23
	s_delay_alu instid0(VALU_DEP_2) | instskip(NEXT) | instid1(TRANS32_DEP_1)
	v_exp_f32_e32 v21, v21
	v_ldexp_f32 v21, v21, v22
	s_wait_alu 0xf1ff
	s_delay_alu instid0(VALU_DEP_1) | instskip(SKIP_2) | instid1(VALU_DEP_1)
	v_cndmask_b32_e64 v21, 0, v21, s0
	v_cmp_nlt_f32_e64 s0, 0x42b17218, v20
	s_wait_alu 0xf1ff
	v_cndmask_b32_e64 v22, 0x7f800000, v21, s0
	s_delay_alu instid0(VALU_DEP_1) | instskip(NEXT) | instid1(VALU_DEP_1)
	v_add_f32_e32 v23, 1.0, v22
	v_cvt_f64_f32_e32 v[20:21], v23
	s_delay_alu instid0(VALU_DEP_1) | instskip(SKIP_1) | instid1(VALU_DEP_1)
	v_frexp_exp_i32_f64_e32 v20, v[20:21]
	v_frexp_mant_f32_e32 v21, v23
	v_cmp_gt_f32_e64 s0, 0x3f2aaaab, v21
	v_add_f32_e32 v21, -1.0, v23
	s_delay_alu instid0(VALU_DEP_1)
	v_sub_f32_e32 v25, v21, v23
	v_sub_f32_e32 v21, v22, v21
	s_wait_alu 0xf1ff
	v_subrev_co_ci_u32_e64 v20, null, 0, v20, s0
	s_mov_b32 s0, 0x3e9b6dac
	v_sub_nc_u32_e32 v24, 0, v20
	v_cvt_f32_i32_e32 v20, v20
	s_delay_alu instid0(VALU_DEP_2) | instskip(NEXT) | instid1(VALU_DEP_1)
	v_ldexp_f32 v23, v23, v24
	v_dual_add_f32 v26, 1.0, v23 :: v_dual_add_f32 v25, 1.0, v25
	s_delay_alu instid0(VALU_DEP_1) | instskip(NEXT) | instid1(VALU_DEP_2)
	v_add_f32_e32 v21, v21, v25
	v_add_f32_e32 v25, -1.0, v26
	s_delay_alu instid0(VALU_DEP_2) | instskip(NEXT) | instid1(VALU_DEP_2)
	v_ldexp_f32 v21, v21, v24
	v_dual_add_f32 v24, -1.0, v23 :: v_dual_sub_f32 v25, v23, v25
	s_delay_alu instid0(VALU_DEP_1) | instskip(NEXT) | instid1(VALU_DEP_2)
	v_add_f32_e32 v27, 1.0, v24
	v_add_f32_e32 v25, v21, v25
	s_delay_alu instid0(VALU_DEP_2) | instskip(NEXT) | instid1(VALU_DEP_2)
	v_sub_f32_e32 v23, v23, v27
	v_add_f32_e32 v27, v26, v25
	s_delay_alu instid0(VALU_DEP_2) | instskip(NEXT) | instid1(VALU_DEP_2)
	v_add_f32_e32 v21, v21, v23
	v_rcp_f32_e32 v23, v27
	v_sub_f32_e32 v26, v26, v27
	s_delay_alu instid0(VALU_DEP_1) | instskip(NEXT) | instid1(VALU_DEP_1)
	v_dual_add_f32 v28, v24, v21 :: v_dual_add_f32 v25, v25, v26
	v_sub_f32_e32 v24, v24, v28
	s_delay_alu instid0(TRANS32_DEP_1) | instskip(NEXT) | instid1(VALU_DEP_1)
	v_mul_f32_e32 v29, v28, v23
	v_dual_add_f32 v21, v21, v24 :: v_dual_mul_f32 v30, v27, v29
	s_delay_alu instid0(VALU_DEP_1) | instskip(NEXT) | instid1(VALU_DEP_1)
	v_fma_f32 v26, v29, v27, -v30
	v_fmac_f32_e32 v26, v29, v25
	s_delay_alu instid0(VALU_DEP_1) | instskip(NEXT) | instid1(VALU_DEP_1)
	v_add_f32_e32 v31, v30, v26
	v_sub_f32_e32 v32, v28, v31
	v_sub_f32_e32 v24, v31, v30
	s_delay_alu instid0(VALU_DEP_2) | instskip(NEXT) | instid1(VALU_DEP_2)
	v_sub_f32_e32 v28, v28, v32
	v_sub_f32_e32 v24, v24, v26
	s_delay_alu instid0(VALU_DEP_2) | instskip(NEXT) | instid1(VALU_DEP_1)
	v_sub_f32_e32 v28, v28, v31
	v_add_f32_e32 v21, v21, v28
	s_delay_alu instid0(VALU_DEP_1) | instskip(NEXT) | instid1(VALU_DEP_1)
	v_add_f32_e32 v21, v24, v21
	v_add_f32_e32 v24, v32, v21
	s_delay_alu instid0(VALU_DEP_1) | instskip(NEXT) | instid1(VALU_DEP_1)
	v_mul_f32_e32 v26, v23, v24
	v_dual_sub_f32 v31, v32, v24 :: v_dual_mul_f32 v28, v27, v26
	s_delay_alu instid0(VALU_DEP_1) | instskip(NEXT) | instid1(VALU_DEP_2)
	v_add_f32_e32 v21, v21, v31
	v_fma_f32 v27, v26, v27, -v28
	s_delay_alu instid0(VALU_DEP_1) | instskip(NEXT) | instid1(VALU_DEP_1)
	v_fmac_f32_e32 v27, v26, v25
	v_add_f32_e32 v25, v28, v27
	s_delay_alu instid0(VALU_DEP_1) | instskip(SKIP_1) | instid1(VALU_DEP_2)
	v_sub_f32_e32 v30, v24, v25
	v_sub_f32_e32 v28, v25, v28
	;; [unrolled: 1-line block ×3, first 2 shown]
	s_delay_alu instid0(VALU_DEP_1) | instskip(NEXT) | instid1(VALU_DEP_3)
	v_sub_f32_e32 v24, v24, v25
	v_sub_f32_e32 v25, v28, v27
	s_delay_alu instid0(VALU_DEP_2) | instskip(SKIP_1) | instid1(VALU_DEP_2)
	v_add_f32_e32 v21, v21, v24
	v_add_f32_e32 v24, v29, v26
	;; [unrolled: 1-line block ×3, first 2 shown]
	s_delay_alu instid0(VALU_DEP_2) | instskip(NEXT) | instid1(VALU_DEP_2)
	v_sub_f32_e32 v25, v24, v29
	v_add_f32_e32 v21, v30, v21
	s_delay_alu instid0(VALU_DEP_2) | instskip(NEXT) | instid1(VALU_DEP_2)
	v_sub_f32_e32 v25, v26, v25
	v_mul_f32_e32 v21, v23, v21
	s_delay_alu instid0(VALU_DEP_1) | instskip(NEXT) | instid1(VALU_DEP_1)
	v_add_f32_e32 v21, v25, v21
	v_add_f32_e32 v23, v24, v21
	s_delay_alu instid0(VALU_DEP_1) | instskip(SKIP_1) | instid1(VALU_DEP_1)
	v_mul_f32_e32 v25, v23, v23
	s_wait_alu 0xfffe
	v_fmaak_f32 v26, s0, v25, 0x3ecc95a3
	v_mul_f32_e32 v27, v23, v25
	v_cmp_neq_f32_e64 s0, 0x7f800000, v22
	s_delay_alu instid0(VALU_DEP_3) | instskip(SKIP_2) | instid1(VALU_DEP_3)
	v_fmaak_f32 v25, v25, v26, 0x3f2aaada
	v_ldexp_f32 v26, v23, 1
	v_sub_f32_e32 v23, v23, v24
	v_mul_f32_e32 v25, v27, v25
	v_mul_f32_e32 v27, 0x3f317218, v20
	s_delay_alu instid0(VALU_DEP_2) | instskip(NEXT) | instid1(VALU_DEP_1)
	v_dual_sub_f32 v21, v21, v23 :: v_dual_add_f32 v24, v26, v25
	v_ldexp_f32 v21, v21, 1
	s_delay_alu instid0(VALU_DEP_2) | instskip(NEXT) | instid1(VALU_DEP_4)
	v_sub_f32_e32 v23, v24, v26
	v_fma_f32 v26, 0x3f317218, v20, -v27
	s_delay_alu instid0(VALU_DEP_1) | instskip(NEXT) | instid1(VALU_DEP_1)
	v_dual_sub_f32 v23, v25, v23 :: v_dual_fmamk_f32 v20, v20, 0xb102e308, v26
	v_add_f32_e32 v21, v21, v23
	s_delay_alu instid0(VALU_DEP_2) | instskip(NEXT) | instid1(VALU_DEP_2)
	v_add_f32_e32 v23, v27, v20
	v_add_f32_e32 v25, v24, v21
	s_delay_alu instid0(VALU_DEP_2) | instskip(NEXT) | instid1(VALU_DEP_2)
	v_sub_f32_e32 v27, v23, v27
	v_add_f32_e32 v26, v23, v25
	v_sub_f32_e32 v24, v25, v24
	s_delay_alu instid0(VALU_DEP_3) | instskip(NEXT) | instid1(VALU_DEP_2)
	v_sub_f32_e32 v20, v20, v27
	v_dual_sub_f32 v28, v26, v23 :: v_dual_sub_f32 v21, v21, v24
	s_delay_alu instid0(VALU_DEP_1) | instskip(NEXT) | instid1(VALU_DEP_2)
	v_sub_f32_e32 v29, v26, v28
	v_dual_sub_f32 v24, v25, v28 :: v_dual_add_f32 v25, v20, v21
	s_delay_alu instid0(VALU_DEP_2) | instskip(NEXT) | instid1(VALU_DEP_1)
	v_sub_f32_e32 v23, v23, v29
	v_dual_add_f32 v23, v24, v23 :: v_dual_sub_f32 v24, v25, v20
	s_delay_alu instid0(VALU_DEP_1) | instskip(NEXT) | instid1(VALU_DEP_2)
	v_add_f32_e32 v23, v25, v23
	v_sub_f32_e32 v25, v25, v24
	v_sub_f32_e32 v21, v21, v24
	s_delay_alu instid0(VALU_DEP_2) | instskip(NEXT) | instid1(VALU_DEP_1)
	v_dual_add_f32 v27, v26, v23 :: v_dual_sub_f32 v20, v20, v25
	v_sub_f32_e32 v24, v27, v26
	s_delay_alu instid0(VALU_DEP_2) | instskip(NEXT) | instid1(VALU_DEP_2)
	v_add_f32_e32 v20, v21, v20
	v_sub_f32_e32 v21, v23, v24
	s_delay_alu instid0(VALU_DEP_1) | instskip(NEXT) | instid1(VALU_DEP_1)
	v_add_f32_e32 v20, v20, v21
	v_add_f32_e32 v20, v27, v20
	s_wait_alu 0xf1ff
	s_delay_alu instid0(VALU_DEP_1) | instskip(SKIP_2) | instid1(VALU_DEP_1)
	v_cndmask_b32_e64 v20, 0x7f800000, v20, s0
	v_cmp_gt_f32_e64 s0, 0x33800000, |v22|
	s_wait_alu 0xf1ff
	v_cndmask_b32_e64 v20, v20, v22, s0
	s_delay_alu instid0(VALU_DEP_1)
	v_add_f32_e32 v20, v18, v20
.LBB167_29:
	s_wait_alu 0xfffe
	s_or_b32 exec_lo, exec_lo, s13
	s_delay_alu instid0(VALU_DEP_1)
	v_mov_b32_e32 v18, v20
.LBB167_30:
	s_wait_alu 0xfffe
	s_or_b32 exec_lo, exec_lo, s1
	s_delay_alu instid0(VALU_DEP_1)
	v_mov_b32_dpp v20, v18 row_shr:4 row_mask:0xf bank_mask:0xf
	s_mov_b32 s1, exec_lo
	v_cmpx_lt_u32_e32 3, v19
	s_cbranch_execz .LBB167_34
; %bb.31:
	s_delay_alu instid0(VALU_DEP_2) | instskip(SKIP_1) | instid1(VALU_DEP_2)
	v_dual_max_num_f32 v21, v18, v18 :: v_dual_max_num_f32 v22, v20, v20
	v_cmp_u_f32_e64 s0, v20, v20
	v_min_num_f32_e32 v23, v22, v21
	v_max_num_f32_e32 v21, v22, v21
	s_wait_alu 0xf1ff
	s_delay_alu instid0(VALU_DEP_2) | instskip(NEXT) | instid1(VALU_DEP_2)
	v_cndmask_b32_e64 v22, v23, v20, s0
	v_cndmask_b32_e64 v23, v21, v20, s0
	v_cmp_u_f32_e64 s0, v18, v18
	s_wait_alu 0xf1ff
	s_delay_alu instid0(VALU_DEP_1) | instskip(NEXT) | instid1(VALU_DEP_3)
	v_cndmask_b32_e64 v21, v22, v18, s0
	v_cndmask_b32_e64 v18, v23, v18, s0
	s_delay_alu instid0(VALU_DEP_2) | instskip(NEXT) | instid1(VALU_DEP_2)
	v_cmp_class_f32_e64 s13, v21, 0x1f8
	v_cmp_neq_f32_e64 s0, v21, v18
	s_or_b32 s0, s0, s13
	s_wait_alu 0xfffe
	s_and_saveexec_b32 s13, s0
	s_cbranch_execz .LBB167_33
; %bb.32:
	v_sub_f32_e32 v20, v21, v18
	s_delay_alu instid0(VALU_DEP_1) | instskip(SKIP_1) | instid1(VALU_DEP_2)
	v_mul_f32_e32 v21, 0x3fb8aa3b, v20
	v_cmp_ngt_f32_e64 s0, 0xc2ce8ed0, v20
	v_fma_f32 v22, 0x3fb8aa3b, v20, -v21
	v_rndne_f32_e32 v23, v21
	s_delay_alu instid0(VALU_DEP_1) | instskip(NEXT) | instid1(VALU_DEP_1)
	v_dual_fmamk_f32 v22, v20, 0x32a5705f, v22 :: v_dual_sub_f32 v21, v21, v23
	v_add_f32_e32 v21, v21, v22
	v_cvt_i32_f32_e32 v22, v23
	s_delay_alu instid0(VALU_DEP_2) | instskip(NEXT) | instid1(TRANS32_DEP_1)
	v_exp_f32_e32 v21, v21
	v_ldexp_f32 v21, v21, v22
	s_wait_alu 0xf1ff
	s_delay_alu instid0(VALU_DEP_1) | instskip(SKIP_2) | instid1(VALU_DEP_1)
	v_cndmask_b32_e64 v21, 0, v21, s0
	v_cmp_nlt_f32_e64 s0, 0x42b17218, v20
	s_wait_alu 0xf1ff
	v_cndmask_b32_e64 v22, 0x7f800000, v21, s0
	s_delay_alu instid0(VALU_DEP_1) | instskip(NEXT) | instid1(VALU_DEP_1)
	v_add_f32_e32 v23, 1.0, v22
	v_cvt_f64_f32_e32 v[20:21], v23
	s_delay_alu instid0(VALU_DEP_1) | instskip(SKIP_1) | instid1(VALU_DEP_1)
	v_frexp_exp_i32_f64_e32 v20, v[20:21]
	v_frexp_mant_f32_e32 v21, v23
	v_cmp_gt_f32_e64 s0, 0x3f2aaaab, v21
	v_add_f32_e32 v21, -1.0, v23
	s_delay_alu instid0(VALU_DEP_1)
	v_sub_f32_e32 v25, v21, v23
	v_sub_f32_e32 v21, v22, v21
	s_wait_alu 0xf1ff
	v_subrev_co_ci_u32_e64 v20, null, 0, v20, s0
	s_mov_b32 s0, 0x3e9b6dac
	v_sub_nc_u32_e32 v24, 0, v20
	v_cvt_f32_i32_e32 v20, v20
	s_delay_alu instid0(VALU_DEP_2) | instskip(NEXT) | instid1(VALU_DEP_1)
	v_ldexp_f32 v23, v23, v24
	v_dual_add_f32 v26, 1.0, v23 :: v_dual_add_f32 v25, 1.0, v25
	s_delay_alu instid0(VALU_DEP_1) | instskip(NEXT) | instid1(VALU_DEP_2)
	v_add_f32_e32 v21, v21, v25
	v_add_f32_e32 v25, -1.0, v26
	s_delay_alu instid0(VALU_DEP_2) | instskip(NEXT) | instid1(VALU_DEP_2)
	v_ldexp_f32 v21, v21, v24
	v_dual_add_f32 v24, -1.0, v23 :: v_dual_sub_f32 v25, v23, v25
	s_delay_alu instid0(VALU_DEP_1) | instskip(NEXT) | instid1(VALU_DEP_2)
	v_add_f32_e32 v27, 1.0, v24
	v_add_f32_e32 v25, v21, v25
	s_delay_alu instid0(VALU_DEP_2) | instskip(NEXT) | instid1(VALU_DEP_2)
	v_sub_f32_e32 v23, v23, v27
	v_add_f32_e32 v27, v26, v25
	s_delay_alu instid0(VALU_DEP_2) | instskip(NEXT) | instid1(VALU_DEP_2)
	v_add_f32_e32 v21, v21, v23
	v_rcp_f32_e32 v23, v27
	v_sub_f32_e32 v26, v26, v27
	s_delay_alu instid0(VALU_DEP_1) | instskip(NEXT) | instid1(VALU_DEP_1)
	v_dual_add_f32 v28, v24, v21 :: v_dual_add_f32 v25, v25, v26
	v_sub_f32_e32 v24, v24, v28
	s_delay_alu instid0(TRANS32_DEP_1) | instskip(NEXT) | instid1(VALU_DEP_1)
	v_mul_f32_e32 v29, v28, v23
	v_dual_add_f32 v21, v21, v24 :: v_dual_mul_f32 v30, v27, v29
	s_delay_alu instid0(VALU_DEP_1) | instskip(NEXT) | instid1(VALU_DEP_1)
	v_fma_f32 v26, v29, v27, -v30
	v_fmac_f32_e32 v26, v29, v25
	s_delay_alu instid0(VALU_DEP_1) | instskip(NEXT) | instid1(VALU_DEP_1)
	v_add_f32_e32 v31, v30, v26
	v_sub_f32_e32 v32, v28, v31
	v_sub_f32_e32 v24, v31, v30
	s_delay_alu instid0(VALU_DEP_2) | instskip(NEXT) | instid1(VALU_DEP_2)
	v_sub_f32_e32 v28, v28, v32
	v_sub_f32_e32 v24, v24, v26
	s_delay_alu instid0(VALU_DEP_2) | instskip(NEXT) | instid1(VALU_DEP_1)
	v_sub_f32_e32 v28, v28, v31
	v_add_f32_e32 v21, v21, v28
	s_delay_alu instid0(VALU_DEP_1) | instskip(NEXT) | instid1(VALU_DEP_1)
	v_add_f32_e32 v21, v24, v21
	v_add_f32_e32 v24, v32, v21
	s_delay_alu instid0(VALU_DEP_1) | instskip(NEXT) | instid1(VALU_DEP_1)
	v_mul_f32_e32 v26, v23, v24
	v_dual_sub_f32 v31, v32, v24 :: v_dual_mul_f32 v28, v27, v26
	s_delay_alu instid0(VALU_DEP_1) | instskip(NEXT) | instid1(VALU_DEP_2)
	v_add_f32_e32 v21, v21, v31
	v_fma_f32 v27, v26, v27, -v28
	s_delay_alu instid0(VALU_DEP_1) | instskip(NEXT) | instid1(VALU_DEP_1)
	v_fmac_f32_e32 v27, v26, v25
	v_add_f32_e32 v25, v28, v27
	s_delay_alu instid0(VALU_DEP_1) | instskip(SKIP_1) | instid1(VALU_DEP_2)
	v_sub_f32_e32 v30, v24, v25
	v_sub_f32_e32 v28, v25, v28
	;; [unrolled: 1-line block ×3, first 2 shown]
	s_delay_alu instid0(VALU_DEP_1) | instskip(NEXT) | instid1(VALU_DEP_3)
	v_sub_f32_e32 v24, v24, v25
	v_sub_f32_e32 v25, v28, v27
	s_delay_alu instid0(VALU_DEP_2) | instskip(SKIP_1) | instid1(VALU_DEP_2)
	v_add_f32_e32 v21, v21, v24
	v_add_f32_e32 v24, v29, v26
	v_add_f32_e32 v21, v25, v21
	s_delay_alu instid0(VALU_DEP_2) | instskip(NEXT) | instid1(VALU_DEP_2)
	v_sub_f32_e32 v25, v24, v29
	v_add_f32_e32 v21, v30, v21
	s_delay_alu instid0(VALU_DEP_2) | instskip(NEXT) | instid1(VALU_DEP_2)
	v_sub_f32_e32 v25, v26, v25
	v_mul_f32_e32 v21, v23, v21
	s_delay_alu instid0(VALU_DEP_1) | instskip(NEXT) | instid1(VALU_DEP_1)
	v_add_f32_e32 v21, v25, v21
	v_add_f32_e32 v23, v24, v21
	s_delay_alu instid0(VALU_DEP_1) | instskip(SKIP_1) | instid1(VALU_DEP_1)
	v_mul_f32_e32 v25, v23, v23
	s_wait_alu 0xfffe
	v_fmaak_f32 v26, s0, v25, 0x3ecc95a3
	v_mul_f32_e32 v27, v23, v25
	v_cmp_neq_f32_e64 s0, 0x7f800000, v22
	s_delay_alu instid0(VALU_DEP_3) | instskip(SKIP_2) | instid1(VALU_DEP_3)
	v_fmaak_f32 v25, v25, v26, 0x3f2aaada
	v_ldexp_f32 v26, v23, 1
	v_sub_f32_e32 v23, v23, v24
	v_mul_f32_e32 v25, v27, v25
	v_mul_f32_e32 v27, 0x3f317218, v20
	s_delay_alu instid0(VALU_DEP_2) | instskip(NEXT) | instid1(VALU_DEP_1)
	v_dual_sub_f32 v21, v21, v23 :: v_dual_add_f32 v24, v26, v25
	v_ldexp_f32 v21, v21, 1
	s_delay_alu instid0(VALU_DEP_2) | instskip(NEXT) | instid1(VALU_DEP_4)
	v_sub_f32_e32 v23, v24, v26
	v_fma_f32 v26, 0x3f317218, v20, -v27
	s_delay_alu instid0(VALU_DEP_1) | instskip(NEXT) | instid1(VALU_DEP_1)
	v_dual_sub_f32 v23, v25, v23 :: v_dual_fmamk_f32 v20, v20, 0xb102e308, v26
	v_add_f32_e32 v21, v21, v23
	s_delay_alu instid0(VALU_DEP_2) | instskip(NEXT) | instid1(VALU_DEP_2)
	v_add_f32_e32 v23, v27, v20
	v_add_f32_e32 v25, v24, v21
	s_delay_alu instid0(VALU_DEP_2) | instskip(NEXT) | instid1(VALU_DEP_2)
	v_sub_f32_e32 v27, v23, v27
	v_add_f32_e32 v26, v23, v25
	v_sub_f32_e32 v24, v25, v24
	s_delay_alu instid0(VALU_DEP_3) | instskip(NEXT) | instid1(VALU_DEP_2)
	v_sub_f32_e32 v20, v20, v27
	v_dual_sub_f32 v28, v26, v23 :: v_dual_sub_f32 v21, v21, v24
	s_delay_alu instid0(VALU_DEP_1) | instskip(NEXT) | instid1(VALU_DEP_2)
	v_sub_f32_e32 v29, v26, v28
	v_dual_sub_f32 v24, v25, v28 :: v_dual_add_f32 v25, v20, v21
	s_delay_alu instid0(VALU_DEP_2) | instskip(NEXT) | instid1(VALU_DEP_1)
	v_sub_f32_e32 v23, v23, v29
	v_dual_add_f32 v23, v24, v23 :: v_dual_sub_f32 v24, v25, v20
	s_delay_alu instid0(VALU_DEP_1) | instskip(NEXT) | instid1(VALU_DEP_2)
	v_add_f32_e32 v23, v25, v23
	v_sub_f32_e32 v25, v25, v24
	v_sub_f32_e32 v21, v21, v24
	s_delay_alu instid0(VALU_DEP_2) | instskip(NEXT) | instid1(VALU_DEP_1)
	v_dual_add_f32 v27, v26, v23 :: v_dual_sub_f32 v20, v20, v25
	v_sub_f32_e32 v24, v27, v26
	s_delay_alu instid0(VALU_DEP_2) | instskip(NEXT) | instid1(VALU_DEP_2)
	v_add_f32_e32 v20, v21, v20
	v_sub_f32_e32 v21, v23, v24
	s_delay_alu instid0(VALU_DEP_1) | instskip(NEXT) | instid1(VALU_DEP_1)
	v_add_f32_e32 v20, v20, v21
	v_add_f32_e32 v20, v27, v20
	s_wait_alu 0xf1ff
	s_delay_alu instid0(VALU_DEP_1) | instskip(SKIP_2) | instid1(VALU_DEP_1)
	v_cndmask_b32_e64 v20, 0x7f800000, v20, s0
	v_cmp_gt_f32_e64 s0, 0x33800000, |v22|
	s_wait_alu 0xf1ff
	v_cndmask_b32_e64 v20, v20, v22, s0
	s_delay_alu instid0(VALU_DEP_1)
	v_add_f32_e32 v20, v18, v20
.LBB167_33:
	s_wait_alu 0xfffe
	s_or_b32 exec_lo, exec_lo, s13
	s_delay_alu instid0(VALU_DEP_1)
	v_mov_b32_e32 v18, v20
.LBB167_34:
	s_wait_alu 0xfffe
	s_or_b32 exec_lo, exec_lo, s1
	s_delay_alu instid0(VALU_DEP_1)
	v_mov_b32_dpp v20, v18 row_shr:8 row_mask:0xf bank_mask:0xf
	s_mov_b32 s1, exec_lo
	v_cmpx_lt_u32_e32 7, v19
	s_cbranch_execz .LBB167_38
; %bb.35:
	v_max_num_f32_e32 v19, v18, v18
	v_max_num_f32_e32 v21, v20, v20
	v_cmp_u_f32_e64 s0, v20, v20
	s_delay_alu instid0(VALU_DEP_2) | instskip(SKIP_2) | instid1(VALU_DEP_2)
	v_min_num_f32_e32 v22, v21, v19
	v_max_num_f32_e32 v19, v21, v19
	s_wait_alu 0xf1ff
	v_cndmask_b32_e64 v21, v22, v20, s0
	s_delay_alu instid0(VALU_DEP_2) | instskip(SKIP_2) | instid1(VALU_DEP_1)
	v_cndmask_b32_e64 v22, v19, v20, s0
	v_cmp_u_f32_e64 s0, v18, v18
	s_wait_alu 0xf1ff
	v_cndmask_b32_e64 v19, v21, v18, s0
	s_delay_alu instid0(VALU_DEP_3) | instskip(NEXT) | instid1(VALU_DEP_2)
	v_cndmask_b32_e64 v18, v22, v18, s0
	v_cmp_class_f32_e64 s13, v19, 0x1f8
	s_delay_alu instid0(VALU_DEP_2)
	v_cmp_neq_f32_e64 s0, v19, v18
	s_or_b32 s0, s0, s13
	s_wait_alu 0xfffe
	s_and_saveexec_b32 s13, s0
	s_cbranch_execz .LBB167_37
; %bb.36:
	v_sub_f32_e32 v19, v19, v18
	s_delay_alu instid0(VALU_DEP_1) | instskip(NEXT) | instid1(VALU_DEP_1)
	v_mul_f32_e32 v20, 0x3fb8aa3b, v19
	v_fma_f32 v21, 0x3fb8aa3b, v19, -v20
	v_rndne_f32_e32 v22, v20
	s_delay_alu instid0(VALU_DEP_1) | instskip(NEXT) | instid1(VALU_DEP_1)
	v_dual_fmamk_f32 v21, v19, 0x32a5705f, v21 :: v_dual_sub_f32 v20, v20, v22
	v_add_f32_e32 v20, v20, v21
	v_cvt_i32_f32_e32 v21, v22
	v_cmp_ngt_f32_e64 s0, 0xc2ce8ed0, v19
	s_delay_alu instid0(VALU_DEP_3) | instskip(NEXT) | instid1(TRANS32_DEP_1)
	v_exp_f32_e32 v20, v20
	v_ldexp_f32 v20, v20, v21
	s_wait_alu 0xf1ff
	s_delay_alu instid0(VALU_DEP_1) | instskip(SKIP_2) | instid1(VALU_DEP_1)
	v_cndmask_b32_e64 v20, 0, v20, s0
	v_cmp_nlt_f32_e64 s0, 0x42b17218, v19
	s_wait_alu 0xf1ff
	v_cndmask_b32_e64 v21, 0x7f800000, v20, s0
	s_delay_alu instid0(VALU_DEP_1) | instskip(NEXT) | instid1(VALU_DEP_1)
	v_add_f32_e32 v22, 1.0, v21
	v_cvt_f64_f32_e32 v[19:20], v22
	s_delay_alu instid0(VALU_DEP_1) | instskip(SKIP_1) | instid1(VALU_DEP_1)
	v_frexp_exp_i32_f64_e32 v19, v[19:20]
	v_frexp_mant_f32_e32 v20, v22
	v_cmp_gt_f32_e64 s0, 0x3f2aaaab, v20
	v_add_f32_e32 v20, -1.0, v22
	s_delay_alu instid0(VALU_DEP_1) | instskip(SKIP_1) | instid1(VALU_DEP_3)
	v_sub_f32_e32 v24, v20, v22
	s_wait_alu 0xf1ff
	v_subrev_co_ci_u32_e64 v19, null, 0, v19, s0
	s_mov_b32 s0, 0x3e9b6dac
	v_sub_nc_u32_e32 v23, 0, v19
	v_cvt_f32_i32_e32 v19, v19
	s_delay_alu instid0(VALU_DEP_2) | instskip(NEXT) | instid1(VALU_DEP_1)
	v_ldexp_f32 v22, v22, v23
	v_dual_sub_f32 v20, v21, v20 :: v_dual_add_f32 v25, 1.0, v22
	v_add_f32_e32 v24, 1.0, v24
	s_delay_alu instid0(VALU_DEP_1) | instskip(NEXT) | instid1(VALU_DEP_3)
	v_add_f32_e32 v20, v20, v24
	v_add_f32_e32 v24, -1.0, v25
	s_delay_alu instid0(VALU_DEP_2) | instskip(NEXT) | instid1(VALU_DEP_2)
	v_ldexp_f32 v20, v20, v23
	v_dual_add_f32 v23, -1.0, v22 :: v_dual_sub_f32 v24, v22, v24
	s_delay_alu instid0(VALU_DEP_1) | instskip(NEXT) | instid1(VALU_DEP_2)
	v_add_f32_e32 v26, 1.0, v23
	v_add_f32_e32 v24, v20, v24
	s_delay_alu instid0(VALU_DEP_2) | instskip(NEXT) | instid1(VALU_DEP_2)
	v_sub_f32_e32 v22, v22, v26
	v_add_f32_e32 v26, v25, v24
	s_delay_alu instid0(VALU_DEP_2) | instskip(NEXT) | instid1(VALU_DEP_2)
	v_add_f32_e32 v20, v20, v22
	v_rcp_f32_e32 v22, v26
	v_sub_f32_e32 v25, v25, v26
	s_delay_alu instid0(VALU_DEP_1) | instskip(NEXT) | instid1(VALU_DEP_1)
	v_dual_add_f32 v27, v23, v20 :: v_dual_add_f32 v24, v24, v25
	v_sub_f32_e32 v23, v23, v27
	s_delay_alu instid0(TRANS32_DEP_1) | instskip(NEXT) | instid1(VALU_DEP_1)
	v_mul_f32_e32 v28, v27, v22
	v_dual_add_f32 v20, v20, v23 :: v_dual_mul_f32 v29, v26, v28
	s_delay_alu instid0(VALU_DEP_1) | instskip(NEXT) | instid1(VALU_DEP_1)
	v_fma_f32 v25, v28, v26, -v29
	v_fmac_f32_e32 v25, v28, v24
	s_delay_alu instid0(VALU_DEP_1) | instskip(NEXT) | instid1(VALU_DEP_1)
	v_add_f32_e32 v30, v29, v25
	v_sub_f32_e32 v31, v27, v30
	v_sub_f32_e32 v23, v30, v29
	s_delay_alu instid0(VALU_DEP_2) | instskip(NEXT) | instid1(VALU_DEP_2)
	v_sub_f32_e32 v27, v27, v31
	v_sub_f32_e32 v23, v23, v25
	s_delay_alu instid0(VALU_DEP_2) | instskip(NEXT) | instid1(VALU_DEP_1)
	v_sub_f32_e32 v27, v27, v30
	v_add_f32_e32 v20, v20, v27
	s_delay_alu instid0(VALU_DEP_1) | instskip(NEXT) | instid1(VALU_DEP_1)
	v_add_f32_e32 v20, v23, v20
	v_add_f32_e32 v23, v31, v20
	s_delay_alu instid0(VALU_DEP_1) | instskip(NEXT) | instid1(VALU_DEP_1)
	v_mul_f32_e32 v25, v22, v23
	v_dual_sub_f32 v30, v31, v23 :: v_dual_mul_f32 v27, v26, v25
	s_delay_alu instid0(VALU_DEP_1) | instskip(NEXT) | instid1(VALU_DEP_2)
	v_add_f32_e32 v20, v20, v30
	v_fma_f32 v26, v25, v26, -v27
	s_delay_alu instid0(VALU_DEP_1) | instskip(NEXT) | instid1(VALU_DEP_1)
	v_fmac_f32_e32 v26, v25, v24
	v_add_f32_e32 v24, v27, v26
	s_delay_alu instid0(VALU_DEP_1) | instskip(SKIP_1) | instid1(VALU_DEP_2)
	v_sub_f32_e32 v29, v23, v24
	v_sub_f32_e32 v27, v24, v27
	;; [unrolled: 1-line block ×3, first 2 shown]
	s_delay_alu instid0(VALU_DEP_1) | instskip(NEXT) | instid1(VALU_DEP_3)
	v_sub_f32_e32 v23, v23, v24
	v_sub_f32_e32 v24, v27, v26
	s_delay_alu instid0(VALU_DEP_2) | instskip(SKIP_1) | instid1(VALU_DEP_2)
	v_add_f32_e32 v20, v20, v23
	v_add_f32_e32 v23, v28, v25
	;; [unrolled: 1-line block ×3, first 2 shown]
	s_delay_alu instid0(VALU_DEP_2) | instskip(NEXT) | instid1(VALU_DEP_2)
	v_sub_f32_e32 v24, v23, v28
	v_add_f32_e32 v20, v29, v20
	s_delay_alu instid0(VALU_DEP_2) | instskip(NEXT) | instid1(VALU_DEP_2)
	v_sub_f32_e32 v24, v25, v24
	v_mul_f32_e32 v20, v22, v20
	s_delay_alu instid0(VALU_DEP_1) | instskip(NEXT) | instid1(VALU_DEP_1)
	v_add_f32_e32 v20, v24, v20
	v_add_f32_e32 v22, v23, v20
	s_delay_alu instid0(VALU_DEP_1) | instskip(SKIP_1) | instid1(VALU_DEP_1)
	v_mul_f32_e32 v24, v22, v22
	s_wait_alu 0xfffe
	v_fmaak_f32 v25, s0, v24, 0x3ecc95a3
	v_mul_f32_e32 v26, v22, v24
	v_cmp_neq_f32_e64 s0, 0x7f800000, v21
	s_delay_alu instid0(VALU_DEP_3) | instskip(SKIP_2) | instid1(VALU_DEP_3)
	v_fmaak_f32 v24, v24, v25, 0x3f2aaada
	v_ldexp_f32 v25, v22, 1
	v_sub_f32_e32 v22, v22, v23
	v_mul_f32_e32 v24, v26, v24
	v_mul_f32_e32 v26, 0x3f317218, v19
	s_delay_alu instid0(VALU_DEP_2) | instskip(NEXT) | instid1(VALU_DEP_1)
	v_dual_sub_f32 v20, v20, v22 :: v_dual_add_f32 v23, v25, v24
	v_ldexp_f32 v20, v20, 1
	s_delay_alu instid0(VALU_DEP_2) | instskip(NEXT) | instid1(VALU_DEP_4)
	v_sub_f32_e32 v22, v23, v25
	v_fma_f32 v25, 0x3f317218, v19, -v26
	s_delay_alu instid0(VALU_DEP_1) | instskip(NEXT) | instid1(VALU_DEP_1)
	v_dual_sub_f32 v22, v24, v22 :: v_dual_fmamk_f32 v19, v19, 0xb102e308, v25
	v_add_f32_e32 v20, v20, v22
	s_delay_alu instid0(VALU_DEP_2) | instskip(NEXT) | instid1(VALU_DEP_2)
	v_add_f32_e32 v22, v26, v19
	v_add_f32_e32 v24, v23, v20
	s_delay_alu instid0(VALU_DEP_2) | instskip(NEXT) | instid1(VALU_DEP_2)
	v_sub_f32_e32 v26, v22, v26
	v_add_f32_e32 v25, v22, v24
	v_sub_f32_e32 v23, v24, v23
	s_delay_alu instid0(VALU_DEP_3) | instskip(NEXT) | instid1(VALU_DEP_2)
	v_sub_f32_e32 v19, v19, v26
	v_dual_sub_f32 v27, v25, v22 :: v_dual_sub_f32 v20, v20, v23
	s_delay_alu instid0(VALU_DEP_1) | instskip(NEXT) | instid1(VALU_DEP_2)
	v_sub_f32_e32 v28, v25, v27
	v_dual_sub_f32 v23, v24, v27 :: v_dual_add_f32 v24, v19, v20
	s_delay_alu instid0(VALU_DEP_2) | instskip(NEXT) | instid1(VALU_DEP_1)
	v_sub_f32_e32 v22, v22, v28
	v_dual_add_f32 v22, v23, v22 :: v_dual_sub_f32 v23, v24, v19
	s_delay_alu instid0(VALU_DEP_1) | instskip(NEXT) | instid1(VALU_DEP_2)
	v_add_f32_e32 v22, v24, v22
	v_sub_f32_e32 v24, v24, v23
	v_sub_f32_e32 v20, v20, v23
	s_delay_alu instid0(VALU_DEP_2) | instskip(NEXT) | instid1(VALU_DEP_1)
	v_dual_add_f32 v26, v25, v22 :: v_dual_sub_f32 v19, v19, v24
	v_sub_f32_e32 v23, v26, v25
	s_delay_alu instid0(VALU_DEP_2) | instskip(NEXT) | instid1(VALU_DEP_2)
	v_add_f32_e32 v19, v20, v19
	v_sub_f32_e32 v20, v22, v23
	s_delay_alu instid0(VALU_DEP_1) | instskip(NEXT) | instid1(VALU_DEP_1)
	v_add_f32_e32 v19, v19, v20
	v_add_f32_e32 v19, v26, v19
	s_wait_alu 0xf1ff
	s_delay_alu instid0(VALU_DEP_1) | instskip(SKIP_2) | instid1(VALU_DEP_1)
	v_cndmask_b32_e64 v19, 0x7f800000, v19, s0
	v_cmp_gt_f32_e64 s0, 0x33800000, |v21|
	s_wait_alu 0xf1ff
	v_cndmask_b32_e64 v19, v19, v21, s0
	s_delay_alu instid0(VALU_DEP_1)
	v_add_f32_e32 v20, v18, v19
.LBB167_37:
	s_wait_alu 0xfffe
	s_or_b32 exec_lo, exec_lo, s13
	s_delay_alu instid0(VALU_DEP_1)
	v_mov_b32_e32 v18, v20
.LBB167_38:
	s_wait_alu 0xfffe
	s_or_b32 exec_lo, exec_lo, s1
	ds_swizzle_b32 v19, v18 offset:swizzle(BROADCAST,32,15)
	v_and_b32_e32 v20, 16, v17
	s_mov_b32 s1, exec_lo
	s_delay_alu instid0(VALU_DEP_1)
	v_cmpx_ne_u32_e32 0, v20
	s_cbranch_execz .LBB167_42
; %bb.39:
	s_wait_dscnt 0x0
	v_dual_max_num_f32 v20, v18, v18 :: v_dual_max_num_f32 v21, v19, v19
	v_cmp_u_f32_e64 s0, v19, v19
	s_delay_alu instid0(VALU_DEP_2) | instskip(SKIP_2) | instid1(VALU_DEP_2)
	v_min_num_f32_e32 v22, v21, v20
	v_max_num_f32_e32 v20, v21, v20
	s_wait_alu 0xf1ff
	v_cndmask_b32_e64 v21, v22, v19, s0
	s_delay_alu instid0(VALU_DEP_2) | instskip(SKIP_2) | instid1(VALU_DEP_1)
	v_cndmask_b32_e64 v22, v20, v19, s0
	v_cmp_u_f32_e64 s0, v18, v18
	s_wait_alu 0xf1ff
	v_cndmask_b32_e64 v20, v21, v18, s0
	s_delay_alu instid0(VALU_DEP_3) | instskip(NEXT) | instid1(VALU_DEP_2)
	v_cndmask_b32_e64 v18, v22, v18, s0
	v_cmp_class_f32_e64 s13, v20, 0x1f8
	s_delay_alu instid0(VALU_DEP_2)
	v_cmp_neq_f32_e64 s0, v20, v18
	s_or_b32 s0, s0, s13
	s_wait_alu 0xfffe
	s_and_saveexec_b32 s13, s0
	s_cbranch_execz .LBB167_41
; %bb.40:
	v_sub_f32_e32 v19, v20, v18
	s_delay_alu instid0(VALU_DEP_1) | instskip(SKIP_1) | instid1(VALU_DEP_2)
	v_mul_f32_e32 v20, 0x3fb8aa3b, v19
	v_cmp_ngt_f32_e64 s0, 0xc2ce8ed0, v19
	v_fma_f32 v21, 0x3fb8aa3b, v19, -v20
	v_rndne_f32_e32 v22, v20
	s_delay_alu instid0(VALU_DEP_1) | instskip(NEXT) | instid1(VALU_DEP_1)
	v_dual_fmamk_f32 v21, v19, 0x32a5705f, v21 :: v_dual_sub_f32 v20, v20, v22
	v_add_f32_e32 v20, v20, v21
	v_cvt_i32_f32_e32 v21, v22
	s_delay_alu instid0(VALU_DEP_2) | instskip(NEXT) | instid1(TRANS32_DEP_1)
	v_exp_f32_e32 v20, v20
	v_ldexp_f32 v20, v20, v21
	s_wait_alu 0xf1ff
	s_delay_alu instid0(VALU_DEP_1) | instskip(SKIP_2) | instid1(VALU_DEP_1)
	v_cndmask_b32_e64 v20, 0, v20, s0
	v_cmp_nlt_f32_e64 s0, 0x42b17218, v19
	s_wait_alu 0xf1ff
	v_cndmask_b32_e64 v21, 0x7f800000, v20, s0
	s_delay_alu instid0(VALU_DEP_1) | instskip(NEXT) | instid1(VALU_DEP_1)
	v_add_f32_e32 v22, 1.0, v21
	v_cvt_f64_f32_e32 v[19:20], v22
	s_delay_alu instid0(VALU_DEP_1) | instskip(SKIP_1) | instid1(VALU_DEP_1)
	v_frexp_exp_i32_f64_e32 v19, v[19:20]
	v_frexp_mant_f32_e32 v20, v22
	v_cmp_gt_f32_e64 s0, 0x3f2aaaab, v20
	v_add_f32_e32 v20, -1.0, v22
	s_delay_alu instid0(VALU_DEP_1)
	v_sub_f32_e32 v24, v20, v22
	v_sub_f32_e32 v20, v21, v20
	s_wait_alu 0xf1ff
	v_subrev_co_ci_u32_e64 v19, null, 0, v19, s0
	s_mov_b32 s0, 0x3e9b6dac
	v_sub_nc_u32_e32 v23, 0, v19
	v_cvt_f32_i32_e32 v19, v19
	s_delay_alu instid0(VALU_DEP_2) | instskip(NEXT) | instid1(VALU_DEP_1)
	v_ldexp_f32 v22, v22, v23
	v_dual_add_f32 v25, 1.0, v22 :: v_dual_add_f32 v24, 1.0, v24
	s_delay_alu instid0(VALU_DEP_1) | instskip(NEXT) | instid1(VALU_DEP_2)
	v_add_f32_e32 v20, v20, v24
	v_add_f32_e32 v24, -1.0, v25
	s_delay_alu instid0(VALU_DEP_2) | instskip(NEXT) | instid1(VALU_DEP_2)
	v_ldexp_f32 v20, v20, v23
	v_dual_add_f32 v23, -1.0, v22 :: v_dual_sub_f32 v24, v22, v24
	s_delay_alu instid0(VALU_DEP_1) | instskip(NEXT) | instid1(VALU_DEP_2)
	v_add_f32_e32 v26, 1.0, v23
	v_add_f32_e32 v24, v20, v24
	s_delay_alu instid0(VALU_DEP_2) | instskip(NEXT) | instid1(VALU_DEP_2)
	v_sub_f32_e32 v22, v22, v26
	v_add_f32_e32 v26, v25, v24
	s_delay_alu instid0(VALU_DEP_2) | instskip(NEXT) | instid1(VALU_DEP_2)
	v_add_f32_e32 v20, v20, v22
	v_rcp_f32_e32 v22, v26
	v_sub_f32_e32 v25, v25, v26
	s_delay_alu instid0(VALU_DEP_1) | instskip(NEXT) | instid1(VALU_DEP_1)
	v_dual_add_f32 v27, v23, v20 :: v_dual_add_f32 v24, v24, v25
	v_sub_f32_e32 v23, v23, v27
	s_delay_alu instid0(TRANS32_DEP_1) | instskip(NEXT) | instid1(VALU_DEP_1)
	v_mul_f32_e32 v28, v27, v22
	v_dual_add_f32 v20, v20, v23 :: v_dual_mul_f32 v29, v26, v28
	s_delay_alu instid0(VALU_DEP_1) | instskip(NEXT) | instid1(VALU_DEP_1)
	v_fma_f32 v25, v28, v26, -v29
	v_fmac_f32_e32 v25, v28, v24
	s_delay_alu instid0(VALU_DEP_1) | instskip(NEXT) | instid1(VALU_DEP_1)
	v_add_f32_e32 v30, v29, v25
	v_sub_f32_e32 v31, v27, v30
	v_sub_f32_e32 v23, v30, v29
	s_delay_alu instid0(VALU_DEP_2) | instskip(NEXT) | instid1(VALU_DEP_2)
	v_sub_f32_e32 v27, v27, v31
	v_sub_f32_e32 v23, v23, v25
	s_delay_alu instid0(VALU_DEP_2) | instskip(NEXT) | instid1(VALU_DEP_1)
	v_sub_f32_e32 v27, v27, v30
	v_add_f32_e32 v20, v20, v27
	s_delay_alu instid0(VALU_DEP_1) | instskip(NEXT) | instid1(VALU_DEP_1)
	v_add_f32_e32 v20, v23, v20
	v_add_f32_e32 v23, v31, v20
	s_delay_alu instid0(VALU_DEP_1) | instskip(NEXT) | instid1(VALU_DEP_1)
	v_mul_f32_e32 v25, v22, v23
	v_dual_sub_f32 v30, v31, v23 :: v_dual_mul_f32 v27, v26, v25
	s_delay_alu instid0(VALU_DEP_1) | instskip(NEXT) | instid1(VALU_DEP_2)
	v_add_f32_e32 v20, v20, v30
	v_fma_f32 v26, v25, v26, -v27
	s_delay_alu instid0(VALU_DEP_1) | instskip(NEXT) | instid1(VALU_DEP_1)
	v_fmac_f32_e32 v26, v25, v24
	v_add_f32_e32 v24, v27, v26
	s_delay_alu instid0(VALU_DEP_1) | instskip(SKIP_1) | instid1(VALU_DEP_2)
	v_sub_f32_e32 v29, v23, v24
	v_sub_f32_e32 v27, v24, v27
	v_sub_f32_e32 v23, v23, v29
	s_delay_alu instid0(VALU_DEP_1) | instskip(NEXT) | instid1(VALU_DEP_3)
	v_sub_f32_e32 v23, v23, v24
	v_sub_f32_e32 v24, v27, v26
	s_delay_alu instid0(VALU_DEP_2) | instskip(SKIP_1) | instid1(VALU_DEP_2)
	v_add_f32_e32 v20, v20, v23
	v_add_f32_e32 v23, v28, v25
	;; [unrolled: 1-line block ×3, first 2 shown]
	s_delay_alu instid0(VALU_DEP_2) | instskip(NEXT) | instid1(VALU_DEP_2)
	v_sub_f32_e32 v24, v23, v28
	v_add_f32_e32 v20, v29, v20
	s_delay_alu instid0(VALU_DEP_2) | instskip(NEXT) | instid1(VALU_DEP_2)
	v_sub_f32_e32 v24, v25, v24
	v_mul_f32_e32 v20, v22, v20
	s_delay_alu instid0(VALU_DEP_1) | instskip(NEXT) | instid1(VALU_DEP_1)
	v_add_f32_e32 v20, v24, v20
	v_add_f32_e32 v22, v23, v20
	s_delay_alu instid0(VALU_DEP_1) | instskip(SKIP_1) | instid1(VALU_DEP_1)
	v_mul_f32_e32 v24, v22, v22
	s_wait_alu 0xfffe
	v_fmaak_f32 v25, s0, v24, 0x3ecc95a3
	v_mul_f32_e32 v26, v22, v24
	v_cmp_neq_f32_e64 s0, 0x7f800000, v21
	s_delay_alu instid0(VALU_DEP_3) | instskip(SKIP_2) | instid1(VALU_DEP_3)
	v_fmaak_f32 v24, v24, v25, 0x3f2aaada
	v_ldexp_f32 v25, v22, 1
	v_sub_f32_e32 v22, v22, v23
	v_mul_f32_e32 v24, v26, v24
	v_mul_f32_e32 v26, 0x3f317218, v19
	s_delay_alu instid0(VALU_DEP_2) | instskip(NEXT) | instid1(VALU_DEP_1)
	v_dual_sub_f32 v20, v20, v22 :: v_dual_add_f32 v23, v25, v24
	v_ldexp_f32 v20, v20, 1
	s_delay_alu instid0(VALU_DEP_2) | instskip(NEXT) | instid1(VALU_DEP_4)
	v_sub_f32_e32 v22, v23, v25
	v_fma_f32 v25, 0x3f317218, v19, -v26
	s_delay_alu instid0(VALU_DEP_1) | instskip(NEXT) | instid1(VALU_DEP_1)
	v_dual_sub_f32 v22, v24, v22 :: v_dual_fmamk_f32 v19, v19, 0xb102e308, v25
	v_add_f32_e32 v20, v20, v22
	s_delay_alu instid0(VALU_DEP_2) | instskip(NEXT) | instid1(VALU_DEP_2)
	v_add_f32_e32 v22, v26, v19
	v_add_f32_e32 v24, v23, v20
	s_delay_alu instid0(VALU_DEP_2) | instskip(NEXT) | instid1(VALU_DEP_2)
	v_sub_f32_e32 v26, v22, v26
	v_add_f32_e32 v25, v22, v24
	v_sub_f32_e32 v23, v24, v23
	s_delay_alu instid0(VALU_DEP_3) | instskip(NEXT) | instid1(VALU_DEP_2)
	v_sub_f32_e32 v19, v19, v26
	v_dual_sub_f32 v27, v25, v22 :: v_dual_sub_f32 v20, v20, v23
	s_delay_alu instid0(VALU_DEP_1) | instskip(NEXT) | instid1(VALU_DEP_2)
	v_sub_f32_e32 v28, v25, v27
	v_dual_sub_f32 v23, v24, v27 :: v_dual_add_f32 v24, v19, v20
	s_delay_alu instid0(VALU_DEP_2) | instskip(NEXT) | instid1(VALU_DEP_1)
	v_sub_f32_e32 v22, v22, v28
	v_dual_add_f32 v22, v23, v22 :: v_dual_sub_f32 v23, v24, v19
	s_delay_alu instid0(VALU_DEP_1) | instskip(NEXT) | instid1(VALU_DEP_2)
	v_add_f32_e32 v22, v24, v22
	v_sub_f32_e32 v24, v24, v23
	v_sub_f32_e32 v20, v20, v23
	s_delay_alu instid0(VALU_DEP_2) | instskip(NEXT) | instid1(VALU_DEP_1)
	v_dual_add_f32 v26, v25, v22 :: v_dual_sub_f32 v19, v19, v24
	v_sub_f32_e32 v23, v26, v25
	s_delay_alu instid0(VALU_DEP_2) | instskip(NEXT) | instid1(VALU_DEP_2)
	v_add_f32_e32 v19, v20, v19
	v_sub_f32_e32 v20, v22, v23
	s_delay_alu instid0(VALU_DEP_1) | instskip(NEXT) | instid1(VALU_DEP_1)
	v_add_f32_e32 v19, v19, v20
	v_add_f32_e32 v19, v26, v19
	s_wait_alu 0xf1ff
	s_delay_alu instid0(VALU_DEP_1) | instskip(SKIP_2) | instid1(VALU_DEP_1)
	v_cndmask_b32_e64 v19, 0x7f800000, v19, s0
	v_cmp_gt_f32_e64 s0, 0x33800000, |v21|
	s_wait_alu 0xf1ff
	v_cndmask_b32_e64 v19, v19, v21, s0
	s_delay_alu instid0(VALU_DEP_1)
	v_add_f32_e32 v19, v18, v19
.LBB167_41:
	s_wait_alu 0xfffe
	s_or_b32 exec_lo, exec_lo, s13
	s_delay_alu instid0(VALU_DEP_1)
	v_mov_b32_e32 v18, v19
.LBB167_42:
	s_wait_alu 0xfffe
	s_or_b32 exec_lo, exec_lo, s1
	v_or_b32_e32 v20, 31, v0
	s_wait_dscnt 0x0
	v_lshrrev_b32_e32 v19, 5, v0
	s_mov_b32 s1, exec_lo
	s_delay_alu instid0(VALU_DEP_2)
	v_cmpx_eq_u32_e64 v0, v20
; %bb.43:
	s_delay_alu instid0(VALU_DEP_2)
	v_lshlrev_b32_e32 v20, 2, v19
	ds_store_b32 v20, v18
; %bb.44:
	s_wait_alu 0xfffe
	s_or_b32 exec_lo, exec_lo, s1
	s_delay_alu instid0(SALU_CYCLE_1)
	s_mov_b32 s1, exec_lo
	s_wait_loadcnt_dscnt 0x0
	s_barrier_signal -1
	s_barrier_wait -1
	global_inv scope:SCOPE_SE
	v_cmpx_gt_u32_e32 8, v0
	s_cbranch_execz .LBB167_58
; %bb.45:
	ds_load_b32 v21, v7
	v_and_b32_e32 v20, 7, v17
	s_mov_b32 s13, exec_lo
	s_wait_dscnt 0x0
	v_mov_b32_dpp v22, v21 row_shr:1 row_mask:0xf bank_mask:0xf
	s_delay_alu instid0(VALU_DEP_2)
	v_cmpx_ne_u32_e32 0, v20
	s_cbranch_execz .LBB167_49
; %bb.46:
	s_delay_alu instid0(VALU_DEP_2) | instskip(SKIP_1) | instid1(VALU_DEP_2)
	v_dual_max_num_f32 v23, v21, v21 :: v_dual_max_num_f32 v24, v22, v22
	v_cmp_u_f32_e64 s0, v22, v22
	v_min_num_f32_e32 v25, v24, v23
	v_max_num_f32_e32 v23, v24, v23
	s_wait_alu 0xf1ff
	s_delay_alu instid0(VALU_DEP_2) | instskip(NEXT) | instid1(VALU_DEP_2)
	v_cndmask_b32_e64 v24, v25, v22, s0
	v_cndmask_b32_e64 v25, v23, v22, s0
	v_cmp_u_f32_e64 s0, v21, v21
	s_wait_alu 0xf1ff
	s_delay_alu instid0(VALU_DEP_1) | instskip(NEXT) | instid1(VALU_DEP_3)
	v_cndmask_b32_e64 v23, v24, v21, s0
	v_cndmask_b32_e64 v21, v25, v21, s0
	s_delay_alu instid0(VALU_DEP_2) | instskip(NEXT) | instid1(VALU_DEP_2)
	v_cmp_class_f32_e64 s16, v23, 0x1f8
	v_cmp_neq_f32_e64 s0, v23, v21
	s_or_b32 s0, s0, s16
	s_wait_alu 0xfffe
	s_and_saveexec_b32 s16, s0
	s_cbranch_execz .LBB167_48
; %bb.47:
	v_sub_f32_e32 v22, v23, v21
	s_delay_alu instid0(VALU_DEP_1) | instskip(SKIP_1) | instid1(VALU_DEP_2)
	v_mul_f32_e32 v23, 0x3fb8aa3b, v22
	v_cmp_ngt_f32_e64 s0, 0xc2ce8ed0, v22
	v_fma_f32 v24, 0x3fb8aa3b, v22, -v23
	v_rndne_f32_e32 v25, v23
	s_delay_alu instid0(VALU_DEP_1) | instskip(NEXT) | instid1(VALU_DEP_1)
	v_dual_fmamk_f32 v24, v22, 0x32a5705f, v24 :: v_dual_sub_f32 v23, v23, v25
	v_add_f32_e32 v23, v23, v24
	v_cvt_i32_f32_e32 v24, v25
	s_delay_alu instid0(VALU_DEP_2) | instskip(NEXT) | instid1(TRANS32_DEP_1)
	v_exp_f32_e32 v23, v23
	v_ldexp_f32 v23, v23, v24
	s_wait_alu 0xf1ff
	s_delay_alu instid0(VALU_DEP_1) | instskip(SKIP_2) | instid1(VALU_DEP_1)
	v_cndmask_b32_e64 v23, 0, v23, s0
	v_cmp_nlt_f32_e64 s0, 0x42b17218, v22
	s_wait_alu 0xf1ff
	v_cndmask_b32_e64 v24, 0x7f800000, v23, s0
	s_delay_alu instid0(VALU_DEP_1) | instskip(NEXT) | instid1(VALU_DEP_1)
	v_add_f32_e32 v25, 1.0, v24
	v_cvt_f64_f32_e32 v[22:23], v25
	s_delay_alu instid0(VALU_DEP_1) | instskip(SKIP_1) | instid1(VALU_DEP_1)
	v_frexp_exp_i32_f64_e32 v22, v[22:23]
	v_frexp_mant_f32_e32 v23, v25
	v_cmp_gt_f32_e64 s0, 0x3f2aaaab, v23
	v_add_f32_e32 v23, -1.0, v25
	s_delay_alu instid0(VALU_DEP_1)
	v_sub_f32_e32 v27, v23, v25
	v_sub_f32_e32 v23, v24, v23
	s_wait_alu 0xf1ff
	v_subrev_co_ci_u32_e64 v22, null, 0, v22, s0
	s_mov_b32 s0, 0x3e9b6dac
	v_sub_nc_u32_e32 v26, 0, v22
	v_cvt_f32_i32_e32 v22, v22
	s_delay_alu instid0(VALU_DEP_2) | instskip(NEXT) | instid1(VALU_DEP_1)
	v_ldexp_f32 v25, v25, v26
	v_dual_add_f32 v28, 1.0, v25 :: v_dual_add_f32 v27, 1.0, v27
	s_delay_alu instid0(VALU_DEP_1) | instskip(NEXT) | instid1(VALU_DEP_2)
	v_add_f32_e32 v23, v23, v27
	v_add_f32_e32 v27, -1.0, v28
	s_delay_alu instid0(VALU_DEP_2) | instskip(NEXT) | instid1(VALU_DEP_2)
	v_ldexp_f32 v23, v23, v26
	v_dual_add_f32 v26, -1.0, v25 :: v_dual_sub_f32 v27, v25, v27
	s_delay_alu instid0(VALU_DEP_1) | instskip(NEXT) | instid1(VALU_DEP_2)
	v_add_f32_e32 v29, 1.0, v26
	v_add_f32_e32 v27, v23, v27
	s_delay_alu instid0(VALU_DEP_2) | instskip(NEXT) | instid1(VALU_DEP_2)
	v_sub_f32_e32 v25, v25, v29
	v_add_f32_e32 v29, v28, v27
	s_delay_alu instid0(VALU_DEP_2) | instskip(NEXT) | instid1(VALU_DEP_2)
	v_add_f32_e32 v23, v23, v25
	v_rcp_f32_e32 v25, v29
	v_sub_f32_e32 v28, v28, v29
	s_delay_alu instid0(VALU_DEP_1) | instskip(NEXT) | instid1(VALU_DEP_1)
	v_dual_add_f32 v30, v26, v23 :: v_dual_add_f32 v27, v27, v28
	v_sub_f32_e32 v26, v26, v30
	s_delay_alu instid0(TRANS32_DEP_1) | instskip(NEXT) | instid1(VALU_DEP_1)
	v_mul_f32_e32 v31, v30, v25
	v_dual_add_f32 v23, v23, v26 :: v_dual_mul_f32 v32, v29, v31
	s_delay_alu instid0(VALU_DEP_1) | instskip(NEXT) | instid1(VALU_DEP_1)
	v_fma_f32 v28, v31, v29, -v32
	v_fmac_f32_e32 v28, v31, v27
	s_delay_alu instid0(VALU_DEP_1) | instskip(NEXT) | instid1(VALU_DEP_1)
	v_add_f32_e32 v33, v32, v28
	v_sub_f32_e32 v34, v30, v33
	v_sub_f32_e32 v26, v33, v32
	s_delay_alu instid0(VALU_DEP_2) | instskip(NEXT) | instid1(VALU_DEP_2)
	v_sub_f32_e32 v30, v30, v34
	v_sub_f32_e32 v26, v26, v28
	s_delay_alu instid0(VALU_DEP_2) | instskip(NEXT) | instid1(VALU_DEP_1)
	v_sub_f32_e32 v30, v30, v33
	v_add_f32_e32 v23, v23, v30
	s_delay_alu instid0(VALU_DEP_1) | instskip(NEXT) | instid1(VALU_DEP_1)
	v_add_f32_e32 v23, v26, v23
	v_add_f32_e32 v26, v34, v23
	s_delay_alu instid0(VALU_DEP_1) | instskip(NEXT) | instid1(VALU_DEP_1)
	v_mul_f32_e32 v28, v25, v26
	v_dual_sub_f32 v33, v34, v26 :: v_dual_mul_f32 v30, v29, v28
	s_delay_alu instid0(VALU_DEP_1) | instskip(NEXT) | instid1(VALU_DEP_2)
	v_add_f32_e32 v23, v23, v33
	v_fma_f32 v29, v28, v29, -v30
	s_delay_alu instid0(VALU_DEP_1) | instskip(NEXT) | instid1(VALU_DEP_1)
	v_fmac_f32_e32 v29, v28, v27
	v_add_f32_e32 v27, v30, v29
	s_delay_alu instid0(VALU_DEP_1) | instskip(SKIP_1) | instid1(VALU_DEP_2)
	v_sub_f32_e32 v32, v26, v27
	v_sub_f32_e32 v30, v27, v30
	;; [unrolled: 1-line block ×3, first 2 shown]
	s_delay_alu instid0(VALU_DEP_1) | instskip(NEXT) | instid1(VALU_DEP_3)
	v_sub_f32_e32 v26, v26, v27
	v_sub_f32_e32 v27, v30, v29
	s_delay_alu instid0(VALU_DEP_2) | instskip(SKIP_1) | instid1(VALU_DEP_2)
	v_add_f32_e32 v23, v23, v26
	v_add_f32_e32 v26, v31, v28
	;; [unrolled: 1-line block ×3, first 2 shown]
	s_delay_alu instid0(VALU_DEP_2) | instskip(NEXT) | instid1(VALU_DEP_2)
	v_sub_f32_e32 v27, v26, v31
	v_add_f32_e32 v23, v32, v23
	s_delay_alu instid0(VALU_DEP_2) | instskip(NEXT) | instid1(VALU_DEP_2)
	v_sub_f32_e32 v27, v28, v27
	v_mul_f32_e32 v23, v25, v23
	s_delay_alu instid0(VALU_DEP_1) | instskip(NEXT) | instid1(VALU_DEP_1)
	v_add_f32_e32 v23, v27, v23
	v_add_f32_e32 v25, v26, v23
	s_delay_alu instid0(VALU_DEP_1) | instskip(SKIP_1) | instid1(VALU_DEP_1)
	v_mul_f32_e32 v27, v25, v25
	s_wait_alu 0xfffe
	v_fmaak_f32 v28, s0, v27, 0x3ecc95a3
	v_mul_f32_e32 v29, v25, v27
	v_cmp_neq_f32_e64 s0, 0x7f800000, v24
	s_delay_alu instid0(VALU_DEP_3) | instskip(SKIP_2) | instid1(VALU_DEP_3)
	v_fmaak_f32 v27, v27, v28, 0x3f2aaada
	v_ldexp_f32 v28, v25, 1
	v_sub_f32_e32 v25, v25, v26
	v_mul_f32_e32 v27, v29, v27
	v_mul_f32_e32 v29, 0x3f317218, v22
	s_delay_alu instid0(VALU_DEP_2) | instskip(NEXT) | instid1(VALU_DEP_1)
	v_dual_sub_f32 v23, v23, v25 :: v_dual_add_f32 v26, v28, v27
	v_ldexp_f32 v23, v23, 1
	s_delay_alu instid0(VALU_DEP_2) | instskip(NEXT) | instid1(VALU_DEP_4)
	v_sub_f32_e32 v25, v26, v28
	v_fma_f32 v28, 0x3f317218, v22, -v29
	s_delay_alu instid0(VALU_DEP_1) | instskip(NEXT) | instid1(VALU_DEP_1)
	v_dual_sub_f32 v25, v27, v25 :: v_dual_fmamk_f32 v22, v22, 0xb102e308, v28
	v_add_f32_e32 v23, v23, v25
	s_delay_alu instid0(VALU_DEP_2) | instskip(NEXT) | instid1(VALU_DEP_2)
	v_add_f32_e32 v25, v29, v22
	v_add_f32_e32 v27, v26, v23
	s_delay_alu instid0(VALU_DEP_2) | instskip(NEXT) | instid1(VALU_DEP_2)
	v_sub_f32_e32 v29, v25, v29
	v_add_f32_e32 v28, v25, v27
	v_sub_f32_e32 v26, v27, v26
	s_delay_alu instid0(VALU_DEP_3) | instskip(NEXT) | instid1(VALU_DEP_2)
	v_sub_f32_e32 v22, v22, v29
	v_dual_sub_f32 v30, v28, v25 :: v_dual_sub_f32 v23, v23, v26
	s_delay_alu instid0(VALU_DEP_1) | instskip(NEXT) | instid1(VALU_DEP_2)
	v_sub_f32_e32 v31, v28, v30
	v_dual_sub_f32 v26, v27, v30 :: v_dual_add_f32 v27, v22, v23
	s_delay_alu instid0(VALU_DEP_2) | instskip(NEXT) | instid1(VALU_DEP_1)
	v_sub_f32_e32 v25, v25, v31
	v_dual_add_f32 v25, v26, v25 :: v_dual_sub_f32 v26, v27, v22
	s_delay_alu instid0(VALU_DEP_1) | instskip(NEXT) | instid1(VALU_DEP_2)
	v_add_f32_e32 v25, v27, v25
	v_sub_f32_e32 v27, v27, v26
	v_sub_f32_e32 v23, v23, v26
	s_delay_alu instid0(VALU_DEP_2) | instskip(NEXT) | instid1(VALU_DEP_1)
	v_dual_add_f32 v29, v28, v25 :: v_dual_sub_f32 v22, v22, v27
	v_sub_f32_e32 v26, v29, v28
	s_delay_alu instid0(VALU_DEP_2) | instskip(NEXT) | instid1(VALU_DEP_2)
	v_add_f32_e32 v22, v23, v22
	v_sub_f32_e32 v23, v25, v26
	s_delay_alu instid0(VALU_DEP_1) | instskip(NEXT) | instid1(VALU_DEP_1)
	v_add_f32_e32 v22, v22, v23
	v_add_f32_e32 v22, v29, v22
	s_wait_alu 0xf1ff
	s_delay_alu instid0(VALU_DEP_1) | instskip(SKIP_2) | instid1(VALU_DEP_1)
	v_cndmask_b32_e64 v22, 0x7f800000, v22, s0
	v_cmp_gt_f32_e64 s0, 0x33800000, |v24|
	s_wait_alu 0xf1ff
	v_cndmask_b32_e64 v22, v22, v24, s0
	s_delay_alu instid0(VALU_DEP_1)
	v_add_f32_e32 v22, v21, v22
.LBB167_48:
	s_or_b32 exec_lo, exec_lo, s16
	s_delay_alu instid0(VALU_DEP_1)
	v_mov_b32_e32 v21, v22
.LBB167_49:
	s_wait_alu 0xfffe
	s_or_b32 exec_lo, exec_lo, s13
	s_delay_alu instid0(VALU_DEP_1)
	v_mov_b32_dpp v22, v21 row_shr:2 row_mask:0xf bank_mask:0xf
	s_mov_b32 s13, exec_lo
	v_cmpx_lt_u32_e32 1, v20
	s_cbranch_execz .LBB167_53
; %bb.50:
	s_delay_alu instid0(VALU_DEP_2) | instskip(SKIP_1) | instid1(VALU_DEP_2)
	v_dual_max_num_f32 v23, v21, v21 :: v_dual_max_num_f32 v24, v22, v22
	v_cmp_u_f32_e64 s0, v22, v22
	v_min_num_f32_e32 v25, v24, v23
	v_max_num_f32_e32 v23, v24, v23
	s_wait_alu 0xf1ff
	s_delay_alu instid0(VALU_DEP_2) | instskip(NEXT) | instid1(VALU_DEP_2)
	v_cndmask_b32_e64 v24, v25, v22, s0
	v_cndmask_b32_e64 v25, v23, v22, s0
	v_cmp_u_f32_e64 s0, v21, v21
	s_wait_alu 0xf1ff
	s_delay_alu instid0(VALU_DEP_1) | instskip(NEXT) | instid1(VALU_DEP_3)
	v_cndmask_b32_e64 v23, v24, v21, s0
	v_cndmask_b32_e64 v21, v25, v21, s0
	s_delay_alu instid0(VALU_DEP_2) | instskip(NEXT) | instid1(VALU_DEP_2)
	v_cmp_class_f32_e64 s16, v23, 0x1f8
	v_cmp_neq_f32_e64 s0, v23, v21
	s_or_b32 s0, s0, s16
	s_wait_alu 0xfffe
	s_and_saveexec_b32 s16, s0
	s_cbranch_execz .LBB167_52
; %bb.51:
	v_sub_f32_e32 v22, v23, v21
	s_delay_alu instid0(VALU_DEP_1) | instskip(SKIP_1) | instid1(VALU_DEP_2)
	v_mul_f32_e32 v23, 0x3fb8aa3b, v22
	v_cmp_ngt_f32_e64 s0, 0xc2ce8ed0, v22
	v_fma_f32 v24, 0x3fb8aa3b, v22, -v23
	v_rndne_f32_e32 v25, v23
	s_delay_alu instid0(VALU_DEP_1) | instskip(NEXT) | instid1(VALU_DEP_1)
	v_dual_fmamk_f32 v24, v22, 0x32a5705f, v24 :: v_dual_sub_f32 v23, v23, v25
	v_add_f32_e32 v23, v23, v24
	v_cvt_i32_f32_e32 v24, v25
	s_delay_alu instid0(VALU_DEP_2) | instskip(NEXT) | instid1(TRANS32_DEP_1)
	v_exp_f32_e32 v23, v23
	v_ldexp_f32 v23, v23, v24
	s_wait_alu 0xf1ff
	s_delay_alu instid0(VALU_DEP_1) | instskip(SKIP_2) | instid1(VALU_DEP_1)
	v_cndmask_b32_e64 v23, 0, v23, s0
	v_cmp_nlt_f32_e64 s0, 0x42b17218, v22
	s_wait_alu 0xf1ff
	v_cndmask_b32_e64 v24, 0x7f800000, v23, s0
	s_delay_alu instid0(VALU_DEP_1) | instskip(NEXT) | instid1(VALU_DEP_1)
	v_add_f32_e32 v25, 1.0, v24
	v_cvt_f64_f32_e32 v[22:23], v25
	s_delay_alu instid0(VALU_DEP_1) | instskip(SKIP_1) | instid1(VALU_DEP_1)
	v_frexp_exp_i32_f64_e32 v22, v[22:23]
	v_frexp_mant_f32_e32 v23, v25
	v_cmp_gt_f32_e64 s0, 0x3f2aaaab, v23
	v_add_f32_e32 v23, -1.0, v25
	s_delay_alu instid0(VALU_DEP_1)
	v_sub_f32_e32 v27, v23, v25
	v_sub_f32_e32 v23, v24, v23
	s_wait_alu 0xf1ff
	v_subrev_co_ci_u32_e64 v22, null, 0, v22, s0
	s_mov_b32 s0, 0x3e9b6dac
	v_sub_nc_u32_e32 v26, 0, v22
	v_cvt_f32_i32_e32 v22, v22
	s_delay_alu instid0(VALU_DEP_2) | instskip(NEXT) | instid1(VALU_DEP_1)
	v_ldexp_f32 v25, v25, v26
	v_dual_add_f32 v28, 1.0, v25 :: v_dual_add_f32 v27, 1.0, v27
	s_delay_alu instid0(VALU_DEP_1) | instskip(NEXT) | instid1(VALU_DEP_2)
	v_add_f32_e32 v23, v23, v27
	v_add_f32_e32 v27, -1.0, v28
	s_delay_alu instid0(VALU_DEP_2) | instskip(NEXT) | instid1(VALU_DEP_2)
	v_ldexp_f32 v23, v23, v26
	v_dual_add_f32 v26, -1.0, v25 :: v_dual_sub_f32 v27, v25, v27
	s_delay_alu instid0(VALU_DEP_1) | instskip(NEXT) | instid1(VALU_DEP_2)
	v_add_f32_e32 v29, 1.0, v26
	v_add_f32_e32 v27, v23, v27
	s_delay_alu instid0(VALU_DEP_2) | instskip(NEXT) | instid1(VALU_DEP_2)
	v_sub_f32_e32 v25, v25, v29
	v_add_f32_e32 v29, v28, v27
	s_delay_alu instid0(VALU_DEP_2) | instskip(NEXT) | instid1(VALU_DEP_2)
	v_add_f32_e32 v23, v23, v25
	v_rcp_f32_e32 v25, v29
	v_sub_f32_e32 v28, v28, v29
	s_delay_alu instid0(VALU_DEP_1) | instskip(NEXT) | instid1(VALU_DEP_1)
	v_dual_add_f32 v30, v26, v23 :: v_dual_add_f32 v27, v27, v28
	v_sub_f32_e32 v26, v26, v30
	s_delay_alu instid0(TRANS32_DEP_1) | instskip(NEXT) | instid1(VALU_DEP_1)
	v_mul_f32_e32 v31, v30, v25
	v_dual_add_f32 v23, v23, v26 :: v_dual_mul_f32 v32, v29, v31
	s_delay_alu instid0(VALU_DEP_1) | instskip(NEXT) | instid1(VALU_DEP_1)
	v_fma_f32 v28, v31, v29, -v32
	v_fmac_f32_e32 v28, v31, v27
	s_delay_alu instid0(VALU_DEP_1) | instskip(NEXT) | instid1(VALU_DEP_1)
	v_add_f32_e32 v33, v32, v28
	v_sub_f32_e32 v34, v30, v33
	v_sub_f32_e32 v26, v33, v32
	s_delay_alu instid0(VALU_DEP_2) | instskip(NEXT) | instid1(VALU_DEP_2)
	v_sub_f32_e32 v30, v30, v34
	v_sub_f32_e32 v26, v26, v28
	s_delay_alu instid0(VALU_DEP_2) | instskip(NEXT) | instid1(VALU_DEP_1)
	v_sub_f32_e32 v30, v30, v33
	v_add_f32_e32 v23, v23, v30
	s_delay_alu instid0(VALU_DEP_1) | instskip(NEXT) | instid1(VALU_DEP_1)
	v_add_f32_e32 v23, v26, v23
	v_add_f32_e32 v26, v34, v23
	s_delay_alu instid0(VALU_DEP_1) | instskip(NEXT) | instid1(VALU_DEP_1)
	v_mul_f32_e32 v28, v25, v26
	v_dual_sub_f32 v33, v34, v26 :: v_dual_mul_f32 v30, v29, v28
	s_delay_alu instid0(VALU_DEP_1) | instskip(NEXT) | instid1(VALU_DEP_2)
	v_add_f32_e32 v23, v23, v33
	v_fma_f32 v29, v28, v29, -v30
	s_delay_alu instid0(VALU_DEP_1) | instskip(NEXT) | instid1(VALU_DEP_1)
	v_fmac_f32_e32 v29, v28, v27
	v_add_f32_e32 v27, v30, v29
	s_delay_alu instid0(VALU_DEP_1) | instskip(SKIP_1) | instid1(VALU_DEP_2)
	v_sub_f32_e32 v32, v26, v27
	v_sub_f32_e32 v30, v27, v30
	;; [unrolled: 1-line block ×3, first 2 shown]
	s_delay_alu instid0(VALU_DEP_1) | instskip(NEXT) | instid1(VALU_DEP_3)
	v_sub_f32_e32 v26, v26, v27
	v_sub_f32_e32 v27, v30, v29
	s_delay_alu instid0(VALU_DEP_2) | instskip(SKIP_1) | instid1(VALU_DEP_2)
	v_add_f32_e32 v23, v23, v26
	v_add_f32_e32 v26, v31, v28
	;; [unrolled: 1-line block ×3, first 2 shown]
	s_delay_alu instid0(VALU_DEP_2) | instskip(NEXT) | instid1(VALU_DEP_2)
	v_sub_f32_e32 v27, v26, v31
	v_add_f32_e32 v23, v32, v23
	s_delay_alu instid0(VALU_DEP_2) | instskip(NEXT) | instid1(VALU_DEP_2)
	v_sub_f32_e32 v27, v28, v27
	v_mul_f32_e32 v23, v25, v23
	s_delay_alu instid0(VALU_DEP_1) | instskip(NEXT) | instid1(VALU_DEP_1)
	v_add_f32_e32 v23, v27, v23
	v_add_f32_e32 v25, v26, v23
	s_delay_alu instid0(VALU_DEP_1) | instskip(SKIP_1) | instid1(VALU_DEP_1)
	v_mul_f32_e32 v27, v25, v25
	s_wait_alu 0xfffe
	v_fmaak_f32 v28, s0, v27, 0x3ecc95a3
	v_mul_f32_e32 v29, v25, v27
	v_cmp_neq_f32_e64 s0, 0x7f800000, v24
	s_delay_alu instid0(VALU_DEP_3) | instskip(SKIP_2) | instid1(VALU_DEP_3)
	v_fmaak_f32 v27, v27, v28, 0x3f2aaada
	v_ldexp_f32 v28, v25, 1
	v_sub_f32_e32 v25, v25, v26
	v_mul_f32_e32 v27, v29, v27
	v_mul_f32_e32 v29, 0x3f317218, v22
	s_delay_alu instid0(VALU_DEP_2) | instskip(NEXT) | instid1(VALU_DEP_1)
	v_dual_sub_f32 v23, v23, v25 :: v_dual_add_f32 v26, v28, v27
	v_ldexp_f32 v23, v23, 1
	s_delay_alu instid0(VALU_DEP_2) | instskip(NEXT) | instid1(VALU_DEP_4)
	v_sub_f32_e32 v25, v26, v28
	v_fma_f32 v28, 0x3f317218, v22, -v29
	s_delay_alu instid0(VALU_DEP_1) | instskip(NEXT) | instid1(VALU_DEP_1)
	v_dual_sub_f32 v25, v27, v25 :: v_dual_fmamk_f32 v22, v22, 0xb102e308, v28
	v_add_f32_e32 v23, v23, v25
	s_delay_alu instid0(VALU_DEP_2) | instskip(NEXT) | instid1(VALU_DEP_2)
	v_add_f32_e32 v25, v29, v22
	v_add_f32_e32 v27, v26, v23
	s_delay_alu instid0(VALU_DEP_2) | instskip(NEXT) | instid1(VALU_DEP_2)
	v_sub_f32_e32 v29, v25, v29
	v_add_f32_e32 v28, v25, v27
	v_sub_f32_e32 v26, v27, v26
	s_delay_alu instid0(VALU_DEP_3) | instskip(NEXT) | instid1(VALU_DEP_2)
	v_sub_f32_e32 v22, v22, v29
	v_dual_sub_f32 v30, v28, v25 :: v_dual_sub_f32 v23, v23, v26
	s_delay_alu instid0(VALU_DEP_1) | instskip(NEXT) | instid1(VALU_DEP_2)
	v_sub_f32_e32 v31, v28, v30
	v_dual_sub_f32 v26, v27, v30 :: v_dual_add_f32 v27, v22, v23
	s_delay_alu instid0(VALU_DEP_2) | instskip(NEXT) | instid1(VALU_DEP_1)
	v_sub_f32_e32 v25, v25, v31
	v_dual_add_f32 v25, v26, v25 :: v_dual_sub_f32 v26, v27, v22
	s_delay_alu instid0(VALU_DEP_1) | instskip(NEXT) | instid1(VALU_DEP_2)
	v_add_f32_e32 v25, v27, v25
	v_sub_f32_e32 v27, v27, v26
	v_sub_f32_e32 v23, v23, v26
	s_delay_alu instid0(VALU_DEP_2) | instskip(NEXT) | instid1(VALU_DEP_1)
	v_dual_add_f32 v29, v28, v25 :: v_dual_sub_f32 v22, v22, v27
	v_sub_f32_e32 v26, v29, v28
	s_delay_alu instid0(VALU_DEP_2) | instskip(NEXT) | instid1(VALU_DEP_2)
	v_add_f32_e32 v22, v23, v22
	v_sub_f32_e32 v23, v25, v26
	s_delay_alu instid0(VALU_DEP_1) | instskip(NEXT) | instid1(VALU_DEP_1)
	v_add_f32_e32 v22, v22, v23
	v_add_f32_e32 v22, v29, v22
	s_wait_alu 0xf1ff
	s_delay_alu instid0(VALU_DEP_1) | instskip(SKIP_2) | instid1(VALU_DEP_1)
	v_cndmask_b32_e64 v22, 0x7f800000, v22, s0
	v_cmp_gt_f32_e64 s0, 0x33800000, |v24|
	s_wait_alu 0xf1ff
	v_cndmask_b32_e64 v22, v22, v24, s0
	s_delay_alu instid0(VALU_DEP_1)
	v_add_f32_e32 v22, v21, v22
.LBB167_52:
	s_or_b32 exec_lo, exec_lo, s16
	s_delay_alu instid0(VALU_DEP_1)
	v_mov_b32_e32 v21, v22
.LBB167_53:
	s_wait_alu 0xfffe
	s_or_b32 exec_lo, exec_lo, s13
	s_delay_alu instid0(VALU_DEP_1)
	v_mov_b32_dpp v22, v21 row_shr:4 row_mask:0xf bank_mask:0xf
	s_mov_b32 s13, exec_lo
	v_cmpx_lt_u32_e32 3, v20
	s_cbranch_execz .LBB167_57
; %bb.54:
	s_delay_alu instid0(VALU_DEP_2) | instskip(SKIP_1) | instid1(VALU_DEP_2)
	v_dual_max_num_f32 v20, v21, v21 :: v_dual_max_num_f32 v23, v22, v22
	v_cmp_u_f32_e64 s0, v22, v22
	v_min_num_f32_e32 v24, v23, v20
	v_max_num_f32_e32 v20, v23, v20
	s_wait_alu 0xf1ff
	s_delay_alu instid0(VALU_DEP_2) | instskip(NEXT) | instid1(VALU_DEP_2)
	v_cndmask_b32_e64 v23, v24, v22, s0
	v_cndmask_b32_e64 v20, v20, v22, s0
	v_cmp_u_f32_e64 s0, v21, v21
	s_wait_alu 0xf1ff
	s_delay_alu instid0(VALU_DEP_1) | instskip(NEXT) | instid1(VALU_DEP_3)
	v_cndmask_b32_e64 v23, v23, v21, s0
	v_cndmask_b32_e64 v20, v20, v21, s0
	s_delay_alu instid0(VALU_DEP_2) | instskip(NEXT) | instid1(VALU_DEP_2)
	v_cmp_class_f32_e64 s16, v23, 0x1f8
	v_cmp_neq_f32_e64 s0, v23, v20
	s_or_b32 s0, s0, s16
	s_wait_alu 0xfffe
	s_and_saveexec_b32 s16, s0
	s_cbranch_execz .LBB167_56
; %bb.55:
	v_sub_f32_e32 v21, v23, v20
	s_delay_alu instid0(VALU_DEP_1) | instskip(NEXT) | instid1(VALU_DEP_1)
	v_mul_f32_e32 v22, 0x3fb8aa3b, v21
	v_fma_f32 v23, 0x3fb8aa3b, v21, -v22
	v_rndne_f32_e32 v24, v22
	s_delay_alu instid0(VALU_DEP_1) | instskip(NEXT) | instid1(VALU_DEP_1)
	v_dual_fmamk_f32 v23, v21, 0x32a5705f, v23 :: v_dual_sub_f32 v22, v22, v24
	v_add_f32_e32 v22, v22, v23
	v_cvt_i32_f32_e32 v23, v24
	v_cmp_ngt_f32_e64 s0, 0xc2ce8ed0, v21
	s_delay_alu instid0(VALU_DEP_3) | instskip(NEXT) | instid1(TRANS32_DEP_1)
	v_exp_f32_e32 v22, v22
	v_ldexp_f32 v22, v22, v23
	s_wait_alu 0xf1ff
	s_delay_alu instid0(VALU_DEP_1) | instskip(SKIP_2) | instid1(VALU_DEP_1)
	v_cndmask_b32_e64 v22, 0, v22, s0
	v_cmp_nlt_f32_e64 s0, 0x42b17218, v21
	s_wait_alu 0xf1ff
	v_cndmask_b32_e64 v23, 0x7f800000, v22, s0
	s_delay_alu instid0(VALU_DEP_1) | instskip(NEXT) | instid1(VALU_DEP_1)
	v_add_f32_e32 v24, 1.0, v23
	v_cvt_f64_f32_e32 v[21:22], v24
	s_delay_alu instid0(VALU_DEP_1) | instskip(SKIP_1) | instid1(VALU_DEP_1)
	v_frexp_exp_i32_f64_e32 v21, v[21:22]
	v_frexp_mant_f32_e32 v22, v24
	v_cmp_gt_f32_e64 s0, 0x3f2aaaab, v22
	v_add_f32_e32 v22, -1.0, v24
	s_delay_alu instid0(VALU_DEP_1) | instskip(SKIP_1) | instid1(VALU_DEP_3)
	v_sub_f32_e32 v26, v22, v24
	s_wait_alu 0xf1ff
	v_subrev_co_ci_u32_e64 v21, null, 0, v21, s0
	s_mov_b32 s0, 0x3e9b6dac
	v_sub_nc_u32_e32 v25, 0, v21
	v_cvt_f32_i32_e32 v21, v21
	s_delay_alu instid0(VALU_DEP_2) | instskip(NEXT) | instid1(VALU_DEP_1)
	v_ldexp_f32 v24, v24, v25
	v_dual_sub_f32 v22, v23, v22 :: v_dual_add_f32 v27, 1.0, v24
	v_add_f32_e32 v26, 1.0, v26
	s_delay_alu instid0(VALU_DEP_1) | instskip(NEXT) | instid1(VALU_DEP_3)
	v_add_f32_e32 v22, v22, v26
	v_add_f32_e32 v26, -1.0, v27
	s_delay_alu instid0(VALU_DEP_2) | instskip(NEXT) | instid1(VALU_DEP_2)
	v_ldexp_f32 v22, v22, v25
	v_dual_add_f32 v25, -1.0, v24 :: v_dual_sub_f32 v26, v24, v26
	s_delay_alu instid0(VALU_DEP_1) | instskip(NEXT) | instid1(VALU_DEP_2)
	v_add_f32_e32 v28, 1.0, v25
	v_add_f32_e32 v26, v22, v26
	s_delay_alu instid0(VALU_DEP_2) | instskip(NEXT) | instid1(VALU_DEP_2)
	v_sub_f32_e32 v24, v24, v28
	v_add_f32_e32 v28, v27, v26
	s_delay_alu instid0(VALU_DEP_2) | instskip(NEXT) | instid1(VALU_DEP_2)
	v_add_f32_e32 v22, v22, v24
	v_rcp_f32_e32 v24, v28
	v_sub_f32_e32 v27, v27, v28
	s_delay_alu instid0(VALU_DEP_1) | instskip(NEXT) | instid1(VALU_DEP_1)
	v_dual_add_f32 v29, v25, v22 :: v_dual_add_f32 v26, v26, v27
	v_sub_f32_e32 v25, v25, v29
	s_delay_alu instid0(TRANS32_DEP_1) | instskip(NEXT) | instid1(VALU_DEP_1)
	v_mul_f32_e32 v30, v29, v24
	v_dual_add_f32 v22, v22, v25 :: v_dual_mul_f32 v31, v28, v30
	s_delay_alu instid0(VALU_DEP_1) | instskip(NEXT) | instid1(VALU_DEP_1)
	v_fma_f32 v27, v30, v28, -v31
	v_fmac_f32_e32 v27, v30, v26
	s_delay_alu instid0(VALU_DEP_1) | instskip(NEXT) | instid1(VALU_DEP_1)
	v_add_f32_e32 v32, v31, v27
	v_sub_f32_e32 v33, v29, v32
	v_sub_f32_e32 v25, v32, v31
	s_delay_alu instid0(VALU_DEP_2) | instskip(NEXT) | instid1(VALU_DEP_2)
	v_sub_f32_e32 v29, v29, v33
	v_sub_f32_e32 v25, v25, v27
	s_delay_alu instid0(VALU_DEP_2) | instskip(NEXT) | instid1(VALU_DEP_1)
	v_sub_f32_e32 v29, v29, v32
	v_add_f32_e32 v22, v22, v29
	s_delay_alu instid0(VALU_DEP_1) | instskip(NEXT) | instid1(VALU_DEP_1)
	v_add_f32_e32 v22, v25, v22
	v_add_f32_e32 v25, v33, v22
	s_delay_alu instid0(VALU_DEP_1) | instskip(NEXT) | instid1(VALU_DEP_1)
	v_mul_f32_e32 v27, v24, v25
	v_dual_sub_f32 v32, v33, v25 :: v_dual_mul_f32 v29, v28, v27
	s_delay_alu instid0(VALU_DEP_1) | instskip(NEXT) | instid1(VALU_DEP_2)
	v_add_f32_e32 v22, v22, v32
	v_fma_f32 v28, v27, v28, -v29
	s_delay_alu instid0(VALU_DEP_1) | instskip(NEXT) | instid1(VALU_DEP_1)
	v_fmac_f32_e32 v28, v27, v26
	v_add_f32_e32 v26, v29, v28
	s_delay_alu instid0(VALU_DEP_1) | instskip(SKIP_1) | instid1(VALU_DEP_2)
	v_sub_f32_e32 v31, v25, v26
	v_sub_f32_e32 v29, v26, v29
	;; [unrolled: 1-line block ×3, first 2 shown]
	s_delay_alu instid0(VALU_DEP_1) | instskip(NEXT) | instid1(VALU_DEP_3)
	v_sub_f32_e32 v25, v25, v26
	v_sub_f32_e32 v26, v29, v28
	s_delay_alu instid0(VALU_DEP_2) | instskip(SKIP_1) | instid1(VALU_DEP_2)
	v_add_f32_e32 v22, v22, v25
	v_add_f32_e32 v25, v30, v27
	;; [unrolled: 1-line block ×3, first 2 shown]
	s_delay_alu instid0(VALU_DEP_2) | instskip(NEXT) | instid1(VALU_DEP_2)
	v_sub_f32_e32 v26, v25, v30
	v_add_f32_e32 v22, v31, v22
	s_delay_alu instid0(VALU_DEP_2) | instskip(NEXT) | instid1(VALU_DEP_2)
	v_sub_f32_e32 v26, v27, v26
	v_mul_f32_e32 v22, v24, v22
	s_delay_alu instid0(VALU_DEP_1) | instskip(NEXT) | instid1(VALU_DEP_1)
	v_add_f32_e32 v22, v26, v22
	v_add_f32_e32 v24, v25, v22
	s_delay_alu instid0(VALU_DEP_1) | instskip(SKIP_1) | instid1(VALU_DEP_1)
	v_mul_f32_e32 v26, v24, v24
	s_wait_alu 0xfffe
	v_fmaak_f32 v27, s0, v26, 0x3ecc95a3
	v_mul_f32_e32 v28, v24, v26
	v_cmp_neq_f32_e64 s0, 0x7f800000, v23
	s_delay_alu instid0(VALU_DEP_3) | instskip(SKIP_2) | instid1(VALU_DEP_3)
	v_fmaak_f32 v26, v26, v27, 0x3f2aaada
	v_ldexp_f32 v27, v24, 1
	v_sub_f32_e32 v24, v24, v25
	v_mul_f32_e32 v26, v28, v26
	v_mul_f32_e32 v28, 0x3f317218, v21
	s_delay_alu instid0(VALU_DEP_2) | instskip(NEXT) | instid1(VALU_DEP_1)
	v_dual_sub_f32 v22, v22, v24 :: v_dual_add_f32 v25, v27, v26
	v_ldexp_f32 v22, v22, 1
	s_delay_alu instid0(VALU_DEP_2) | instskip(NEXT) | instid1(VALU_DEP_4)
	v_sub_f32_e32 v24, v25, v27
	v_fma_f32 v27, 0x3f317218, v21, -v28
	s_delay_alu instid0(VALU_DEP_1) | instskip(NEXT) | instid1(VALU_DEP_1)
	v_dual_sub_f32 v24, v26, v24 :: v_dual_fmamk_f32 v21, v21, 0xb102e308, v27
	v_add_f32_e32 v22, v22, v24
	s_delay_alu instid0(VALU_DEP_2) | instskip(NEXT) | instid1(VALU_DEP_2)
	v_add_f32_e32 v24, v28, v21
	v_add_f32_e32 v26, v25, v22
	s_delay_alu instid0(VALU_DEP_2) | instskip(NEXT) | instid1(VALU_DEP_2)
	v_sub_f32_e32 v28, v24, v28
	v_add_f32_e32 v27, v24, v26
	v_sub_f32_e32 v25, v26, v25
	s_delay_alu instid0(VALU_DEP_3) | instskip(NEXT) | instid1(VALU_DEP_2)
	v_sub_f32_e32 v21, v21, v28
	v_dual_sub_f32 v29, v27, v24 :: v_dual_sub_f32 v22, v22, v25
	s_delay_alu instid0(VALU_DEP_1) | instskip(NEXT) | instid1(VALU_DEP_2)
	v_sub_f32_e32 v30, v27, v29
	v_dual_sub_f32 v25, v26, v29 :: v_dual_add_f32 v26, v21, v22
	s_delay_alu instid0(VALU_DEP_2) | instskip(NEXT) | instid1(VALU_DEP_1)
	v_sub_f32_e32 v24, v24, v30
	v_dual_add_f32 v24, v25, v24 :: v_dual_sub_f32 v25, v26, v21
	s_delay_alu instid0(VALU_DEP_1) | instskip(NEXT) | instid1(VALU_DEP_2)
	v_add_f32_e32 v24, v26, v24
	v_sub_f32_e32 v26, v26, v25
	v_sub_f32_e32 v22, v22, v25
	s_delay_alu instid0(VALU_DEP_2) | instskip(NEXT) | instid1(VALU_DEP_1)
	v_dual_add_f32 v28, v27, v24 :: v_dual_sub_f32 v21, v21, v26
	v_sub_f32_e32 v25, v28, v27
	s_delay_alu instid0(VALU_DEP_2) | instskip(NEXT) | instid1(VALU_DEP_2)
	v_add_f32_e32 v21, v22, v21
	v_sub_f32_e32 v22, v24, v25
	s_delay_alu instid0(VALU_DEP_1) | instskip(NEXT) | instid1(VALU_DEP_1)
	v_add_f32_e32 v21, v21, v22
	v_add_f32_e32 v21, v28, v21
	s_wait_alu 0xf1ff
	s_delay_alu instid0(VALU_DEP_1) | instskip(SKIP_2) | instid1(VALU_DEP_1)
	v_cndmask_b32_e64 v21, 0x7f800000, v21, s0
	v_cmp_gt_f32_e64 s0, 0x33800000, |v23|
	s_wait_alu 0xf1ff
	v_cndmask_b32_e64 v21, v21, v23, s0
	s_delay_alu instid0(VALU_DEP_1)
	v_add_f32_e32 v22, v20, v21
.LBB167_56:
	s_or_b32 exec_lo, exec_lo, s16
	s_delay_alu instid0(VALU_DEP_1)
	v_mov_b32_e32 v21, v22
.LBB167_57:
	s_wait_alu 0xfffe
	s_or_b32 exec_lo, exec_lo, s13
	ds_store_b32 v7, v21
.LBB167_58:
	s_wait_alu 0xfffe
	s_or_b32 exec_lo, exec_lo, s1
	s_delay_alu instid0(SALU_CYCLE_1)
	s_mov_b32 s1, exec_lo
	s_wait_loadcnt_dscnt 0x0
	s_barrier_signal -1
	s_barrier_wait -1
	global_inv scope:SCOPE_SE
                                        ; implicit-def: $vgpr20
	v_cmpx_lt_u32_e32 31, v0
	s_cbranch_execz .LBB167_62
; %bb.59:
	v_lshl_add_u32 v19, v19, 2, -4
	ds_load_b32 v20, v19
	v_max_num_f32_e32 v19, v18, v18
	s_wait_dscnt 0x0
	v_max_num_f32_e32 v21, v20, v20
	v_cmp_u_f32_e64 s0, v20, v20
	s_delay_alu instid0(VALU_DEP_2) | instskip(SKIP_2) | instid1(VALU_DEP_2)
	v_min_num_f32_e32 v22, v21, v19
	v_max_num_f32_e32 v19, v21, v19
	s_wait_alu 0xf1ff
	v_cndmask_b32_e64 v21, v22, v20, s0
	s_delay_alu instid0(VALU_DEP_2) | instskip(SKIP_2) | instid1(VALU_DEP_1)
	v_cndmask_b32_e64 v19, v19, v20, s0
	v_cmp_u_f32_e64 s0, v18, v18
	s_wait_alu 0xf1ff
	v_cndmask_b32_e64 v21, v21, v18, s0
	s_delay_alu instid0(VALU_DEP_3) | instskip(SKIP_1) | instid1(VALU_DEP_3)
	v_cndmask_b32_e64 v19, v19, v18, s0
	v_mov_b32_e32 v18, v20
	v_cmp_class_f32_e64 s13, v21, 0x1f8
	s_delay_alu instid0(VALU_DEP_3)
	v_cmp_neq_f32_e64 s0, v21, v19
	s_or_b32 s0, s0, s13
	s_wait_alu 0xfffe
	s_and_saveexec_b32 s13, s0
	s_cbranch_execz .LBB167_61
; %bb.60:
	v_sub_f32_e32 v18, v21, v19
	s_delay_alu instid0(VALU_DEP_1) | instskip(SKIP_1) | instid1(VALU_DEP_2)
	v_mul_f32_e32 v21, 0x3fb8aa3b, v18
	v_cmp_ngt_f32_e64 s0, 0xc2ce8ed0, v18
	v_fma_f32 v22, 0x3fb8aa3b, v18, -v21
	v_rndne_f32_e32 v23, v21
	s_delay_alu instid0(VALU_DEP_1) | instskip(NEXT) | instid1(VALU_DEP_1)
	v_dual_fmamk_f32 v22, v18, 0x32a5705f, v22 :: v_dual_sub_f32 v21, v21, v23
	v_add_f32_e32 v21, v21, v22
	v_cvt_i32_f32_e32 v22, v23
	s_delay_alu instid0(VALU_DEP_2) | instskip(NEXT) | instid1(TRANS32_DEP_1)
	v_exp_f32_e32 v21, v21
	v_ldexp_f32 v21, v21, v22
	s_wait_alu 0xf1ff
	s_delay_alu instid0(VALU_DEP_1) | instskip(SKIP_2) | instid1(VALU_DEP_1)
	v_cndmask_b32_e64 v21, 0, v21, s0
	v_cmp_nlt_f32_e64 s0, 0x42b17218, v18
	s_wait_alu 0xf1ff
	v_cndmask_b32_e64 v18, 0x7f800000, v21, s0
	s_delay_alu instid0(VALU_DEP_1) | instskip(NEXT) | instid1(VALU_DEP_1)
	v_add_f32_e32 v23, 1.0, v18
	v_cvt_f64_f32_e32 v[21:22], v23
	s_delay_alu instid0(VALU_DEP_1) | instskip(SKIP_1) | instid1(VALU_DEP_1)
	v_frexp_exp_i32_f64_e32 v21, v[21:22]
	v_frexp_mant_f32_e32 v22, v23
	v_cmp_gt_f32_e64 s0, 0x3f2aaaab, v22
	v_add_f32_e32 v22, -1.0, v23
	s_delay_alu instid0(VALU_DEP_1) | instskip(NEXT) | instid1(VALU_DEP_1)
	v_sub_f32_e32 v25, v22, v23
	v_dual_sub_f32 v22, v18, v22 :: v_dual_add_f32 v25, 1.0, v25
	s_delay_alu instid0(VALU_DEP_1)
	v_add_f32_e32 v22, v22, v25
	s_wait_alu 0xf1ff
	v_subrev_co_ci_u32_e64 v21, null, 0, v21, s0
	s_mov_b32 s0, 0x3e9b6dac
	v_sub_nc_u32_e32 v24, 0, v21
	v_cvt_f32_i32_e32 v21, v21
	s_delay_alu instid0(VALU_DEP_2) | instskip(SKIP_1) | instid1(VALU_DEP_2)
	v_ldexp_f32 v23, v23, v24
	v_ldexp_f32 v22, v22, v24
	v_add_f32_e32 v26, 1.0, v23
	s_delay_alu instid0(VALU_DEP_1) | instskip(NEXT) | instid1(VALU_DEP_1)
	v_dual_add_f32 v24, -1.0, v23 :: v_dual_add_f32 v25, -1.0, v26
	v_add_f32_e32 v27, 1.0, v24
	s_delay_alu instid0(VALU_DEP_2) | instskip(NEXT) | instid1(VALU_DEP_2)
	v_sub_f32_e32 v25, v23, v25
	v_sub_f32_e32 v23, v23, v27
	s_delay_alu instid0(VALU_DEP_2) | instskip(NEXT) | instid1(VALU_DEP_2)
	v_add_f32_e32 v25, v22, v25
	v_add_f32_e32 v22, v22, v23
	s_delay_alu instid0(VALU_DEP_1) | instskip(NEXT) | instid1(VALU_DEP_1)
	v_dual_add_f32 v28, v24, v22 :: v_dual_add_f32 v27, v26, v25
	v_sub_f32_e32 v24, v24, v28
	s_delay_alu instid0(VALU_DEP_2) | instskip(SKIP_1) | instid1(VALU_DEP_1)
	v_rcp_f32_e32 v23, v27
	v_sub_f32_e32 v26, v26, v27
	v_dual_add_f32 v22, v22, v24 :: v_dual_add_f32 v25, v25, v26
	s_delay_alu instid0(TRANS32_DEP_1) | instskip(NEXT) | instid1(VALU_DEP_1)
	v_mul_f32_e32 v29, v28, v23
	v_mul_f32_e32 v30, v27, v29
	s_delay_alu instid0(VALU_DEP_1) | instskip(NEXT) | instid1(VALU_DEP_1)
	v_fma_f32 v26, v29, v27, -v30
	v_fmac_f32_e32 v26, v29, v25
	s_delay_alu instid0(VALU_DEP_1) | instskip(NEXT) | instid1(VALU_DEP_1)
	v_add_f32_e32 v31, v30, v26
	v_sub_f32_e32 v32, v28, v31
	s_delay_alu instid0(VALU_DEP_1) | instskip(SKIP_1) | instid1(VALU_DEP_2)
	v_sub_f32_e32 v28, v28, v32
	v_sub_f32_e32 v24, v31, v30
	;; [unrolled: 1-line block ×3, first 2 shown]
	s_delay_alu instid0(VALU_DEP_2) | instskip(NEXT) | instid1(VALU_DEP_2)
	v_sub_f32_e32 v24, v24, v26
	v_add_f32_e32 v22, v22, v28
	s_delay_alu instid0(VALU_DEP_1) | instskip(NEXT) | instid1(VALU_DEP_1)
	v_add_f32_e32 v22, v24, v22
	v_add_f32_e32 v24, v32, v22
	s_delay_alu instid0(VALU_DEP_1) | instskip(NEXT) | instid1(VALU_DEP_1)
	v_mul_f32_e32 v26, v23, v24
	v_dual_sub_f32 v31, v32, v24 :: v_dual_mul_f32 v28, v27, v26
	s_delay_alu instid0(VALU_DEP_1) | instskip(NEXT) | instid1(VALU_DEP_2)
	v_add_f32_e32 v22, v22, v31
	v_fma_f32 v27, v26, v27, -v28
	s_delay_alu instid0(VALU_DEP_1) | instskip(NEXT) | instid1(VALU_DEP_1)
	v_fmac_f32_e32 v27, v26, v25
	v_add_f32_e32 v25, v28, v27
	s_delay_alu instid0(VALU_DEP_1) | instskip(SKIP_1) | instid1(VALU_DEP_2)
	v_sub_f32_e32 v30, v24, v25
	v_sub_f32_e32 v28, v25, v28
	;; [unrolled: 1-line block ×3, first 2 shown]
	s_delay_alu instid0(VALU_DEP_1) | instskip(NEXT) | instid1(VALU_DEP_1)
	v_sub_f32_e32 v24, v24, v25
	v_dual_sub_f32 v25, v28, v27 :: v_dual_add_f32 v22, v22, v24
	v_add_f32_e32 v24, v29, v26
	s_delay_alu instid0(VALU_DEP_1) | instskip(NEXT) | instid1(VALU_DEP_1)
	v_dual_add_f32 v22, v25, v22 :: v_dual_sub_f32 v25, v24, v29
	v_add_f32_e32 v22, v30, v22
	s_delay_alu instid0(VALU_DEP_1) | instskip(NEXT) | instid1(VALU_DEP_1)
	v_dual_sub_f32 v25, v26, v25 :: v_dual_mul_f32 v22, v23, v22
	v_add_f32_e32 v22, v25, v22
	s_delay_alu instid0(VALU_DEP_1) | instskip(NEXT) | instid1(VALU_DEP_1)
	v_add_f32_e32 v23, v24, v22
	v_mul_f32_e32 v25, v23, v23
	s_wait_alu 0xfffe
	s_delay_alu instid0(VALU_DEP_1) | instskip(SKIP_2) | instid1(VALU_DEP_3)
	v_fmaak_f32 v26, s0, v25, 0x3ecc95a3
	v_mul_f32_e32 v27, v23, v25
	v_cmp_neq_f32_e64 s0, 0x7f800000, v18
	v_fmaak_f32 v25, v25, v26, 0x3f2aaada
	v_ldexp_f32 v26, v23, 1
	v_sub_f32_e32 v23, v23, v24
	s_delay_alu instid0(VALU_DEP_3) | instskip(NEXT) | instid1(VALU_DEP_2)
	v_mul_f32_e32 v25, v27, v25
	v_dual_mul_f32 v27, 0x3f317218, v21 :: v_dual_sub_f32 v22, v22, v23
	s_delay_alu instid0(VALU_DEP_2) | instskip(NEXT) | instid1(VALU_DEP_2)
	v_add_f32_e32 v24, v26, v25
	v_ldexp_f32 v22, v22, 1
	s_delay_alu instid0(VALU_DEP_2) | instskip(NEXT) | instid1(VALU_DEP_4)
	v_sub_f32_e32 v23, v24, v26
	v_fma_f32 v26, 0x3f317218, v21, -v27
	s_delay_alu instid0(VALU_DEP_2) | instskip(NEXT) | instid1(VALU_DEP_1)
	v_sub_f32_e32 v23, v25, v23
	v_dual_fmamk_f32 v21, v21, 0xb102e308, v26 :: v_dual_add_f32 v22, v22, v23
	s_delay_alu instid0(VALU_DEP_1) | instskip(NEXT) | instid1(VALU_DEP_1)
	v_add_f32_e32 v23, v27, v21
	v_sub_f32_e32 v27, v23, v27
	s_delay_alu instid0(VALU_DEP_1) | instskip(NEXT) | instid1(VALU_DEP_4)
	v_sub_f32_e32 v21, v21, v27
	v_add_f32_e32 v25, v24, v22
	s_delay_alu instid0(VALU_DEP_1) | instskip(NEXT) | instid1(VALU_DEP_1)
	v_sub_f32_e32 v24, v25, v24
	v_sub_f32_e32 v22, v22, v24
	v_add_f32_e32 v26, v23, v25
	s_delay_alu instid0(VALU_DEP_1) | instskip(NEXT) | instid1(VALU_DEP_1)
	v_sub_f32_e32 v28, v26, v23
	v_sub_f32_e32 v24, v25, v28
	s_delay_alu instid0(VALU_DEP_4) | instskip(SKIP_1) | instid1(VALU_DEP_1)
	v_add_f32_e32 v25, v21, v22
	v_sub_f32_e32 v29, v26, v28
	v_sub_f32_e32 v23, v23, v29
	s_delay_alu instid0(VALU_DEP_1) | instskip(NEXT) | instid1(VALU_DEP_1)
	v_dual_add_f32 v23, v24, v23 :: v_dual_sub_f32 v24, v25, v21
	v_dual_add_f32 v23, v25, v23 :: v_dual_sub_f32 v22, v22, v24
	v_sub_f32_e32 v25, v25, v24
	s_delay_alu instid0(VALU_DEP_2) | instskip(NEXT) | instid1(VALU_DEP_1)
	v_add_f32_e32 v27, v26, v23
	v_dual_sub_f32 v21, v21, v25 :: v_dual_sub_f32 v24, v27, v26
	s_delay_alu instid0(VALU_DEP_1) | instskip(NEXT) | instid1(VALU_DEP_1)
	v_dual_add_f32 v21, v22, v21 :: v_dual_sub_f32 v22, v23, v24
	v_add_f32_e32 v21, v21, v22
	s_delay_alu instid0(VALU_DEP_1) | instskip(SKIP_1) | instid1(VALU_DEP_1)
	v_add_f32_e32 v21, v27, v21
	s_wait_alu 0xf1ff
	v_cndmask_b32_e64 v21, 0x7f800000, v21, s0
	v_cmp_gt_f32_e64 s0, 0x33800000, |v18|
	s_wait_alu 0xf1ff
	s_delay_alu instid0(VALU_DEP_1) | instskip(NEXT) | instid1(VALU_DEP_1)
	v_cndmask_b32_e64 v18, v21, v18, s0
	v_add_f32_e32 v18, v19, v18
.LBB167_61:
	s_wait_alu 0xfffe
	s_or_b32 exec_lo, exec_lo, s13
.LBB167_62:
	s_wait_alu 0xfffe
	s_or_b32 exec_lo, exec_lo, s1
	v_add_nc_u32_e32 v19, -1, v17
	s_mov_b32 s1, exec_lo
	s_delay_alu instid0(VALU_DEP_1) | instskip(SKIP_1) | instid1(VALU_DEP_1)
	v_cmp_gt_i32_e64 s0, 0, v19
	s_wait_alu 0xf1ff
	v_cndmask_b32_e64 v19, v19, v17, s0
	s_delay_alu instid0(VALU_DEP_1)
	v_lshlrev_b32_e32 v19, 2, v19
	ds_bpermute_b32 v18, v19, v18
	v_cmpx_ne_u32_e32 0, v0
	s_cbranch_execz .LBB167_66
; %bb.63:
	v_cmp_eq_u32_e64 s0, 0, v17
	s_wait_dscnt 0x0
	s_wait_alu 0xf1ff
	s_delay_alu instid0(VALU_DEP_1) | instskip(NEXT) | instid1(VALU_DEP_1)
	v_cndmask_b32_e64 v17, v18, v20, s0
	v_max_num_f32_e32 v13, v17, v17
	v_cmp_u_f32_e64 s0, v17, v17
	s_delay_alu instid0(VALU_DEP_2) | instskip(SKIP_2) | instid1(VALU_DEP_2)
	v_min_num_f32_e32 v14, v13, v15
	v_max_num_f32_e32 v13, v13, v15
	s_wait_alu 0xf1ff
	v_cndmask_b32_e64 v14, v14, v17, s0
	s_delay_alu instid0(VALU_DEP_2) | instskip(NEXT) | instid1(VALU_DEP_2)
	v_cndmask_b32_e64 v15, v13, v17, s0
	v_cndmask_b32_e64 v13, v14, v1, s12
	s_delay_alu instid0(VALU_DEP_2) | instskip(NEXT) | instid1(VALU_DEP_2)
	v_cndmask_b32_e64 v1, v15, v1, s12
	v_cmp_class_f32_e64 s12, v13, 0x1f8
	s_delay_alu instid0(VALU_DEP_2)
	v_cmp_neq_f32_e64 s0, v13, v1
	s_or_b32 s0, s0, s12
	s_wait_alu 0xfffe
	s_and_saveexec_b32 s12, s0
	s_cbranch_execz .LBB167_65
; %bb.64:
	v_sub_f32_e32 v13, v13, v1
	s_delay_alu instid0(VALU_DEP_1) | instskip(NEXT) | instid1(VALU_DEP_1)
	v_mul_f32_e32 v14, 0x3fb8aa3b, v13
	v_fma_f32 v15, 0x3fb8aa3b, v13, -v14
	v_rndne_f32_e32 v17, v14
	s_delay_alu instid0(VALU_DEP_1) | instskip(NEXT) | instid1(VALU_DEP_1)
	v_dual_fmamk_f32 v15, v13, 0x32a5705f, v15 :: v_dual_sub_f32 v14, v14, v17
	v_add_f32_e32 v14, v14, v15
	v_cvt_i32_f32_e32 v15, v17
	v_cmp_ngt_f32_e64 s0, 0xc2ce8ed0, v13
	s_delay_alu instid0(VALU_DEP_3) | instskip(NEXT) | instid1(TRANS32_DEP_1)
	v_exp_f32_e32 v14, v14
	v_ldexp_f32 v14, v14, v15
	s_wait_alu 0xf1ff
	s_delay_alu instid0(VALU_DEP_1) | instskip(SKIP_2) | instid1(VALU_DEP_1)
	v_cndmask_b32_e64 v14, 0, v14, s0
	v_cmp_nlt_f32_e64 s0, 0x42b17218, v13
	s_wait_alu 0xf1ff
	v_cndmask_b32_e64 v15, 0x7f800000, v14, s0
	s_delay_alu instid0(VALU_DEP_1) | instskip(NEXT) | instid1(VALU_DEP_1)
	v_add_f32_e32 v17, 1.0, v15
	v_cvt_f64_f32_e32 v[13:14], v17
	s_delay_alu instid0(VALU_DEP_1) | instskip(SKIP_1) | instid1(VALU_DEP_1)
	v_frexp_exp_i32_f64_e32 v13, v[13:14]
	v_frexp_mant_f32_e32 v14, v17
	v_cmp_gt_f32_e64 s0, 0x3f2aaaab, v14
	v_add_f32_e32 v14, -1.0, v17
	s_delay_alu instid0(VALU_DEP_1) | instskip(NEXT) | instid1(VALU_DEP_1)
	v_sub_f32_e32 v19, v14, v17
	v_dual_add_f32 v19, 1.0, v19 :: v_dual_sub_f32 v14, v15, v14
	s_wait_alu 0xf1ff
	v_subrev_co_ci_u32_e64 v13, null, 0, v13, s0
	s_mov_b32 s0, 0x3e9b6dac
	v_sub_nc_u32_e32 v18, 0, v13
	v_cvt_f32_i32_e32 v13, v13
	s_delay_alu instid0(VALU_DEP_2) | instskip(NEXT) | instid1(VALU_DEP_1)
	v_ldexp_f32 v17, v17, v18
	v_add_f32_e32 v20, 1.0, v17
	s_delay_alu instid0(VALU_DEP_1) | instskip(NEXT) | instid1(VALU_DEP_1)
	v_dual_add_f32 v14, v14, v19 :: v_dual_add_f32 v19, -1.0, v20
	v_ldexp_f32 v14, v14, v18
	s_delay_alu instid0(VALU_DEP_2) | instskip(NEXT) | instid1(VALU_DEP_1)
	v_dual_sub_f32 v19, v17, v19 :: v_dual_add_f32 v18, -1.0, v17
	v_add_f32_e32 v19, v14, v19
	s_delay_alu instid0(VALU_DEP_2) | instskip(NEXT) | instid1(VALU_DEP_1)
	v_add_f32_e32 v21, 1.0, v18
	v_sub_f32_e32 v17, v17, v21
	s_delay_alu instid0(VALU_DEP_1) | instskip(NEXT) | instid1(VALU_DEP_1)
	v_add_f32_e32 v14, v14, v17
	v_dual_add_f32 v22, v18, v14 :: v_dual_add_f32 v21, v20, v19
	s_delay_alu instid0(VALU_DEP_1) | instskip(NEXT) | instid1(VALU_DEP_2)
	v_sub_f32_e32 v18, v18, v22
	v_rcp_f32_e32 v17, v21
	v_sub_f32_e32 v20, v20, v21
	s_delay_alu instid0(VALU_DEP_1) | instskip(NEXT) | instid1(TRANS32_DEP_1)
	v_dual_add_f32 v14, v14, v18 :: v_dual_add_f32 v19, v19, v20
	v_mul_f32_e32 v23, v22, v17
	s_delay_alu instid0(VALU_DEP_1) | instskip(NEXT) | instid1(VALU_DEP_1)
	v_mul_f32_e32 v24, v21, v23
	v_fma_f32 v20, v23, v21, -v24
	s_delay_alu instid0(VALU_DEP_1) | instskip(NEXT) | instid1(VALU_DEP_1)
	v_fmac_f32_e32 v20, v23, v19
	v_add_f32_e32 v25, v24, v20
	s_delay_alu instid0(VALU_DEP_1) | instskip(SKIP_1) | instid1(VALU_DEP_2)
	v_sub_f32_e32 v26, v22, v25
	v_sub_f32_e32 v18, v25, v24
	;; [unrolled: 1-line block ×3, first 2 shown]
	s_delay_alu instid0(VALU_DEP_2) | instskip(NEXT) | instid1(VALU_DEP_2)
	v_sub_f32_e32 v18, v18, v20
	v_sub_f32_e32 v22, v22, v25
	s_delay_alu instid0(VALU_DEP_1) | instskip(NEXT) | instid1(VALU_DEP_1)
	v_add_f32_e32 v14, v14, v22
	v_add_f32_e32 v14, v18, v14
	s_delay_alu instid0(VALU_DEP_1) | instskip(NEXT) | instid1(VALU_DEP_1)
	v_add_f32_e32 v18, v26, v14
	v_mul_f32_e32 v20, v17, v18
	s_delay_alu instid0(VALU_DEP_1) | instskip(NEXT) | instid1(VALU_DEP_1)
	v_dual_sub_f32 v25, v26, v18 :: v_dual_mul_f32 v22, v21, v20
	v_add_f32_e32 v14, v14, v25
	s_delay_alu instid0(VALU_DEP_2) | instskip(NEXT) | instid1(VALU_DEP_1)
	v_fma_f32 v21, v20, v21, -v22
	v_fmac_f32_e32 v21, v20, v19
	s_delay_alu instid0(VALU_DEP_1) | instskip(NEXT) | instid1(VALU_DEP_1)
	v_add_f32_e32 v19, v22, v21
	v_sub_f32_e32 v24, v18, v19
	v_sub_f32_e32 v22, v19, v22
	s_delay_alu instid0(VALU_DEP_2) | instskip(NEXT) | instid1(VALU_DEP_1)
	v_sub_f32_e32 v18, v18, v24
	v_sub_f32_e32 v18, v18, v19
	s_delay_alu instid0(VALU_DEP_3) | instskip(NEXT) | instid1(VALU_DEP_2)
	v_sub_f32_e32 v19, v22, v21
	v_add_f32_e32 v14, v14, v18
	v_add_f32_e32 v18, v23, v20
	s_delay_alu instid0(VALU_DEP_1) | instskip(NEXT) | instid1(VALU_DEP_1)
	v_dual_add_f32 v14, v19, v14 :: v_dual_sub_f32 v19, v18, v23
	v_add_f32_e32 v14, v24, v14
	s_delay_alu instid0(VALU_DEP_1) | instskip(NEXT) | instid1(VALU_DEP_1)
	v_dual_sub_f32 v19, v20, v19 :: v_dual_mul_f32 v14, v17, v14
	v_add_f32_e32 v14, v19, v14
	s_delay_alu instid0(VALU_DEP_1) | instskip(NEXT) | instid1(VALU_DEP_1)
	v_add_f32_e32 v17, v18, v14
	v_mul_f32_e32 v19, v17, v17
	s_wait_alu 0xfffe
	s_delay_alu instid0(VALU_DEP_1) | instskip(SKIP_2) | instid1(VALU_DEP_3)
	v_fmaak_f32 v20, s0, v19, 0x3ecc95a3
	v_mul_f32_e32 v21, v17, v19
	v_cmp_neq_f32_e64 s0, 0x7f800000, v15
	v_fmaak_f32 v19, v19, v20, 0x3f2aaada
	v_ldexp_f32 v20, v17, 1
	v_sub_f32_e32 v17, v17, v18
	s_delay_alu instid0(VALU_DEP_3) | instskip(SKIP_1) | instid1(VALU_DEP_3)
	v_mul_f32_e32 v19, v21, v19
	v_mul_f32_e32 v21, 0x3f317218, v13
	v_sub_f32_e32 v14, v14, v17
	s_delay_alu instid0(VALU_DEP_3) | instskip(NEXT) | instid1(VALU_DEP_2)
	v_add_f32_e32 v18, v20, v19
	v_ldexp_f32 v14, v14, 1
	s_delay_alu instid0(VALU_DEP_2) | instskip(SKIP_1) | instid1(VALU_DEP_2)
	v_sub_f32_e32 v17, v18, v20
	v_fma_f32 v20, 0x3f317218, v13, -v21
	v_sub_f32_e32 v17, v19, v17
	s_delay_alu instid0(VALU_DEP_1) | instskip(NEXT) | instid1(VALU_DEP_1)
	v_dual_fmamk_f32 v13, v13, 0xb102e308, v20 :: v_dual_add_f32 v14, v14, v17
	v_add_f32_e32 v17, v21, v13
	s_delay_alu instid0(VALU_DEP_2) | instskip(NEXT) | instid1(VALU_DEP_2)
	v_add_f32_e32 v19, v18, v14
	v_sub_f32_e32 v21, v17, v21
	s_delay_alu instid0(VALU_DEP_2) | instskip(NEXT) | instid1(VALU_DEP_2)
	v_add_f32_e32 v20, v17, v19
	v_sub_f32_e32 v13, v13, v21
	s_delay_alu instid0(VALU_DEP_2) | instskip(SKIP_1) | instid1(VALU_DEP_2)
	v_sub_f32_e32 v22, v20, v17
	v_sub_f32_e32 v18, v19, v18
	;; [unrolled: 1-line block ×3, first 2 shown]
	s_delay_alu instid0(VALU_DEP_2) | instskip(NEXT) | instid1(VALU_DEP_2)
	v_sub_f32_e32 v14, v14, v18
	v_dual_sub_f32 v18, v19, v22 :: v_dual_sub_f32 v17, v17, v23
	s_delay_alu instid0(VALU_DEP_2) | instskip(NEXT) | instid1(VALU_DEP_2)
	v_add_f32_e32 v19, v13, v14
	v_add_f32_e32 v17, v18, v17
	s_delay_alu instid0(VALU_DEP_2) | instskip(NEXT) | instid1(VALU_DEP_2)
	v_sub_f32_e32 v18, v19, v13
	v_add_f32_e32 v17, v19, v17
	s_delay_alu instid0(VALU_DEP_2) | instskip(NEXT) | instid1(VALU_DEP_2)
	v_sub_f32_e32 v19, v19, v18
	v_dual_sub_f32 v14, v14, v18 :: v_dual_add_f32 v21, v20, v17
	s_delay_alu instid0(VALU_DEP_2) | instskip(NEXT) | instid1(VALU_DEP_1)
	v_sub_f32_e32 v13, v13, v19
	v_dual_sub_f32 v18, v21, v20 :: v_dual_add_f32 v13, v14, v13
	s_delay_alu instid0(VALU_DEP_1) | instskip(NEXT) | instid1(VALU_DEP_1)
	v_sub_f32_e32 v14, v17, v18
	v_add_f32_e32 v13, v13, v14
	s_delay_alu instid0(VALU_DEP_1) | instskip(SKIP_1) | instid1(VALU_DEP_1)
	v_add_f32_e32 v13, v21, v13
	s_wait_alu 0xf1ff
	v_cndmask_b32_e64 v13, 0x7f800000, v13, s0
	v_cmp_gt_f32_e64 s0, 0x33800000, |v15|
	s_wait_alu 0xf1ff
	s_delay_alu instid0(VALU_DEP_1) | instskip(NEXT) | instid1(VALU_DEP_1)
	v_cndmask_b32_e64 v13, v13, v15, s0
	v_add_f32_e32 v17, v1, v13
.LBB167_65:
	s_wait_alu 0xfffe
	s_or_b32 exec_lo, exec_lo, s12
	s_delay_alu instid0(VALU_DEP_1) | instskip(SKIP_1) | instid1(VALU_DEP_1)
	v_max_num_f32_e32 v1, v17, v17
	;;#ASMSTART
	;;#ASMEND
	v_min_num_f32_e32 v13, v1, v12
	v_max_num_f32_e32 v14, v1, v12
	v_mov_b32_e32 v1, v17
.LBB167_66:
	s_wait_alu 0xfffe
	s_or_b32 exec_lo, exec_lo, s1
	s_delay_alu instid0(VALU_DEP_1) | instskip(SKIP_1) | instid1(VALU_DEP_1)
	v_cmp_u_f32_e64 s0, v1, v1
	s_wait_alu 0xf1ff
	v_cndmask_b32_e64 v12, v13, v1, s0
	v_cndmask_b32_e64 v14, v14, v1, s0
	s_delay_alu instid0(VALU_DEP_2) | instskip(NEXT) | instid1(VALU_DEP_2)
	v_cndmask_b32_e64 v13, v12, v2, s7
	v_cndmask_b32_e64 v12, v14, v2, s7
	v_mov_b32_e32 v2, v1
	s_delay_alu instid0(VALU_DEP_3) | instskip(NEXT) | instid1(VALU_DEP_3)
	v_cmp_class_f32_e64 s1, v13, 0x1f8
	v_cmp_neq_f32_e64 s0, v13, v12
	s_or_b32 s0, s0, s1
	s_wait_alu 0xfffe
	s_and_saveexec_b32 s1, s0
	s_cbranch_execz .LBB167_68
; %bb.67:
	v_sub_f32_e32 v2, v13, v12
	s_delay_alu instid0(VALU_DEP_1) | instskip(SKIP_1) | instid1(VALU_DEP_2)
	v_mul_f32_e32 v13, 0x3fb8aa3b, v2
	v_cmp_ngt_f32_e64 s0, 0xc2ce8ed0, v2
	v_fma_f32 v14, 0x3fb8aa3b, v2, -v13
	v_rndne_f32_e32 v15, v13
	s_delay_alu instid0(VALU_DEP_1) | instskip(NEXT) | instid1(VALU_DEP_1)
	v_dual_fmamk_f32 v14, v2, 0x32a5705f, v14 :: v_dual_sub_f32 v13, v13, v15
	v_add_f32_e32 v13, v13, v14
	v_cvt_i32_f32_e32 v14, v15
	s_delay_alu instid0(VALU_DEP_2) | instskip(NEXT) | instid1(TRANS32_DEP_1)
	v_exp_f32_e32 v13, v13
	v_ldexp_f32 v13, v13, v14
	s_wait_alu 0xf1ff
	s_delay_alu instid0(VALU_DEP_1) | instskip(SKIP_2) | instid1(VALU_DEP_1)
	v_cndmask_b32_e64 v13, 0, v13, s0
	v_cmp_nlt_f32_e64 s0, 0x42b17218, v2
	s_wait_alu 0xf1ff
	v_cndmask_b32_e64 v2, 0x7f800000, v13, s0
	s_delay_alu instid0(VALU_DEP_1) | instskip(NEXT) | instid1(VALU_DEP_1)
	v_add_f32_e32 v15, 1.0, v2
	v_cvt_f64_f32_e32 v[13:14], v15
	s_delay_alu instid0(VALU_DEP_1) | instskip(SKIP_1) | instid1(VALU_DEP_1)
	v_frexp_exp_i32_f64_e32 v13, v[13:14]
	v_frexp_mant_f32_e32 v14, v15
	v_cmp_gt_f32_e64 s0, 0x3f2aaaab, v14
	v_add_f32_e32 v14, -1.0, v15
	s_wait_dscnt 0x0
	s_delay_alu instid0(VALU_DEP_1)
	v_sub_f32_e32 v18, v14, v15
	s_wait_alu 0xf1ff
	v_subrev_co_ci_u32_e64 v13, null, 0, v13, s0
	s_mov_b32 s0, 0x3e9b6dac
	v_sub_nc_u32_e32 v17, 0, v13
	v_cvt_f32_i32_e32 v13, v13
	s_delay_alu instid0(VALU_DEP_2) | instskip(SKIP_1) | instid1(VALU_DEP_2)
	v_ldexp_f32 v15, v15, v17
	v_sub_f32_e32 v14, v2, v14
	v_dual_add_f32 v18, 1.0, v18 :: v_dual_add_f32 v19, 1.0, v15
	s_delay_alu instid0(VALU_DEP_1) | instskip(NEXT) | instid1(VALU_DEP_2)
	v_add_f32_e32 v14, v14, v18
	v_add_f32_e32 v18, -1.0, v19
	s_delay_alu instid0(VALU_DEP_2) | instskip(NEXT) | instid1(VALU_DEP_2)
	v_ldexp_f32 v14, v14, v17
	v_dual_add_f32 v17, -1.0, v15 :: v_dual_sub_f32 v18, v15, v18
	s_delay_alu instid0(VALU_DEP_1) | instskip(NEXT) | instid1(VALU_DEP_1)
	v_add_f32_e32 v20, 1.0, v17
	v_dual_add_f32 v18, v14, v18 :: v_dual_sub_f32 v15, v15, v20
	s_delay_alu instid0(VALU_DEP_1) | instskip(NEXT) | instid1(VALU_DEP_1)
	v_add_f32_e32 v14, v14, v15
	v_add_f32_e32 v21, v17, v14
	s_delay_alu instid0(VALU_DEP_1) | instskip(NEXT) | instid1(VALU_DEP_1)
	v_dual_sub_f32 v17, v17, v21 :: v_dual_add_f32 v20, v19, v18
	v_rcp_f32_e32 v15, v20
	v_sub_f32_e32 v19, v19, v20
	s_delay_alu instid0(VALU_DEP_1) | instskip(NEXT) | instid1(TRANS32_DEP_1)
	v_add_f32_e32 v18, v18, v19
	v_mul_f32_e32 v22, v21, v15
	s_delay_alu instid0(VALU_DEP_1) | instskip(NEXT) | instid1(VALU_DEP_1)
	v_mul_f32_e32 v23, v20, v22
	v_fma_f32 v19, v22, v20, -v23
	s_delay_alu instid0(VALU_DEP_1) | instskip(NEXT) | instid1(VALU_DEP_1)
	v_fmac_f32_e32 v19, v22, v18
	v_add_f32_e32 v24, v23, v19
	s_delay_alu instid0(VALU_DEP_1) | instskip(SKIP_1) | instid1(VALU_DEP_1)
	v_dual_add_f32 v14, v14, v17 :: v_dual_sub_f32 v17, v24, v23
	v_sub_f32_e32 v25, v21, v24
	v_sub_f32_e32 v21, v21, v25
	s_delay_alu instid0(VALU_DEP_1) | instskip(NEXT) | instid1(VALU_DEP_1)
	v_sub_f32_e32 v21, v21, v24
	v_dual_sub_f32 v17, v17, v19 :: v_dual_add_f32 v14, v14, v21
	s_delay_alu instid0(VALU_DEP_1) | instskip(NEXT) | instid1(VALU_DEP_1)
	v_add_f32_e32 v14, v17, v14
	v_add_f32_e32 v17, v25, v14
	s_delay_alu instid0(VALU_DEP_1) | instskip(NEXT) | instid1(VALU_DEP_1)
	v_mul_f32_e32 v19, v15, v17
	v_dual_sub_f32 v24, v25, v17 :: v_dual_mul_f32 v21, v20, v19
	s_delay_alu instid0(VALU_DEP_1) | instskip(NEXT) | instid1(VALU_DEP_2)
	v_add_f32_e32 v14, v14, v24
	v_fma_f32 v20, v19, v20, -v21
	s_delay_alu instid0(VALU_DEP_1) | instskip(NEXT) | instid1(VALU_DEP_1)
	v_fmac_f32_e32 v20, v19, v18
	v_add_f32_e32 v18, v21, v20
	s_delay_alu instid0(VALU_DEP_1) | instskip(NEXT) | instid1(VALU_DEP_1)
	v_sub_f32_e32 v23, v17, v18
	v_sub_f32_e32 v17, v17, v23
	s_delay_alu instid0(VALU_DEP_1) | instskip(NEXT) | instid1(VALU_DEP_1)
	v_sub_f32_e32 v17, v17, v18
	v_add_f32_e32 v14, v14, v17
	v_add_f32_e32 v17, v22, v19
	v_sub_f32_e32 v21, v18, v21
	s_delay_alu instid0(VALU_DEP_1) | instskip(NEXT) | instid1(VALU_DEP_1)
	v_sub_f32_e32 v18, v21, v20
	v_add_f32_e32 v14, v18, v14
	s_delay_alu instid0(VALU_DEP_4) | instskip(NEXT) | instid1(VALU_DEP_2)
	v_sub_f32_e32 v18, v17, v22
	v_add_f32_e32 v14, v23, v14
	s_delay_alu instid0(VALU_DEP_2) | instskip(NEXT) | instid1(VALU_DEP_2)
	v_sub_f32_e32 v18, v19, v18
	v_mul_f32_e32 v14, v15, v14
	s_delay_alu instid0(VALU_DEP_1) | instskip(NEXT) | instid1(VALU_DEP_1)
	v_add_f32_e32 v14, v18, v14
	v_add_f32_e32 v15, v17, v14
	s_delay_alu instid0(VALU_DEP_1) | instskip(SKIP_1) | instid1(VALU_DEP_1)
	v_mul_f32_e32 v18, v15, v15
	s_wait_alu 0xfffe
	v_fmaak_f32 v19, s0, v18, 0x3ecc95a3
	v_mul_f32_e32 v20, v15, v18
	v_cmp_neq_f32_e64 s0, 0x7f800000, v2
	s_delay_alu instid0(VALU_DEP_3) | instskip(SKIP_1) | instid1(VALU_DEP_2)
	v_fmaak_f32 v18, v18, v19, 0x3f2aaada
	v_ldexp_f32 v19, v15, 1
	v_dual_sub_f32 v15, v15, v17 :: v_dual_mul_f32 v18, v20, v18
	v_mul_f32_e32 v20, 0x3f317218, v13
	s_delay_alu instid0(VALU_DEP_2) | instskip(NEXT) | instid1(VALU_DEP_1)
	v_dual_sub_f32 v14, v14, v15 :: v_dual_add_f32 v17, v19, v18
	v_ldexp_f32 v14, v14, 1
	s_delay_alu instid0(VALU_DEP_2) | instskip(NEXT) | instid1(VALU_DEP_4)
	v_sub_f32_e32 v15, v17, v19
	v_fma_f32 v19, 0x3f317218, v13, -v20
	s_delay_alu instid0(VALU_DEP_2) | instskip(NEXT) | instid1(VALU_DEP_1)
	v_sub_f32_e32 v15, v18, v15
	v_dual_fmamk_f32 v13, v13, 0xb102e308, v19 :: v_dual_add_f32 v14, v14, v15
	s_delay_alu instid0(VALU_DEP_1) | instskip(NEXT) | instid1(VALU_DEP_1)
	v_dual_add_f32 v15, v20, v13 :: v_dual_add_f32 v18, v17, v14
	v_add_f32_e32 v19, v15, v18
	v_sub_f32_e32 v17, v18, v17
	s_delay_alu instid0(VALU_DEP_2) | instskip(SKIP_1) | instid1(VALU_DEP_2)
	v_sub_f32_e32 v21, v19, v15
	v_sub_f32_e32 v20, v15, v20
	;; [unrolled: 1-line block ×3, first 2 shown]
	s_delay_alu instid0(VALU_DEP_1) | instskip(SKIP_1) | instid1(VALU_DEP_4)
	v_dual_sub_f32 v15, v15, v22 :: v_dual_sub_f32 v14, v14, v17
	v_sub_f32_e32 v17, v18, v21
	v_sub_f32_e32 v13, v13, v20
	s_delay_alu instid0(VALU_DEP_2) | instskip(NEXT) | instid1(VALU_DEP_2)
	v_add_f32_e32 v15, v17, v15
	v_add_f32_e32 v18, v13, v14
	s_delay_alu instid0(VALU_DEP_1) | instskip(NEXT) | instid1(VALU_DEP_1)
	v_add_f32_e32 v15, v18, v15
	v_dual_sub_f32 v17, v18, v13 :: v_dual_add_f32 v20, v19, v15
	s_delay_alu instid0(VALU_DEP_1) | instskip(NEXT) | instid1(VALU_DEP_1)
	v_sub_f32_e32 v18, v18, v17
	v_dual_sub_f32 v13, v13, v18 :: v_dual_sub_f32 v14, v14, v17
	s_delay_alu instid0(VALU_DEP_3) | instskip(NEXT) | instid1(VALU_DEP_2)
	v_sub_f32_e32 v17, v20, v19
	v_add_f32_e32 v13, v14, v13
	s_delay_alu instid0(VALU_DEP_2) | instskip(NEXT) | instid1(VALU_DEP_1)
	v_sub_f32_e32 v14, v15, v17
	v_add_f32_e32 v13, v13, v14
	s_delay_alu instid0(VALU_DEP_1) | instskip(SKIP_1) | instid1(VALU_DEP_1)
	v_add_f32_e32 v13, v20, v13
	s_wait_alu 0xf1ff
	v_cndmask_b32_e64 v13, 0x7f800000, v13, s0
	v_cmp_gt_f32_e64 s0, 0x33800000, |v2|
	s_wait_alu 0xf1ff
	s_delay_alu instid0(VALU_DEP_1) | instskip(NEXT) | instid1(VALU_DEP_1)
	v_cndmask_b32_e64 v2, v13, v2, s0
	v_add_f32_e32 v2, v12, v2
.LBB167_68:
	s_wait_alu 0xfffe
	s_or_b32 exec_lo, exec_lo, s1
	s_delay_alu instid0(VALU_DEP_1) | instskip(SKIP_1) | instid1(VALU_DEP_2)
	v_max_num_f32_e32 v12, v2, v2
	v_cmp_u_f32_e64 s0, v2, v2
	v_min_num_f32_e32 v13, v12, v8
	v_max_num_f32_e32 v8, v12, v8
	s_wait_alu 0xf1ff
	s_delay_alu instid0(VALU_DEP_2) | instskip(NEXT) | instid1(VALU_DEP_2)
	v_cndmask_b32_e64 v12, v13, v2, s0
	v_cndmask_b32_e64 v8, v8, v2, s0
	s_delay_alu instid0(VALU_DEP_2) | instskip(NEXT) | instid1(VALU_DEP_2)
	v_cndmask_b32_e64 v12, v12, v3, s8
	v_cndmask_b32_e64 v8, v8, v3, s8
	v_mov_b32_e32 v3, v2
	s_delay_alu instid0(VALU_DEP_3) | instskip(NEXT) | instid1(VALU_DEP_3)
	v_cmp_class_f32_e64 s1, v12, 0x1f8
	v_cmp_neq_f32_e64 s0, v12, v8
	s_or_b32 s0, s0, s1
	s_wait_alu 0xfffe
	s_and_saveexec_b32 s1, s0
	s_cbranch_execz .LBB167_70
; %bb.69:
	v_sub_f32_e32 v3, v12, v8
	s_delay_alu instid0(VALU_DEP_1) | instskip(SKIP_1) | instid1(VALU_DEP_2)
	v_mul_f32_e32 v12, 0x3fb8aa3b, v3
	v_cmp_ngt_f32_e64 s0, 0xc2ce8ed0, v3
	v_fma_f32 v13, 0x3fb8aa3b, v3, -v12
	v_rndne_f32_e32 v14, v12
	s_delay_alu instid0(VALU_DEP_1) | instskip(NEXT) | instid1(VALU_DEP_1)
	v_dual_fmamk_f32 v13, v3, 0x32a5705f, v13 :: v_dual_sub_f32 v12, v12, v14
	v_add_f32_e32 v12, v12, v13
	v_cvt_i32_f32_e32 v13, v14
	s_delay_alu instid0(VALU_DEP_2) | instskip(NEXT) | instid1(TRANS32_DEP_1)
	v_exp_f32_e32 v12, v12
	v_ldexp_f32 v12, v12, v13
	s_wait_alu 0xf1ff
	s_delay_alu instid0(VALU_DEP_1) | instskip(SKIP_2) | instid1(VALU_DEP_1)
	v_cndmask_b32_e64 v12, 0, v12, s0
	v_cmp_nlt_f32_e64 s0, 0x42b17218, v3
	s_wait_alu 0xf1ff
	v_cndmask_b32_e64 v3, 0x7f800000, v12, s0
	s_delay_alu instid0(VALU_DEP_1) | instskip(NEXT) | instid1(VALU_DEP_1)
	v_add_f32_e32 v14, 1.0, v3
	v_cvt_f64_f32_e32 v[12:13], v14
	s_delay_alu instid0(VALU_DEP_1) | instskip(SKIP_1) | instid1(VALU_DEP_1)
	v_frexp_exp_i32_f64_e32 v12, v[12:13]
	v_frexp_mant_f32_e32 v13, v14
	v_cmp_gt_f32_e64 s0, 0x3f2aaaab, v13
	v_add_f32_e32 v13, -1.0, v14
	s_delay_alu instid0(VALU_DEP_1)
	v_sub_f32_e32 v17, v13, v14
	v_sub_f32_e32 v13, v3, v13
	s_wait_alu 0xf1ff
	v_subrev_co_ci_u32_e64 v12, null, 0, v12, s0
	s_mov_b32 s0, 0x3e9b6dac
	v_sub_nc_u32_e32 v15, 0, v12
	v_cvt_f32_i32_e32 v12, v12
	s_delay_alu instid0(VALU_DEP_2) | instskip(SKIP_1) | instid1(VALU_DEP_1)
	v_ldexp_f32 v14, v14, v15
	s_wait_dscnt 0x0
	v_dual_add_f32 v17, 1.0, v17 :: v_dual_add_f32 v18, 1.0, v14
	s_delay_alu instid0(VALU_DEP_1) | instskip(NEXT) | instid1(VALU_DEP_1)
	v_add_f32_e32 v13, v13, v17
	v_ldexp_f32 v13, v13, v15
	v_add_f32_e32 v15, -1.0, v14
	s_delay_alu instid0(VALU_DEP_4) | instskip(NEXT) | instid1(VALU_DEP_2)
	v_add_f32_e32 v17, -1.0, v18
	v_add_f32_e32 v19, 1.0, v15
	s_delay_alu instid0(VALU_DEP_2) | instskip(NEXT) | instid1(VALU_DEP_1)
	v_sub_f32_e32 v17, v14, v17
	v_dual_sub_f32 v14, v14, v19 :: v_dual_add_f32 v17, v13, v17
	s_delay_alu instid0(VALU_DEP_1) | instskip(NEXT) | instid1(VALU_DEP_2)
	v_add_f32_e32 v13, v13, v14
	v_add_f32_e32 v19, v18, v17
	s_delay_alu instid0(VALU_DEP_2) | instskip(NEXT) | instid1(VALU_DEP_2)
	v_add_f32_e32 v20, v15, v13
	v_rcp_f32_e32 v14, v19
	v_sub_f32_e32 v18, v18, v19
	s_delay_alu instid0(VALU_DEP_1) | instskip(NEXT) | instid1(TRANS32_DEP_1)
	v_add_f32_e32 v17, v17, v18
	v_mul_f32_e32 v21, v20, v14
	s_delay_alu instid0(VALU_DEP_1) | instskip(SKIP_1) | instid1(VALU_DEP_2)
	v_mul_f32_e32 v22, v19, v21
	v_sub_f32_e32 v15, v15, v20
	v_fma_f32 v18, v21, v19, -v22
	s_delay_alu instid0(VALU_DEP_2) | instskip(NEXT) | instid1(VALU_DEP_2)
	v_add_f32_e32 v13, v13, v15
	v_fmac_f32_e32 v18, v21, v17
	s_delay_alu instid0(VALU_DEP_1) | instskip(NEXT) | instid1(VALU_DEP_1)
	v_add_f32_e32 v23, v22, v18
	v_dual_sub_f32 v24, v20, v23 :: v_dual_sub_f32 v15, v23, v22
	s_delay_alu instid0(VALU_DEP_1) | instskip(NEXT) | instid1(VALU_DEP_1)
	v_dual_sub_f32 v20, v20, v24 :: v_dual_sub_f32 v15, v15, v18
	v_sub_f32_e32 v20, v20, v23
	s_delay_alu instid0(VALU_DEP_1) | instskip(NEXT) | instid1(VALU_DEP_1)
	v_add_f32_e32 v13, v13, v20
	v_add_f32_e32 v13, v15, v13
	s_delay_alu instid0(VALU_DEP_1) | instskip(NEXT) | instid1(VALU_DEP_1)
	v_add_f32_e32 v15, v24, v13
	v_mul_f32_e32 v18, v14, v15
	s_delay_alu instid0(VALU_DEP_1) | instskip(NEXT) | instid1(VALU_DEP_1)
	v_dual_sub_f32 v23, v24, v15 :: v_dual_mul_f32 v20, v19, v18
	v_add_f32_e32 v13, v13, v23
	s_delay_alu instid0(VALU_DEP_2) | instskip(NEXT) | instid1(VALU_DEP_1)
	v_fma_f32 v19, v18, v19, -v20
	v_fmac_f32_e32 v19, v18, v17
	s_delay_alu instid0(VALU_DEP_1) | instskip(NEXT) | instid1(VALU_DEP_1)
	v_add_f32_e32 v17, v20, v19
	v_sub_f32_e32 v22, v15, v17
	s_delay_alu instid0(VALU_DEP_1) | instskip(NEXT) | instid1(VALU_DEP_1)
	v_dual_sub_f32 v20, v17, v20 :: v_dual_sub_f32 v15, v15, v22
	v_sub_f32_e32 v15, v15, v17
	s_delay_alu instid0(VALU_DEP_2) | instskip(NEXT) | instid1(VALU_DEP_2)
	v_sub_f32_e32 v17, v20, v19
	v_add_f32_e32 v13, v13, v15
	v_add_f32_e32 v15, v21, v18
	s_delay_alu instid0(VALU_DEP_2) | instskip(NEXT) | instid1(VALU_DEP_2)
	v_add_f32_e32 v13, v17, v13
	v_sub_f32_e32 v17, v15, v21
	s_delay_alu instid0(VALU_DEP_2) | instskip(NEXT) | instid1(VALU_DEP_2)
	v_add_f32_e32 v13, v22, v13
	v_sub_f32_e32 v17, v18, v17
	s_delay_alu instid0(VALU_DEP_2) | instskip(NEXT) | instid1(VALU_DEP_1)
	v_mul_f32_e32 v13, v14, v13
	v_add_f32_e32 v13, v17, v13
	s_delay_alu instid0(VALU_DEP_1) | instskip(NEXT) | instid1(VALU_DEP_1)
	v_add_f32_e32 v14, v15, v13
	v_mul_f32_e32 v17, v14, v14
	s_wait_alu 0xfffe
	s_delay_alu instid0(VALU_DEP_1) | instskip(SKIP_2) | instid1(VALU_DEP_3)
	v_fmaak_f32 v18, s0, v17, 0x3ecc95a3
	v_mul_f32_e32 v19, v14, v17
	v_cmp_neq_f32_e64 s0, 0x7f800000, v3
	v_fmaak_f32 v17, v17, v18, 0x3f2aaada
	v_ldexp_f32 v18, v14, 1
	s_delay_alu instid0(VALU_DEP_2) | instskip(SKIP_1) | instid1(VALU_DEP_2)
	v_dual_sub_f32 v14, v14, v15 :: v_dual_mul_f32 v17, v19, v17
	v_mul_f32_e32 v19, 0x3f317218, v12
	v_sub_f32_e32 v13, v13, v14
	s_delay_alu instid0(VALU_DEP_3) | instskip(NEXT) | instid1(VALU_DEP_2)
	v_add_f32_e32 v15, v18, v17
	v_ldexp_f32 v13, v13, 1
	s_delay_alu instid0(VALU_DEP_2) | instskip(SKIP_1) | instid1(VALU_DEP_2)
	v_sub_f32_e32 v14, v15, v18
	v_fma_f32 v18, 0x3f317218, v12, -v19
	v_sub_f32_e32 v14, v17, v14
	s_delay_alu instid0(VALU_DEP_1) | instskip(NEXT) | instid1(VALU_DEP_1)
	v_dual_fmamk_f32 v12, v12, 0xb102e308, v18 :: v_dual_add_f32 v13, v13, v14
	v_add_f32_e32 v14, v19, v12
	s_delay_alu instid0(VALU_DEP_2) | instskip(NEXT) | instid1(VALU_DEP_2)
	v_add_f32_e32 v17, v15, v13
	v_sub_f32_e32 v19, v14, v19
	s_delay_alu instid0(VALU_DEP_2) | instskip(NEXT) | instid1(VALU_DEP_2)
	v_dual_add_f32 v18, v14, v17 :: v_dual_sub_f32 v15, v17, v15
	v_sub_f32_e32 v12, v12, v19
	s_delay_alu instid0(VALU_DEP_2) | instskip(NEXT) | instid1(VALU_DEP_1)
	v_dual_sub_f32 v20, v18, v14 :: v_dual_sub_f32 v13, v13, v15
	v_sub_f32_e32 v21, v18, v20
	v_sub_f32_e32 v15, v17, v20
	s_delay_alu instid0(VALU_DEP_3) | instskip(NEXT) | instid1(VALU_DEP_3)
	v_add_f32_e32 v17, v12, v13
	v_sub_f32_e32 v14, v14, v21
	s_delay_alu instid0(VALU_DEP_1) | instskip(NEXT) | instid1(VALU_DEP_1)
	v_dual_add_f32 v14, v15, v14 :: v_dual_sub_f32 v15, v17, v12
	v_add_f32_e32 v14, v17, v14
	s_delay_alu instid0(VALU_DEP_2) | instskip(SKIP_1) | instid1(VALU_DEP_2)
	v_sub_f32_e32 v17, v17, v15
	v_sub_f32_e32 v13, v13, v15
	v_dual_add_f32 v19, v18, v14 :: v_dual_sub_f32 v12, v12, v17
	s_delay_alu instid0(VALU_DEP_1) | instskip(NEXT) | instid1(VALU_DEP_1)
	v_dual_sub_f32 v15, v19, v18 :: v_dual_add_f32 v12, v13, v12
	v_sub_f32_e32 v13, v14, v15
	s_delay_alu instid0(VALU_DEP_1) | instskip(NEXT) | instid1(VALU_DEP_1)
	v_add_f32_e32 v12, v12, v13
	v_add_f32_e32 v12, v19, v12
	s_wait_alu 0xf1ff
	s_delay_alu instid0(VALU_DEP_1) | instskip(SKIP_2) | instid1(VALU_DEP_1)
	v_cndmask_b32_e64 v12, 0x7f800000, v12, s0
	v_cmp_gt_f32_e64 s0, 0x33800000, |v3|
	s_wait_alu 0xf1ff
	v_cndmask_b32_e64 v3, v12, v3, s0
	s_delay_alu instid0(VALU_DEP_1)
	v_add_f32_e32 v3, v8, v3
.LBB167_70:
	s_wait_alu 0xfffe
	s_or_b32 exec_lo, exec_lo, s1
	s_delay_alu instid0(VALU_DEP_1) | instskip(SKIP_1) | instid1(VALU_DEP_2)
	v_max_num_f32_e32 v8, v3, v3
	v_cmp_u_f32_e64 s0, v3, v3
	v_min_num_f32_e32 v12, v8, v9
	v_max_num_f32_e32 v8, v8, v9
	s_wait_alu 0xf1ff
	s_delay_alu instid0(VALU_DEP_2) | instskip(NEXT) | instid1(VALU_DEP_2)
	v_cndmask_b32_e64 v9, v12, v3, s0
	v_cndmask_b32_e64 v8, v8, v3, s0
	s_delay_alu instid0(VALU_DEP_2) | instskip(NEXT) | instid1(VALU_DEP_2)
	v_cndmask_b32_e64 v9, v9, v4, s9
	v_cndmask_b32_e64 v8, v8, v4, s9
	v_mov_b32_e32 v4, v3
	s_delay_alu instid0(VALU_DEP_3) | instskip(NEXT) | instid1(VALU_DEP_3)
	v_cmp_class_f32_e64 s1, v9, 0x1f8
	v_cmp_neq_f32_e64 s0, v9, v8
	s_or_b32 s0, s0, s1
	s_wait_alu 0xfffe
	s_and_saveexec_b32 s1, s0
	s_cbranch_execz .LBB167_72
; %bb.71:
	v_sub_f32_e32 v4, v9, v8
	s_delay_alu instid0(VALU_DEP_1) | instskip(SKIP_1) | instid1(VALU_DEP_2)
	v_mul_f32_e32 v9, 0x3fb8aa3b, v4
	v_cmp_ngt_f32_e64 s0, 0xc2ce8ed0, v4
	v_fma_f32 v12, 0x3fb8aa3b, v4, -v9
	v_rndne_f32_e32 v13, v9
	s_delay_alu instid0(VALU_DEP_1) | instskip(NEXT) | instid1(VALU_DEP_1)
	v_dual_fmamk_f32 v12, v4, 0x32a5705f, v12 :: v_dual_sub_f32 v9, v9, v13
	v_add_f32_e32 v9, v9, v12
	v_cvt_i32_f32_e32 v12, v13
	s_delay_alu instid0(VALU_DEP_2) | instskip(NEXT) | instid1(TRANS32_DEP_1)
	v_exp_f32_e32 v9, v9
	v_ldexp_f32 v9, v9, v12
	s_wait_alu 0xf1ff
	s_delay_alu instid0(VALU_DEP_1) | instskip(SKIP_2) | instid1(VALU_DEP_1)
	v_cndmask_b32_e64 v9, 0, v9, s0
	v_cmp_nlt_f32_e64 s0, 0x42b17218, v4
	s_wait_alu 0xf1ff
	v_cndmask_b32_e64 v4, 0x7f800000, v9, s0
	s_delay_alu instid0(VALU_DEP_1) | instskip(NEXT) | instid1(VALU_DEP_1)
	v_add_f32_e32 v9, 1.0, v4
	v_cvt_f64_f32_e32 v[12:13], v9
	s_delay_alu instid0(VALU_DEP_1) | instskip(SKIP_1) | instid1(VALU_DEP_1)
	v_frexp_exp_i32_f64_e32 v12, v[12:13]
	v_frexp_mant_f32_e32 v13, v9
	v_cmp_gt_f32_e64 s0, 0x3f2aaaab, v13
	v_add_f32_e32 v13, -1.0, v9
	s_delay_alu instid0(VALU_DEP_1)
	v_sub_f32_e32 v15, v13, v9
	v_sub_f32_e32 v13, v4, v13
	s_wait_alu 0xf1ff
	v_subrev_co_ci_u32_e64 v12, null, 0, v12, s0
	s_mov_b32 s0, 0x3e9b6dac
	v_sub_nc_u32_e32 v14, 0, v12
	v_cvt_f32_i32_e32 v12, v12
	s_delay_alu instid0(VALU_DEP_2) | instskip(SKIP_1) | instid1(VALU_DEP_2)
	v_ldexp_f32 v9, v9, v14
	v_add_f32_e32 v15, 1.0, v15
	v_add_f32_e32 v17, 1.0, v9
	s_delay_alu instid0(VALU_DEP_2) | instskip(NEXT) | instid1(VALU_DEP_2)
	v_add_f32_e32 v13, v13, v15
	v_add_f32_e32 v15, -1.0, v17
	s_delay_alu instid0(VALU_DEP_2) | instskip(NEXT) | instid1(VALU_DEP_2)
	v_ldexp_f32 v13, v13, v14
	v_dual_add_f32 v14, -1.0, v9 :: v_dual_sub_f32 v15, v9, v15
	s_wait_dscnt 0x0
	s_delay_alu instid0(VALU_DEP_1) | instskip(NEXT) | instid1(VALU_DEP_1)
	v_dual_add_f32 v18, 1.0, v14 :: v_dual_add_f32 v15, v13, v15
	v_sub_f32_e32 v9, v9, v18
	s_delay_alu instid0(VALU_DEP_2) | instskip(NEXT) | instid1(VALU_DEP_2)
	v_add_f32_e32 v18, v17, v15
	v_add_f32_e32 v9, v13, v9
	s_delay_alu instid0(VALU_DEP_2) | instskip(SKIP_1) | instid1(VALU_DEP_2)
	v_rcp_f32_e32 v13, v18
	v_sub_f32_e32 v17, v17, v18
	v_add_f32_e32 v19, v14, v9
	s_delay_alu instid0(VALU_DEP_1)
	v_dual_add_f32 v15, v15, v17 :: v_dual_sub_f32 v14, v14, v19
	s_delay_alu instid0(TRANS32_DEP_1) | instid1(VALU_DEP_1)
	v_dual_mul_f32 v20, v19, v13 :: v_dual_add_f32 v9, v9, v14
	s_delay_alu instid0(VALU_DEP_1) | instskip(NEXT) | instid1(VALU_DEP_1)
	v_mul_f32_e32 v21, v18, v20
	v_fma_f32 v17, v20, v18, -v21
	s_delay_alu instid0(VALU_DEP_1) | instskip(NEXT) | instid1(VALU_DEP_1)
	v_fmac_f32_e32 v17, v20, v15
	v_add_f32_e32 v22, v21, v17
	s_delay_alu instid0(VALU_DEP_1) | instskip(NEXT) | instid1(VALU_DEP_1)
	v_sub_f32_e32 v23, v19, v22
	v_dual_sub_f32 v19, v19, v23 :: v_dual_sub_f32 v14, v22, v21
	s_delay_alu instid0(VALU_DEP_1) | instskip(NEXT) | instid1(VALU_DEP_1)
	v_dual_sub_f32 v19, v19, v22 :: v_dual_sub_f32 v14, v14, v17
	v_add_f32_e32 v9, v9, v19
	s_delay_alu instid0(VALU_DEP_1) | instskip(NEXT) | instid1(VALU_DEP_1)
	v_add_f32_e32 v9, v14, v9
	v_add_f32_e32 v14, v23, v9
	s_delay_alu instid0(VALU_DEP_1) | instskip(NEXT) | instid1(VALU_DEP_1)
	v_mul_f32_e32 v17, v13, v14
	v_dual_sub_f32 v22, v23, v14 :: v_dual_mul_f32 v19, v18, v17
	s_delay_alu instid0(VALU_DEP_1) | instskip(NEXT) | instid1(VALU_DEP_2)
	v_add_f32_e32 v9, v9, v22
	v_fma_f32 v18, v17, v18, -v19
	s_delay_alu instid0(VALU_DEP_1) | instskip(NEXT) | instid1(VALU_DEP_1)
	v_fmac_f32_e32 v18, v17, v15
	v_add_f32_e32 v15, v19, v18
	s_delay_alu instid0(VALU_DEP_1) | instskip(NEXT) | instid1(VALU_DEP_1)
	v_sub_f32_e32 v21, v14, v15
	v_dual_sub_f32 v19, v15, v19 :: v_dual_sub_f32 v14, v14, v21
	s_delay_alu instid0(VALU_DEP_1) | instskip(NEXT) | instid1(VALU_DEP_1)
	v_dual_sub_f32 v14, v14, v15 :: v_dual_sub_f32 v15, v19, v18
	v_dual_add_f32 v9, v9, v14 :: v_dual_add_f32 v14, v20, v17
	s_delay_alu instid0(VALU_DEP_1) | instskip(NEXT) | instid1(VALU_DEP_2)
	v_add_f32_e32 v9, v15, v9
	v_sub_f32_e32 v15, v14, v20
	s_delay_alu instid0(VALU_DEP_2) | instskip(NEXT) | instid1(VALU_DEP_2)
	v_add_f32_e32 v9, v21, v9
	v_sub_f32_e32 v15, v17, v15
	s_delay_alu instid0(VALU_DEP_2) | instskip(NEXT) | instid1(VALU_DEP_1)
	v_mul_f32_e32 v9, v13, v9
	v_add_f32_e32 v9, v15, v9
	s_delay_alu instid0(VALU_DEP_1) | instskip(NEXT) | instid1(VALU_DEP_1)
	v_add_f32_e32 v13, v14, v9
	v_mul_f32_e32 v15, v13, v13
	s_wait_alu 0xfffe
	s_delay_alu instid0(VALU_DEP_1) | instskip(SKIP_2) | instid1(VALU_DEP_3)
	v_fmaak_f32 v17, s0, v15, 0x3ecc95a3
	v_mul_f32_e32 v18, v13, v15
	v_cmp_neq_f32_e64 s0, 0x7f800000, v4
	v_fmaak_f32 v15, v15, v17, 0x3f2aaada
	v_ldexp_f32 v17, v13, 1
	v_sub_f32_e32 v13, v13, v14
	s_delay_alu instid0(VALU_DEP_3) | instskip(NEXT) | instid1(VALU_DEP_2)
	v_dual_mul_f32 v15, v18, v15 :: v_dual_mul_f32 v18, 0x3f317218, v12
	v_sub_f32_e32 v9, v9, v13
	s_delay_alu instid0(VALU_DEP_2) | instskip(NEXT) | instid1(VALU_DEP_2)
	v_add_f32_e32 v14, v17, v15
	v_ldexp_f32 v9, v9, 1
	s_delay_alu instid0(VALU_DEP_2) | instskip(SKIP_1) | instid1(VALU_DEP_1)
	v_sub_f32_e32 v13, v14, v17
	v_fma_f32 v17, 0x3f317218, v12, -v18
	v_dual_sub_f32 v13, v15, v13 :: v_dual_fmamk_f32 v12, v12, 0xb102e308, v17
	s_delay_alu instid0(VALU_DEP_1) | instskip(NEXT) | instid1(VALU_DEP_2)
	v_add_f32_e32 v9, v9, v13
	v_add_f32_e32 v13, v18, v12
	s_delay_alu instid0(VALU_DEP_1) | instskip(NEXT) | instid1(VALU_DEP_1)
	v_dual_add_f32 v15, v14, v9 :: v_dual_sub_f32 v18, v13, v18
	v_dual_add_f32 v17, v13, v15 :: v_dual_sub_f32 v14, v15, v14
	s_delay_alu instid0(VALU_DEP_1) | instskip(NEXT) | instid1(VALU_DEP_2)
	v_dual_sub_f32 v12, v12, v18 :: v_dual_sub_f32 v19, v17, v13
	v_sub_f32_e32 v9, v9, v14
	s_delay_alu instid0(VALU_DEP_2) | instskip(NEXT) | instid1(VALU_DEP_2)
	v_sub_f32_e32 v20, v17, v19
	v_dual_sub_f32 v14, v15, v19 :: v_dual_add_f32 v15, v12, v9
	s_delay_alu instid0(VALU_DEP_2) | instskip(NEXT) | instid1(VALU_DEP_1)
	v_sub_f32_e32 v13, v13, v20
	v_dual_add_f32 v13, v14, v13 :: v_dual_sub_f32 v14, v15, v12
	s_delay_alu instid0(VALU_DEP_1) | instskip(NEXT) | instid1(VALU_DEP_2)
	v_add_f32_e32 v13, v15, v13
	v_sub_f32_e32 v15, v15, v14
	v_sub_f32_e32 v9, v9, v14
	s_delay_alu instid0(VALU_DEP_3) | instskip(NEXT) | instid1(VALU_DEP_3)
	v_add_f32_e32 v18, v17, v13
	v_sub_f32_e32 v12, v12, v15
	s_delay_alu instid0(VALU_DEP_1) | instskip(NEXT) | instid1(VALU_DEP_1)
	v_dual_sub_f32 v14, v18, v17 :: v_dual_add_f32 v9, v9, v12
	v_sub_f32_e32 v12, v13, v14
	s_delay_alu instid0(VALU_DEP_1) | instskip(NEXT) | instid1(VALU_DEP_1)
	v_add_f32_e32 v9, v9, v12
	v_add_f32_e32 v9, v18, v9
	s_wait_alu 0xf1ff
	s_delay_alu instid0(VALU_DEP_1) | instskip(SKIP_2) | instid1(VALU_DEP_1)
	v_cndmask_b32_e64 v9, 0x7f800000, v9, s0
	v_cmp_gt_f32_e64 s0, 0x33800000, |v4|
	s_wait_alu 0xf1ff
	v_cndmask_b32_e64 v4, v9, v4, s0
	s_delay_alu instid0(VALU_DEP_1)
	v_add_f32_e32 v4, v8, v4
.LBB167_72:
	s_wait_alu 0xfffe
	s_or_b32 exec_lo, exec_lo, s1
	s_delay_alu instid0(VALU_DEP_1) | instskip(SKIP_1) | instid1(VALU_DEP_2)
	v_max_num_f32_e32 v8, v4, v4
	v_cmp_u_f32_e64 s0, v4, v4
	v_min_num_f32_e32 v9, v8, v10
	v_max_num_f32_e32 v8, v8, v10
	s_wait_alu 0xf1ff
	s_delay_alu instid0(VALU_DEP_2) | instskip(NEXT) | instid1(VALU_DEP_2)
	v_cndmask_b32_e64 v9, v9, v4, s0
	v_cndmask_b32_e64 v8, v8, v4, s0
	s_delay_alu instid0(VALU_DEP_2) | instskip(NEXT) | instid1(VALU_DEP_2)
	v_cndmask_b32_e64 v9, v9, v5, s10
	v_cndmask_b32_e64 v8, v8, v5, s10
	v_mov_b32_e32 v5, v4
	s_delay_alu instid0(VALU_DEP_3) | instskip(NEXT) | instid1(VALU_DEP_3)
	v_cmp_class_f32_e64 s1, v9, 0x1f8
	v_cmp_neq_f32_e64 s0, v9, v8
	s_or_b32 s0, s0, s1
	s_wait_alu 0xfffe
	s_and_saveexec_b32 s1, s0
	s_cbranch_execz .LBB167_74
; %bb.73:
	v_sub_f32_e32 v5, v9, v8
	s_delay_alu instid0(VALU_DEP_1) | instskip(SKIP_1) | instid1(VALU_DEP_2)
	v_mul_f32_e32 v9, 0x3fb8aa3b, v5
	v_cmp_ngt_f32_e64 s0, 0xc2ce8ed0, v5
	v_fma_f32 v10, 0x3fb8aa3b, v5, -v9
	v_rndne_f32_e32 v12, v9
	s_delay_alu instid0(VALU_DEP_2) | instskip(NEXT) | instid1(VALU_DEP_2)
	v_fmamk_f32 v10, v5, 0x32a5705f, v10
	v_sub_f32_e32 v9, v9, v12
	s_delay_alu instid0(VALU_DEP_1) | instskip(SKIP_1) | instid1(VALU_DEP_2)
	v_add_f32_e32 v9, v9, v10
	v_cvt_i32_f32_e32 v10, v12
	v_exp_f32_e32 v9, v9
	s_delay_alu instid0(TRANS32_DEP_1) | instskip(SKIP_1) | instid1(VALU_DEP_1)
	v_ldexp_f32 v9, v9, v10
	s_wait_alu 0xf1ff
	v_cndmask_b32_e64 v9, 0, v9, s0
	v_cmp_nlt_f32_e64 s0, 0x42b17218, v5
	s_wait_alu 0xf1ff
	s_delay_alu instid0(VALU_DEP_1) | instskip(NEXT) | instid1(VALU_DEP_1)
	v_cndmask_b32_e64 v5, 0x7f800000, v9, s0
	v_add_f32_e32 v12, 1.0, v5
	s_delay_alu instid0(VALU_DEP_1) | instskip(NEXT) | instid1(VALU_DEP_1)
	v_cvt_f64_f32_e32 v[9:10], v12
	v_frexp_exp_i32_f64_e32 v9, v[9:10]
	v_frexp_mant_f32_e32 v10, v12
	s_delay_alu instid0(VALU_DEP_1) | instskip(SKIP_1) | instid1(VALU_DEP_1)
	v_cmp_gt_f32_e64 s0, 0x3f2aaaab, v10
	v_add_f32_e32 v10, -1.0, v12
	v_sub_f32_e32 v14, v10, v12
	s_delay_alu instid0(VALU_DEP_1)
	v_add_f32_e32 v14, 1.0, v14
	s_wait_alu 0xf1ff
	v_subrev_co_ci_u32_e64 v9, null, 0, v9, s0
	s_mov_b32 s0, 0x3e9b6dac
	v_sub_nc_u32_e32 v13, 0, v9
	v_cvt_f32_i32_e32 v9, v9
	s_delay_alu instid0(VALU_DEP_2) | instskip(NEXT) | instid1(VALU_DEP_1)
	v_ldexp_f32 v12, v12, v13
	v_dual_sub_f32 v10, v5, v10 :: v_dual_add_f32 v15, 1.0, v12
	s_delay_alu instid0(VALU_DEP_1) | instskip(NEXT) | instid1(VALU_DEP_2)
	v_add_f32_e32 v10, v10, v14
	v_add_f32_e32 v14, -1.0, v15
	s_delay_alu instid0(VALU_DEP_2) | instskip(NEXT) | instid1(VALU_DEP_2)
	v_ldexp_f32 v10, v10, v13
	v_dual_add_f32 v13, -1.0, v12 :: v_dual_sub_f32 v14, v12, v14
	s_delay_alu instid0(VALU_DEP_1) | instskip(NEXT) | instid1(VALU_DEP_1)
	v_dual_add_f32 v17, 1.0, v13 :: v_dual_add_f32 v14, v10, v14
	v_dual_sub_f32 v12, v12, v17 :: v_dual_add_f32 v17, v15, v14
	s_delay_alu instid0(VALU_DEP_1) | instskip(NEXT) | instid1(VALU_DEP_1)
	v_sub_f32_e32 v15, v15, v17
	v_add_f32_e32 v14, v14, v15
	s_delay_alu instid0(VALU_DEP_3) | instskip(SKIP_2) | instid1(VALU_DEP_1)
	v_add_f32_e32 v10, v10, v12
	v_rcp_f32_e32 v12, v17
	s_wait_dscnt 0x0
	v_add_f32_e32 v18, v13, v10
	s_delay_alu instid0(VALU_DEP_1) | instskip(NEXT) | instid1(TRANS32_DEP_1)
	v_sub_f32_e32 v13, v13, v18
	v_mul_f32_e32 v19, v18, v12
	s_delay_alu instid0(VALU_DEP_1) | instskip(NEXT) | instid1(VALU_DEP_1)
	v_mul_f32_e32 v20, v17, v19
	v_fma_f32 v15, v19, v17, -v20
	s_delay_alu instid0(VALU_DEP_1) | instskip(NEXT) | instid1(VALU_DEP_1)
	v_dual_fmac_f32 v15, v19, v14 :: v_dual_add_f32 v10, v10, v13
	v_add_f32_e32 v21, v20, v15
	s_delay_alu instid0(VALU_DEP_1) | instskip(NEXT) | instid1(VALU_DEP_1)
	v_dual_sub_f32 v22, v18, v21 :: v_dual_sub_f32 v13, v21, v20
	v_dual_sub_f32 v18, v18, v22 :: v_dual_sub_f32 v13, v13, v15
	s_delay_alu instid0(VALU_DEP_1) | instskip(NEXT) | instid1(VALU_DEP_1)
	v_sub_f32_e32 v18, v18, v21
	v_add_f32_e32 v10, v10, v18
	s_delay_alu instid0(VALU_DEP_1) | instskip(NEXT) | instid1(VALU_DEP_1)
	v_add_f32_e32 v10, v13, v10
	v_add_f32_e32 v13, v22, v10
	s_delay_alu instid0(VALU_DEP_1) | instskip(NEXT) | instid1(VALU_DEP_1)
	v_mul_f32_e32 v15, v12, v13
	v_dual_sub_f32 v21, v22, v13 :: v_dual_mul_f32 v18, v17, v15
	s_delay_alu instid0(VALU_DEP_1) | instskip(NEXT) | instid1(VALU_DEP_1)
	v_fma_f32 v17, v15, v17, -v18
	v_fmac_f32_e32 v17, v15, v14
	s_delay_alu instid0(VALU_DEP_1) | instskip(NEXT) | instid1(VALU_DEP_1)
	v_add_f32_e32 v14, v18, v17
	v_sub_f32_e32 v20, v13, v14
	s_delay_alu instid0(VALU_DEP_1) | instskip(NEXT) | instid1(VALU_DEP_1)
	v_dual_sub_f32 v18, v14, v18 :: v_dual_sub_f32 v13, v13, v20
	v_dual_add_f32 v10, v10, v21 :: v_dual_sub_f32 v13, v13, v14
	s_delay_alu instid0(VALU_DEP_2) | instskip(NEXT) | instid1(VALU_DEP_2)
	v_sub_f32_e32 v14, v18, v17
	v_dual_add_f32 v10, v10, v13 :: v_dual_add_f32 v13, v19, v15
	s_delay_alu instid0(VALU_DEP_1) | instskip(NEXT) | instid1(VALU_DEP_2)
	v_add_f32_e32 v10, v14, v10
	v_sub_f32_e32 v14, v13, v19
	s_delay_alu instid0(VALU_DEP_2) | instskip(NEXT) | instid1(VALU_DEP_2)
	v_add_f32_e32 v10, v20, v10
	v_sub_f32_e32 v14, v15, v14
	s_delay_alu instid0(VALU_DEP_2) | instskip(NEXT) | instid1(VALU_DEP_1)
	v_mul_f32_e32 v10, v12, v10
	v_add_f32_e32 v10, v14, v10
	s_delay_alu instid0(VALU_DEP_1) | instskip(NEXT) | instid1(VALU_DEP_1)
	v_add_f32_e32 v12, v13, v10
	v_mul_f32_e32 v14, v12, v12
	s_wait_alu 0xfffe
	s_delay_alu instid0(VALU_DEP_1) | instskip(SKIP_2) | instid1(VALU_DEP_3)
	v_fmaak_f32 v15, s0, v14, 0x3ecc95a3
	v_mul_f32_e32 v17, v12, v14
	v_cmp_neq_f32_e64 s0, 0x7f800000, v5
	v_fmaak_f32 v14, v14, v15, 0x3f2aaada
	v_ldexp_f32 v15, v12, 1
	s_delay_alu instid0(VALU_DEP_2) | instskip(SKIP_2) | instid1(VALU_DEP_2)
	v_mul_f32_e32 v14, v17, v14
	v_sub_f32_e32 v12, v12, v13
	v_mul_f32_e32 v17, 0x3f317218, v9
	v_dual_add_f32 v13, v15, v14 :: v_dual_sub_f32 v10, v10, v12
	s_delay_alu instid0(VALU_DEP_1) | instskip(NEXT) | instid1(VALU_DEP_3)
	v_sub_f32_e32 v12, v13, v15
	v_fma_f32 v15, 0x3f317218, v9, -v17
	s_delay_alu instid0(VALU_DEP_3) | instskip(NEXT) | instid1(VALU_DEP_2)
	v_ldexp_f32 v10, v10, 1
	v_dual_sub_f32 v12, v14, v12 :: v_dual_fmamk_f32 v9, v9, 0xb102e308, v15
	s_delay_alu instid0(VALU_DEP_1) | instskip(NEXT) | instid1(VALU_DEP_2)
	v_add_f32_e32 v10, v10, v12
	v_add_f32_e32 v12, v17, v9
	s_delay_alu instid0(VALU_DEP_1) | instskip(NEXT) | instid1(VALU_DEP_1)
	v_dual_add_f32 v14, v13, v10 :: v_dual_sub_f32 v17, v12, v17
	v_add_f32_e32 v15, v12, v14
	v_sub_f32_e32 v13, v14, v13
	s_delay_alu instid0(VALU_DEP_2) | instskip(NEXT) | instid1(VALU_DEP_1)
	v_dual_sub_f32 v9, v9, v17 :: v_dual_sub_f32 v18, v15, v12
	v_dual_sub_f32 v10, v10, v13 :: v_dual_sub_f32 v19, v15, v18
	v_sub_f32_e32 v13, v14, v18
	s_delay_alu instid0(VALU_DEP_2) | instskip(NEXT) | instid1(VALU_DEP_3)
	v_add_f32_e32 v14, v9, v10
	v_sub_f32_e32 v12, v12, v19
	s_delay_alu instid0(VALU_DEP_1) | instskip(NEXT) | instid1(VALU_DEP_1)
	v_dual_add_f32 v12, v13, v12 :: v_dual_sub_f32 v13, v14, v9
	v_add_f32_e32 v12, v14, v12
	s_delay_alu instid0(VALU_DEP_2) | instskip(NEXT) | instid1(VALU_DEP_2)
	v_sub_f32_e32 v14, v14, v13
	v_dual_sub_f32 v10, v10, v13 :: v_dual_add_f32 v17, v15, v12
	s_delay_alu instid0(VALU_DEP_2) | instskip(NEXT) | instid1(VALU_DEP_2)
	v_sub_f32_e32 v9, v9, v14
	v_sub_f32_e32 v13, v17, v15
	s_delay_alu instid0(VALU_DEP_2) | instskip(NEXT) | instid1(VALU_DEP_2)
	v_add_f32_e32 v9, v10, v9
	v_sub_f32_e32 v10, v12, v13
	s_delay_alu instid0(VALU_DEP_1) | instskip(NEXT) | instid1(VALU_DEP_1)
	v_add_f32_e32 v9, v9, v10
	v_add_f32_e32 v9, v17, v9
	s_wait_alu 0xf1ff
	s_delay_alu instid0(VALU_DEP_1) | instskip(SKIP_2) | instid1(VALU_DEP_1)
	v_cndmask_b32_e64 v9, 0x7f800000, v9, s0
	v_cmp_gt_f32_e64 s0, 0x33800000, |v5|
	s_wait_alu 0xf1ff
	v_cndmask_b32_e64 v5, v9, v5, s0
	s_delay_alu instid0(VALU_DEP_1)
	v_add_f32_e32 v5, v8, v5
.LBB167_74:
	s_wait_alu 0xfffe
	s_or_b32 exec_lo, exec_lo, s1
	s_delay_alu instid0(VALU_DEP_1) | instskip(SKIP_1) | instid1(VALU_DEP_2)
	v_max_num_f32_e32 v8, v5, v5
	v_cmp_u_f32_e64 s0, v5, v5
	v_min_num_f32_e32 v9, v8, v11
	v_max_num_f32_e32 v8, v8, v11
	s_wait_alu 0xf1ff
	s_delay_alu instid0(VALU_DEP_2) | instskip(NEXT) | instid1(VALU_DEP_2)
	v_cndmask_b32_e64 v9, v9, v5, s0
	v_cndmask_b32_e64 v8, v8, v5, s0
	s_delay_alu instid0(VALU_DEP_2) | instskip(NEXT) | instid1(VALU_DEP_2)
	v_cndmask_b32_e64 v9, v9, v6, s11
	v_cndmask_b32_e64 v8, v8, v6, s11
	v_mov_b32_e32 v6, v5
	s_delay_alu instid0(VALU_DEP_3) | instskip(NEXT) | instid1(VALU_DEP_3)
	v_cmp_class_f32_e64 s1, v9, 0x1f8
	v_cmp_neq_f32_e64 s0, v9, v8
	s_or_b32 s0, s0, s1
	s_wait_alu 0xfffe
	s_and_saveexec_b32 s1, s0
	s_cbranch_execz .LBB167_76
; %bb.75:
	v_sub_f32_e32 v6, v9, v8
	s_delay_alu instid0(VALU_DEP_1) | instskip(SKIP_1) | instid1(VALU_DEP_2)
	v_mul_f32_e32 v9, 0x3fb8aa3b, v6
	v_cmp_ngt_f32_e64 s0, 0xc2ce8ed0, v6
	v_fma_f32 v10, 0x3fb8aa3b, v6, -v9
	v_rndne_f32_e32 v11, v9
	s_delay_alu instid0(VALU_DEP_1) | instskip(NEXT) | instid1(VALU_DEP_1)
	v_dual_fmamk_f32 v10, v6, 0x32a5705f, v10 :: v_dual_sub_f32 v9, v9, v11
	v_add_f32_e32 v9, v9, v10
	v_cvt_i32_f32_e32 v10, v11
	s_delay_alu instid0(VALU_DEP_2) | instskip(NEXT) | instid1(TRANS32_DEP_1)
	v_exp_f32_e32 v9, v9
	v_ldexp_f32 v9, v9, v10
	s_wait_alu 0xf1ff
	s_delay_alu instid0(VALU_DEP_1) | instskip(SKIP_2) | instid1(VALU_DEP_1)
	v_cndmask_b32_e64 v9, 0, v9, s0
	v_cmp_nlt_f32_e64 s0, 0x42b17218, v6
	s_wait_alu 0xf1ff
	v_cndmask_b32_e64 v6, 0x7f800000, v9, s0
	s_delay_alu instid0(VALU_DEP_1) | instskip(NEXT) | instid1(VALU_DEP_1)
	v_add_f32_e32 v11, 1.0, v6
	v_cvt_f64_f32_e32 v[9:10], v11
	s_delay_alu instid0(VALU_DEP_1) | instskip(SKIP_1) | instid1(VALU_DEP_1)
	v_frexp_exp_i32_f64_e32 v9, v[9:10]
	v_frexp_mant_f32_e32 v10, v11
	v_cmp_gt_f32_e64 s0, 0x3f2aaaab, v10
	v_add_f32_e32 v10, -1.0, v11
	s_delay_alu instid0(VALU_DEP_1) | instskip(NEXT) | instid1(VALU_DEP_1)
	v_sub_f32_e32 v13, v10, v11
	v_dual_sub_f32 v10, v6, v10 :: v_dual_add_f32 v13, 1.0, v13
	s_delay_alu instid0(VALU_DEP_1)
	v_add_f32_e32 v10, v10, v13
	s_wait_alu 0xf1ff
	v_subrev_co_ci_u32_e64 v9, null, 0, v9, s0
	s_mov_b32 s0, 0x3e9b6dac
	v_sub_nc_u32_e32 v12, 0, v9
	v_cvt_f32_i32_e32 v9, v9
	s_delay_alu instid0(VALU_DEP_2) | instskip(SKIP_1) | instid1(VALU_DEP_2)
	v_ldexp_f32 v11, v11, v12
	v_ldexp_f32 v10, v10, v12
	v_add_f32_e32 v14, 1.0, v11
	s_delay_alu instid0(VALU_DEP_1) | instskip(NEXT) | instid1(VALU_DEP_1)
	v_dual_add_f32 v12, -1.0, v11 :: v_dual_add_f32 v13, -1.0, v14
	v_add_f32_e32 v15, 1.0, v12
	s_delay_alu instid0(VALU_DEP_2) | instskip(NEXT) | instid1(VALU_DEP_2)
	v_sub_f32_e32 v13, v11, v13
	v_sub_f32_e32 v11, v11, v15
	s_delay_alu instid0(VALU_DEP_2) | instskip(NEXT) | instid1(VALU_DEP_2)
	v_add_f32_e32 v13, v10, v13
	v_add_f32_e32 v10, v10, v11
	s_delay_alu instid0(VALU_DEP_2) | instskip(NEXT) | instid1(VALU_DEP_1)
	v_add_f32_e32 v15, v14, v13
	v_dual_add_f32 v17, v12, v10 :: v_dual_sub_f32 v14, v14, v15
	v_rcp_f32_e32 v11, v15
	s_delay_alu instid0(VALU_DEP_1) | instskip(NEXT) | instid1(VALU_DEP_1)
	v_dual_sub_f32 v12, v12, v17 :: v_dual_add_f32 v13, v13, v14
	v_add_f32_e32 v10, v10, v12
	s_wait_dscnt 0x0
	s_delay_alu instid0(TRANS32_DEP_1) | instskip(NEXT) | instid1(VALU_DEP_1)
	v_mul_f32_e32 v18, v17, v11
	v_mul_f32_e32 v19, v15, v18
	s_delay_alu instid0(VALU_DEP_1) | instskip(NEXT) | instid1(VALU_DEP_1)
	v_fma_f32 v14, v18, v15, -v19
	v_fmac_f32_e32 v14, v18, v13
	s_delay_alu instid0(VALU_DEP_1) | instskip(NEXT) | instid1(VALU_DEP_1)
	v_add_f32_e32 v20, v19, v14
	v_dual_sub_f32 v12, v20, v19 :: v_dual_sub_f32 v21, v17, v20
	s_delay_alu instid0(VALU_DEP_1) | instskip(NEXT) | instid1(VALU_DEP_1)
	v_dual_sub_f32 v12, v12, v14 :: v_dual_sub_f32 v17, v17, v21
	v_sub_f32_e32 v17, v17, v20
	s_delay_alu instid0(VALU_DEP_1) | instskip(NEXT) | instid1(VALU_DEP_1)
	v_add_f32_e32 v10, v10, v17
	v_add_f32_e32 v10, v12, v10
	s_delay_alu instid0(VALU_DEP_1) | instskip(NEXT) | instid1(VALU_DEP_1)
	v_add_f32_e32 v12, v21, v10
	v_mul_f32_e32 v14, v11, v12
	s_delay_alu instid0(VALU_DEP_1) | instskip(NEXT) | instid1(VALU_DEP_1)
	v_mul_f32_e32 v17, v15, v14
	v_fma_f32 v15, v14, v15, -v17
	s_delay_alu instid0(VALU_DEP_1) | instskip(NEXT) | instid1(VALU_DEP_1)
	v_dual_fmac_f32 v15, v14, v13 :: v_dual_sub_f32 v20, v21, v12
	v_dual_add_f32 v13, v17, v15 :: v_dual_add_f32 v10, v10, v20
	s_delay_alu instid0(VALU_DEP_1) | instskip(SKIP_1) | instid1(VALU_DEP_1)
	v_sub_f32_e32 v17, v13, v17
	v_sub_f32_e32 v19, v12, v13
	;; [unrolled: 1-line block ×3, first 2 shown]
	s_delay_alu instid0(VALU_DEP_1) | instskip(NEXT) | instid1(VALU_DEP_1)
	v_dual_sub_f32 v12, v12, v13 :: v_dual_sub_f32 v13, v17, v15
	v_add_f32_e32 v10, v10, v12
	v_add_f32_e32 v12, v18, v14
	s_delay_alu instid0(VALU_DEP_2) | instskip(NEXT) | instid1(VALU_DEP_2)
	v_add_f32_e32 v10, v13, v10
	v_sub_f32_e32 v13, v12, v18
	s_delay_alu instid0(VALU_DEP_1) | instskip(NEXT) | instid1(VALU_DEP_1)
	v_dual_sub_f32 v13, v14, v13 :: v_dual_add_f32 v10, v19, v10
	v_mul_f32_e32 v10, v11, v10
	s_delay_alu instid0(VALU_DEP_1) | instskip(NEXT) | instid1(VALU_DEP_1)
	v_add_f32_e32 v10, v13, v10
	v_add_f32_e32 v11, v12, v10
	s_delay_alu instid0(VALU_DEP_1) | instskip(SKIP_1) | instid1(VALU_DEP_1)
	v_mul_f32_e32 v13, v11, v11
	s_wait_alu 0xfffe
	v_fmaak_f32 v14, s0, v13, 0x3ecc95a3
	v_mul_f32_e32 v15, v11, v13
	v_cmp_neq_f32_e64 s0, 0x7f800000, v6
	s_delay_alu instid0(VALU_DEP_3) | instskip(SKIP_2) | instid1(VALU_DEP_1)
	v_fmaak_f32 v13, v13, v14, 0x3f2aaada
	v_ldexp_f32 v14, v11, 1
	v_sub_f32_e32 v11, v11, v12
	v_sub_f32_e32 v10, v10, v11
	s_delay_alu instid0(VALU_DEP_1) | instskip(SKIP_2) | instid1(VALU_DEP_2)
	v_ldexp_f32 v10, v10, 1
	v_mul_f32_e32 v13, v15, v13
	v_mul_f32_e32 v15, 0x3f317218, v9
	v_add_f32_e32 v12, v14, v13
	s_delay_alu instid0(VALU_DEP_1) | instskip(NEXT) | instid1(VALU_DEP_3)
	v_sub_f32_e32 v11, v12, v14
	v_fma_f32 v14, 0x3f317218, v9, -v15
	s_delay_alu instid0(VALU_DEP_2) | instskip(NEXT) | instid1(VALU_DEP_1)
	v_sub_f32_e32 v11, v13, v11
	v_add_f32_e32 v10, v10, v11
	s_delay_alu instid0(VALU_DEP_1) | instskip(NEXT) | instid1(VALU_DEP_4)
	v_add_f32_e32 v13, v12, v10
	v_fmamk_f32 v9, v9, 0xb102e308, v14
	s_delay_alu instid0(VALU_DEP_1) | instskip(NEXT) | instid1(VALU_DEP_1)
	v_dual_sub_f32 v12, v13, v12 :: v_dual_add_f32 v11, v15, v9
	v_sub_f32_e32 v10, v10, v12
	s_delay_alu instid0(VALU_DEP_2) | instskip(SKIP_1) | instid1(VALU_DEP_1)
	v_add_f32_e32 v14, v11, v13
	v_sub_f32_e32 v15, v11, v15
	v_sub_f32_e32 v9, v9, v15
	s_delay_alu instid0(VALU_DEP_3) | instskip(NEXT) | instid1(VALU_DEP_1)
	v_sub_f32_e32 v17, v14, v11
	v_sub_f32_e32 v18, v14, v17
	;; [unrolled: 1-line block ×3, first 2 shown]
	s_delay_alu instid0(VALU_DEP_4) | instskip(NEXT) | instid1(VALU_DEP_3)
	v_add_f32_e32 v13, v9, v10
	v_sub_f32_e32 v11, v11, v18
	s_delay_alu instid0(VALU_DEP_1) | instskip(NEXT) | instid1(VALU_DEP_1)
	v_dual_add_f32 v11, v12, v11 :: v_dual_sub_f32 v12, v13, v9
	v_add_f32_e32 v11, v13, v11
	s_delay_alu instid0(VALU_DEP_2) | instskip(SKIP_1) | instid1(VALU_DEP_3)
	v_sub_f32_e32 v13, v13, v12
	v_sub_f32_e32 v10, v10, v12
	v_add_f32_e32 v15, v14, v11
	s_delay_alu instid0(VALU_DEP_1) | instskip(NEXT) | instid1(VALU_DEP_1)
	v_dual_sub_f32 v9, v9, v13 :: v_dual_sub_f32 v12, v15, v14
	v_dual_add_f32 v9, v10, v9 :: v_dual_sub_f32 v10, v11, v12
	s_delay_alu instid0(VALU_DEP_1) | instskip(NEXT) | instid1(VALU_DEP_1)
	v_add_f32_e32 v9, v9, v10
	v_add_f32_e32 v9, v15, v9
	s_wait_alu 0xf1ff
	s_delay_alu instid0(VALU_DEP_1) | instskip(SKIP_2) | instid1(VALU_DEP_1)
	v_cndmask_b32_e64 v9, 0x7f800000, v9, s0
	v_cmp_gt_f32_e64 s0, 0x33800000, |v6|
	s_wait_alu 0xf1ff
	v_cndmask_b32_e64 v6, v9, v6, s0
	s_delay_alu instid0(VALU_DEP_1)
	v_add_f32_e32 v6, v8, v6
.LBB167_76:
	s_wait_alu 0xfffe
	s_or_b32 exec_lo, exec_lo, s1
	v_add_nc_u32_e32 v8, v7, v16
	s_wait_loadcnt_dscnt 0x0
	s_barrier_signal -1
	s_barrier_wait -1
	global_inv scope:SCOPE_SE
	ds_store_2addr_b64 v8, v[1:2], v[3:4] offset1:1
	ds_store_b64 v8, v[5:6] offset:16
	s_wait_loadcnt_dscnt 0x0
	s_barrier_signal -1
	s_barrier_wait -1
	global_inv scope:SCOPE_SE
	ds_load_2addr_stride64_b32 v[4:5], v7 offset0:4 offset1:8
	ds_load_2addr_stride64_b32 v[2:3], v7 offset0:12 offset1:16
	ds_load_b32 v6, v7 offset:5120
	v_lshlrev_b32_e32 v0, 2, v0
	s_wait_kmcnt 0x0
	s_delay_alu instid0(VALU_DEP_1)
	v_add_co_u32 v0, s0, s14, v0
	s_wait_alu 0xf1ff
	v_add_co_ci_u32_e64 v1, null, s15, 0, s0
	s_and_saveexec_b32 s0, vcc_lo
	s_cbranch_execnz .LBB167_83
; %bb.77:
	s_wait_alu 0xfffe
	s_or_b32 exec_lo, exec_lo, s0
	s_and_saveexec_b32 s0, s2
	s_cbranch_execnz .LBB167_84
.LBB167_78:
	s_wait_alu 0xfffe
	s_or_b32 exec_lo, exec_lo, s0
	s_and_saveexec_b32 s0, s3
	s_cbranch_execnz .LBB167_85
.LBB167_79:
	s_wait_alu 0xfffe
	s_or_b32 exec_lo, exec_lo, s0
	s_and_saveexec_b32 s0, s4
	s_cbranch_execnz .LBB167_86
.LBB167_80:
	s_wait_alu 0xfffe
	s_or_b32 exec_lo, exec_lo, s0
	s_and_saveexec_b32 s0, s5
	s_cbranch_execnz .LBB167_87
.LBB167_81:
	s_wait_alu 0xfffe
	s_or_b32 exec_lo, exec_lo, s0
	s_and_saveexec_b32 s0, s6
	s_cbranch_execnz .LBB167_88
.LBB167_82:
	s_endpgm
.LBB167_83:
	ds_load_b32 v7, v7
	s_wait_dscnt 0x0
	global_store_b32 v[0:1], v7, off
	s_wait_alu 0xfffe
	s_or_b32 exec_lo, exec_lo, s0
	s_and_saveexec_b32 s0, s2
	s_cbranch_execz .LBB167_78
.LBB167_84:
	s_wait_dscnt 0x2
	global_store_b32 v[0:1], v4, off offset:1024
	s_wait_alu 0xfffe
	s_or_b32 exec_lo, exec_lo, s0
	s_and_saveexec_b32 s0, s3
	s_cbranch_execz .LBB167_79
.LBB167_85:
	s_wait_dscnt 0x2
	global_store_b32 v[0:1], v5, off offset:2048
	s_wait_alu 0xfffe
	s_or_b32 exec_lo, exec_lo, s0
	s_and_saveexec_b32 s0, s4
	s_cbranch_execz .LBB167_80
.LBB167_86:
	s_wait_dscnt 0x1
	global_store_b32 v[0:1], v2, off offset:3072
	s_wait_alu 0xfffe
	s_or_b32 exec_lo, exec_lo, s0
	s_and_saveexec_b32 s0, s5
	s_cbranch_execz .LBB167_81
.LBB167_87:
	s_wait_dscnt 0x1
	global_store_b32 v[0:1], v3, off offset:4096
	s_wait_alu 0xfffe
	s_or_b32 exec_lo, exec_lo, s0
	s_and_saveexec_b32 s0, s6
	s_cbranch_execz .LBB167_82
.LBB167_88:
	s_wait_dscnt 0x0
	global_store_b32 v[0:1], v6, off offset:5120
	s_endpgm
	.section	.rodata,"a",@progbits
	.p2align	6, 0x0
	.amdhsa_kernel _ZN7rocprim17ROCPRIM_400000_NS6detail17trampoline_kernelINS0_14default_configENS1_20scan_config_selectorIfEEZZNS1_9scan_implILNS1_25lookback_scan_determinismE0ELb0ELb0ES3_PKfPffZZZN2at6native31launch_logcumsumexp_cuda_kernelERKNSB_10TensorBaseESF_lENKUlvE_clEvENKUlvE0_clEvEUlffE_fEEDaPvRmT3_T4_T5_mT6_P12ihipStream_tbENKUlT_T0_E_clISt17integral_constantIbLb0EESV_IbLb1EEEEDaSR_SS_EUlSR_E0_NS1_11comp_targetILNS1_3genE10ELNS1_11target_archE1201ELNS1_3gpuE5ELNS1_3repE0EEENS1_30default_config_static_selectorELNS0_4arch9wavefront6targetE0EEEvT1_
		.amdhsa_group_segment_fixed_size 6144
		.amdhsa_private_segment_fixed_size 0
		.amdhsa_kernarg_size 32
		.amdhsa_user_sgpr_count 2
		.amdhsa_user_sgpr_dispatch_ptr 0
		.amdhsa_user_sgpr_queue_ptr 0
		.amdhsa_user_sgpr_kernarg_segment_ptr 1
		.amdhsa_user_sgpr_dispatch_id 0
		.amdhsa_user_sgpr_private_segment_size 0
		.amdhsa_wavefront_size32 1
		.amdhsa_uses_dynamic_stack 0
		.amdhsa_enable_private_segment 0
		.amdhsa_system_sgpr_workgroup_id_x 1
		.amdhsa_system_sgpr_workgroup_id_y 0
		.amdhsa_system_sgpr_workgroup_id_z 0
		.amdhsa_system_sgpr_workgroup_info 0
		.amdhsa_system_vgpr_workitem_id 0
		.amdhsa_next_free_vgpr 35
		.amdhsa_next_free_sgpr 17
		.amdhsa_reserve_vcc 1
		.amdhsa_float_round_mode_32 0
		.amdhsa_float_round_mode_16_64 0
		.amdhsa_float_denorm_mode_32 3
		.amdhsa_float_denorm_mode_16_64 3
		.amdhsa_fp16_overflow 0
		.amdhsa_workgroup_processor_mode 1
		.amdhsa_memory_ordered 1
		.amdhsa_forward_progress 1
		.amdhsa_inst_pref_size 163
		.amdhsa_round_robin_scheduling 0
		.amdhsa_exception_fp_ieee_invalid_op 0
		.amdhsa_exception_fp_denorm_src 0
		.amdhsa_exception_fp_ieee_div_zero 0
		.amdhsa_exception_fp_ieee_overflow 0
		.amdhsa_exception_fp_ieee_underflow 0
		.amdhsa_exception_fp_ieee_inexact 0
		.amdhsa_exception_int_div_zero 0
	.end_amdhsa_kernel
	.section	.text._ZN7rocprim17ROCPRIM_400000_NS6detail17trampoline_kernelINS0_14default_configENS1_20scan_config_selectorIfEEZZNS1_9scan_implILNS1_25lookback_scan_determinismE0ELb0ELb0ES3_PKfPffZZZN2at6native31launch_logcumsumexp_cuda_kernelERKNSB_10TensorBaseESF_lENKUlvE_clEvENKUlvE0_clEvEUlffE_fEEDaPvRmT3_T4_T5_mT6_P12ihipStream_tbENKUlT_T0_E_clISt17integral_constantIbLb0EESV_IbLb1EEEEDaSR_SS_EUlSR_E0_NS1_11comp_targetILNS1_3genE10ELNS1_11target_archE1201ELNS1_3gpuE5ELNS1_3repE0EEENS1_30default_config_static_selectorELNS0_4arch9wavefront6targetE0EEEvT1_,"axG",@progbits,_ZN7rocprim17ROCPRIM_400000_NS6detail17trampoline_kernelINS0_14default_configENS1_20scan_config_selectorIfEEZZNS1_9scan_implILNS1_25lookback_scan_determinismE0ELb0ELb0ES3_PKfPffZZZN2at6native31launch_logcumsumexp_cuda_kernelERKNSB_10TensorBaseESF_lENKUlvE_clEvENKUlvE0_clEvEUlffE_fEEDaPvRmT3_T4_T5_mT6_P12ihipStream_tbENKUlT_T0_E_clISt17integral_constantIbLb0EESV_IbLb1EEEEDaSR_SS_EUlSR_E0_NS1_11comp_targetILNS1_3genE10ELNS1_11target_archE1201ELNS1_3gpuE5ELNS1_3repE0EEENS1_30default_config_static_selectorELNS0_4arch9wavefront6targetE0EEEvT1_,comdat
.Lfunc_end167:
	.size	_ZN7rocprim17ROCPRIM_400000_NS6detail17trampoline_kernelINS0_14default_configENS1_20scan_config_selectorIfEEZZNS1_9scan_implILNS1_25lookback_scan_determinismE0ELb0ELb0ES3_PKfPffZZZN2at6native31launch_logcumsumexp_cuda_kernelERKNSB_10TensorBaseESF_lENKUlvE_clEvENKUlvE0_clEvEUlffE_fEEDaPvRmT3_T4_T5_mT6_P12ihipStream_tbENKUlT_T0_E_clISt17integral_constantIbLb0EESV_IbLb1EEEEDaSR_SS_EUlSR_E0_NS1_11comp_targetILNS1_3genE10ELNS1_11target_archE1201ELNS1_3gpuE5ELNS1_3repE0EEENS1_30default_config_static_selectorELNS0_4arch9wavefront6targetE0EEEvT1_, .Lfunc_end167-_ZN7rocprim17ROCPRIM_400000_NS6detail17trampoline_kernelINS0_14default_configENS1_20scan_config_selectorIfEEZZNS1_9scan_implILNS1_25lookback_scan_determinismE0ELb0ELb0ES3_PKfPffZZZN2at6native31launch_logcumsumexp_cuda_kernelERKNSB_10TensorBaseESF_lENKUlvE_clEvENKUlvE0_clEvEUlffE_fEEDaPvRmT3_T4_T5_mT6_P12ihipStream_tbENKUlT_T0_E_clISt17integral_constantIbLb0EESV_IbLb1EEEEDaSR_SS_EUlSR_E0_NS1_11comp_targetILNS1_3genE10ELNS1_11target_archE1201ELNS1_3gpuE5ELNS1_3repE0EEENS1_30default_config_static_selectorELNS0_4arch9wavefront6targetE0EEEvT1_
                                        ; -- End function
	.set _ZN7rocprim17ROCPRIM_400000_NS6detail17trampoline_kernelINS0_14default_configENS1_20scan_config_selectorIfEEZZNS1_9scan_implILNS1_25lookback_scan_determinismE0ELb0ELb0ES3_PKfPffZZZN2at6native31launch_logcumsumexp_cuda_kernelERKNSB_10TensorBaseESF_lENKUlvE_clEvENKUlvE0_clEvEUlffE_fEEDaPvRmT3_T4_T5_mT6_P12ihipStream_tbENKUlT_T0_E_clISt17integral_constantIbLb0EESV_IbLb1EEEEDaSR_SS_EUlSR_E0_NS1_11comp_targetILNS1_3genE10ELNS1_11target_archE1201ELNS1_3gpuE5ELNS1_3repE0EEENS1_30default_config_static_selectorELNS0_4arch9wavefront6targetE0EEEvT1_.num_vgpr, 35
	.set _ZN7rocprim17ROCPRIM_400000_NS6detail17trampoline_kernelINS0_14default_configENS1_20scan_config_selectorIfEEZZNS1_9scan_implILNS1_25lookback_scan_determinismE0ELb0ELb0ES3_PKfPffZZZN2at6native31launch_logcumsumexp_cuda_kernelERKNSB_10TensorBaseESF_lENKUlvE_clEvENKUlvE0_clEvEUlffE_fEEDaPvRmT3_T4_T5_mT6_P12ihipStream_tbENKUlT_T0_E_clISt17integral_constantIbLb0EESV_IbLb1EEEEDaSR_SS_EUlSR_E0_NS1_11comp_targetILNS1_3genE10ELNS1_11target_archE1201ELNS1_3gpuE5ELNS1_3repE0EEENS1_30default_config_static_selectorELNS0_4arch9wavefront6targetE0EEEvT1_.num_agpr, 0
	.set _ZN7rocprim17ROCPRIM_400000_NS6detail17trampoline_kernelINS0_14default_configENS1_20scan_config_selectorIfEEZZNS1_9scan_implILNS1_25lookback_scan_determinismE0ELb0ELb0ES3_PKfPffZZZN2at6native31launch_logcumsumexp_cuda_kernelERKNSB_10TensorBaseESF_lENKUlvE_clEvENKUlvE0_clEvEUlffE_fEEDaPvRmT3_T4_T5_mT6_P12ihipStream_tbENKUlT_T0_E_clISt17integral_constantIbLb0EESV_IbLb1EEEEDaSR_SS_EUlSR_E0_NS1_11comp_targetILNS1_3genE10ELNS1_11target_archE1201ELNS1_3gpuE5ELNS1_3repE0EEENS1_30default_config_static_selectorELNS0_4arch9wavefront6targetE0EEEvT1_.numbered_sgpr, 17
	.set _ZN7rocprim17ROCPRIM_400000_NS6detail17trampoline_kernelINS0_14default_configENS1_20scan_config_selectorIfEEZZNS1_9scan_implILNS1_25lookback_scan_determinismE0ELb0ELb0ES3_PKfPffZZZN2at6native31launch_logcumsumexp_cuda_kernelERKNSB_10TensorBaseESF_lENKUlvE_clEvENKUlvE0_clEvEUlffE_fEEDaPvRmT3_T4_T5_mT6_P12ihipStream_tbENKUlT_T0_E_clISt17integral_constantIbLb0EESV_IbLb1EEEEDaSR_SS_EUlSR_E0_NS1_11comp_targetILNS1_3genE10ELNS1_11target_archE1201ELNS1_3gpuE5ELNS1_3repE0EEENS1_30default_config_static_selectorELNS0_4arch9wavefront6targetE0EEEvT1_.num_named_barrier, 0
	.set _ZN7rocprim17ROCPRIM_400000_NS6detail17trampoline_kernelINS0_14default_configENS1_20scan_config_selectorIfEEZZNS1_9scan_implILNS1_25lookback_scan_determinismE0ELb0ELb0ES3_PKfPffZZZN2at6native31launch_logcumsumexp_cuda_kernelERKNSB_10TensorBaseESF_lENKUlvE_clEvENKUlvE0_clEvEUlffE_fEEDaPvRmT3_T4_T5_mT6_P12ihipStream_tbENKUlT_T0_E_clISt17integral_constantIbLb0EESV_IbLb1EEEEDaSR_SS_EUlSR_E0_NS1_11comp_targetILNS1_3genE10ELNS1_11target_archE1201ELNS1_3gpuE5ELNS1_3repE0EEENS1_30default_config_static_selectorELNS0_4arch9wavefront6targetE0EEEvT1_.private_seg_size, 0
	.set _ZN7rocprim17ROCPRIM_400000_NS6detail17trampoline_kernelINS0_14default_configENS1_20scan_config_selectorIfEEZZNS1_9scan_implILNS1_25lookback_scan_determinismE0ELb0ELb0ES3_PKfPffZZZN2at6native31launch_logcumsumexp_cuda_kernelERKNSB_10TensorBaseESF_lENKUlvE_clEvENKUlvE0_clEvEUlffE_fEEDaPvRmT3_T4_T5_mT6_P12ihipStream_tbENKUlT_T0_E_clISt17integral_constantIbLb0EESV_IbLb1EEEEDaSR_SS_EUlSR_E0_NS1_11comp_targetILNS1_3genE10ELNS1_11target_archE1201ELNS1_3gpuE5ELNS1_3repE0EEENS1_30default_config_static_selectorELNS0_4arch9wavefront6targetE0EEEvT1_.uses_vcc, 1
	.set _ZN7rocprim17ROCPRIM_400000_NS6detail17trampoline_kernelINS0_14default_configENS1_20scan_config_selectorIfEEZZNS1_9scan_implILNS1_25lookback_scan_determinismE0ELb0ELb0ES3_PKfPffZZZN2at6native31launch_logcumsumexp_cuda_kernelERKNSB_10TensorBaseESF_lENKUlvE_clEvENKUlvE0_clEvEUlffE_fEEDaPvRmT3_T4_T5_mT6_P12ihipStream_tbENKUlT_T0_E_clISt17integral_constantIbLb0EESV_IbLb1EEEEDaSR_SS_EUlSR_E0_NS1_11comp_targetILNS1_3genE10ELNS1_11target_archE1201ELNS1_3gpuE5ELNS1_3repE0EEENS1_30default_config_static_selectorELNS0_4arch9wavefront6targetE0EEEvT1_.uses_flat_scratch, 0
	.set _ZN7rocprim17ROCPRIM_400000_NS6detail17trampoline_kernelINS0_14default_configENS1_20scan_config_selectorIfEEZZNS1_9scan_implILNS1_25lookback_scan_determinismE0ELb0ELb0ES3_PKfPffZZZN2at6native31launch_logcumsumexp_cuda_kernelERKNSB_10TensorBaseESF_lENKUlvE_clEvENKUlvE0_clEvEUlffE_fEEDaPvRmT3_T4_T5_mT6_P12ihipStream_tbENKUlT_T0_E_clISt17integral_constantIbLb0EESV_IbLb1EEEEDaSR_SS_EUlSR_E0_NS1_11comp_targetILNS1_3genE10ELNS1_11target_archE1201ELNS1_3gpuE5ELNS1_3repE0EEENS1_30default_config_static_selectorELNS0_4arch9wavefront6targetE0EEEvT1_.has_dyn_sized_stack, 0
	.set _ZN7rocprim17ROCPRIM_400000_NS6detail17trampoline_kernelINS0_14default_configENS1_20scan_config_selectorIfEEZZNS1_9scan_implILNS1_25lookback_scan_determinismE0ELb0ELb0ES3_PKfPffZZZN2at6native31launch_logcumsumexp_cuda_kernelERKNSB_10TensorBaseESF_lENKUlvE_clEvENKUlvE0_clEvEUlffE_fEEDaPvRmT3_T4_T5_mT6_P12ihipStream_tbENKUlT_T0_E_clISt17integral_constantIbLb0EESV_IbLb1EEEEDaSR_SS_EUlSR_E0_NS1_11comp_targetILNS1_3genE10ELNS1_11target_archE1201ELNS1_3gpuE5ELNS1_3repE0EEENS1_30default_config_static_selectorELNS0_4arch9wavefront6targetE0EEEvT1_.has_recursion, 0
	.set _ZN7rocprim17ROCPRIM_400000_NS6detail17trampoline_kernelINS0_14default_configENS1_20scan_config_selectorIfEEZZNS1_9scan_implILNS1_25lookback_scan_determinismE0ELb0ELb0ES3_PKfPffZZZN2at6native31launch_logcumsumexp_cuda_kernelERKNSB_10TensorBaseESF_lENKUlvE_clEvENKUlvE0_clEvEUlffE_fEEDaPvRmT3_T4_T5_mT6_P12ihipStream_tbENKUlT_T0_E_clISt17integral_constantIbLb0EESV_IbLb1EEEEDaSR_SS_EUlSR_E0_NS1_11comp_targetILNS1_3genE10ELNS1_11target_archE1201ELNS1_3gpuE5ELNS1_3repE0EEENS1_30default_config_static_selectorELNS0_4arch9wavefront6targetE0EEEvT1_.has_indirect_call, 0
	.section	.AMDGPU.csdata,"",@progbits
; Kernel info:
; codeLenInByte = 20840
; TotalNumSgprs: 19
; NumVgprs: 35
; ScratchSize: 0
; MemoryBound: 0
; FloatMode: 240
; IeeeMode: 1
; LDSByteSize: 6144 bytes/workgroup (compile time only)
; SGPRBlocks: 0
; VGPRBlocks: 4
; NumSGPRsForWavesPerEU: 19
; NumVGPRsForWavesPerEU: 35
; Occupancy: 16
; WaveLimiterHint : 0
; COMPUTE_PGM_RSRC2:SCRATCH_EN: 0
; COMPUTE_PGM_RSRC2:USER_SGPR: 2
; COMPUTE_PGM_RSRC2:TRAP_HANDLER: 0
; COMPUTE_PGM_RSRC2:TGID_X_EN: 1
; COMPUTE_PGM_RSRC2:TGID_Y_EN: 0
; COMPUTE_PGM_RSRC2:TGID_Z_EN: 0
; COMPUTE_PGM_RSRC2:TIDIG_COMP_CNT: 0
	.section	.text._ZN7rocprim17ROCPRIM_400000_NS6detail17trampoline_kernelINS0_14default_configENS1_20scan_config_selectorIfEEZZNS1_9scan_implILNS1_25lookback_scan_determinismE0ELb0ELb0ES3_PKfPffZZZN2at6native31launch_logcumsumexp_cuda_kernelERKNSB_10TensorBaseESF_lENKUlvE_clEvENKUlvE0_clEvEUlffE_fEEDaPvRmT3_T4_T5_mT6_P12ihipStream_tbENKUlT_T0_E_clISt17integral_constantIbLb0EESV_IbLb1EEEEDaSR_SS_EUlSR_E0_NS1_11comp_targetILNS1_3genE10ELNS1_11target_archE1200ELNS1_3gpuE4ELNS1_3repE0EEENS1_30default_config_static_selectorELNS0_4arch9wavefront6targetE0EEEvT1_,"axG",@progbits,_ZN7rocprim17ROCPRIM_400000_NS6detail17trampoline_kernelINS0_14default_configENS1_20scan_config_selectorIfEEZZNS1_9scan_implILNS1_25lookback_scan_determinismE0ELb0ELb0ES3_PKfPffZZZN2at6native31launch_logcumsumexp_cuda_kernelERKNSB_10TensorBaseESF_lENKUlvE_clEvENKUlvE0_clEvEUlffE_fEEDaPvRmT3_T4_T5_mT6_P12ihipStream_tbENKUlT_T0_E_clISt17integral_constantIbLb0EESV_IbLb1EEEEDaSR_SS_EUlSR_E0_NS1_11comp_targetILNS1_3genE10ELNS1_11target_archE1200ELNS1_3gpuE4ELNS1_3repE0EEENS1_30default_config_static_selectorELNS0_4arch9wavefront6targetE0EEEvT1_,comdat
	.globl	_ZN7rocprim17ROCPRIM_400000_NS6detail17trampoline_kernelINS0_14default_configENS1_20scan_config_selectorIfEEZZNS1_9scan_implILNS1_25lookback_scan_determinismE0ELb0ELb0ES3_PKfPffZZZN2at6native31launch_logcumsumexp_cuda_kernelERKNSB_10TensorBaseESF_lENKUlvE_clEvENKUlvE0_clEvEUlffE_fEEDaPvRmT3_T4_T5_mT6_P12ihipStream_tbENKUlT_T0_E_clISt17integral_constantIbLb0EESV_IbLb1EEEEDaSR_SS_EUlSR_E0_NS1_11comp_targetILNS1_3genE10ELNS1_11target_archE1200ELNS1_3gpuE4ELNS1_3repE0EEENS1_30default_config_static_selectorELNS0_4arch9wavefront6targetE0EEEvT1_ ; -- Begin function _ZN7rocprim17ROCPRIM_400000_NS6detail17trampoline_kernelINS0_14default_configENS1_20scan_config_selectorIfEEZZNS1_9scan_implILNS1_25lookback_scan_determinismE0ELb0ELb0ES3_PKfPffZZZN2at6native31launch_logcumsumexp_cuda_kernelERKNSB_10TensorBaseESF_lENKUlvE_clEvENKUlvE0_clEvEUlffE_fEEDaPvRmT3_T4_T5_mT6_P12ihipStream_tbENKUlT_T0_E_clISt17integral_constantIbLb0EESV_IbLb1EEEEDaSR_SS_EUlSR_E0_NS1_11comp_targetILNS1_3genE10ELNS1_11target_archE1200ELNS1_3gpuE4ELNS1_3repE0EEENS1_30default_config_static_selectorELNS0_4arch9wavefront6targetE0EEEvT1_
	.p2align	8
	.type	_ZN7rocprim17ROCPRIM_400000_NS6detail17trampoline_kernelINS0_14default_configENS1_20scan_config_selectorIfEEZZNS1_9scan_implILNS1_25lookback_scan_determinismE0ELb0ELb0ES3_PKfPffZZZN2at6native31launch_logcumsumexp_cuda_kernelERKNSB_10TensorBaseESF_lENKUlvE_clEvENKUlvE0_clEvEUlffE_fEEDaPvRmT3_T4_T5_mT6_P12ihipStream_tbENKUlT_T0_E_clISt17integral_constantIbLb0EESV_IbLb1EEEEDaSR_SS_EUlSR_E0_NS1_11comp_targetILNS1_3genE10ELNS1_11target_archE1200ELNS1_3gpuE4ELNS1_3repE0EEENS1_30default_config_static_selectorELNS0_4arch9wavefront6targetE0EEEvT1_,@function
_ZN7rocprim17ROCPRIM_400000_NS6detail17trampoline_kernelINS0_14default_configENS1_20scan_config_selectorIfEEZZNS1_9scan_implILNS1_25lookback_scan_determinismE0ELb0ELb0ES3_PKfPffZZZN2at6native31launch_logcumsumexp_cuda_kernelERKNSB_10TensorBaseESF_lENKUlvE_clEvENKUlvE0_clEvEUlffE_fEEDaPvRmT3_T4_T5_mT6_P12ihipStream_tbENKUlT_T0_E_clISt17integral_constantIbLb0EESV_IbLb1EEEEDaSR_SS_EUlSR_E0_NS1_11comp_targetILNS1_3genE10ELNS1_11target_archE1200ELNS1_3gpuE4ELNS1_3repE0EEENS1_30default_config_static_selectorELNS0_4arch9wavefront6targetE0EEEvT1_: ; @_ZN7rocprim17ROCPRIM_400000_NS6detail17trampoline_kernelINS0_14default_configENS1_20scan_config_selectorIfEEZZNS1_9scan_implILNS1_25lookback_scan_determinismE0ELb0ELb0ES3_PKfPffZZZN2at6native31launch_logcumsumexp_cuda_kernelERKNSB_10TensorBaseESF_lENKUlvE_clEvENKUlvE0_clEvEUlffE_fEEDaPvRmT3_T4_T5_mT6_P12ihipStream_tbENKUlT_T0_E_clISt17integral_constantIbLb0EESV_IbLb1EEEEDaSR_SS_EUlSR_E0_NS1_11comp_targetILNS1_3genE10ELNS1_11target_archE1200ELNS1_3gpuE4ELNS1_3repE0EEENS1_30default_config_static_selectorELNS0_4arch9wavefront6targetE0EEEvT1_
; %bb.0:
	.section	.rodata,"a",@progbits
	.p2align	6, 0x0
	.amdhsa_kernel _ZN7rocprim17ROCPRIM_400000_NS6detail17trampoline_kernelINS0_14default_configENS1_20scan_config_selectorIfEEZZNS1_9scan_implILNS1_25lookback_scan_determinismE0ELb0ELb0ES3_PKfPffZZZN2at6native31launch_logcumsumexp_cuda_kernelERKNSB_10TensorBaseESF_lENKUlvE_clEvENKUlvE0_clEvEUlffE_fEEDaPvRmT3_T4_T5_mT6_P12ihipStream_tbENKUlT_T0_E_clISt17integral_constantIbLb0EESV_IbLb1EEEEDaSR_SS_EUlSR_E0_NS1_11comp_targetILNS1_3genE10ELNS1_11target_archE1200ELNS1_3gpuE4ELNS1_3repE0EEENS1_30default_config_static_selectorELNS0_4arch9wavefront6targetE0EEEvT1_
		.amdhsa_group_segment_fixed_size 0
		.amdhsa_private_segment_fixed_size 0
		.amdhsa_kernarg_size 32
		.amdhsa_user_sgpr_count 2
		.amdhsa_user_sgpr_dispatch_ptr 0
		.amdhsa_user_sgpr_queue_ptr 0
		.amdhsa_user_sgpr_kernarg_segment_ptr 1
		.amdhsa_user_sgpr_dispatch_id 0
		.amdhsa_user_sgpr_private_segment_size 0
		.amdhsa_wavefront_size32 1
		.amdhsa_uses_dynamic_stack 0
		.amdhsa_enable_private_segment 0
		.amdhsa_system_sgpr_workgroup_id_x 1
		.amdhsa_system_sgpr_workgroup_id_y 0
		.amdhsa_system_sgpr_workgroup_id_z 0
		.amdhsa_system_sgpr_workgroup_info 0
		.amdhsa_system_vgpr_workitem_id 0
		.amdhsa_next_free_vgpr 1
		.amdhsa_next_free_sgpr 1
		.amdhsa_reserve_vcc 0
		.amdhsa_float_round_mode_32 0
		.amdhsa_float_round_mode_16_64 0
		.amdhsa_float_denorm_mode_32 3
		.amdhsa_float_denorm_mode_16_64 3
		.amdhsa_fp16_overflow 0
		.amdhsa_workgroup_processor_mode 1
		.amdhsa_memory_ordered 1
		.amdhsa_forward_progress 1
		.amdhsa_inst_pref_size 0
		.amdhsa_round_robin_scheduling 0
		.amdhsa_exception_fp_ieee_invalid_op 0
		.amdhsa_exception_fp_denorm_src 0
		.amdhsa_exception_fp_ieee_div_zero 0
		.amdhsa_exception_fp_ieee_overflow 0
		.amdhsa_exception_fp_ieee_underflow 0
		.amdhsa_exception_fp_ieee_inexact 0
		.amdhsa_exception_int_div_zero 0
	.end_amdhsa_kernel
	.section	.text._ZN7rocprim17ROCPRIM_400000_NS6detail17trampoline_kernelINS0_14default_configENS1_20scan_config_selectorIfEEZZNS1_9scan_implILNS1_25lookback_scan_determinismE0ELb0ELb0ES3_PKfPffZZZN2at6native31launch_logcumsumexp_cuda_kernelERKNSB_10TensorBaseESF_lENKUlvE_clEvENKUlvE0_clEvEUlffE_fEEDaPvRmT3_T4_T5_mT6_P12ihipStream_tbENKUlT_T0_E_clISt17integral_constantIbLb0EESV_IbLb1EEEEDaSR_SS_EUlSR_E0_NS1_11comp_targetILNS1_3genE10ELNS1_11target_archE1200ELNS1_3gpuE4ELNS1_3repE0EEENS1_30default_config_static_selectorELNS0_4arch9wavefront6targetE0EEEvT1_,"axG",@progbits,_ZN7rocprim17ROCPRIM_400000_NS6detail17trampoline_kernelINS0_14default_configENS1_20scan_config_selectorIfEEZZNS1_9scan_implILNS1_25lookback_scan_determinismE0ELb0ELb0ES3_PKfPffZZZN2at6native31launch_logcumsumexp_cuda_kernelERKNSB_10TensorBaseESF_lENKUlvE_clEvENKUlvE0_clEvEUlffE_fEEDaPvRmT3_T4_T5_mT6_P12ihipStream_tbENKUlT_T0_E_clISt17integral_constantIbLb0EESV_IbLb1EEEEDaSR_SS_EUlSR_E0_NS1_11comp_targetILNS1_3genE10ELNS1_11target_archE1200ELNS1_3gpuE4ELNS1_3repE0EEENS1_30default_config_static_selectorELNS0_4arch9wavefront6targetE0EEEvT1_,comdat
.Lfunc_end168:
	.size	_ZN7rocprim17ROCPRIM_400000_NS6detail17trampoline_kernelINS0_14default_configENS1_20scan_config_selectorIfEEZZNS1_9scan_implILNS1_25lookback_scan_determinismE0ELb0ELb0ES3_PKfPffZZZN2at6native31launch_logcumsumexp_cuda_kernelERKNSB_10TensorBaseESF_lENKUlvE_clEvENKUlvE0_clEvEUlffE_fEEDaPvRmT3_T4_T5_mT6_P12ihipStream_tbENKUlT_T0_E_clISt17integral_constantIbLb0EESV_IbLb1EEEEDaSR_SS_EUlSR_E0_NS1_11comp_targetILNS1_3genE10ELNS1_11target_archE1200ELNS1_3gpuE4ELNS1_3repE0EEENS1_30default_config_static_selectorELNS0_4arch9wavefront6targetE0EEEvT1_, .Lfunc_end168-_ZN7rocprim17ROCPRIM_400000_NS6detail17trampoline_kernelINS0_14default_configENS1_20scan_config_selectorIfEEZZNS1_9scan_implILNS1_25lookback_scan_determinismE0ELb0ELb0ES3_PKfPffZZZN2at6native31launch_logcumsumexp_cuda_kernelERKNSB_10TensorBaseESF_lENKUlvE_clEvENKUlvE0_clEvEUlffE_fEEDaPvRmT3_T4_T5_mT6_P12ihipStream_tbENKUlT_T0_E_clISt17integral_constantIbLb0EESV_IbLb1EEEEDaSR_SS_EUlSR_E0_NS1_11comp_targetILNS1_3genE10ELNS1_11target_archE1200ELNS1_3gpuE4ELNS1_3repE0EEENS1_30default_config_static_selectorELNS0_4arch9wavefront6targetE0EEEvT1_
                                        ; -- End function
	.set _ZN7rocprim17ROCPRIM_400000_NS6detail17trampoline_kernelINS0_14default_configENS1_20scan_config_selectorIfEEZZNS1_9scan_implILNS1_25lookback_scan_determinismE0ELb0ELb0ES3_PKfPffZZZN2at6native31launch_logcumsumexp_cuda_kernelERKNSB_10TensorBaseESF_lENKUlvE_clEvENKUlvE0_clEvEUlffE_fEEDaPvRmT3_T4_T5_mT6_P12ihipStream_tbENKUlT_T0_E_clISt17integral_constantIbLb0EESV_IbLb1EEEEDaSR_SS_EUlSR_E0_NS1_11comp_targetILNS1_3genE10ELNS1_11target_archE1200ELNS1_3gpuE4ELNS1_3repE0EEENS1_30default_config_static_selectorELNS0_4arch9wavefront6targetE0EEEvT1_.num_vgpr, 0
	.set _ZN7rocprim17ROCPRIM_400000_NS6detail17trampoline_kernelINS0_14default_configENS1_20scan_config_selectorIfEEZZNS1_9scan_implILNS1_25lookback_scan_determinismE0ELb0ELb0ES3_PKfPffZZZN2at6native31launch_logcumsumexp_cuda_kernelERKNSB_10TensorBaseESF_lENKUlvE_clEvENKUlvE0_clEvEUlffE_fEEDaPvRmT3_T4_T5_mT6_P12ihipStream_tbENKUlT_T0_E_clISt17integral_constantIbLb0EESV_IbLb1EEEEDaSR_SS_EUlSR_E0_NS1_11comp_targetILNS1_3genE10ELNS1_11target_archE1200ELNS1_3gpuE4ELNS1_3repE0EEENS1_30default_config_static_selectorELNS0_4arch9wavefront6targetE0EEEvT1_.num_agpr, 0
	.set _ZN7rocprim17ROCPRIM_400000_NS6detail17trampoline_kernelINS0_14default_configENS1_20scan_config_selectorIfEEZZNS1_9scan_implILNS1_25lookback_scan_determinismE0ELb0ELb0ES3_PKfPffZZZN2at6native31launch_logcumsumexp_cuda_kernelERKNSB_10TensorBaseESF_lENKUlvE_clEvENKUlvE0_clEvEUlffE_fEEDaPvRmT3_T4_T5_mT6_P12ihipStream_tbENKUlT_T0_E_clISt17integral_constantIbLb0EESV_IbLb1EEEEDaSR_SS_EUlSR_E0_NS1_11comp_targetILNS1_3genE10ELNS1_11target_archE1200ELNS1_3gpuE4ELNS1_3repE0EEENS1_30default_config_static_selectorELNS0_4arch9wavefront6targetE0EEEvT1_.numbered_sgpr, 0
	.set _ZN7rocprim17ROCPRIM_400000_NS6detail17trampoline_kernelINS0_14default_configENS1_20scan_config_selectorIfEEZZNS1_9scan_implILNS1_25lookback_scan_determinismE0ELb0ELb0ES3_PKfPffZZZN2at6native31launch_logcumsumexp_cuda_kernelERKNSB_10TensorBaseESF_lENKUlvE_clEvENKUlvE0_clEvEUlffE_fEEDaPvRmT3_T4_T5_mT6_P12ihipStream_tbENKUlT_T0_E_clISt17integral_constantIbLb0EESV_IbLb1EEEEDaSR_SS_EUlSR_E0_NS1_11comp_targetILNS1_3genE10ELNS1_11target_archE1200ELNS1_3gpuE4ELNS1_3repE0EEENS1_30default_config_static_selectorELNS0_4arch9wavefront6targetE0EEEvT1_.num_named_barrier, 0
	.set _ZN7rocprim17ROCPRIM_400000_NS6detail17trampoline_kernelINS0_14default_configENS1_20scan_config_selectorIfEEZZNS1_9scan_implILNS1_25lookback_scan_determinismE0ELb0ELb0ES3_PKfPffZZZN2at6native31launch_logcumsumexp_cuda_kernelERKNSB_10TensorBaseESF_lENKUlvE_clEvENKUlvE0_clEvEUlffE_fEEDaPvRmT3_T4_T5_mT6_P12ihipStream_tbENKUlT_T0_E_clISt17integral_constantIbLb0EESV_IbLb1EEEEDaSR_SS_EUlSR_E0_NS1_11comp_targetILNS1_3genE10ELNS1_11target_archE1200ELNS1_3gpuE4ELNS1_3repE0EEENS1_30default_config_static_selectorELNS0_4arch9wavefront6targetE0EEEvT1_.private_seg_size, 0
	.set _ZN7rocprim17ROCPRIM_400000_NS6detail17trampoline_kernelINS0_14default_configENS1_20scan_config_selectorIfEEZZNS1_9scan_implILNS1_25lookback_scan_determinismE0ELb0ELb0ES3_PKfPffZZZN2at6native31launch_logcumsumexp_cuda_kernelERKNSB_10TensorBaseESF_lENKUlvE_clEvENKUlvE0_clEvEUlffE_fEEDaPvRmT3_T4_T5_mT6_P12ihipStream_tbENKUlT_T0_E_clISt17integral_constantIbLb0EESV_IbLb1EEEEDaSR_SS_EUlSR_E0_NS1_11comp_targetILNS1_3genE10ELNS1_11target_archE1200ELNS1_3gpuE4ELNS1_3repE0EEENS1_30default_config_static_selectorELNS0_4arch9wavefront6targetE0EEEvT1_.uses_vcc, 0
	.set _ZN7rocprim17ROCPRIM_400000_NS6detail17trampoline_kernelINS0_14default_configENS1_20scan_config_selectorIfEEZZNS1_9scan_implILNS1_25lookback_scan_determinismE0ELb0ELb0ES3_PKfPffZZZN2at6native31launch_logcumsumexp_cuda_kernelERKNSB_10TensorBaseESF_lENKUlvE_clEvENKUlvE0_clEvEUlffE_fEEDaPvRmT3_T4_T5_mT6_P12ihipStream_tbENKUlT_T0_E_clISt17integral_constantIbLb0EESV_IbLb1EEEEDaSR_SS_EUlSR_E0_NS1_11comp_targetILNS1_3genE10ELNS1_11target_archE1200ELNS1_3gpuE4ELNS1_3repE0EEENS1_30default_config_static_selectorELNS0_4arch9wavefront6targetE0EEEvT1_.uses_flat_scratch, 0
	.set _ZN7rocprim17ROCPRIM_400000_NS6detail17trampoline_kernelINS0_14default_configENS1_20scan_config_selectorIfEEZZNS1_9scan_implILNS1_25lookback_scan_determinismE0ELb0ELb0ES3_PKfPffZZZN2at6native31launch_logcumsumexp_cuda_kernelERKNSB_10TensorBaseESF_lENKUlvE_clEvENKUlvE0_clEvEUlffE_fEEDaPvRmT3_T4_T5_mT6_P12ihipStream_tbENKUlT_T0_E_clISt17integral_constantIbLb0EESV_IbLb1EEEEDaSR_SS_EUlSR_E0_NS1_11comp_targetILNS1_3genE10ELNS1_11target_archE1200ELNS1_3gpuE4ELNS1_3repE0EEENS1_30default_config_static_selectorELNS0_4arch9wavefront6targetE0EEEvT1_.has_dyn_sized_stack, 0
	.set _ZN7rocprim17ROCPRIM_400000_NS6detail17trampoline_kernelINS0_14default_configENS1_20scan_config_selectorIfEEZZNS1_9scan_implILNS1_25lookback_scan_determinismE0ELb0ELb0ES3_PKfPffZZZN2at6native31launch_logcumsumexp_cuda_kernelERKNSB_10TensorBaseESF_lENKUlvE_clEvENKUlvE0_clEvEUlffE_fEEDaPvRmT3_T4_T5_mT6_P12ihipStream_tbENKUlT_T0_E_clISt17integral_constantIbLb0EESV_IbLb1EEEEDaSR_SS_EUlSR_E0_NS1_11comp_targetILNS1_3genE10ELNS1_11target_archE1200ELNS1_3gpuE4ELNS1_3repE0EEENS1_30default_config_static_selectorELNS0_4arch9wavefront6targetE0EEEvT1_.has_recursion, 0
	.set _ZN7rocprim17ROCPRIM_400000_NS6detail17trampoline_kernelINS0_14default_configENS1_20scan_config_selectorIfEEZZNS1_9scan_implILNS1_25lookback_scan_determinismE0ELb0ELb0ES3_PKfPffZZZN2at6native31launch_logcumsumexp_cuda_kernelERKNSB_10TensorBaseESF_lENKUlvE_clEvENKUlvE0_clEvEUlffE_fEEDaPvRmT3_T4_T5_mT6_P12ihipStream_tbENKUlT_T0_E_clISt17integral_constantIbLb0EESV_IbLb1EEEEDaSR_SS_EUlSR_E0_NS1_11comp_targetILNS1_3genE10ELNS1_11target_archE1200ELNS1_3gpuE4ELNS1_3repE0EEENS1_30default_config_static_selectorELNS0_4arch9wavefront6targetE0EEEvT1_.has_indirect_call, 0
	.section	.AMDGPU.csdata,"",@progbits
; Kernel info:
; codeLenInByte = 0
; TotalNumSgprs: 0
; NumVgprs: 0
; ScratchSize: 0
; MemoryBound: 0
; FloatMode: 240
; IeeeMode: 1
; LDSByteSize: 0 bytes/workgroup (compile time only)
; SGPRBlocks: 0
; VGPRBlocks: 0
; NumSGPRsForWavesPerEU: 1
; NumVGPRsForWavesPerEU: 1
; Occupancy: 16
; WaveLimiterHint : 0
; COMPUTE_PGM_RSRC2:SCRATCH_EN: 0
; COMPUTE_PGM_RSRC2:USER_SGPR: 2
; COMPUTE_PGM_RSRC2:TRAP_HANDLER: 0
; COMPUTE_PGM_RSRC2:TGID_X_EN: 1
; COMPUTE_PGM_RSRC2:TGID_Y_EN: 0
; COMPUTE_PGM_RSRC2:TGID_Z_EN: 0
; COMPUTE_PGM_RSRC2:TIDIG_COMP_CNT: 0
	.section	.text._ZN7rocprim17ROCPRIM_400000_NS6detail17trampoline_kernelINS0_14default_configENS1_20scan_config_selectorIfEEZZNS1_9scan_implILNS1_25lookback_scan_determinismE0ELb0ELb0ES3_PKfPffZZZN2at6native31launch_logcumsumexp_cuda_kernelERKNSB_10TensorBaseESF_lENKUlvE_clEvENKUlvE0_clEvEUlffE_fEEDaPvRmT3_T4_T5_mT6_P12ihipStream_tbENKUlT_T0_E_clISt17integral_constantIbLb0EESV_IbLb1EEEEDaSR_SS_EUlSR_E0_NS1_11comp_targetILNS1_3genE9ELNS1_11target_archE1100ELNS1_3gpuE3ELNS1_3repE0EEENS1_30default_config_static_selectorELNS0_4arch9wavefront6targetE0EEEvT1_,"axG",@progbits,_ZN7rocprim17ROCPRIM_400000_NS6detail17trampoline_kernelINS0_14default_configENS1_20scan_config_selectorIfEEZZNS1_9scan_implILNS1_25lookback_scan_determinismE0ELb0ELb0ES3_PKfPffZZZN2at6native31launch_logcumsumexp_cuda_kernelERKNSB_10TensorBaseESF_lENKUlvE_clEvENKUlvE0_clEvEUlffE_fEEDaPvRmT3_T4_T5_mT6_P12ihipStream_tbENKUlT_T0_E_clISt17integral_constantIbLb0EESV_IbLb1EEEEDaSR_SS_EUlSR_E0_NS1_11comp_targetILNS1_3genE9ELNS1_11target_archE1100ELNS1_3gpuE3ELNS1_3repE0EEENS1_30default_config_static_selectorELNS0_4arch9wavefront6targetE0EEEvT1_,comdat
	.globl	_ZN7rocprim17ROCPRIM_400000_NS6detail17trampoline_kernelINS0_14default_configENS1_20scan_config_selectorIfEEZZNS1_9scan_implILNS1_25lookback_scan_determinismE0ELb0ELb0ES3_PKfPffZZZN2at6native31launch_logcumsumexp_cuda_kernelERKNSB_10TensorBaseESF_lENKUlvE_clEvENKUlvE0_clEvEUlffE_fEEDaPvRmT3_T4_T5_mT6_P12ihipStream_tbENKUlT_T0_E_clISt17integral_constantIbLb0EESV_IbLb1EEEEDaSR_SS_EUlSR_E0_NS1_11comp_targetILNS1_3genE9ELNS1_11target_archE1100ELNS1_3gpuE3ELNS1_3repE0EEENS1_30default_config_static_selectorELNS0_4arch9wavefront6targetE0EEEvT1_ ; -- Begin function _ZN7rocprim17ROCPRIM_400000_NS6detail17trampoline_kernelINS0_14default_configENS1_20scan_config_selectorIfEEZZNS1_9scan_implILNS1_25lookback_scan_determinismE0ELb0ELb0ES3_PKfPffZZZN2at6native31launch_logcumsumexp_cuda_kernelERKNSB_10TensorBaseESF_lENKUlvE_clEvENKUlvE0_clEvEUlffE_fEEDaPvRmT3_T4_T5_mT6_P12ihipStream_tbENKUlT_T0_E_clISt17integral_constantIbLb0EESV_IbLb1EEEEDaSR_SS_EUlSR_E0_NS1_11comp_targetILNS1_3genE9ELNS1_11target_archE1100ELNS1_3gpuE3ELNS1_3repE0EEENS1_30default_config_static_selectorELNS0_4arch9wavefront6targetE0EEEvT1_
	.p2align	8
	.type	_ZN7rocprim17ROCPRIM_400000_NS6detail17trampoline_kernelINS0_14default_configENS1_20scan_config_selectorIfEEZZNS1_9scan_implILNS1_25lookback_scan_determinismE0ELb0ELb0ES3_PKfPffZZZN2at6native31launch_logcumsumexp_cuda_kernelERKNSB_10TensorBaseESF_lENKUlvE_clEvENKUlvE0_clEvEUlffE_fEEDaPvRmT3_T4_T5_mT6_P12ihipStream_tbENKUlT_T0_E_clISt17integral_constantIbLb0EESV_IbLb1EEEEDaSR_SS_EUlSR_E0_NS1_11comp_targetILNS1_3genE9ELNS1_11target_archE1100ELNS1_3gpuE3ELNS1_3repE0EEENS1_30default_config_static_selectorELNS0_4arch9wavefront6targetE0EEEvT1_,@function
_ZN7rocprim17ROCPRIM_400000_NS6detail17trampoline_kernelINS0_14default_configENS1_20scan_config_selectorIfEEZZNS1_9scan_implILNS1_25lookback_scan_determinismE0ELb0ELb0ES3_PKfPffZZZN2at6native31launch_logcumsumexp_cuda_kernelERKNSB_10TensorBaseESF_lENKUlvE_clEvENKUlvE0_clEvEUlffE_fEEDaPvRmT3_T4_T5_mT6_P12ihipStream_tbENKUlT_T0_E_clISt17integral_constantIbLb0EESV_IbLb1EEEEDaSR_SS_EUlSR_E0_NS1_11comp_targetILNS1_3genE9ELNS1_11target_archE1100ELNS1_3gpuE3ELNS1_3repE0EEENS1_30default_config_static_selectorELNS0_4arch9wavefront6targetE0EEEvT1_: ; @_ZN7rocprim17ROCPRIM_400000_NS6detail17trampoline_kernelINS0_14default_configENS1_20scan_config_selectorIfEEZZNS1_9scan_implILNS1_25lookback_scan_determinismE0ELb0ELb0ES3_PKfPffZZZN2at6native31launch_logcumsumexp_cuda_kernelERKNSB_10TensorBaseESF_lENKUlvE_clEvENKUlvE0_clEvEUlffE_fEEDaPvRmT3_T4_T5_mT6_P12ihipStream_tbENKUlT_T0_E_clISt17integral_constantIbLb0EESV_IbLb1EEEEDaSR_SS_EUlSR_E0_NS1_11comp_targetILNS1_3genE9ELNS1_11target_archE1100ELNS1_3gpuE3ELNS1_3repE0EEENS1_30default_config_static_selectorELNS0_4arch9wavefront6targetE0EEEvT1_
; %bb.0:
	.section	.rodata,"a",@progbits
	.p2align	6, 0x0
	.amdhsa_kernel _ZN7rocprim17ROCPRIM_400000_NS6detail17trampoline_kernelINS0_14default_configENS1_20scan_config_selectorIfEEZZNS1_9scan_implILNS1_25lookback_scan_determinismE0ELb0ELb0ES3_PKfPffZZZN2at6native31launch_logcumsumexp_cuda_kernelERKNSB_10TensorBaseESF_lENKUlvE_clEvENKUlvE0_clEvEUlffE_fEEDaPvRmT3_T4_T5_mT6_P12ihipStream_tbENKUlT_T0_E_clISt17integral_constantIbLb0EESV_IbLb1EEEEDaSR_SS_EUlSR_E0_NS1_11comp_targetILNS1_3genE9ELNS1_11target_archE1100ELNS1_3gpuE3ELNS1_3repE0EEENS1_30default_config_static_selectorELNS0_4arch9wavefront6targetE0EEEvT1_
		.amdhsa_group_segment_fixed_size 0
		.amdhsa_private_segment_fixed_size 0
		.amdhsa_kernarg_size 32
		.amdhsa_user_sgpr_count 2
		.amdhsa_user_sgpr_dispatch_ptr 0
		.amdhsa_user_sgpr_queue_ptr 0
		.amdhsa_user_sgpr_kernarg_segment_ptr 1
		.amdhsa_user_sgpr_dispatch_id 0
		.amdhsa_user_sgpr_private_segment_size 0
		.amdhsa_wavefront_size32 1
		.amdhsa_uses_dynamic_stack 0
		.amdhsa_enable_private_segment 0
		.amdhsa_system_sgpr_workgroup_id_x 1
		.amdhsa_system_sgpr_workgroup_id_y 0
		.amdhsa_system_sgpr_workgroup_id_z 0
		.amdhsa_system_sgpr_workgroup_info 0
		.amdhsa_system_vgpr_workitem_id 0
		.amdhsa_next_free_vgpr 1
		.amdhsa_next_free_sgpr 1
		.amdhsa_reserve_vcc 0
		.amdhsa_float_round_mode_32 0
		.amdhsa_float_round_mode_16_64 0
		.amdhsa_float_denorm_mode_32 3
		.amdhsa_float_denorm_mode_16_64 3
		.amdhsa_fp16_overflow 0
		.amdhsa_workgroup_processor_mode 1
		.amdhsa_memory_ordered 1
		.amdhsa_forward_progress 1
		.amdhsa_inst_pref_size 0
		.amdhsa_round_robin_scheduling 0
		.amdhsa_exception_fp_ieee_invalid_op 0
		.amdhsa_exception_fp_denorm_src 0
		.amdhsa_exception_fp_ieee_div_zero 0
		.amdhsa_exception_fp_ieee_overflow 0
		.amdhsa_exception_fp_ieee_underflow 0
		.amdhsa_exception_fp_ieee_inexact 0
		.amdhsa_exception_int_div_zero 0
	.end_amdhsa_kernel
	.section	.text._ZN7rocprim17ROCPRIM_400000_NS6detail17trampoline_kernelINS0_14default_configENS1_20scan_config_selectorIfEEZZNS1_9scan_implILNS1_25lookback_scan_determinismE0ELb0ELb0ES3_PKfPffZZZN2at6native31launch_logcumsumexp_cuda_kernelERKNSB_10TensorBaseESF_lENKUlvE_clEvENKUlvE0_clEvEUlffE_fEEDaPvRmT3_T4_T5_mT6_P12ihipStream_tbENKUlT_T0_E_clISt17integral_constantIbLb0EESV_IbLb1EEEEDaSR_SS_EUlSR_E0_NS1_11comp_targetILNS1_3genE9ELNS1_11target_archE1100ELNS1_3gpuE3ELNS1_3repE0EEENS1_30default_config_static_selectorELNS0_4arch9wavefront6targetE0EEEvT1_,"axG",@progbits,_ZN7rocprim17ROCPRIM_400000_NS6detail17trampoline_kernelINS0_14default_configENS1_20scan_config_selectorIfEEZZNS1_9scan_implILNS1_25lookback_scan_determinismE0ELb0ELb0ES3_PKfPffZZZN2at6native31launch_logcumsumexp_cuda_kernelERKNSB_10TensorBaseESF_lENKUlvE_clEvENKUlvE0_clEvEUlffE_fEEDaPvRmT3_T4_T5_mT6_P12ihipStream_tbENKUlT_T0_E_clISt17integral_constantIbLb0EESV_IbLb1EEEEDaSR_SS_EUlSR_E0_NS1_11comp_targetILNS1_3genE9ELNS1_11target_archE1100ELNS1_3gpuE3ELNS1_3repE0EEENS1_30default_config_static_selectorELNS0_4arch9wavefront6targetE0EEEvT1_,comdat
.Lfunc_end169:
	.size	_ZN7rocprim17ROCPRIM_400000_NS6detail17trampoline_kernelINS0_14default_configENS1_20scan_config_selectorIfEEZZNS1_9scan_implILNS1_25lookback_scan_determinismE0ELb0ELb0ES3_PKfPffZZZN2at6native31launch_logcumsumexp_cuda_kernelERKNSB_10TensorBaseESF_lENKUlvE_clEvENKUlvE0_clEvEUlffE_fEEDaPvRmT3_T4_T5_mT6_P12ihipStream_tbENKUlT_T0_E_clISt17integral_constantIbLb0EESV_IbLb1EEEEDaSR_SS_EUlSR_E0_NS1_11comp_targetILNS1_3genE9ELNS1_11target_archE1100ELNS1_3gpuE3ELNS1_3repE0EEENS1_30default_config_static_selectorELNS0_4arch9wavefront6targetE0EEEvT1_, .Lfunc_end169-_ZN7rocprim17ROCPRIM_400000_NS6detail17trampoline_kernelINS0_14default_configENS1_20scan_config_selectorIfEEZZNS1_9scan_implILNS1_25lookback_scan_determinismE0ELb0ELb0ES3_PKfPffZZZN2at6native31launch_logcumsumexp_cuda_kernelERKNSB_10TensorBaseESF_lENKUlvE_clEvENKUlvE0_clEvEUlffE_fEEDaPvRmT3_T4_T5_mT6_P12ihipStream_tbENKUlT_T0_E_clISt17integral_constantIbLb0EESV_IbLb1EEEEDaSR_SS_EUlSR_E0_NS1_11comp_targetILNS1_3genE9ELNS1_11target_archE1100ELNS1_3gpuE3ELNS1_3repE0EEENS1_30default_config_static_selectorELNS0_4arch9wavefront6targetE0EEEvT1_
                                        ; -- End function
	.set _ZN7rocprim17ROCPRIM_400000_NS6detail17trampoline_kernelINS0_14default_configENS1_20scan_config_selectorIfEEZZNS1_9scan_implILNS1_25lookback_scan_determinismE0ELb0ELb0ES3_PKfPffZZZN2at6native31launch_logcumsumexp_cuda_kernelERKNSB_10TensorBaseESF_lENKUlvE_clEvENKUlvE0_clEvEUlffE_fEEDaPvRmT3_T4_T5_mT6_P12ihipStream_tbENKUlT_T0_E_clISt17integral_constantIbLb0EESV_IbLb1EEEEDaSR_SS_EUlSR_E0_NS1_11comp_targetILNS1_3genE9ELNS1_11target_archE1100ELNS1_3gpuE3ELNS1_3repE0EEENS1_30default_config_static_selectorELNS0_4arch9wavefront6targetE0EEEvT1_.num_vgpr, 0
	.set _ZN7rocprim17ROCPRIM_400000_NS6detail17trampoline_kernelINS0_14default_configENS1_20scan_config_selectorIfEEZZNS1_9scan_implILNS1_25lookback_scan_determinismE0ELb0ELb0ES3_PKfPffZZZN2at6native31launch_logcumsumexp_cuda_kernelERKNSB_10TensorBaseESF_lENKUlvE_clEvENKUlvE0_clEvEUlffE_fEEDaPvRmT3_T4_T5_mT6_P12ihipStream_tbENKUlT_T0_E_clISt17integral_constantIbLb0EESV_IbLb1EEEEDaSR_SS_EUlSR_E0_NS1_11comp_targetILNS1_3genE9ELNS1_11target_archE1100ELNS1_3gpuE3ELNS1_3repE0EEENS1_30default_config_static_selectorELNS0_4arch9wavefront6targetE0EEEvT1_.num_agpr, 0
	.set _ZN7rocprim17ROCPRIM_400000_NS6detail17trampoline_kernelINS0_14default_configENS1_20scan_config_selectorIfEEZZNS1_9scan_implILNS1_25lookback_scan_determinismE0ELb0ELb0ES3_PKfPffZZZN2at6native31launch_logcumsumexp_cuda_kernelERKNSB_10TensorBaseESF_lENKUlvE_clEvENKUlvE0_clEvEUlffE_fEEDaPvRmT3_T4_T5_mT6_P12ihipStream_tbENKUlT_T0_E_clISt17integral_constantIbLb0EESV_IbLb1EEEEDaSR_SS_EUlSR_E0_NS1_11comp_targetILNS1_3genE9ELNS1_11target_archE1100ELNS1_3gpuE3ELNS1_3repE0EEENS1_30default_config_static_selectorELNS0_4arch9wavefront6targetE0EEEvT1_.numbered_sgpr, 0
	.set _ZN7rocprim17ROCPRIM_400000_NS6detail17trampoline_kernelINS0_14default_configENS1_20scan_config_selectorIfEEZZNS1_9scan_implILNS1_25lookback_scan_determinismE0ELb0ELb0ES3_PKfPffZZZN2at6native31launch_logcumsumexp_cuda_kernelERKNSB_10TensorBaseESF_lENKUlvE_clEvENKUlvE0_clEvEUlffE_fEEDaPvRmT3_T4_T5_mT6_P12ihipStream_tbENKUlT_T0_E_clISt17integral_constantIbLb0EESV_IbLb1EEEEDaSR_SS_EUlSR_E0_NS1_11comp_targetILNS1_3genE9ELNS1_11target_archE1100ELNS1_3gpuE3ELNS1_3repE0EEENS1_30default_config_static_selectorELNS0_4arch9wavefront6targetE0EEEvT1_.num_named_barrier, 0
	.set _ZN7rocprim17ROCPRIM_400000_NS6detail17trampoline_kernelINS0_14default_configENS1_20scan_config_selectorIfEEZZNS1_9scan_implILNS1_25lookback_scan_determinismE0ELb0ELb0ES3_PKfPffZZZN2at6native31launch_logcumsumexp_cuda_kernelERKNSB_10TensorBaseESF_lENKUlvE_clEvENKUlvE0_clEvEUlffE_fEEDaPvRmT3_T4_T5_mT6_P12ihipStream_tbENKUlT_T0_E_clISt17integral_constantIbLb0EESV_IbLb1EEEEDaSR_SS_EUlSR_E0_NS1_11comp_targetILNS1_3genE9ELNS1_11target_archE1100ELNS1_3gpuE3ELNS1_3repE0EEENS1_30default_config_static_selectorELNS0_4arch9wavefront6targetE0EEEvT1_.private_seg_size, 0
	.set _ZN7rocprim17ROCPRIM_400000_NS6detail17trampoline_kernelINS0_14default_configENS1_20scan_config_selectorIfEEZZNS1_9scan_implILNS1_25lookback_scan_determinismE0ELb0ELb0ES3_PKfPffZZZN2at6native31launch_logcumsumexp_cuda_kernelERKNSB_10TensorBaseESF_lENKUlvE_clEvENKUlvE0_clEvEUlffE_fEEDaPvRmT3_T4_T5_mT6_P12ihipStream_tbENKUlT_T0_E_clISt17integral_constantIbLb0EESV_IbLb1EEEEDaSR_SS_EUlSR_E0_NS1_11comp_targetILNS1_3genE9ELNS1_11target_archE1100ELNS1_3gpuE3ELNS1_3repE0EEENS1_30default_config_static_selectorELNS0_4arch9wavefront6targetE0EEEvT1_.uses_vcc, 0
	.set _ZN7rocprim17ROCPRIM_400000_NS6detail17trampoline_kernelINS0_14default_configENS1_20scan_config_selectorIfEEZZNS1_9scan_implILNS1_25lookback_scan_determinismE0ELb0ELb0ES3_PKfPffZZZN2at6native31launch_logcumsumexp_cuda_kernelERKNSB_10TensorBaseESF_lENKUlvE_clEvENKUlvE0_clEvEUlffE_fEEDaPvRmT3_T4_T5_mT6_P12ihipStream_tbENKUlT_T0_E_clISt17integral_constantIbLb0EESV_IbLb1EEEEDaSR_SS_EUlSR_E0_NS1_11comp_targetILNS1_3genE9ELNS1_11target_archE1100ELNS1_3gpuE3ELNS1_3repE0EEENS1_30default_config_static_selectorELNS0_4arch9wavefront6targetE0EEEvT1_.uses_flat_scratch, 0
	.set _ZN7rocprim17ROCPRIM_400000_NS6detail17trampoline_kernelINS0_14default_configENS1_20scan_config_selectorIfEEZZNS1_9scan_implILNS1_25lookback_scan_determinismE0ELb0ELb0ES3_PKfPffZZZN2at6native31launch_logcumsumexp_cuda_kernelERKNSB_10TensorBaseESF_lENKUlvE_clEvENKUlvE0_clEvEUlffE_fEEDaPvRmT3_T4_T5_mT6_P12ihipStream_tbENKUlT_T0_E_clISt17integral_constantIbLb0EESV_IbLb1EEEEDaSR_SS_EUlSR_E0_NS1_11comp_targetILNS1_3genE9ELNS1_11target_archE1100ELNS1_3gpuE3ELNS1_3repE0EEENS1_30default_config_static_selectorELNS0_4arch9wavefront6targetE0EEEvT1_.has_dyn_sized_stack, 0
	.set _ZN7rocprim17ROCPRIM_400000_NS6detail17trampoline_kernelINS0_14default_configENS1_20scan_config_selectorIfEEZZNS1_9scan_implILNS1_25lookback_scan_determinismE0ELb0ELb0ES3_PKfPffZZZN2at6native31launch_logcumsumexp_cuda_kernelERKNSB_10TensorBaseESF_lENKUlvE_clEvENKUlvE0_clEvEUlffE_fEEDaPvRmT3_T4_T5_mT6_P12ihipStream_tbENKUlT_T0_E_clISt17integral_constantIbLb0EESV_IbLb1EEEEDaSR_SS_EUlSR_E0_NS1_11comp_targetILNS1_3genE9ELNS1_11target_archE1100ELNS1_3gpuE3ELNS1_3repE0EEENS1_30default_config_static_selectorELNS0_4arch9wavefront6targetE0EEEvT1_.has_recursion, 0
	.set _ZN7rocprim17ROCPRIM_400000_NS6detail17trampoline_kernelINS0_14default_configENS1_20scan_config_selectorIfEEZZNS1_9scan_implILNS1_25lookback_scan_determinismE0ELb0ELb0ES3_PKfPffZZZN2at6native31launch_logcumsumexp_cuda_kernelERKNSB_10TensorBaseESF_lENKUlvE_clEvENKUlvE0_clEvEUlffE_fEEDaPvRmT3_T4_T5_mT6_P12ihipStream_tbENKUlT_T0_E_clISt17integral_constantIbLb0EESV_IbLb1EEEEDaSR_SS_EUlSR_E0_NS1_11comp_targetILNS1_3genE9ELNS1_11target_archE1100ELNS1_3gpuE3ELNS1_3repE0EEENS1_30default_config_static_selectorELNS0_4arch9wavefront6targetE0EEEvT1_.has_indirect_call, 0
	.section	.AMDGPU.csdata,"",@progbits
; Kernel info:
; codeLenInByte = 0
; TotalNumSgprs: 0
; NumVgprs: 0
; ScratchSize: 0
; MemoryBound: 0
; FloatMode: 240
; IeeeMode: 1
; LDSByteSize: 0 bytes/workgroup (compile time only)
; SGPRBlocks: 0
; VGPRBlocks: 0
; NumSGPRsForWavesPerEU: 1
; NumVGPRsForWavesPerEU: 1
; Occupancy: 16
; WaveLimiterHint : 0
; COMPUTE_PGM_RSRC2:SCRATCH_EN: 0
; COMPUTE_PGM_RSRC2:USER_SGPR: 2
; COMPUTE_PGM_RSRC2:TRAP_HANDLER: 0
; COMPUTE_PGM_RSRC2:TGID_X_EN: 1
; COMPUTE_PGM_RSRC2:TGID_Y_EN: 0
; COMPUTE_PGM_RSRC2:TGID_Z_EN: 0
; COMPUTE_PGM_RSRC2:TIDIG_COMP_CNT: 0
	.section	.text._ZN7rocprim17ROCPRIM_400000_NS6detail17trampoline_kernelINS0_14default_configENS1_20scan_config_selectorIfEEZZNS1_9scan_implILNS1_25lookback_scan_determinismE0ELb0ELb0ES3_PKfPffZZZN2at6native31launch_logcumsumexp_cuda_kernelERKNSB_10TensorBaseESF_lENKUlvE_clEvENKUlvE0_clEvEUlffE_fEEDaPvRmT3_T4_T5_mT6_P12ihipStream_tbENKUlT_T0_E_clISt17integral_constantIbLb0EESV_IbLb1EEEEDaSR_SS_EUlSR_E0_NS1_11comp_targetILNS1_3genE8ELNS1_11target_archE1030ELNS1_3gpuE2ELNS1_3repE0EEENS1_30default_config_static_selectorELNS0_4arch9wavefront6targetE0EEEvT1_,"axG",@progbits,_ZN7rocprim17ROCPRIM_400000_NS6detail17trampoline_kernelINS0_14default_configENS1_20scan_config_selectorIfEEZZNS1_9scan_implILNS1_25lookback_scan_determinismE0ELb0ELb0ES3_PKfPffZZZN2at6native31launch_logcumsumexp_cuda_kernelERKNSB_10TensorBaseESF_lENKUlvE_clEvENKUlvE0_clEvEUlffE_fEEDaPvRmT3_T4_T5_mT6_P12ihipStream_tbENKUlT_T0_E_clISt17integral_constantIbLb0EESV_IbLb1EEEEDaSR_SS_EUlSR_E0_NS1_11comp_targetILNS1_3genE8ELNS1_11target_archE1030ELNS1_3gpuE2ELNS1_3repE0EEENS1_30default_config_static_selectorELNS0_4arch9wavefront6targetE0EEEvT1_,comdat
	.globl	_ZN7rocprim17ROCPRIM_400000_NS6detail17trampoline_kernelINS0_14default_configENS1_20scan_config_selectorIfEEZZNS1_9scan_implILNS1_25lookback_scan_determinismE0ELb0ELb0ES3_PKfPffZZZN2at6native31launch_logcumsumexp_cuda_kernelERKNSB_10TensorBaseESF_lENKUlvE_clEvENKUlvE0_clEvEUlffE_fEEDaPvRmT3_T4_T5_mT6_P12ihipStream_tbENKUlT_T0_E_clISt17integral_constantIbLb0EESV_IbLb1EEEEDaSR_SS_EUlSR_E0_NS1_11comp_targetILNS1_3genE8ELNS1_11target_archE1030ELNS1_3gpuE2ELNS1_3repE0EEENS1_30default_config_static_selectorELNS0_4arch9wavefront6targetE0EEEvT1_ ; -- Begin function _ZN7rocprim17ROCPRIM_400000_NS6detail17trampoline_kernelINS0_14default_configENS1_20scan_config_selectorIfEEZZNS1_9scan_implILNS1_25lookback_scan_determinismE0ELb0ELb0ES3_PKfPffZZZN2at6native31launch_logcumsumexp_cuda_kernelERKNSB_10TensorBaseESF_lENKUlvE_clEvENKUlvE0_clEvEUlffE_fEEDaPvRmT3_T4_T5_mT6_P12ihipStream_tbENKUlT_T0_E_clISt17integral_constantIbLb0EESV_IbLb1EEEEDaSR_SS_EUlSR_E0_NS1_11comp_targetILNS1_3genE8ELNS1_11target_archE1030ELNS1_3gpuE2ELNS1_3repE0EEENS1_30default_config_static_selectorELNS0_4arch9wavefront6targetE0EEEvT1_
	.p2align	8
	.type	_ZN7rocprim17ROCPRIM_400000_NS6detail17trampoline_kernelINS0_14default_configENS1_20scan_config_selectorIfEEZZNS1_9scan_implILNS1_25lookback_scan_determinismE0ELb0ELb0ES3_PKfPffZZZN2at6native31launch_logcumsumexp_cuda_kernelERKNSB_10TensorBaseESF_lENKUlvE_clEvENKUlvE0_clEvEUlffE_fEEDaPvRmT3_T4_T5_mT6_P12ihipStream_tbENKUlT_T0_E_clISt17integral_constantIbLb0EESV_IbLb1EEEEDaSR_SS_EUlSR_E0_NS1_11comp_targetILNS1_3genE8ELNS1_11target_archE1030ELNS1_3gpuE2ELNS1_3repE0EEENS1_30default_config_static_selectorELNS0_4arch9wavefront6targetE0EEEvT1_,@function
_ZN7rocprim17ROCPRIM_400000_NS6detail17trampoline_kernelINS0_14default_configENS1_20scan_config_selectorIfEEZZNS1_9scan_implILNS1_25lookback_scan_determinismE0ELb0ELb0ES3_PKfPffZZZN2at6native31launch_logcumsumexp_cuda_kernelERKNSB_10TensorBaseESF_lENKUlvE_clEvENKUlvE0_clEvEUlffE_fEEDaPvRmT3_T4_T5_mT6_P12ihipStream_tbENKUlT_T0_E_clISt17integral_constantIbLb0EESV_IbLb1EEEEDaSR_SS_EUlSR_E0_NS1_11comp_targetILNS1_3genE8ELNS1_11target_archE1030ELNS1_3gpuE2ELNS1_3repE0EEENS1_30default_config_static_selectorELNS0_4arch9wavefront6targetE0EEEvT1_: ; @_ZN7rocprim17ROCPRIM_400000_NS6detail17trampoline_kernelINS0_14default_configENS1_20scan_config_selectorIfEEZZNS1_9scan_implILNS1_25lookback_scan_determinismE0ELb0ELb0ES3_PKfPffZZZN2at6native31launch_logcumsumexp_cuda_kernelERKNSB_10TensorBaseESF_lENKUlvE_clEvENKUlvE0_clEvEUlffE_fEEDaPvRmT3_T4_T5_mT6_P12ihipStream_tbENKUlT_T0_E_clISt17integral_constantIbLb0EESV_IbLb1EEEEDaSR_SS_EUlSR_E0_NS1_11comp_targetILNS1_3genE8ELNS1_11target_archE1030ELNS1_3gpuE2ELNS1_3repE0EEENS1_30default_config_static_selectorELNS0_4arch9wavefront6targetE0EEEvT1_
; %bb.0:
	.section	.rodata,"a",@progbits
	.p2align	6, 0x0
	.amdhsa_kernel _ZN7rocprim17ROCPRIM_400000_NS6detail17trampoline_kernelINS0_14default_configENS1_20scan_config_selectorIfEEZZNS1_9scan_implILNS1_25lookback_scan_determinismE0ELb0ELb0ES3_PKfPffZZZN2at6native31launch_logcumsumexp_cuda_kernelERKNSB_10TensorBaseESF_lENKUlvE_clEvENKUlvE0_clEvEUlffE_fEEDaPvRmT3_T4_T5_mT6_P12ihipStream_tbENKUlT_T0_E_clISt17integral_constantIbLb0EESV_IbLb1EEEEDaSR_SS_EUlSR_E0_NS1_11comp_targetILNS1_3genE8ELNS1_11target_archE1030ELNS1_3gpuE2ELNS1_3repE0EEENS1_30default_config_static_selectorELNS0_4arch9wavefront6targetE0EEEvT1_
		.amdhsa_group_segment_fixed_size 0
		.amdhsa_private_segment_fixed_size 0
		.amdhsa_kernarg_size 32
		.amdhsa_user_sgpr_count 2
		.amdhsa_user_sgpr_dispatch_ptr 0
		.amdhsa_user_sgpr_queue_ptr 0
		.amdhsa_user_sgpr_kernarg_segment_ptr 1
		.amdhsa_user_sgpr_dispatch_id 0
		.amdhsa_user_sgpr_private_segment_size 0
		.amdhsa_wavefront_size32 1
		.amdhsa_uses_dynamic_stack 0
		.amdhsa_enable_private_segment 0
		.amdhsa_system_sgpr_workgroup_id_x 1
		.amdhsa_system_sgpr_workgroup_id_y 0
		.amdhsa_system_sgpr_workgroup_id_z 0
		.amdhsa_system_sgpr_workgroup_info 0
		.amdhsa_system_vgpr_workitem_id 0
		.amdhsa_next_free_vgpr 1
		.amdhsa_next_free_sgpr 1
		.amdhsa_reserve_vcc 0
		.amdhsa_float_round_mode_32 0
		.amdhsa_float_round_mode_16_64 0
		.amdhsa_float_denorm_mode_32 3
		.amdhsa_float_denorm_mode_16_64 3
		.amdhsa_fp16_overflow 0
		.amdhsa_workgroup_processor_mode 1
		.amdhsa_memory_ordered 1
		.amdhsa_forward_progress 1
		.amdhsa_inst_pref_size 0
		.amdhsa_round_robin_scheduling 0
		.amdhsa_exception_fp_ieee_invalid_op 0
		.amdhsa_exception_fp_denorm_src 0
		.amdhsa_exception_fp_ieee_div_zero 0
		.amdhsa_exception_fp_ieee_overflow 0
		.amdhsa_exception_fp_ieee_underflow 0
		.amdhsa_exception_fp_ieee_inexact 0
		.amdhsa_exception_int_div_zero 0
	.end_amdhsa_kernel
	.section	.text._ZN7rocprim17ROCPRIM_400000_NS6detail17trampoline_kernelINS0_14default_configENS1_20scan_config_selectorIfEEZZNS1_9scan_implILNS1_25lookback_scan_determinismE0ELb0ELb0ES3_PKfPffZZZN2at6native31launch_logcumsumexp_cuda_kernelERKNSB_10TensorBaseESF_lENKUlvE_clEvENKUlvE0_clEvEUlffE_fEEDaPvRmT3_T4_T5_mT6_P12ihipStream_tbENKUlT_T0_E_clISt17integral_constantIbLb0EESV_IbLb1EEEEDaSR_SS_EUlSR_E0_NS1_11comp_targetILNS1_3genE8ELNS1_11target_archE1030ELNS1_3gpuE2ELNS1_3repE0EEENS1_30default_config_static_selectorELNS0_4arch9wavefront6targetE0EEEvT1_,"axG",@progbits,_ZN7rocprim17ROCPRIM_400000_NS6detail17trampoline_kernelINS0_14default_configENS1_20scan_config_selectorIfEEZZNS1_9scan_implILNS1_25lookback_scan_determinismE0ELb0ELb0ES3_PKfPffZZZN2at6native31launch_logcumsumexp_cuda_kernelERKNSB_10TensorBaseESF_lENKUlvE_clEvENKUlvE0_clEvEUlffE_fEEDaPvRmT3_T4_T5_mT6_P12ihipStream_tbENKUlT_T0_E_clISt17integral_constantIbLb0EESV_IbLb1EEEEDaSR_SS_EUlSR_E0_NS1_11comp_targetILNS1_3genE8ELNS1_11target_archE1030ELNS1_3gpuE2ELNS1_3repE0EEENS1_30default_config_static_selectorELNS0_4arch9wavefront6targetE0EEEvT1_,comdat
.Lfunc_end170:
	.size	_ZN7rocprim17ROCPRIM_400000_NS6detail17trampoline_kernelINS0_14default_configENS1_20scan_config_selectorIfEEZZNS1_9scan_implILNS1_25lookback_scan_determinismE0ELb0ELb0ES3_PKfPffZZZN2at6native31launch_logcumsumexp_cuda_kernelERKNSB_10TensorBaseESF_lENKUlvE_clEvENKUlvE0_clEvEUlffE_fEEDaPvRmT3_T4_T5_mT6_P12ihipStream_tbENKUlT_T0_E_clISt17integral_constantIbLb0EESV_IbLb1EEEEDaSR_SS_EUlSR_E0_NS1_11comp_targetILNS1_3genE8ELNS1_11target_archE1030ELNS1_3gpuE2ELNS1_3repE0EEENS1_30default_config_static_selectorELNS0_4arch9wavefront6targetE0EEEvT1_, .Lfunc_end170-_ZN7rocprim17ROCPRIM_400000_NS6detail17trampoline_kernelINS0_14default_configENS1_20scan_config_selectorIfEEZZNS1_9scan_implILNS1_25lookback_scan_determinismE0ELb0ELb0ES3_PKfPffZZZN2at6native31launch_logcumsumexp_cuda_kernelERKNSB_10TensorBaseESF_lENKUlvE_clEvENKUlvE0_clEvEUlffE_fEEDaPvRmT3_T4_T5_mT6_P12ihipStream_tbENKUlT_T0_E_clISt17integral_constantIbLb0EESV_IbLb1EEEEDaSR_SS_EUlSR_E0_NS1_11comp_targetILNS1_3genE8ELNS1_11target_archE1030ELNS1_3gpuE2ELNS1_3repE0EEENS1_30default_config_static_selectorELNS0_4arch9wavefront6targetE0EEEvT1_
                                        ; -- End function
	.set _ZN7rocprim17ROCPRIM_400000_NS6detail17trampoline_kernelINS0_14default_configENS1_20scan_config_selectorIfEEZZNS1_9scan_implILNS1_25lookback_scan_determinismE0ELb0ELb0ES3_PKfPffZZZN2at6native31launch_logcumsumexp_cuda_kernelERKNSB_10TensorBaseESF_lENKUlvE_clEvENKUlvE0_clEvEUlffE_fEEDaPvRmT3_T4_T5_mT6_P12ihipStream_tbENKUlT_T0_E_clISt17integral_constantIbLb0EESV_IbLb1EEEEDaSR_SS_EUlSR_E0_NS1_11comp_targetILNS1_3genE8ELNS1_11target_archE1030ELNS1_3gpuE2ELNS1_3repE0EEENS1_30default_config_static_selectorELNS0_4arch9wavefront6targetE0EEEvT1_.num_vgpr, 0
	.set _ZN7rocprim17ROCPRIM_400000_NS6detail17trampoline_kernelINS0_14default_configENS1_20scan_config_selectorIfEEZZNS1_9scan_implILNS1_25lookback_scan_determinismE0ELb0ELb0ES3_PKfPffZZZN2at6native31launch_logcumsumexp_cuda_kernelERKNSB_10TensorBaseESF_lENKUlvE_clEvENKUlvE0_clEvEUlffE_fEEDaPvRmT3_T4_T5_mT6_P12ihipStream_tbENKUlT_T0_E_clISt17integral_constantIbLb0EESV_IbLb1EEEEDaSR_SS_EUlSR_E0_NS1_11comp_targetILNS1_3genE8ELNS1_11target_archE1030ELNS1_3gpuE2ELNS1_3repE0EEENS1_30default_config_static_selectorELNS0_4arch9wavefront6targetE0EEEvT1_.num_agpr, 0
	.set _ZN7rocprim17ROCPRIM_400000_NS6detail17trampoline_kernelINS0_14default_configENS1_20scan_config_selectorIfEEZZNS1_9scan_implILNS1_25lookback_scan_determinismE0ELb0ELb0ES3_PKfPffZZZN2at6native31launch_logcumsumexp_cuda_kernelERKNSB_10TensorBaseESF_lENKUlvE_clEvENKUlvE0_clEvEUlffE_fEEDaPvRmT3_T4_T5_mT6_P12ihipStream_tbENKUlT_T0_E_clISt17integral_constantIbLb0EESV_IbLb1EEEEDaSR_SS_EUlSR_E0_NS1_11comp_targetILNS1_3genE8ELNS1_11target_archE1030ELNS1_3gpuE2ELNS1_3repE0EEENS1_30default_config_static_selectorELNS0_4arch9wavefront6targetE0EEEvT1_.numbered_sgpr, 0
	.set _ZN7rocprim17ROCPRIM_400000_NS6detail17trampoline_kernelINS0_14default_configENS1_20scan_config_selectorIfEEZZNS1_9scan_implILNS1_25lookback_scan_determinismE0ELb0ELb0ES3_PKfPffZZZN2at6native31launch_logcumsumexp_cuda_kernelERKNSB_10TensorBaseESF_lENKUlvE_clEvENKUlvE0_clEvEUlffE_fEEDaPvRmT3_T4_T5_mT6_P12ihipStream_tbENKUlT_T0_E_clISt17integral_constantIbLb0EESV_IbLb1EEEEDaSR_SS_EUlSR_E0_NS1_11comp_targetILNS1_3genE8ELNS1_11target_archE1030ELNS1_3gpuE2ELNS1_3repE0EEENS1_30default_config_static_selectorELNS0_4arch9wavefront6targetE0EEEvT1_.num_named_barrier, 0
	.set _ZN7rocprim17ROCPRIM_400000_NS6detail17trampoline_kernelINS0_14default_configENS1_20scan_config_selectorIfEEZZNS1_9scan_implILNS1_25lookback_scan_determinismE0ELb0ELb0ES3_PKfPffZZZN2at6native31launch_logcumsumexp_cuda_kernelERKNSB_10TensorBaseESF_lENKUlvE_clEvENKUlvE0_clEvEUlffE_fEEDaPvRmT3_T4_T5_mT6_P12ihipStream_tbENKUlT_T0_E_clISt17integral_constantIbLb0EESV_IbLb1EEEEDaSR_SS_EUlSR_E0_NS1_11comp_targetILNS1_3genE8ELNS1_11target_archE1030ELNS1_3gpuE2ELNS1_3repE0EEENS1_30default_config_static_selectorELNS0_4arch9wavefront6targetE0EEEvT1_.private_seg_size, 0
	.set _ZN7rocprim17ROCPRIM_400000_NS6detail17trampoline_kernelINS0_14default_configENS1_20scan_config_selectorIfEEZZNS1_9scan_implILNS1_25lookback_scan_determinismE0ELb0ELb0ES3_PKfPffZZZN2at6native31launch_logcumsumexp_cuda_kernelERKNSB_10TensorBaseESF_lENKUlvE_clEvENKUlvE0_clEvEUlffE_fEEDaPvRmT3_T4_T5_mT6_P12ihipStream_tbENKUlT_T0_E_clISt17integral_constantIbLb0EESV_IbLb1EEEEDaSR_SS_EUlSR_E0_NS1_11comp_targetILNS1_3genE8ELNS1_11target_archE1030ELNS1_3gpuE2ELNS1_3repE0EEENS1_30default_config_static_selectorELNS0_4arch9wavefront6targetE0EEEvT1_.uses_vcc, 0
	.set _ZN7rocprim17ROCPRIM_400000_NS6detail17trampoline_kernelINS0_14default_configENS1_20scan_config_selectorIfEEZZNS1_9scan_implILNS1_25lookback_scan_determinismE0ELb0ELb0ES3_PKfPffZZZN2at6native31launch_logcumsumexp_cuda_kernelERKNSB_10TensorBaseESF_lENKUlvE_clEvENKUlvE0_clEvEUlffE_fEEDaPvRmT3_T4_T5_mT6_P12ihipStream_tbENKUlT_T0_E_clISt17integral_constantIbLb0EESV_IbLb1EEEEDaSR_SS_EUlSR_E0_NS1_11comp_targetILNS1_3genE8ELNS1_11target_archE1030ELNS1_3gpuE2ELNS1_3repE0EEENS1_30default_config_static_selectorELNS0_4arch9wavefront6targetE0EEEvT1_.uses_flat_scratch, 0
	.set _ZN7rocprim17ROCPRIM_400000_NS6detail17trampoline_kernelINS0_14default_configENS1_20scan_config_selectorIfEEZZNS1_9scan_implILNS1_25lookback_scan_determinismE0ELb0ELb0ES3_PKfPffZZZN2at6native31launch_logcumsumexp_cuda_kernelERKNSB_10TensorBaseESF_lENKUlvE_clEvENKUlvE0_clEvEUlffE_fEEDaPvRmT3_T4_T5_mT6_P12ihipStream_tbENKUlT_T0_E_clISt17integral_constantIbLb0EESV_IbLb1EEEEDaSR_SS_EUlSR_E0_NS1_11comp_targetILNS1_3genE8ELNS1_11target_archE1030ELNS1_3gpuE2ELNS1_3repE0EEENS1_30default_config_static_selectorELNS0_4arch9wavefront6targetE0EEEvT1_.has_dyn_sized_stack, 0
	.set _ZN7rocprim17ROCPRIM_400000_NS6detail17trampoline_kernelINS0_14default_configENS1_20scan_config_selectorIfEEZZNS1_9scan_implILNS1_25lookback_scan_determinismE0ELb0ELb0ES3_PKfPffZZZN2at6native31launch_logcumsumexp_cuda_kernelERKNSB_10TensorBaseESF_lENKUlvE_clEvENKUlvE0_clEvEUlffE_fEEDaPvRmT3_T4_T5_mT6_P12ihipStream_tbENKUlT_T0_E_clISt17integral_constantIbLb0EESV_IbLb1EEEEDaSR_SS_EUlSR_E0_NS1_11comp_targetILNS1_3genE8ELNS1_11target_archE1030ELNS1_3gpuE2ELNS1_3repE0EEENS1_30default_config_static_selectorELNS0_4arch9wavefront6targetE0EEEvT1_.has_recursion, 0
	.set _ZN7rocprim17ROCPRIM_400000_NS6detail17trampoline_kernelINS0_14default_configENS1_20scan_config_selectorIfEEZZNS1_9scan_implILNS1_25lookback_scan_determinismE0ELb0ELb0ES3_PKfPffZZZN2at6native31launch_logcumsumexp_cuda_kernelERKNSB_10TensorBaseESF_lENKUlvE_clEvENKUlvE0_clEvEUlffE_fEEDaPvRmT3_T4_T5_mT6_P12ihipStream_tbENKUlT_T0_E_clISt17integral_constantIbLb0EESV_IbLb1EEEEDaSR_SS_EUlSR_E0_NS1_11comp_targetILNS1_3genE8ELNS1_11target_archE1030ELNS1_3gpuE2ELNS1_3repE0EEENS1_30default_config_static_selectorELNS0_4arch9wavefront6targetE0EEEvT1_.has_indirect_call, 0
	.section	.AMDGPU.csdata,"",@progbits
; Kernel info:
; codeLenInByte = 0
; TotalNumSgprs: 0
; NumVgprs: 0
; ScratchSize: 0
; MemoryBound: 0
; FloatMode: 240
; IeeeMode: 1
; LDSByteSize: 0 bytes/workgroup (compile time only)
; SGPRBlocks: 0
; VGPRBlocks: 0
; NumSGPRsForWavesPerEU: 1
; NumVGPRsForWavesPerEU: 1
; Occupancy: 16
; WaveLimiterHint : 0
; COMPUTE_PGM_RSRC2:SCRATCH_EN: 0
; COMPUTE_PGM_RSRC2:USER_SGPR: 2
; COMPUTE_PGM_RSRC2:TRAP_HANDLER: 0
; COMPUTE_PGM_RSRC2:TGID_X_EN: 1
; COMPUTE_PGM_RSRC2:TGID_Y_EN: 0
; COMPUTE_PGM_RSRC2:TGID_Z_EN: 0
; COMPUTE_PGM_RSRC2:TIDIG_COMP_CNT: 0
	.section	.text._ZN2at6native32tensor_kernel_scan_innermost_dimIfZZZNS0_31launch_logcumsumexp_cuda_kernelERKNS_10TensorBaseES4_lENKUlvE_clEvENKUlvE0_clEvEUlffE_EEvPT_PKS8_jjjS8_T0_,"axG",@progbits,_ZN2at6native32tensor_kernel_scan_innermost_dimIfZZZNS0_31launch_logcumsumexp_cuda_kernelERKNS_10TensorBaseES4_lENKUlvE_clEvENKUlvE0_clEvEUlffE_EEvPT_PKS8_jjjS8_T0_,comdat
	.globl	_ZN2at6native32tensor_kernel_scan_innermost_dimIfZZZNS0_31launch_logcumsumexp_cuda_kernelERKNS_10TensorBaseES4_lENKUlvE_clEvENKUlvE0_clEvEUlffE_EEvPT_PKS8_jjjS8_T0_ ; -- Begin function _ZN2at6native32tensor_kernel_scan_innermost_dimIfZZZNS0_31launch_logcumsumexp_cuda_kernelERKNS_10TensorBaseES4_lENKUlvE_clEvENKUlvE0_clEvEUlffE_EEvPT_PKS8_jjjS8_T0_
	.p2align	8
	.type	_ZN2at6native32tensor_kernel_scan_innermost_dimIfZZZNS0_31launch_logcumsumexp_cuda_kernelERKNS_10TensorBaseES4_lENKUlvE_clEvENKUlvE0_clEvEUlffE_EEvPT_PKS8_jjjS8_T0_,@function
_ZN2at6native32tensor_kernel_scan_innermost_dimIfZZZNS0_31launch_logcumsumexp_cuda_kernelERKNS_10TensorBaseES4_lENKUlvE_clEvENKUlvE0_clEvEUlffE_EEvPT_PKS8_jjjS8_T0_: ; @_ZN2at6native32tensor_kernel_scan_innermost_dimIfZZZNS0_31launch_logcumsumexp_cuda_kernelERKNS_10TensorBaseES4_lENKUlvE_clEvENKUlvE0_clEvEUlffE_EEvPT_PKS8_jjjS8_T0_
; %bb.0:
	s_load_b256 s[8:15], s[0:1], 0x0
	v_bfe_u32 v11, v0, 10, 10
	s_wait_kmcnt 0x0
	s_lshl_b32 s5, 2, s14
	s_mul_hi_u32 s2, s12, s13
	s_delay_alu instid0(VALU_DEP_1) | instskip(SKIP_2) | instid1(VALU_DEP_1)
	v_mul_lo_u32 v1, s5, v11
	s_cmp_lg_u32 s2, 0
	s_mov_b32 s2, -1
	v_lshl_add_u32 v12, v1, 2, 0
	s_cbranch_scc1 .LBB171_30
; %bb.1:
	s_load_u16 s3, s[0:1], 0x36
	s_wait_kmcnt 0x0
	s_mul_i32 s6, ttmp9, s3
	s_delay_alu instid0(SALU_CYCLE_1)
	s_cmp_ge_u32 s6, s12
	s_cbranch_scc1 .LBB171_29
; %bb.2:
	s_add_nc_u64 s[16:17], s[0:1], 40
	v_dual_mov_b32 v2, 0 :: v_dual_and_b32 v5, 0x3ff, v0
	s_load_b32 s18, s[16:17], 0x0
	s_lshl_b32 s7, 1, s14
	s_cmp_lg_u32 s13, 0
	s_delay_alu instid0(VALU_DEP_1)
	v_lshl_add_u32 v6, v5, 2, v12
	s_cselect_b32 s16, -1, 0
	s_lshl_b32 s4, s5, 2
	v_cmp_eq_u32_e64 s2, 0, v5
	s_wait_alu 0xfffe
	v_add3_u32 v7, v12, s4, -4
	v_lshl_add_u32 v8, s7, 2, v6
	s_add_co_i32 s17, s14, 1
	s_mov_b32 s19, 0x3e9b6dac
	s_wait_kmcnt 0x0
	s_mul_i32 s18, s18, s3
	s_branch .LBB171_4
.LBB171_3:                              ;   in Loop: Header=BB171_4 Depth=1
	s_add_co_i32 s6, s6, s18
	s_wait_alu 0xfffe
	s_cmp_ge_u32 s6, s12
	s_cbranch_scc1 .LBB171_29
.LBB171_4:                              ; =>This Loop Header: Depth=1
                                        ;     Child Loop BB171_7 Depth 2
                                        ;       Child Loop BB171_19 Depth 3
	s_and_not1_b32 vcc_lo, exec_lo, s16
	s_cbranch_vccnz .LBB171_3
; %bb.5:                                ;   in Loop: Header=BB171_4 Depth=1
	v_add_nc_u32_e32 v9, s6, v11
	v_mov_b32_e32 v15, s15
	s_mov_b32 s20, 0
	s_delay_alu instid0(VALU_DEP_2) | instskip(SKIP_2) | instid1(VALU_DEP_3)
	v_mul_lo_u32 v1, v9, s13
	v_cmp_gt_u32_e32 vcc_lo, s12, v9
	v_cmp_le_u32_e64 s3, s12, v9
	v_lshlrev_b64_e32 v[3:4], 2, v[1:2]
	s_delay_alu instid0(VALU_DEP_1) | instskip(SKIP_1) | instid1(VALU_DEP_2)
	v_add_co_u32 v9, s4, s10, v3
	s_wait_alu 0xf1ff
	v_add_co_ci_u32_e64 v10, null, s11, v4, s4
	v_add_co_u32 v13, s4, s8, v3
	s_wait_alu 0xf1ff
	v_add_co_ci_u32_e64 v14, null, s9, v4, s4
	s_branch .LBB171_7
.LBB171_6:                              ;   in Loop: Header=BB171_7 Depth=2
	s_wait_alu 0xfffe
	s_or_b32 exec_lo, exec_lo, s21
	ds_load_b32 v15, v7
	s_add_co_i32 s20, s20, s5
	s_wait_storecnt 0x0
	s_wait_loadcnt_dscnt 0x0
	s_wait_alu 0xfffe
	s_cmp_ge_u32 s20, s13
	s_barrier_signal -1
	s_barrier_wait -1
	global_inv scope:SCOPE_SE
	s_cbranch_scc1 .LBB171_3
.LBB171_7:                              ;   Parent Loop BB171_4 Depth=1
                                        ; =>  This Loop Header: Depth=2
                                        ;       Child Loop BB171_19 Depth 3
	s_wait_alu 0xfffe
	v_add_nc_u32_e32 v1, s20, v5
	s_delay_alu instid0(VALU_DEP_1)
	v_add_nc_u32_e32 v3, s7, v1
	s_and_saveexec_b32 s21, vcc_lo
	s_cbranch_execz .LBB171_16
; %bb.8:                                ;   in Loop: Header=BB171_7 Depth=2
	v_mov_b32_e32 v4, s15
	s_mov_b32 s22, exec_lo
	v_cmpx_gt_u32_e64 s13, v1
	s_cbranch_execz .LBB171_10
; %bb.9:                                ;   in Loop: Header=BB171_7 Depth=2
	v_lshlrev_b64_e32 v[16:17], 2, v[1:2]
	s_delay_alu instid0(VALU_DEP_1) | instskip(SKIP_1) | instid1(VALU_DEP_2)
	v_add_co_u32 v16, s4, v9, v16
	s_wait_alu 0xf1ff
	v_add_co_ci_u32_e64 v17, null, v10, v17, s4
	global_load_b32 v4, v[16:17], off
.LBB171_10:                             ;   in Loop: Header=BB171_7 Depth=2
	s_or_b32 exec_lo, exec_lo, s22
	v_mov_b32_e32 v16, s15
	s_mov_b32 s22, exec_lo
	s_wait_loadcnt 0x0
	ds_store_b32 v6, v4
	v_cmpx_gt_u32_e64 s13, v3
	s_cbranch_execz .LBB171_12
; %bb.11:                               ;   in Loop: Header=BB171_7 Depth=2
	v_mov_b32_e32 v4, v2
	s_delay_alu instid0(VALU_DEP_1) | instskip(NEXT) | instid1(VALU_DEP_1)
	v_lshlrev_b64_e32 v[16:17], 2, v[3:4]
	v_add_co_u32 v16, s4, v9, v16
	s_wait_alu 0xf1ff
	s_delay_alu instid0(VALU_DEP_2)
	v_add_co_ci_u32_e64 v17, null, v10, v17, s4
	global_load_b32 v16, v[16:17], off
.LBB171_12:                             ;   in Loop: Header=BB171_7 Depth=2
	s_or_b32 exec_lo, exec_lo, s22
	s_wait_loadcnt 0x0
	ds_store_b32 v8, v16
	s_and_b32 exec_lo, exec_lo, s2
	s_cbranch_execz .LBB171_16
; %bb.13:                               ;   in Loop: Header=BB171_7 Depth=2
	ds_load_b32 v16, v12
	s_wait_dscnt 0x0
	v_dual_max_num_f32 v4, v15, v15 :: v_dual_max_num_f32 v17, v16, v16
	v_cmp_u_f32_e64 s4, v16, v16
	s_delay_alu instid0(VALU_DEP_2) | instskip(SKIP_2) | instid1(VALU_DEP_2)
	v_min_num_f32_e32 v18, v17, v4
	v_max_num_f32_e32 v4, v17, v4
	s_wait_alu 0xf1ff
	v_cndmask_b32_e64 v17, v18, v16, s4
	s_delay_alu instid0(VALU_DEP_2) | instskip(SKIP_2) | instid1(VALU_DEP_1)
	v_cndmask_b32_e64 v4, v4, v16, s4
	v_cmp_u_f32_e64 s4, v15, v15
	s_wait_alu 0xf1ff
	v_cndmask_b32_e64 v17, v17, v15, s4
	s_delay_alu instid0(VALU_DEP_3) | instskip(NEXT) | instid1(VALU_DEP_2)
	v_cndmask_b32_e64 v4, v4, v15, s4
	v_cmp_class_f32_e64 s22, v17, 0x1f8
	s_delay_alu instid0(VALU_DEP_2)
	v_cmp_neq_f32_e64 s4, v17, v4
	s_or_b32 s4, s4, s22
	s_wait_alu 0xfffe
	s_and_saveexec_b32 s22, s4
	s_cbranch_execz .LBB171_15
; %bb.14:                               ;   in Loop: Header=BB171_7 Depth=2
	v_sub_f32_e32 v15, v17, v4
	s_delay_alu instid0(VALU_DEP_1) | instskip(NEXT) | instid1(VALU_DEP_1)
	v_mul_f32_e32 v16, 0x3fb8aa3b, v15
	v_fma_f32 v17, 0x3fb8aa3b, v15, -v16
	v_rndne_f32_e32 v18, v16
	s_delay_alu instid0(VALU_DEP_1) | instskip(SKIP_1) | instid1(VALU_DEP_2)
	v_dual_sub_f32 v16, v16, v18 :: v_dual_fmac_f32 v17, 0x32a5705f, v15
	v_cmp_ngt_f32_e64 s4, 0xc2ce8ed0, v15
	v_add_f32_e32 v16, v16, v17
	v_cvt_i32_f32_e32 v17, v18
	s_delay_alu instid0(VALU_DEP_2) | instskip(NEXT) | instid1(TRANS32_DEP_1)
	v_exp_f32_e32 v16, v16
	v_ldexp_f32 v16, v16, v17
	s_wait_alu 0xf1ff
	s_delay_alu instid0(VALU_DEP_1) | instskip(SKIP_2) | instid1(VALU_DEP_1)
	v_cndmask_b32_e64 v16, 0, v16, s4
	v_cmp_nlt_f32_e64 s4, 0x42b17218, v15
	s_wait_alu 0xf1ff
	v_cndmask_b32_e64 v17, 0x7f800000, v16, s4
	s_delay_alu instid0(VALU_DEP_1) | instskip(NEXT) | instid1(VALU_DEP_1)
	v_add_f32_e32 v18, 1.0, v17
	v_cvt_f64_f32_e32 v[15:16], v18
	s_delay_alu instid0(VALU_DEP_1) | instskip(SKIP_1) | instid1(VALU_DEP_1)
	v_frexp_exp_i32_f64_e32 v15, v[15:16]
	v_frexp_mant_f32_e32 v16, v18
	v_cmp_gt_f32_e64 s4, 0x3f2aaaab, v16
	v_add_f32_e32 v16, -1.0, v18
	s_delay_alu instid0(VALU_DEP_1) | instskip(SKIP_4) | instid1(VALU_DEP_2)
	v_sub_f32_e32 v20, v16, v18
	v_sub_f32_e32 v16, v17, v16
	s_wait_alu 0xf1ff
	v_subrev_co_ci_u32_e64 v15, null, 0, v15, s4
	v_cmp_neq_f32_e64 s4, 0x7f800000, v17
	v_sub_nc_u32_e32 v19, 0, v15
	v_cvt_f32_i32_e32 v15, v15
	s_delay_alu instid0(VALU_DEP_2) | instskip(NEXT) | instid1(VALU_DEP_1)
	v_ldexp_f32 v18, v18, v19
	v_dual_add_f32 v21, 1.0, v18 :: v_dual_add_f32 v20, 1.0, v20
	s_delay_alu instid0(VALU_DEP_1) | instskip(NEXT) | instid1(VALU_DEP_2)
	v_add_f32_e32 v16, v16, v20
	v_add_f32_e32 v20, -1.0, v21
	s_delay_alu instid0(VALU_DEP_2) | instskip(NEXT) | instid1(VALU_DEP_2)
	v_ldexp_f32 v16, v16, v19
	v_dual_add_f32 v19, -1.0, v18 :: v_dual_sub_f32 v20, v18, v20
	s_delay_alu instid0(VALU_DEP_1) | instskip(NEXT) | instid1(VALU_DEP_2)
	v_add_f32_e32 v22, 1.0, v19
	v_add_f32_e32 v20, v16, v20
	s_delay_alu instid0(VALU_DEP_2) | instskip(NEXT) | instid1(VALU_DEP_2)
	v_sub_f32_e32 v18, v18, v22
	v_add_f32_e32 v22, v21, v20
	s_delay_alu instid0(VALU_DEP_2) | instskip(NEXT) | instid1(VALU_DEP_2)
	v_add_f32_e32 v16, v16, v18
	v_rcp_f32_e32 v18, v22
	v_sub_f32_e32 v21, v21, v22
	s_delay_alu instid0(VALU_DEP_1) | instskip(NEXT) | instid1(VALU_DEP_1)
	v_dual_add_f32 v23, v19, v16 :: v_dual_add_f32 v20, v20, v21
	v_sub_f32_e32 v19, v19, v23
	s_delay_alu instid0(TRANS32_DEP_1) | instskip(NEXT) | instid1(VALU_DEP_1)
	v_mul_f32_e32 v24, v23, v18
	v_dual_add_f32 v16, v16, v19 :: v_dual_mul_f32 v25, v22, v24
	s_delay_alu instid0(VALU_DEP_1) | instskip(NEXT) | instid1(VALU_DEP_1)
	v_fma_f32 v21, v24, v22, -v25
	v_fmac_f32_e32 v21, v24, v20
	s_delay_alu instid0(VALU_DEP_1) | instskip(NEXT) | instid1(VALU_DEP_1)
	v_add_f32_e32 v26, v25, v21
	v_sub_f32_e32 v27, v23, v26
	v_sub_f32_e32 v19, v26, v25
	s_delay_alu instid0(VALU_DEP_2) | instskip(NEXT) | instid1(VALU_DEP_2)
	v_sub_f32_e32 v23, v23, v27
	v_sub_f32_e32 v19, v19, v21
	s_delay_alu instid0(VALU_DEP_2) | instskip(NEXT) | instid1(VALU_DEP_1)
	v_sub_f32_e32 v23, v23, v26
	v_add_f32_e32 v16, v16, v23
	s_delay_alu instid0(VALU_DEP_1) | instskip(NEXT) | instid1(VALU_DEP_1)
	v_add_f32_e32 v16, v19, v16
	v_add_f32_e32 v19, v27, v16
	s_delay_alu instid0(VALU_DEP_1) | instskip(NEXT) | instid1(VALU_DEP_1)
	v_mul_f32_e32 v21, v18, v19
	v_dual_sub_f32 v26, v27, v19 :: v_dual_mul_f32 v23, v22, v21
	s_delay_alu instid0(VALU_DEP_1) | instskip(NEXT) | instid1(VALU_DEP_2)
	v_add_f32_e32 v16, v16, v26
	v_fma_f32 v22, v21, v22, -v23
	s_delay_alu instid0(VALU_DEP_1) | instskip(NEXT) | instid1(VALU_DEP_1)
	v_fmac_f32_e32 v22, v21, v20
	v_add_f32_e32 v20, v23, v22
	s_delay_alu instid0(VALU_DEP_1) | instskip(SKIP_1) | instid1(VALU_DEP_2)
	v_sub_f32_e32 v25, v19, v20
	v_sub_f32_e32 v23, v20, v23
	;; [unrolled: 1-line block ×3, first 2 shown]
	s_delay_alu instid0(VALU_DEP_1) | instskip(NEXT) | instid1(VALU_DEP_3)
	v_sub_f32_e32 v19, v19, v20
	v_sub_f32_e32 v20, v23, v22
	s_delay_alu instid0(VALU_DEP_2) | instskip(SKIP_1) | instid1(VALU_DEP_2)
	v_add_f32_e32 v16, v16, v19
	v_add_f32_e32 v19, v24, v21
	;; [unrolled: 1-line block ×3, first 2 shown]
	s_delay_alu instid0(VALU_DEP_2) | instskip(NEXT) | instid1(VALU_DEP_2)
	v_sub_f32_e32 v20, v19, v24
	v_add_f32_e32 v16, v25, v16
	s_delay_alu instid0(VALU_DEP_2) | instskip(NEXT) | instid1(VALU_DEP_2)
	v_sub_f32_e32 v20, v21, v20
	v_mul_f32_e32 v16, v18, v16
	s_delay_alu instid0(VALU_DEP_1) | instskip(NEXT) | instid1(VALU_DEP_1)
	v_add_f32_e32 v16, v20, v16
	v_add_f32_e32 v18, v19, v16
	s_delay_alu instid0(VALU_DEP_1) | instskip(NEXT) | instid1(VALU_DEP_1)
	v_mul_f32_e32 v20, v18, v18
	v_fmaak_f32 v21, s19, v20, 0x3ecc95a3
	v_mul_f32_e32 v22, v18, v20
	s_delay_alu instid0(VALU_DEP_2) | instskip(SKIP_2) | instid1(VALU_DEP_3)
	v_fmaak_f32 v20, v20, v21, 0x3f2aaada
	v_ldexp_f32 v21, v18, 1
	v_sub_f32_e32 v18, v18, v19
	v_mul_f32_e32 v20, v22, v20
	v_mul_f32_e32 v22, 0x3f317218, v15
	s_delay_alu instid0(VALU_DEP_2) | instskip(NEXT) | instid1(VALU_DEP_1)
	v_dual_sub_f32 v16, v16, v18 :: v_dual_add_f32 v19, v21, v20
	v_ldexp_f32 v16, v16, 1
	s_delay_alu instid0(VALU_DEP_2) | instskip(NEXT) | instid1(VALU_DEP_4)
	v_sub_f32_e32 v18, v19, v21
	v_fma_f32 v21, 0x3f317218, v15, -v22
	s_delay_alu instid0(VALU_DEP_1) | instskip(NEXT) | instid1(VALU_DEP_1)
	v_dual_sub_f32 v18, v20, v18 :: v_dual_fmac_f32 v21, 0xb102e308, v15
	v_dual_add_f32 v15, v16, v18 :: v_dual_add_f32 v16, v22, v21
	s_delay_alu instid0(VALU_DEP_1) | instskip(NEXT) | instid1(VALU_DEP_2)
	v_add_f32_e32 v18, v19, v15
	v_sub_f32_e32 v22, v16, v22
	s_delay_alu instid0(VALU_DEP_2) | instskip(NEXT) | instid1(VALU_DEP_2)
	v_dual_add_f32 v20, v16, v18 :: v_dual_sub_f32 v19, v18, v19
	v_sub_f32_e32 v21, v21, v22
	s_delay_alu instid0(VALU_DEP_2) | instskip(NEXT) | instid1(VALU_DEP_3)
	v_sub_f32_e32 v23, v20, v16
	v_sub_f32_e32 v15, v15, v19
	s_delay_alu instid0(VALU_DEP_2) | instskip(SKIP_1) | instid1(VALU_DEP_2)
	v_sub_f32_e32 v24, v20, v23
	v_sub_f32_e32 v18, v18, v23
	v_dual_add_f32 v19, v21, v15 :: v_dual_sub_f32 v16, v16, v24
	s_delay_alu instid0(VALU_DEP_1) | instskip(NEXT) | instid1(VALU_DEP_2)
	v_add_f32_e32 v16, v18, v16
	v_sub_f32_e32 v18, v19, v21
	s_delay_alu instid0(VALU_DEP_2) | instskip(NEXT) | instid1(VALU_DEP_2)
	v_add_f32_e32 v16, v19, v16
	v_sub_f32_e32 v19, v19, v18
	s_delay_alu instid0(VALU_DEP_2) | instskip(NEXT) | instid1(VALU_DEP_1)
	v_dual_sub_f32 v15, v15, v18 :: v_dual_add_f32 v22, v20, v16
	v_dual_sub_f32 v19, v21, v19 :: v_dual_sub_f32 v18, v22, v20
	s_delay_alu instid0(VALU_DEP_1) | instskip(NEXT) | instid1(VALU_DEP_1)
	v_dual_add_f32 v15, v15, v19 :: v_dual_sub_f32 v16, v16, v18
	v_add_f32_e32 v15, v15, v16
	s_delay_alu instid0(VALU_DEP_1) | instskip(SKIP_1) | instid1(VALU_DEP_1)
	v_add_f32_e32 v15, v22, v15
	s_wait_alu 0xf1ff
	v_cndmask_b32_e64 v15, 0x7f800000, v15, s4
	v_cmp_gt_f32_e64 s4, 0x33800000, |v17|
	s_wait_alu 0xf1ff
	s_delay_alu instid0(VALU_DEP_1) | instskip(NEXT) | instid1(VALU_DEP_1)
	v_cndmask_b32_e64 v15, v15, v17, s4
	v_add_f32_e32 v16, v4, v15
.LBB171_15:                             ;   in Loop: Header=BB171_7 Depth=2
	s_or_b32 exec_lo, exec_lo, s22
	ds_store_b32 v12, v16
.LBB171_16:                             ;   in Loop: Header=BB171_7 Depth=2
	s_wait_alu 0xfffe
	s_or_b32 exec_lo, exec_lo, s21
	v_mov_b32_e32 v15, 0
	s_mov_b32 s21, 0
	s_wait_dscnt 0x0
	s_barrier_signal -1
	s_barrier_wait -1
	global_inv scope:SCOPE_SE
	s_branch .LBB171_19
.LBB171_17:                             ;   in Loop: Header=BB171_19 Depth=3
	s_or_b32 exec_lo, exec_lo, s23
	ds_store_b32 v15, v17
.LBB171_18:                             ;   in Loop: Header=BB171_19 Depth=3
	s_or_b32 exec_lo, exec_lo, s22
	v_cmp_eq_u32_e64 s4, s17, v4
	v_mov_b32_e32 v15, v4
	s_wait_loadcnt_dscnt 0x0
	s_barrier_signal -1
	s_barrier_wait -1
	s_or_b32 s21, s4, s21
	global_inv scope:SCOPE_SE
	s_wait_alu 0xfffe
	s_and_not1_b32 exec_lo, exec_lo, s21
	s_cbranch_execz .LBB171_24
.LBB171_19:                             ;   Parent Loop BB171_4 Depth=1
                                        ;     Parent Loop BB171_7 Depth=2
                                        ; =>    This Inner Loop Header: Depth=3
	v_add_nc_u32_e32 v4, 1, v15
	s_and_saveexec_b32 s4, s3
	s_wait_alu 0xfffe
	s_xor_b32 s4, exec_lo, s4
; %bb.20:                               ;   in Loop: Header=BB171_19 Depth=3
	v_add_nc_u32_e32 v4, 1, v15
                                        ; implicit-def: $vgpr15
; %bb.21:                               ;   in Loop: Header=BB171_19 Depth=3
	s_wait_alu 0xfffe
	s_and_not1_saveexec_b32 s22, s4
	s_cbranch_execz .LBB171_18
; %bb.22:                               ;   in Loop: Header=BB171_19 Depth=3
	v_lshlrev_b32_e64 v16, v15, 1
	v_lshrrev_b32_e32 v17, v15, v5
	v_bfm_b32 v15, v15, 0
	s_delay_alu instid0(VALU_DEP_2) | instskip(NEXT) | instid1(VALU_DEP_2)
	v_lshl_or_b32 v16, v17, v4, v16
	v_and_b32_e32 v15, v15, v5
	s_delay_alu instid0(VALU_DEP_2) | instskip(NEXT) | instid1(VALU_DEP_1)
	v_lshl_add_u32 v16, v16, 2, v12
	v_add_nc_u32_e32 v17, -4, v16
	s_delay_alu instid0(VALU_DEP_3)
	v_lshl_add_u32 v15, v15, 2, v16
	ds_load_b32 v16, v17
	ds_load_b32 v17, v15
	s_wait_dscnt 0x0
	v_dual_max_num_f32 v18, v16, v16 :: v_dual_max_num_f32 v19, v17, v17
	v_cmp_u_f32_e64 s4, v17, v17
	s_delay_alu instid0(VALU_DEP_2) | instskip(SKIP_2) | instid1(VALU_DEP_2)
	v_min_num_f32_e32 v20, v19, v18
	v_max_num_f32_e32 v18, v19, v18
	s_wait_alu 0xf1ff
	v_cndmask_b32_e64 v19, v20, v17, s4
	s_delay_alu instid0(VALU_DEP_2) | instskip(SKIP_2) | instid1(VALU_DEP_1)
	v_cndmask_b32_e64 v20, v18, v17, s4
	v_cmp_u_f32_e64 s4, v16, v16
	s_wait_alu 0xf1ff
	v_cndmask_b32_e64 v18, v19, v16, s4
	s_delay_alu instid0(VALU_DEP_3) | instskip(NEXT) | instid1(VALU_DEP_2)
	v_cndmask_b32_e64 v16, v20, v16, s4
	v_cmp_class_f32_e64 s23, v18, 0x1f8
	s_delay_alu instid0(VALU_DEP_2)
	v_cmp_neq_f32_e64 s4, v18, v16
	s_or_b32 s4, s4, s23
	s_wait_alu 0xfffe
	s_and_saveexec_b32 s23, s4
	s_cbranch_execz .LBB171_17
; %bb.23:                               ;   in Loop: Header=BB171_19 Depth=3
	v_sub_f32_e32 v17, v18, v16
	s_delay_alu instid0(VALU_DEP_1) | instskip(SKIP_1) | instid1(VALU_DEP_2)
	v_mul_f32_e32 v18, 0x3fb8aa3b, v17
	v_cmp_ngt_f32_e64 s4, 0xc2ce8ed0, v17
	v_fma_f32 v19, 0x3fb8aa3b, v17, -v18
	v_rndne_f32_e32 v20, v18
	s_delay_alu instid0(VALU_DEP_1) | instskip(NEXT) | instid1(VALU_DEP_1)
	v_dual_fmac_f32 v19, 0x32a5705f, v17 :: v_dual_sub_f32 v18, v18, v20
	v_add_f32_e32 v18, v18, v19
	v_cvt_i32_f32_e32 v19, v20
	s_delay_alu instid0(VALU_DEP_2) | instskip(NEXT) | instid1(TRANS32_DEP_1)
	v_exp_f32_e32 v18, v18
	v_ldexp_f32 v18, v18, v19
	s_wait_alu 0xf1ff
	s_delay_alu instid0(VALU_DEP_1) | instskip(SKIP_2) | instid1(VALU_DEP_1)
	v_cndmask_b32_e64 v18, 0, v18, s4
	v_cmp_nlt_f32_e64 s4, 0x42b17218, v17
	s_wait_alu 0xf1ff
	v_cndmask_b32_e64 v19, 0x7f800000, v18, s4
	s_delay_alu instid0(VALU_DEP_1) | instskip(NEXT) | instid1(VALU_DEP_1)
	v_add_f32_e32 v20, 1.0, v19
	v_cvt_f64_f32_e32 v[17:18], v20
	s_delay_alu instid0(VALU_DEP_1) | instskip(SKIP_1) | instid1(VALU_DEP_1)
	v_frexp_exp_i32_f64_e32 v17, v[17:18]
	v_frexp_mant_f32_e32 v18, v20
	v_cmp_gt_f32_e64 s4, 0x3f2aaaab, v18
	v_add_f32_e32 v18, -1.0, v20
	s_delay_alu instid0(VALU_DEP_1) | instskip(SKIP_4) | instid1(VALU_DEP_2)
	v_sub_f32_e32 v22, v18, v20
	v_sub_f32_e32 v18, v19, v18
	s_wait_alu 0xf1ff
	v_subrev_co_ci_u32_e64 v17, null, 0, v17, s4
	v_cmp_neq_f32_e64 s4, 0x7f800000, v19
	v_sub_nc_u32_e32 v21, 0, v17
	v_cvt_f32_i32_e32 v17, v17
	s_delay_alu instid0(VALU_DEP_2) | instskip(NEXT) | instid1(VALU_DEP_1)
	v_ldexp_f32 v20, v20, v21
	v_dual_add_f32 v23, 1.0, v20 :: v_dual_add_f32 v22, 1.0, v22
	s_delay_alu instid0(VALU_DEP_1) | instskip(NEXT) | instid1(VALU_DEP_2)
	v_add_f32_e32 v18, v18, v22
	v_add_f32_e32 v22, -1.0, v23
	s_delay_alu instid0(VALU_DEP_2) | instskip(NEXT) | instid1(VALU_DEP_2)
	v_ldexp_f32 v18, v18, v21
	v_dual_add_f32 v21, -1.0, v20 :: v_dual_sub_f32 v22, v20, v22
	s_delay_alu instid0(VALU_DEP_1) | instskip(NEXT) | instid1(VALU_DEP_2)
	v_add_f32_e32 v24, 1.0, v21
	v_add_f32_e32 v22, v18, v22
	s_delay_alu instid0(VALU_DEP_2) | instskip(NEXT) | instid1(VALU_DEP_2)
	v_sub_f32_e32 v20, v20, v24
	v_add_f32_e32 v24, v23, v22
	s_delay_alu instid0(VALU_DEP_2) | instskip(NEXT) | instid1(VALU_DEP_2)
	v_add_f32_e32 v18, v18, v20
	v_rcp_f32_e32 v20, v24
	v_sub_f32_e32 v23, v23, v24
	s_delay_alu instid0(VALU_DEP_1) | instskip(NEXT) | instid1(VALU_DEP_1)
	v_dual_add_f32 v25, v21, v18 :: v_dual_add_f32 v22, v22, v23
	v_sub_f32_e32 v21, v21, v25
	s_delay_alu instid0(TRANS32_DEP_1) | instskip(NEXT) | instid1(VALU_DEP_1)
	v_mul_f32_e32 v26, v25, v20
	v_dual_add_f32 v18, v18, v21 :: v_dual_mul_f32 v27, v24, v26
	s_delay_alu instid0(VALU_DEP_1) | instskip(NEXT) | instid1(VALU_DEP_1)
	v_fma_f32 v23, v26, v24, -v27
	v_fmac_f32_e32 v23, v26, v22
	s_delay_alu instid0(VALU_DEP_1) | instskip(NEXT) | instid1(VALU_DEP_1)
	v_add_f32_e32 v28, v27, v23
	v_sub_f32_e32 v29, v25, v28
	v_sub_f32_e32 v21, v28, v27
	s_delay_alu instid0(VALU_DEP_2) | instskip(NEXT) | instid1(VALU_DEP_2)
	v_sub_f32_e32 v25, v25, v29
	v_sub_f32_e32 v21, v21, v23
	s_delay_alu instid0(VALU_DEP_2) | instskip(NEXT) | instid1(VALU_DEP_1)
	v_sub_f32_e32 v25, v25, v28
	v_add_f32_e32 v18, v18, v25
	s_delay_alu instid0(VALU_DEP_1) | instskip(NEXT) | instid1(VALU_DEP_1)
	v_add_f32_e32 v18, v21, v18
	v_add_f32_e32 v21, v29, v18
	s_delay_alu instid0(VALU_DEP_1) | instskip(NEXT) | instid1(VALU_DEP_1)
	v_mul_f32_e32 v23, v20, v21
	v_dual_sub_f32 v28, v29, v21 :: v_dual_mul_f32 v25, v24, v23
	s_delay_alu instid0(VALU_DEP_1) | instskip(NEXT) | instid1(VALU_DEP_2)
	v_add_f32_e32 v18, v18, v28
	v_fma_f32 v24, v23, v24, -v25
	s_delay_alu instid0(VALU_DEP_1) | instskip(NEXT) | instid1(VALU_DEP_1)
	v_fmac_f32_e32 v24, v23, v22
	v_add_f32_e32 v22, v25, v24
	s_delay_alu instid0(VALU_DEP_1) | instskip(SKIP_1) | instid1(VALU_DEP_2)
	v_sub_f32_e32 v27, v21, v22
	v_sub_f32_e32 v25, v22, v25
	;; [unrolled: 1-line block ×3, first 2 shown]
	s_delay_alu instid0(VALU_DEP_1) | instskip(NEXT) | instid1(VALU_DEP_3)
	v_sub_f32_e32 v21, v21, v22
	v_sub_f32_e32 v22, v25, v24
	s_delay_alu instid0(VALU_DEP_2) | instskip(SKIP_1) | instid1(VALU_DEP_2)
	v_add_f32_e32 v18, v18, v21
	v_add_f32_e32 v21, v26, v23
	;; [unrolled: 1-line block ×3, first 2 shown]
	s_delay_alu instid0(VALU_DEP_2) | instskip(NEXT) | instid1(VALU_DEP_2)
	v_sub_f32_e32 v22, v21, v26
	v_add_f32_e32 v18, v27, v18
	s_delay_alu instid0(VALU_DEP_2) | instskip(NEXT) | instid1(VALU_DEP_2)
	v_sub_f32_e32 v22, v23, v22
	v_mul_f32_e32 v18, v20, v18
	s_delay_alu instid0(VALU_DEP_1) | instskip(NEXT) | instid1(VALU_DEP_1)
	v_add_f32_e32 v18, v22, v18
	v_add_f32_e32 v20, v21, v18
	s_delay_alu instid0(VALU_DEP_1) | instskip(NEXT) | instid1(VALU_DEP_1)
	v_mul_f32_e32 v22, v20, v20
	v_fmaak_f32 v23, s19, v22, 0x3ecc95a3
	v_mul_f32_e32 v24, v20, v22
	s_delay_alu instid0(VALU_DEP_2) | instskip(SKIP_2) | instid1(VALU_DEP_3)
	v_fmaak_f32 v22, v22, v23, 0x3f2aaada
	v_ldexp_f32 v23, v20, 1
	v_sub_f32_e32 v20, v20, v21
	v_mul_f32_e32 v22, v24, v22
	v_mul_f32_e32 v24, 0x3f317218, v17
	s_delay_alu instid0(VALU_DEP_2) | instskip(NEXT) | instid1(VALU_DEP_1)
	v_dual_sub_f32 v18, v18, v20 :: v_dual_add_f32 v21, v23, v22
	v_ldexp_f32 v18, v18, 1
	s_delay_alu instid0(VALU_DEP_2) | instskip(NEXT) | instid1(VALU_DEP_4)
	v_sub_f32_e32 v20, v21, v23
	v_fma_f32 v23, 0x3f317218, v17, -v24
	s_delay_alu instid0(VALU_DEP_1) | instskip(NEXT) | instid1(VALU_DEP_1)
	v_dual_sub_f32 v20, v22, v20 :: v_dual_fmac_f32 v23, 0xb102e308, v17
	v_dual_add_f32 v17, v18, v20 :: v_dual_add_f32 v18, v24, v23
	s_delay_alu instid0(VALU_DEP_1) | instskip(NEXT) | instid1(VALU_DEP_2)
	v_add_f32_e32 v20, v21, v17
	v_sub_f32_e32 v24, v18, v24
	s_delay_alu instid0(VALU_DEP_2) | instskip(NEXT) | instid1(VALU_DEP_2)
	v_dual_add_f32 v22, v18, v20 :: v_dual_sub_f32 v21, v20, v21
	v_sub_f32_e32 v23, v23, v24
	s_delay_alu instid0(VALU_DEP_2) | instskip(NEXT) | instid1(VALU_DEP_3)
	v_sub_f32_e32 v25, v22, v18
	v_sub_f32_e32 v17, v17, v21
	s_delay_alu instid0(VALU_DEP_2) | instskip(SKIP_1) | instid1(VALU_DEP_2)
	v_sub_f32_e32 v26, v22, v25
	v_sub_f32_e32 v20, v20, v25
	v_dual_add_f32 v21, v23, v17 :: v_dual_sub_f32 v18, v18, v26
	s_delay_alu instid0(VALU_DEP_1) | instskip(NEXT) | instid1(VALU_DEP_2)
	v_add_f32_e32 v18, v20, v18
	v_sub_f32_e32 v20, v21, v23
	s_delay_alu instid0(VALU_DEP_2) | instskip(NEXT) | instid1(VALU_DEP_2)
	v_add_f32_e32 v18, v21, v18
	v_sub_f32_e32 v21, v21, v20
	s_delay_alu instid0(VALU_DEP_2) | instskip(NEXT) | instid1(VALU_DEP_1)
	v_dual_sub_f32 v17, v17, v20 :: v_dual_add_f32 v24, v22, v18
	v_dual_sub_f32 v21, v23, v21 :: v_dual_sub_f32 v20, v24, v22
	s_delay_alu instid0(VALU_DEP_1) | instskip(NEXT) | instid1(VALU_DEP_1)
	v_dual_add_f32 v17, v17, v21 :: v_dual_sub_f32 v18, v18, v20
	v_add_f32_e32 v17, v17, v18
	s_delay_alu instid0(VALU_DEP_1) | instskip(SKIP_1) | instid1(VALU_DEP_1)
	v_add_f32_e32 v17, v24, v17
	s_wait_alu 0xf1ff
	v_cndmask_b32_e64 v17, 0x7f800000, v17, s4
	v_cmp_gt_f32_e64 s4, 0x33800000, |v19|
	s_wait_alu 0xf1ff
	s_delay_alu instid0(VALU_DEP_1) | instskip(NEXT) | instid1(VALU_DEP_1)
	v_cndmask_b32_e64 v17, v17, v19, s4
	v_add_f32_e32 v17, v16, v17
	s_branch .LBB171_17
.LBB171_24:                             ;   in Loop: Header=BB171_7 Depth=2
	s_or_b32 exec_lo, exec_lo, s21
	s_and_saveexec_b32 s21, vcc_lo
	s_cbranch_execz .LBB171_6
; %bb.25:                               ;   in Loop: Header=BB171_7 Depth=2
	s_mov_b32 s22, exec_lo
	v_cmpx_gt_u32_e64 s13, v1
	s_cbranch_execz .LBB171_27
; %bb.26:                               ;   in Loop: Header=BB171_7 Depth=2
	ds_load_b32 v4, v6
	v_lshlrev_b64_e32 v[15:16], 2, v[1:2]
	s_delay_alu instid0(VALU_DEP_1) | instskip(SKIP_1) | instid1(VALU_DEP_2)
	v_add_co_u32 v15, s4, v13, v15
	s_wait_alu 0xf1ff
	v_add_co_ci_u32_e64 v16, null, v14, v16, s4
	s_wait_dscnt 0x0
	global_store_b32 v[15:16], v4, off
.LBB171_27:                             ;   in Loop: Header=BB171_7 Depth=2
	s_or_b32 exec_lo, exec_lo, s22
	v_cmp_gt_u32_e64 s4, s13, v3
	s_and_b32 exec_lo, exec_lo, s4
	s_cbranch_execz .LBB171_6
; %bb.28:                               ;   in Loop: Header=BB171_7 Depth=2
	ds_load_b32 v1, v8
	v_mov_b32_e32 v4, v2
	s_delay_alu instid0(VALU_DEP_1) | instskip(NEXT) | instid1(VALU_DEP_1)
	v_lshlrev_b64_e32 v[3:4], 2, v[3:4]
	v_add_co_u32 v3, s4, v13, v3
	s_wait_alu 0xf1ff
	s_delay_alu instid0(VALU_DEP_2)
	v_add_co_ci_u32_e64 v4, null, v14, v4, s4
	s_wait_dscnt 0x0
	global_store_b32 v[3:4], v1, off
	s_branch .LBB171_6
.LBB171_29:
	s_mov_b32 s2, 0
.LBB171_30:
	s_delay_alu instid0(SALU_CYCLE_1)
	s_and_not1_b32 vcc_lo, exec_lo, s2
	s_cbranch_vccnz .LBB171_61
; %bb.31:
	v_mov_b32_e32 v1, 0
	s_mov_b32 s5, 0
	s_mov_b32 s4, s12
	global_load_u16 v2, v1, s[0:1] offset:54
	s_wait_loadcnt 0x0
	v_and_b32_e32 v4, 0xffff, v2
	s_delay_alu instid0(VALU_DEP_1) | instskip(SKIP_2) | instid1(VALU_DEP_1)
	v_mul_hi_u32 v3, ttmp9, v4
	v_mul_lo_u32 v2, ttmp9, v4
	s_wait_alu 0xfffe
	v_cmp_le_u64_e32 vcc_lo, s[4:5], v[2:3]
	s_cbranch_vccnz .LBB171_61
; %bb.32:
	s_add_nc_u64 s[0:1], s[0:1], 40
	v_and_b32_e32 v0, 0x3ff, v0
	s_load_b32 s0, s[0:1], 0x0
	s_lshl_b32 s6, 1, s14
	s_mov_b32 s12, s13
	s_wait_alu 0xfffe
	s_ashr_i32 s7, s6, 31
	s_cmp_lg_u32 s13, 0
	v_lshl_add_u32 v13, v0, 2, v12
	s_cselect_b32 s3, -1, 0
	s_wait_alu 0xfffe
	s_lshl_b64 s[16:17], s[6:7], 1
	s_mov_b32 s13, s5
	s_wait_alu 0xfffe
	s_lshl_b32 s1, s16, 2
	v_lshl_add_u32 v14, s6, 2, v13
	s_wait_alu 0xfffe
	v_add3_u32 v16, v12, s1, -4
	s_add_co_i32 s14, s14, 1
	s_mov_b32 s20, 0x3e9b6dac
	s_wait_kmcnt 0x0
	v_mul_lo_u32 v15, s0, v4
	v_cmp_eq_u32_e64 s0, 0, v0
	s_branch .LBB171_34
.LBB171_33:                             ;   in Loop: Header=BB171_34 Depth=1
	s_delay_alu instid0(VALU_DEP_2) | instskip(SKIP_2) | instid1(VALU_DEP_1)
	v_add_co_u32 v2, vcc_lo, v2, v15
	s_wait_alu 0xfffd
	v_add_co_ci_u32_e64 v3, null, 0, v3, vcc_lo
	v_cmp_le_u64_e32 vcc_lo, s[4:5], v[2:3]
	s_cbranch_vccnz .LBB171_61
.LBB171_34:                             ; =>This Loop Header: Depth=1
                                        ;     Child Loop BB171_37 Depth 2
                                        ;       Child Loop BB171_49 Depth 3
	s_and_not1_b32 vcc_lo, exec_lo, s3
	s_wait_alu 0xfffe
	s_cbranch_vccnz .LBB171_33
; %bb.35:                               ;   in Loop: Header=BB171_34 Depth=1
	v_add_co_u32 v4, vcc_lo, v2, v11
	s_wait_alu 0xfffd
	v_add_co_ci_u32_e64 v5, null, 0, v3, vcc_lo
	s_mov_b64 s[18:19], 0
	v_mad_co_u64_u32 v[6:7], null, v4, s12, 0
	v_cmp_gt_u64_e64 s1, s[4:5], v[4:5]
	v_cmp_le_u64_e64 s2, s[4:5], v[4:5]
	s_delay_alu instid0(VALU_DEP_3) | instskip(SKIP_1) | instid1(VALU_DEP_2)
	v_mad_co_u64_u32 v[7:8], null, v5, s12, v[7:8]
	v_mov_b32_e32 v8, s15
	v_lshlrev_b64_e32 v[6:7], 2, v[6:7]
	s_delay_alu instid0(VALU_DEP_1) | instskip(SKIP_1) | instid1(VALU_DEP_2)
	v_add_co_u32 v17, vcc_lo, s10, v6
	s_wait_alu 0xfffd
	v_add_co_ci_u32_e64 v18, null, s11, v7, vcc_lo
	v_add_co_u32 v19, vcc_lo, s8, v6
	s_wait_alu 0xfffd
	v_add_co_ci_u32_e64 v20, null, s9, v7, vcc_lo
	s_branch .LBB171_37
.LBB171_36:                             ;   in Loop: Header=BB171_37 Depth=2
	s_wait_alu 0xfffe
	s_or_b32 exec_lo, exec_lo, s21
	ds_load_b32 v8, v16
	s_add_nc_u64 s[18:19], s[18:19], s[16:17]
	s_wait_storecnt 0x0
	s_wait_loadcnt_dscnt 0x0
	s_wait_alu 0xfffe
	v_cmp_ge_u64_e64 s21, s[18:19], s[12:13]
	s_barrier_signal -1
	s_barrier_wait -1
	global_inv scope:SCOPE_SE
	s_and_b32 vcc_lo, exec_lo, s21
	s_wait_alu 0xfffe
	s_cbranch_vccnz .LBB171_33
.LBB171_37:                             ;   Parent Loop BB171_34 Depth=1
                                        ; =>  This Loop Header: Depth=2
                                        ;       Child Loop BB171_49 Depth 3
	s_wait_alu 0xfffe
	v_add_co_u32 v6, s21, s18, v0
	s_wait_alu 0xf1ff
	v_add_co_ci_u32_e64 v7, null, s19, 0, s21
	s_delay_alu instid0(VALU_DEP_2) | instskip(SKIP_1) | instid1(VALU_DEP_2)
	v_add_co_u32 v4, vcc_lo, v6, s6
	s_wait_alu 0xfffd
	v_add_co_ci_u32_e64 v5, null, s7, v7, vcc_lo
	s_and_saveexec_b32 s21, s1
	s_cbranch_execz .LBB171_46
; %bb.38:                               ;   in Loop: Header=BB171_37 Depth=2
	v_mov_b32_e32 v9, s15
	s_mov_b32 s22, exec_lo
	v_cmpx_gt_u64_e64 s[12:13], v[6:7]
	s_cbranch_execz .LBB171_40
; %bb.39:                               ;   in Loop: Header=BB171_37 Depth=2
	v_lshlrev_b64_e32 v[9:10], 2, v[6:7]
	s_delay_alu instid0(VALU_DEP_1) | instskip(SKIP_1) | instid1(VALU_DEP_2)
	v_add_co_u32 v9, vcc_lo, v17, v9
	s_wait_alu 0xfffd
	v_add_co_ci_u32_e64 v10, null, v18, v10, vcc_lo
	global_load_b32 v9, v[9:10], off
.LBB171_40:                             ;   in Loop: Header=BB171_37 Depth=2
	s_or_b32 exec_lo, exec_lo, s22
	v_mov_b32_e32 v10, s15
	s_mov_b32 s22, exec_lo
	s_wait_loadcnt 0x0
	ds_store_b32 v13, v9
	v_cmpx_gt_u64_e64 s[12:13], v[4:5]
	s_cbranch_execz .LBB171_42
; %bb.41:                               ;   in Loop: Header=BB171_37 Depth=2
	v_lshlrev_b64_e32 v[9:10], 2, v[4:5]
	s_delay_alu instid0(VALU_DEP_1) | instskip(SKIP_1) | instid1(VALU_DEP_2)
	v_add_co_u32 v9, vcc_lo, v17, v9
	s_wait_alu 0xfffd
	v_add_co_ci_u32_e64 v10, null, v18, v10, vcc_lo
	global_load_b32 v10, v[9:10], off
.LBB171_42:                             ;   in Loop: Header=BB171_37 Depth=2
	s_or_b32 exec_lo, exec_lo, s22
	s_wait_loadcnt 0x0
	ds_store_b32 v14, v10
	s_and_b32 exec_lo, exec_lo, s0
	s_cbranch_execz .LBB171_46
; %bb.43:                               ;   in Loop: Header=BB171_37 Depth=2
	ds_load_b32 v9, v12
	s_wait_dscnt 0x0
	v_dual_max_num_f32 v10, v8, v8 :: v_dual_max_num_f32 v21, v9, v9
	v_cmp_u_f32_e32 vcc_lo, v9, v9
	s_delay_alu instid0(VALU_DEP_2) | instskip(SKIP_1) | instid1(VALU_DEP_1)
	v_min_num_f32_e32 v22, v21, v10
	s_wait_alu 0xfffd
	v_dual_max_num_f32 v10, v21, v10 :: v_dual_cndmask_b32 v21, v22, v9
	s_delay_alu instid0(VALU_DEP_1) | instskip(SKIP_2) | instid1(VALU_DEP_3)
	v_cndmask_b32_e32 v22, v10, v9, vcc_lo
	v_cmp_u_f32_e32 vcc_lo, v8, v8
	s_wait_alu 0xfffd
	v_cndmask_b32_e32 v10, v21, v8, vcc_lo
	s_delay_alu instid0(VALU_DEP_3) | instskip(NEXT) | instid1(VALU_DEP_2)
	v_cndmask_b32_e32 v8, v22, v8, vcc_lo
	v_cmp_class_f32_e64 s22, v10, 0x1f8
	s_delay_alu instid0(VALU_DEP_2) | instskip(SKIP_1) | instid1(SALU_CYCLE_1)
	v_cmp_neq_f32_e32 vcc_lo, v10, v8
	s_or_b32 s23, vcc_lo, s22
	s_and_saveexec_b32 s22, s23
	s_cbranch_execz .LBB171_45
; %bb.44:                               ;   in Loop: Header=BB171_37 Depth=2
	v_sub_f32_e32 v9, v10, v8
	s_delay_alu instid0(VALU_DEP_1) | instskip(SKIP_1) | instid1(VALU_DEP_2)
	v_mul_f32_e32 v10, 0x3fb8aa3b, v9
	v_cmp_ngt_f32_e32 vcc_lo, 0xc2ce8ed0, v9
	v_fma_f32 v21, 0x3fb8aa3b, v9, -v10
	v_rndne_f32_e32 v22, v10
	s_delay_alu instid0(VALU_DEP_1) | instskip(NEXT) | instid1(VALU_DEP_1)
	v_dual_fmac_f32 v21, 0x32a5705f, v9 :: v_dual_sub_f32 v10, v10, v22
	v_add_f32_e32 v10, v10, v21
	v_cvt_i32_f32_e32 v21, v22
	s_delay_alu instid0(VALU_DEP_2) | instskip(NEXT) | instid1(TRANS32_DEP_1)
	v_exp_f32_e32 v10, v10
	v_ldexp_f32 v10, v10, v21
	s_wait_alu 0xfffd
	s_delay_alu instid0(VALU_DEP_1) | instskip(SKIP_2) | instid1(VALU_DEP_2)
	v_cndmask_b32_e32 v10, 0, v10, vcc_lo
	v_cmp_nlt_f32_e32 vcc_lo, 0x42b17218, v9
	s_wait_alu 0xfffd
	v_cndmask_b32_e32 v21, 0x7f800000, v10, vcc_lo
	s_delay_alu instid0(VALU_DEP_1) | instskip(NEXT) | instid1(VALU_DEP_1)
	v_add_f32_e32 v22, 1.0, v21
	v_cvt_f64_f32_e32 v[9:10], v22
	s_delay_alu instid0(VALU_DEP_1) | instskip(SKIP_1) | instid1(VALU_DEP_1)
	v_frexp_exp_i32_f64_e32 v9, v[9:10]
	v_frexp_mant_f32_e32 v10, v22
	v_cmp_gt_f32_e32 vcc_lo, 0x3f2aaaab, v10
	v_add_f32_e32 v10, -1.0, v22
	s_delay_alu instid0(VALU_DEP_1) | instskip(NEXT) | instid1(VALU_DEP_1)
	v_sub_f32_e32 v24, v10, v22
	v_add_f32_e32 v24, 1.0, v24
	v_sub_f32_e32 v10, v21, v10
	s_wait_alu 0xfffd
	v_subrev_co_ci_u32_e64 v9, null, 0, v9, vcc_lo
	v_cmp_neq_f32_e32 vcc_lo, 0x7f800000, v21
	s_delay_alu instid0(VALU_DEP_2) | instskip(SKIP_1) | instid1(VALU_DEP_2)
	v_sub_nc_u32_e32 v23, 0, v9
	v_cvt_f32_i32_e32 v9, v9
	v_ldexp_f32 v22, v22, v23
	s_delay_alu instid0(VALU_DEP_1) | instskip(NEXT) | instid1(VALU_DEP_1)
	v_dual_add_f32 v25, 1.0, v22 :: v_dual_add_f32 v10, v10, v24
	v_add_f32_e32 v24, -1.0, v25
	s_delay_alu instid0(VALU_DEP_2) | instskip(NEXT) | instid1(VALU_DEP_2)
	v_ldexp_f32 v10, v10, v23
	v_dual_add_f32 v23, -1.0, v22 :: v_dual_sub_f32 v24, v22, v24
	s_delay_alu instid0(VALU_DEP_1) | instskip(NEXT) | instid1(VALU_DEP_2)
	v_add_f32_e32 v26, 1.0, v23
	v_add_f32_e32 v24, v10, v24
	s_delay_alu instid0(VALU_DEP_2) | instskip(NEXT) | instid1(VALU_DEP_2)
	v_sub_f32_e32 v22, v22, v26
	v_add_f32_e32 v26, v25, v24
	s_delay_alu instid0(VALU_DEP_2) | instskip(NEXT) | instid1(VALU_DEP_2)
	v_add_f32_e32 v10, v10, v22
	v_rcp_f32_e32 v22, v26
	v_sub_f32_e32 v25, v25, v26
	s_delay_alu instid0(VALU_DEP_1) | instskip(NEXT) | instid1(VALU_DEP_1)
	v_dual_add_f32 v27, v23, v10 :: v_dual_add_f32 v24, v24, v25
	v_sub_f32_e32 v23, v23, v27
	s_delay_alu instid0(TRANS32_DEP_1) | instskip(NEXT) | instid1(VALU_DEP_2)
	v_mul_f32_e32 v28, v27, v22
	v_add_f32_e32 v10, v10, v23
	s_delay_alu instid0(VALU_DEP_2) | instskip(NEXT) | instid1(VALU_DEP_1)
	v_mul_f32_e32 v29, v26, v28
	v_fma_f32 v25, v28, v26, -v29
	s_delay_alu instid0(VALU_DEP_1) | instskip(NEXT) | instid1(VALU_DEP_1)
	v_fmac_f32_e32 v25, v28, v24
	v_add_f32_e32 v30, v29, v25
	s_delay_alu instid0(VALU_DEP_1) | instskip(SKIP_1) | instid1(VALU_DEP_2)
	v_sub_f32_e32 v31, v27, v30
	v_sub_f32_e32 v23, v30, v29
	;; [unrolled: 1-line block ×3, first 2 shown]
	s_delay_alu instid0(VALU_DEP_2) | instskip(NEXT) | instid1(VALU_DEP_2)
	v_sub_f32_e32 v23, v23, v25
	v_sub_f32_e32 v27, v27, v30
	s_delay_alu instid0(VALU_DEP_1) | instskip(NEXT) | instid1(VALU_DEP_1)
	v_add_f32_e32 v10, v10, v27
	v_add_f32_e32 v10, v23, v10
	s_delay_alu instid0(VALU_DEP_1) | instskip(NEXT) | instid1(VALU_DEP_1)
	v_add_f32_e32 v23, v31, v10
	v_mul_f32_e32 v25, v22, v23
	s_delay_alu instid0(VALU_DEP_1) | instskip(NEXT) | instid1(VALU_DEP_1)
	v_dual_sub_f32 v30, v31, v23 :: v_dual_mul_f32 v27, v26, v25
	v_add_f32_e32 v10, v10, v30
	s_delay_alu instid0(VALU_DEP_2) | instskip(NEXT) | instid1(VALU_DEP_1)
	v_fma_f32 v26, v25, v26, -v27
	v_fmac_f32_e32 v26, v25, v24
	s_delay_alu instid0(VALU_DEP_1) | instskip(NEXT) | instid1(VALU_DEP_1)
	v_add_f32_e32 v24, v27, v26
	v_sub_f32_e32 v29, v23, v24
	v_sub_f32_e32 v27, v24, v27
	s_delay_alu instid0(VALU_DEP_2) | instskip(NEXT) | instid1(VALU_DEP_1)
	v_sub_f32_e32 v23, v23, v29
	v_sub_f32_e32 v23, v23, v24
	s_delay_alu instid0(VALU_DEP_1) | instskip(NEXT) | instid1(VALU_DEP_4)
	v_dual_add_f32 v10, v10, v23 :: v_dual_add_f32 v23, v28, v25
	v_sub_f32_e32 v24, v27, v26
	s_delay_alu instid0(VALU_DEP_1) | instskip(NEXT) | instid1(VALU_DEP_3)
	v_add_f32_e32 v10, v24, v10
	v_sub_f32_e32 v24, v23, v28
	s_delay_alu instid0(VALU_DEP_2) | instskip(NEXT) | instid1(VALU_DEP_2)
	v_add_f32_e32 v10, v29, v10
	v_sub_f32_e32 v24, v25, v24
	s_delay_alu instid0(VALU_DEP_2) | instskip(NEXT) | instid1(VALU_DEP_1)
	v_mul_f32_e32 v10, v22, v10
	v_add_f32_e32 v10, v24, v10
	s_delay_alu instid0(VALU_DEP_1) | instskip(NEXT) | instid1(VALU_DEP_1)
	v_add_f32_e32 v22, v23, v10
	v_mul_f32_e32 v24, v22, v22
	s_delay_alu instid0(VALU_DEP_1) | instskip(SKIP_1) | instid1(VALU_DEP_2)
	v_fmaak_f32 v25, s20, v24, 0x3ecc95a3
	v_mul_f32_e32 v26, v22, v24
	v_fmaak_f32 v24, v24, v25, 0x3f2aaada
	v_ldexp_f32 v25, v22, 1
	v_sub_f32_e32 v22, v22, v23
	s_delay_alu instid0(VALU_DEP_3) | instskip(SKIP_1) | instid1(VALU_DEP_2)
	v_mul_f32_e32 v24, v26, v24
	v_mul_f32_e32 v26, 0x3f317218, v9
	v_dual_sub_f32 v10, v10, v22 :: v_dual_add_f32 v23, v25, v24
	s_delay_alu instid0(VALU_DEP_1) | instskip(NEXT) | instid1(VALU_DEP_2)
	v_ldexp_f32 v10, v10, 1
	v_sub_f32_e32 v22, v23, v25
	s_delay_alu instid0(VALU_DEP_4) | instskip(NEXT) | instid1(VALU_DEP_1)
	v_fma_f32 v25, 0x3f317218, v9, -v26
	v_dual_sub_f32 v22, v24, v22 :: v_dual_fmac_f32 v25, 0xb102e308, v9
	s_delay_alu instid0(VALU_DEP_1) | instskip(NEXT) | instid1(VALU_DEP_2)
	v_add_f32_e32 v9, v10, v22
	v_add_f32_e32 v10, v26, v25
	s_delay_alu instid0(VALU_DEP_2) | instskip(NEXT) | instid1(VALU_DEP_2)
	v_add_f32_e32 v22, v23, v9
	v_sub_f32_e32 v26, v10, v26
	s_delay_alu instid0(VALU_DEP_2) | instskip(SKIP_1) | instid1(VALU_DEP_3)
	v_add_f32_e32 v24, v10, v22
	v_sub_f32_e32 v23, v22, v23
	v_sub_f32_e32 v25, v25, v26
	s_delay_alu instid0(VALU_DEP_3) | instskip(NEXT) | instid1(VALU_DEP_3)
	v_sub_f32_e32 v27, v24, v10
	v_sub_f32_e32 v9, v9, v23
	s_delay_alu instid0(VALU_DEP_2) | instskip(NEXT) | instid1(VALU_DEP_2)
	v_sub_f32_e32 v28, v24, v27
	v_dual_sub_f32 v22, v22, v27 :: v_dual_add_f32 v23, v25, v9
	s_delay_alu instid0(VALU_DEP_2) | instskip(NEXT) | instid1(VALU_DEP_1)
	v_sub_f32_e32 v10, v10, v28
	v_add_f32_e32 v10, v22, v10
	s_delay_alu instid0(VALU_DEP_3) | instskip(NEXT) | instid1(VALU_DEP_2)
	v_sub_f32_e32 v22, v23, v25
	v_add_f32_e32 v10, v23, v10
	s_delay_alu instid0(VALU_DEP_2) | instskip(SKIP_1) | instid1(VALU_DEP_2)
	v_sub_f32_e32 v23, v23, v22
	v_sub_f32_e32 v9, v9, v22
	v_dual_add_f32 v26, v24, v10 :: v_dual_sub_f32 v23, v25, v23
	s_delay_alu instid0(VALU_DEP_1) | instskip(NEXT) | instid1(VALU_DEP_1)
	v_dual_sub_f32 v22, v26, v24 :: v_dual_add_f32 v9, v9, v23
	v_sub_f32_e32 v10, v10, v22
	s_delay_alu instid0(VALU_DEP_1) | instskip(NEXT) | instid1(VALU_DEP_1)
	v_add_f32_e32 v9, v9, v10
	v_add_f32_e32 v9, v26, v9
	s_wait_alu 0xfffd
	s_delay_alu instid0(VALU_DEP_1) | instskip(SKIP_2) | instid1(VALU_DEP_2)
	v_cndmask_b32_e32 v9, 0x7f800000, v9, vcc_lo
	v_cmp_gt_f32_e64 vcc_lo, 0x33800000, |v21|
	s_wait_alu 0xfffd
	v_cndmask_b32_e32 v9, v9, v21, vcc_lo
	s_delay_alu instid0(VALU_DEP_1)
	v_add_f32_e32 v9, v8, v9
.LBB171_45:                             ;   in Loop: Header=BB171_37 Depth=2
	s_or_b32 exec_lo, exec_lo, s22
	ds_store_b32 v12, v9
.LBB171_46:                             ;   in Loop: Header=BB171_37 Depth=2
	s_wait_alu 0xfffe
	s_or_b32 exec_lo, exec_lo, s21
	v_mov_b32_e32 v22, 0
	s_mov_b32 s21, 0
	s_wait_dscnt 0x0
	s_barrier_signal -1
	s_barrier_wait -1
	global_inv scope:SCOPE_SE
	s_branch .LBB171_49
.LBB171_47:                             ;   in Loop: Header=BB171_49 Depth=3
	s_or_b32 exec_lo, exec_lo, s23
	ds_store_b32 v8, v10
.LBB171_48:                             ;   in Loop: Header=BB171_49 Depth=3
	s_or_b32 exec_lo, exec_lo, s22
	s_delay_alu instid0(VALU_DEP_1)
	v_cmp_eq_u32_e32 vcc_lo, s14, v21
	v_mov_b32_e32 v22, v21
	s_wait_loadcnt_dscnt 0x0
	s_barrier_signal -1
	s_barrier_wait -1
	s_wait_alu 0xfffe
	s_or_b32 s21, vcc_lo, s21
	global_inv scope:SCOPE_SE
	s_wait_alu 0xfffe
	s_and_not1_b32 exec_lo, exec_lo, s21
	s_cbranch_execz .LBB171_56
.LBB171_49:                             ;   Parent Loop BB171_34 Depth=1
                                        ;     Parent Loop BB171_37 Depth=2
                                        ; =>    This Inner Loop Header: Depth=3
	v_add_nc_u32_e32 v21, 1, v22
	s_and_saveexec_b32 s22, s2
	s_delay_alu instid0(SALU_CYCLE_1)
	s_xor_b32 s22, exec_lo, s22
; %bb.50:                               ;   in Loop: Header=BB171_49 Depth=3
	v_add_nc_u32_e32 v21, 1, v22
                                        ; implicit-def: $vgpr22
; %bb.51:                               ;   in Loop: Header=BB171_49 Depth=3
	s_and_not1_saveexec_b32 s22, s22
	s_cbranch_execz .LBB171_48
; %bb.52:                               ;   in Loop: Header=BB171_49 Depth=3
	v_lshlrev_b32_e64 v8, v22, 1
	s_delay_alu instid0(VALU_DEP_1) | instskip(NEXT) | instid1(VALU_DEP_1)
	v_ashrrev_i32_e32 v9, 31, v8
	v_cmp_ge_u64_e32 vcc_lo, v[0:1], v[8:9]
	v_dual_mov_b32 v10, v1 :: v_dual_mov_b32 v9, v0
	s_and_saveexec_b32 s23, vcc_lo
	s_cbranch_execz .LBB171_54
; %bb.53:                               ;   in Loop: Header=BB171_49 Depth=3
	v_cvt_f32_u32_e32 v9, v8
	v_sub_nc_u32_e32 v10, 0, v8
	s_delay_alu instid0(VALU_DEP_2) | instskip(NEXT) | instid1(TRANS32_DEP_1)
	v_rcp_iflag_f32_e32 v9, v9
	v_mul_f32_e32 v9, 0x4f7ffffe, v9
	s_delay_alu instid0(VALU_DEP_1) | instskip(NEXT) | instid1(VALU_DEP_1)
	v_cvt_u32_f32_e32 v9, v9
	v_mul_lo_u32 v10, v10, v9
	s_delay_alu instid0(VALU_DEP_1) | instskip(NEXT) | instid1(VALU_DEP_1)
	v_mul_hi_u32 v10, v9, v10
	v_add_nc_u32_e32 v9, v9, v10
	s_delay_alu instid0(VALU_DEP_1) | instskip(NEXT) | instid1(VALU_DEP_1)
	v_mul_hi_u32 v9, v0, v9
	v_mul_lo_u32 v9, v9, v8
	s_delay_alu instid0(VALU_DEP_1) | instskip(NEXT) | instid1(VALU_DEP_1)
	v_sub_nc_u32_e32 v9, v0, v9
	v_sub_nc_u32_e32 v10, v9, v8
	v_cmp_ge_u32_e32 vcc_lo, v9, v8
	s_wait_alu 0xfffd
	s_delay_alu instid0(VALU_DEP_2) | instskip(NEXT) | instid1(VALU_DEP_1)
	v_cndmask_b32_e32 v9, v9, v10, vcc_lo
	v_sub_nc_u32_e32 v10, v9, v8
	v_cmp_ge_u32_e32 vcc_lo, v9, v8
	s_wait_alu 0xfffd
	s_delay_alu instid0(VALU_DEP_2)
	v_cndmask_b32_e32 v9, v9, v10, vcc_lo
.LBB171_54:                             ;   in Loop: Header=BB171_49 Depth=3
	s_or_b32 exec_lo, exec_lo, s23
	v_lshrrev_b32_e32 v10, v22, v0
	s_delay_alu instid0(VALU_DEP_1) | instskip(NEXT) | instid1(VALU_DEP_1)
	v_lshl_or_b32 v8, v10, v21, v8
	v_lshl_add_u32 v8, v8, 2, v12
	s_delay_alu instid0(VALU_DEP_1)
	v_add_nc_u32_e32 v10, -4, v8
	v_lshl_add_u32 v8, v9, 2, v8
	ds_load_b32 v9, v10
	ds_load_b32 v10, v8
	s_wait_dscnt 0x0
	v_dual_max_num_f32 v22, v9, v9 :: v_dual_max_num_f32 v23, v10, v10
	v_cmp_u_f32_e32 vcc_lo, v10, v10
	s_delay_alu instid0(VALU_DEP_2) | instskip(SKIP_2) | instid1(VALU_DEP_2)
	v_min_num_f32_e32 v24, v23, v22
	v_max_num_f32_e32 v22, v23, v22
	s_wait_alu 0xfffd
	v_cndmask_b32_e32 v23, v24, v10, vcc_lo
	s_delay_alu instid0(VALU_DEP_2) | instskip(SKIP_2) | instid1(VALU_DEP_3)
	v_cndmask_b32_e32 v24, v22, v10, vcc_lo
	v_cmp_u_f32_e32 vcc_lo, v9, v9
	s_wait_alu 0xfffd
	v_cndmask_b32_e32 v22, v23, v9, vcc_lo
	s_delay_alu instid0(VALU_DEP_3) | instskip(NEXT) | instid1(VALU_DEP_2)
	v_cndmask_b32_e32 v9, v24, v9, vcc_lo
	v_cmp_class_f32_e64 s23, v22, 0x1f8
	s_delay_alu instid0(VALU_DEP_2) | instskip(SKIP_1) | instid1(SALU_CYCLE_1)
	v_cmp_neq_f32_e32 vcc_lo, v22, v9
	s_or_b32 s24, vcc_lo, s23
	s_and_saveexec_b32 s23, s24
	s_cbranch_execz .LBB171_47
; %bb.55:                               ;   in Loop: Header=BB171_49 Depth=3
	v_sub_f32_e32 v10, v22, v9
	s_delay_alu instid0(VALU_DEP_1) | instskip(SKIP_1) | instid1(VALU_DEP_2)
	v_mul_f32_e32 v22, 0x3fb8aa3b, v10
	v_cmp_ngt_f32_e32 vcc_lo, 0xc2ce8ed0, v10
	v_fma_f32 v23, 0x3fb8aa3b, v10, -v22
	v_rndne_f32_e32 v24, v22
	s_delay_alu instid0(VALU_DEP_1) | instskip(NEXT) | instid1(VALU_DEP_1)
	v_dual_fmac_f32 v23, 0x32a5705f, v10 :: v_dual_sub_f32 v22, v22, v24
	v_add_f32_e32 v22, v22, v23
	v_cvt_i32_f32_e32 v23, v24
	s_delay_alu instid0(VALU_DEP_2) | instskip(NEXT) | instid1(TRANS32_DEP_1)
	v_exp_f32_e32 v22, v22
	v_ldexp_f32 v22, v22, v23
	s_wait_alu 0xfffd
	s_delay_alu instid0(VALU_DEP_1) | instskip(SKIP_2) | instid1(VALU_DEP_2)
	v_cndmask_b32_e32 v22, 0, v22, vcc_lo
	v_cmp_nlt_f32_e32 vcc_lo, 0x42b17218, v10
	s_wait_alu 0xfffd
	v_cndmask_b32_e32 v10, 0x7f800000, v22, vcc_lo
	s_delay_alu instid0(VALU_DEP_1) | instskip(NEXT) | instid1(VALU_DEP_1)
	v_add_f32_e32 v24, 1.0, v10
	v_cvt_f64_f32_e32 v[22:23], v24
	s_delay_alu instid0(VALU_DEP_1) | instskip(SKIP_1) | instid1(VALU_DEP_1)
	v_frexp_exp_i32_f64_e32 v22, v[22:23]
	v_frexp_mant_f32_e32 v23, v24
	v_cmp_gt_f32_e32 vcc_lo, 0x3f2aaaab, v23
	v_add_f32_e32 v23, -1.0, v24
	s_delay_alu instid0(VALU_DEP_1) | instskip(SKIP_2) | instid1(VALU_DEP_1)
	v_dual_sub_f32 v26, v23, v24 :: v_dual_sub_f32 v23, v10, v23
	s_wait_alu 0xfffd
	v_subrev_co_ci_u32_e64 v22, null, 0, v22, vcc_lo
	v_sub_nc_u32_e32 v25, 0, v22
	v_cvt_f32_i32_e32 v22, v22
	s_delay_alu instid0(VALU_DEP_2) | instskip(NEXT) | instid1(VALU_DEP_1)
	v_ldexp_f32 v24, v24, v25
	v_dual_add_f32 v27, 1.0, v24 :: v_dual_add_f32 v26, 1.0, v26
	s_delay_alu instid0(VALU_DEP_1) | instskip(NEXT) | instid1(VALU_DEP_1)
	v_dual_add_f32 v23, v23, v26 :: v_dual_add_f32 v26, -1.0, v27
	v_ldexp_f32 v23, v23, v25
	s_delay_alu instid0(VALU_DEP_2) | instskip(NEXT) | instid1(VALU_DEP_1)
	v_dual_add_f32 v25, -1.0, v24 :: v_dual_sub_f32 v26, v24, v26
	v_add_f32_e32 v28, 1.0, v25
	s_delay_alu instid0(VALU_DEP_2) | instskip(NEXT) | instid1(VALU_DEP_2)
	v_add_f32_e32 v26, v23, v26
	v_sub_f32_e32 v24, v24, v28
	s_delay_alu instid0(VALU_DEP_1) | instskip(SKIP_1) | instid1(VALU_DEP_2)
	v_add_f32_e32 v23, v23, v24
	v_cmp_neq_f32_e32 vcc_lo, 0x7f800000, v10
	v_add_f32_e32 v29, v25, v23
	s_delay_alu instid0(VALU_DEP_1) | instskip(NEXT) | instid1(VALU_DEP_1)
	v_dual_sub_f32 v25, v25, v29 :: v_dual_add_f32 v28, v27, v26
	v_add_f32_e32 v23, v23, v25
	s_delay_alu instid0(VALU_DEP_2) | instskip(SKIP_1) | instid1(VALU_DEP_1)
	v_rcp_f32_e32 v24, v28
	v_sub_f32_e32 v27, v27, v28
	v_add_f32_e32 v26, v26, v27
	s_delay_alu instid0(TRANS32_DEP_1) | instskip(NEXT) | instid1(VALU_DEP_1)
	v_mul_f32_e32 v30, v29, v24
	v_mul_f32_e32 v31, v28, v30
	s_delay_alu instid0(VALU_DEP_1) | instskip(NEXT) | instid1(VALU_DEP_1)
	v_fma_f32 v27, v30, v28, -v31
	v_fmac_f32_e32 v27, v30, v26
	s_delay_alu instid0(VALU_DEP_1) | instskip(NEXT) | instid1(VALU_DEP_1)
	v_add_f32_e32 v32, v31, v27
	v_sub_f32_e32 v33, v29, v32
	v_sub_f32_e32 v25, v32, v31
	s_delay_alu instid0(VALU_DEP_2) | instskip(NEXT) | instid1(VALU_DEP_1)
	v_sub_f32_e32 v29, v29, v33
	v_sub_f32_e32 v29, v29, v32
	s_delay_alu instid0(VALU_DEP_3) | instskip(NEXT) | instid1(VALU_DEP_2)
	v_sub_f32_e32 v25, v25, v27
	v_add_f32_e32 v23, v23, v29
	s_delay_alu instid0(VALU_DEP_1) | instskip(NEXT) | instid1(VALU_DEP_1)
	v_add_f32_e32 v23, v25, v23
	v_add_f32_e32 v25, v33, v23
	s_delay_alu instid0(VALU_DEP_1) | instskip(NEXT) | instid1(VALU_DEP_1)
	v_mul_f32_e32 v27, v24, v25
	v_dual_sub_f32 v32, v33, v25 :: v_dual_mul_f32 v29, v28, v27
	s_delay_alu instid0(VALU_DEP_1) | instskip(NEXT) | instid1(VALU_DEP_2)
	v_add_f32_e32 v23, v23, v32
	v_fma_f32 v28, v27, v28, -v29
	s_delay_alu instid0(VALU_DEP_1) | instskip(NEXT) | instid1(VALU_DEP_1)
	v_fmac_f32_e32 v28, v27, v26
	v_add_f32_e32 v26, v29, v28
	s_delay_alu instid0(VALU_DEP_1) | instskip(NEXT) | instid1(VALU_DEP_1)
	v_sub_f32_e32 v31, v25, v26
	v_sub_f32_e32 v25, v25, v31
	s_delay_alu instid0(VALU_DEP_1) | instskip(NEXT) | instid1(VALU_DEP_1)
	v_sub_f32_e32 v25, v25, v26
	v_add_f32_e32 v23, v23, v25
	v_add_f32_e32 v25, v30, v27
	v_sub_f32_e32 v29, v26, v29
	s_delay_alu instid0(VALU_DEP_1) | instskip(NEXT) | instid1(VALU_DEP_1)
	v_sub_f32_e32 v26, v29, v28
	v_dual_add_f32 v23, v26, v23 :: v_dual_sub_f32 v26, v25, v30
	s_delay_alu instid0(VALU_DEP_1) | instskip(NEXT) | instid1(VALU_DEP_1)
	v_add_f32_e32 v23, v31, v23
	v_dual_sub_f32 v26, v27, v26 :: v_dual_mul_f32 v23, v24, v23
	s_delay_alu instid0(VALU_DEP_1) | instskip(NEXT) | instid1(VALU_DEP_1)
	v_add_f32_e32 v23, v26, v23
	v_add_f32_e32 v24, v25, v23
	s_delay_alu instid0(VALU_DEP_1) | instskip(NEXT) | instid1(VALU_DEP_1)
	v_mul_f32_e32 v26, v24, v24
	v_fmaak_f32 v27, s20, v26, 0x3ecc95a3
	v_mul_f32_e32 v28, v24, v26
	s_delay_alu instid0(VALU_DEP_2) | instskip(SKIP_1) | instid1(VALU_DEP_2)
	v_fmaak_f32 v26, v26, v27, 0x3f2aaada
	v_ldexp_f32 v27, v24, 1
	v_mul_f32_e32 v26, v28, v26
	v_mul_f32_e32 v28, 0x3f317218, v22
	s_delay_alu instid0(VALU_DEP_2) | instskip(NEXT) | instid1(VALU_DEP_1)
	v_dual_sub_f32 v24, v24, v25 :: v_dual_add_f32 v25, v27, v26
	v_dual_sub_f32 v23, v23, v24 :: v_dual_sub_f32 v24, v25, v27
	s_delay_alu instid0(VALU_DEP_3) | instskip(NEXT) | instid1(VALU_DEP_2)
	v_fma_f32 v27, 0x3f317218, v22, -v28
	v_ldexp_f32 v23, v23, 1
	s_delay_alu instid0(VALU_DEP_2) | instskip(NEXT) | instid1(VALU_DEP_1)
	v_dual_sub_f32 v24, v26, v24 :: v_dual_fmac_f32 v27, 0xb102e308, v22
	v_dual_add_f32 v22, v23, v24 :: v_dual_add_f32 v23, v28, v27
	s_delay_alu instid0(VALU_DEP_1) | instskip(NEXT) | instid1(VALU_DEP_1)
	v_add_f32_e32 v24, v25, v22
	v_add_f32_e32 v26, v23, v24
	s_delay_alu instid0(VALU_DEP_1) | instskip(NEXT) | instid1(VALU_DEP_1)
	v_sub_f32_e32 v29, v26, v23
	v_sub_f32_e32 v30, v26, v29
	;; [unrolled: 1-line block ×3, first 2 shown]
	s_delay_alu instid0(VALU_DEP_1) | instskip(SKIP_1) | instid1(VALU_DEP_1)
	v_sub_f32_e32 v22, v22, v25
	v_sub_f32_e32 v28, v23, v28
	v_dual_sub_f32 v24, v24, v29 :: v_dual_sub_f32 v27, v27, v28
	s_delay_alu instid0(VALU_DEP_1) | instskip(SKIP_1) | instid1(VALU_DEP_1)
	v_add_f32_e32 v25, v27, v22
	v_sub_f32_e32 v23, v23, v30
	v_add_f32_e32 v23, v24, v23
	s_delay_alu instid0(VALU_DEP_3) | instskip(NEXT) | instid1(VALU_DEP_1)
	v_sub_f32_e32 v24, v25, v27
	v_dual_sub_f32 v22, v22, v24 :: v_dual_add_f32 v23, v25, v23
	s_delay_alu instid0(VALU_DEP_1) | instskip(NEXT) | instid1(VALU_DEP_1)
	v_dual_sub_f32 v25, v25, v24 :: v_dual_add_f32 v28, v26, v23
	v_dual_sub_f32 v24, v28, v26 :: v_dual_sub_f32 v25, v27, v25
	s_delay_alu instid0(VALU_DEP_1) | instskip(NEXT) | instid1(VALU_DEP_1)
	v_dual_sub_f32 v23, v23, v24 :: v_dual_add_f32 v22, v22, v25
	v_add_f32_e32 v22, v22, v23
	s_delay_alu instid0(VALU_DEP_1) | instskip(SKIP_1) | instid1(VALU_DEP_1)
	v_add_f32_e32 v22, v28, v22
	s_wait_alu 0xfffd
	v_cndmask_b32_e32 v22, 0x7f800000, v22, vcc_lo
	v_cmp_gt_f32_e64 vcc_lo, 0x33800000, |v10|
	s_wait_alu 0xfffd
	s_delay_alu instid0(VALU_DEP_2) | instskip(NEXT) | instid1(VALU_DEP_1)
	v_cndmask_b32_e32 v10, v22, v10, vcc_lo
	v_add_f32_e32 v10, v9, v10
	s_branch .LBB171_47
.LBB171_56:                             ;   in Loop: Header=BB171_37 Depth=2
	s_or_b32 exec_lo, exec_lo, s21
	s_and_saveexec_b32 s21, s1
	s_cbranch_execz .LBB171_36
; %bb.57:                               ;   in Loop: Header=BB171_37 Depth=2
	s_mov_b32 s22, exec_lo
	v_cmpx_gt_u64_e64 s[12:13], v[6:7]
	s_cbranch_execz .LBB171_59
; %bb.58:                               ;   in Loop: Header=BB171_37 Depth=2
	ds_load_b32 v8, v13
	v_lshlrev_b64_e32 v[6:7], 2, v[6:7]
	s_delay_alu instid0(VALU_DEP_1) | instskip(SKIP_1) | instid1(VALU_DEP_2)
	v_add_co_u32 v6, vcc_lo, v19, v6
	s_wait_alu 0xfffd
	v_add_co_ci_u32_e64 v7, null, v20, v7, vcc_lo
	s_wait_dscnt 0x0
	global_store_b32 v[6:7], v8, off
.LBB171_59:                             ;   in Loop: Header=BB171_37 Depth=2
	s_or_b32 exec_lo, exec_lo, s22
	v_cmp_gt_u64_e32 vcc_lo, s[12:13], v[4:5]
	s_and_b32 exec_lo, exec_lo, vcc_lo
	s_cbranch_execz .LBB171_36
; %bb.60:                               ;   in Loop: Header=BB171_37 Depth=2
	ds_load_b32 v6, v14
	v_lshlrev_b64_e32 v[4:5], 2, v[4:5]
	s_delay_alu instid0(VALU_DEP_1) | instskip(SKIP_1) | instid1(VALU_DEP_2)
	v_add_co_u32 v4, vcc_lo, v19, v4
	s_wait_alu 0xfffd
	v_add_co_ci_u32_e64 v5, null, v20, v5, vcc_lo
	s_wait_dscnt 0x0
	global_store_b32 v[4:5], v6, off
	s_branch .LBB171_36
.LBB171_61:
	s_endpgm
	.section	.rodata,"a",@progbits
	.p2align	6, 0x0
	.amdhsa_kernel _ZN2at6native32tensor_kernel_scan_innermost_dimIfZZZNS0_31launch_logcumsumexp_cuda_kernelERKNS_10TensorBaseES4_lENKUlvE_clEvENKUlvE0_clEvEUlffE_EEvPT_PKS8_jjjS8_T0_
		.amdhsa_group_segment_fixed_size 0
		.amdhsa_private_segment_fixed_size 0
		.amdhsa_kernarg_size 296
		.amdhsa_user_sgpr_count 2
		.amdhsa_user_sgpr_dispatch_ptr 0
		.amdhsa_user_sgpr_queue_ptr 0
		.amdhsa_user_sgpr_kernarg_segment_ptr 1
		.amdhsa_user_sgpr_dispatch_id 0
		.amdhsa_user_sgpr_private_segment_size 0
		.amdhsa_wavefront_size32 1
		.amdhsa_uses_dynamic_stack 0
		.amdhsa_enable_private_segment 0
		.amdhsa_system_sgpr_workgroup_id_x 1
		.amdhsa_system_sgpr_workgroup_id_y 0
		.amdhsa_system_sgpr_workgroup_id_z 0
		.amdhsa_system_sgpr_workgroup_info 0
		.amdhsa_system_vgpr_workitem_id 1
		.amdhsa_next_free_vgpr 34
		.amdhsa_next_free_sgpr 25
		.amdhsa_reserve_vcc 1
		.amdhsa_float_round_mode_32 0
		.amdhsa_float_round_mode_16_64 0
		.amdhsa_float_denorm_mode_32 3
		.amdhsa_float_denorm_mode_16_64 3
		.amdhsa_fp16_overflow 0
		.amdhsa_workgroup_processor_mode 1
		.amdhsa_memory_ordered 1
		.amdhsa_forward_progress 1
		.amdhsa_inst_pref_size 46
		.amdhsa_round_robin_scheduling 0
		.amdhsa_exception_fp_ieee_invalid_op 0
		.amdhsa_exception_fp_denorm_src 0
		.amdhsa_exception_fp_ieee_div_zero 0
		.amdhsa_exception_fp_ieee_overflow 0
		.amdhsa_exception_fp_ieee_underflow 0
		.amdhsa_exception_fp_ieee_inexact 0
		.amdhsa_exception_int_div_zero 0
	.end_amdhsa_kernel
	.section	.text._ZN2at6native32tensor_kernel_scan_innermost_dimIfZZZNS0_31launch_logcumsumexp_cuda_kernelERKNS_10TensorBaseES4_lENKUlvE_clEvENKUlvE0_clEvEUlffE_EEvPT_PKS8_jjjS8_T0_,"axG",@progbits,_ZN2at6native32tensor_kernel_scan_innermost_dimIfZZZNS0_31launch_logcumsumexp_cuda_kernelERKNS_10TensorBaseES4_lENKUlvE_clEvENKUlvE0_clEvEUlffE_EEvPT_PKS8_jjjS8_T0_,comdat
.Lfunc_end171:
	.size	_ZN2at6native32tensor_kernel_scan_innermost_dimIfZZZNS0_31launch_logcumsumexp_cuda_kernelERKNS_10TensorBaseES4_lENKUlvE_clEvENKUlvE0_clEvEUlffE_EEvPT_PKS8_jjjS8_T0_, .Lfunc_end171-_ZN2at6native32tensor_kernel_scan_innermost_dimIfZZZNS0_31launch_logcumsumexp_cuda_kernelERKNS_10TensorBaseES4_lENKUlvE_clEvENKUlvE0_clEvEUlffE_EEvPT_PKS8_jjjS8_T0_
                                        ; -- End function
	.set _ZN2at6native32tensor_kernel_scan_innermost_dimIfZZZNS0_31launch_logcumsumexp_cuda_kernelERKNS_10TensorBaseES4_lENKUlvE_clEvENKUlvE0_clEvEUlffE_EEvPT_PKS8_jjjS8_T0_.num_vgpr, 34
	.set _ZN2at6native32tensor_kernel_scan_innermost_dimIfZZZNS0_31launch_logcumsumexp_cuda_kernelERKNS_10TensorBaseES4_lENKUlvE_clEvENKUlvE0_clEvEUlffE_EEvPT_PKS8_jjjS8_T0_.num_agpr, 0
	.set _ZN2at6native32tensor_kernel_scan_innermost_dimIfZZZNS0_31launch_logcumsumexp_cuda_kernelERKNS_10TensorBaseES4_lENKUlvE_clEvENKUlvE0_clEvEUlffE_EEvPT_PKS8_jjjS8_T0_.numbered_sgpr, 25
	.set _ZN2at6native32tensor_kernel_scan_innermost_dimIfZZZNS0_31launch_logcumsumexp_cuda_kernelERKNS_10TensorBaseES4_lENKUlvE_clEvENKUlvE0_clEvEUlffE_EEvPT_PKS8_jjjS8_T0_.num_named_barrier, 0
	.set _ZN2at6native32tensor_kernel_scan_innermost_dimIfZZZNS0_31launch_logcumsumexp_cuda_kernelERKNS_10TensorBaseES4_lENKUlvE_clEvENKUlvE0_clEvEUlffE_EEvPT_PKS8_jjjS8_T0_.private_seg_size, 0
	.set _ZN2at6native32tensor_kernel_scan_innermost_dimIfZZZNS0_31launch_logcumsumexp_cuda_kernelERKNS_10TensorBaseES4_lENKUlvE_clEvENKUlvE0_clEvEUlffE_EEvPT_PKS8_jjjS8_T0_.uses_vcc, 1
	.set _ZN2at6native32tensor_kernel_scan_innermost_dimIfZZZNS0_31launch_logcumsumexp_cuda_kernelERKNS_10TensorBaseES4_lENKUlvE_clEvENKUlvE0_clEvEUlffE_EEvPT_PKS8_jjjS8_T0_.uses_flat_scratch, 0
	.set _ZN2at6native32tensor_kernel_scan_innermost_dimIfZZZNS0_31launch_logcumsumexp_cuda_kernelERKNS_10TensorBaseES4_lENKUlvE_clEvENKUlvE0_clEvEUlffE_EEvPT_PKS8_jjjS8_T0_.has_dyn_sized_stack, 0
	.set _ZN2at6native32tensor_kernel_scan_innermost_dimIfZZZNS0_31launch_logcumsumexp_cuda_kernelERKNS_10TensorBaseES4_lENKUlvE_clEvENKUlvE0_clEvEUlffE_EEvPT_PKS8_jjjS8_T0_.has_recursion, 0
	.set _ZN2at6native32tensor_kernel_scan_innermost_dimIfZZZNS0_31launch_logcumsumexp_cuda_kernelERKNS_10TensorBaseES4_lENKUlvE_clEvENKUlvE0_clEvEUlffE_EEvPT_PKS8_jjjS8_T0_.has_indirect_call, 0
	.section	.AMDGPU.csdata,"",@progbits
; Kernel info:
; codeLenInByte = 5852
; TotalNumSgprs: 27
; NumVgprs: 34
; ScratchSize: 0
; MemoryBound: 0
; FloatMode: 240
; IeeeMode: 1
; LDSByteSize: 0 bytes/workgroup (compile time only)
; SGPRBlocks: 0
; VGPRBlocks: 4
; NumSGPRsForWavesPerEU: 27
; NumVGPRsForWavesPerEU: 34
; Occupancy: 16
; WaveLimiterHint : 0
; COMPUTE_PGM_RSRC2:SCRATCH_EN: 0
; COMPUTE_PGM_RSRC2:USER_SGPR: 2
; COMPUTE_PGM_RSRC2:TRAP_HANDLER: 0
; COMPUTE_PGM_RSRC2:TGID_X_EN: 1
; COMPUTE_PGM_RSRC2:TGID_Y_EN: 0
; COMPUTE_PGM_RSRC2:TGID_Z_EN: 0
; COMPUTE_PGM_RSRC2:TIDIG_COMP_CNT: 1
	.section	.text._ZN2at6native28tensor_kernel_scan_outer_dimIfjZZZNS0_31launch_logcumsumexp_cuda_kernelERKNS_10TensorBaseES4_lENKUlvE_clEvENKUlvE0_clEvEUlffE_EEvPT_PKS8_jjjS8_T1_,"axG",@progbits,_ZN2at6native28tensor_kernel_scan_outer_dimIfjZZZNS0_31launch_logcumsumexp_cuda_kernelERKNS_10TensorBaseES4_lENKUlvE_clEvENKUlvE0_clEvEUlffE_EEvPT_PKS8_jjjS8_T1_,comdat
	.globl	_ZN2at6native28tensor_kernel_scan_outer_dimIfjZZZNS0_31launch_logcumsumexp_cuda_kernelERKNS_10TensorBaseES4_lENKUlvE_clEvENKUlvE0_clEvEUlffE_EEvPT_PKS8_jjjS8_T1_ ; -- Begin function _ZN2at6native28tensor_kernel_scan_outer_dimIfjZZZNS0_31launch_logcumsumexp_cuda_kernelERKNS_10TensorBaseES4_lENKUlvE_clEvENKUlvE0_clEvEUlffE_EEvPT_PKS8_jjjS8_T1_
	.p2align	8
	.type	_ZN2at6native28tensor_kernel_scan_outer_dimIfjZZZNS0_31launch_logcumsumexp_cuda_kernelERKNS_10TensorBaseES4_lENKUlvE_clEvENKUlvE0_clEvEUlffE_EEvPT_PKS8_jjjS8_T1_,@function
_ZN2at6native28tensor_kernel_scan_outer_dimIfjZZZNS0_31launch_logcumsumexp_cuda_kernelERKNS_10TensorBaseES4_lENKUlvE_clEvENKUlvE0_clEvEUlffE_EEvPT_PKS8_jjjS8_T1_: ; @_ZN2at6native28tensor_kernel_scan_outer_dimIfjZZZNS0_31launch_logcumsumexp_cuda_kernelERKNS_10TensorBaseES4_lENKUlvE_clEvENKUlvE0_clEvEUlffE_EEvPT_PKS8_jjjS8_T1_
; %bb.0:
	s_load_b128 s[4:7], s[0:1], 0x10
	s_wait_kmcnt 0x0
	s_cmp_ge_u32 ttmp9, s4
	s_cbranch_scc1 .LBB172_11
; %bb.1:
	s_clause 0x2
	s_load_b32 s12, s[0:1], 0x34
	s_load_b32 s19, s[0:1], 0x28
	s_load_b128 s[8:11], s[0:1], 0x0
	s_add_nc_u64 s[2:3], s[0:1], 40
	s_mul_i32 s0, ttmp9, s6
	v_mov_b32_e32 v2, 0
	s_mul_i32 s16, s0, s5
	s_mov_b32 s13, 0
	s_mov_b32 s18, ttmp9
	s_mov_b32 s22, 0x3e9b6dac
	s_wait_kmcnt 0x0
	s_and_b32 s1, s12, 0xffff
	s_mov_b32 s12, s5
	v_mad_co_u64_u32 v[0:1], null, ttmp7, s1, v[0:1]
	s_mul_i32 s20, s19, s6
	s_cmp_lg_u32 s6, 0
	s_mul_i32 s20, s20, s5
	s_cselect_b32 s21, -1, 0
	s_lshl_b64 s[14:15], s[12:13], 2
	s_mov_b32 s12, s16
	v_cmp_gt_u32_e64 s0, s5, v0
	s_branch .LBB172_3
.LBB172_2:                              ;   in Loop: Header=BB172_3 Depth=1
	s_wait_alu 0xfffe
	s_or_b32 exec_lo, exec_lo, s23
	s_add_co_i32 s18, s19, s18
	s_add_co_i32 s12, s12, s20
	s_cmp_ge_u32 s18, s4
	s_cbranch_scc1 .LBB172_11
.LBB172_3:                              ; =>This Loop Header: Depth=1
                                        ;     Child Loop BB172_6 Depth 2
                                        ;       Child Loop BB172_9 Depth 3
	s_delay_alu instid0(VALU_DEP_1)
	s_and_saveexec_b32 s23, s0
	s_cbranch_execz .LBB172_2
; %bb.4:                                ;   in Loop: Header=BB172_3 Depth=1
	s_load_b32 s24, s[2:3], 0x4
	v_mov_b32_e32 v1, v0
	s_lshl_b64 s[16:17], s[12:13], 2
	s_mov_b32 s25, 0
	s_wait_kmcnt 0x0
	s_mul_i32 s24, s24, s1
	s_branch .LBB172_6
.LBB172_5:                              ;   in Loop: Header=BB172_6 Depth=2
	s_wait_alu 0xfffe
	v_add_nc_u32_e32 v1, s24, v1
	s_delay_alu instid0(VALU_DEP_1)
	v_cmp_le_u32_e32 vcc_lo, s5, v1
	s_or_b32 s25, vcc_lo, s25
	s_wait_alu 0xfffe
	s_and_not1_b32 exec_lo, exec_lo, s25
	s_cbranch_execz .LBB172_2
.LBB172_6:                              ;   Parent Loop BB172_3 Depth=1
                                        ; =>  This Loop Header: Depth=2
                                        ;       Child Loop BB172_9 Depth 3
	s_and_not1_b32 vcc_lo, exec_lo, s21
	s_wait_alu 0xfffe
	s_cbranch_vccnz .LBB172_5
; %bb.7:                                ;   in Loop: Header=BB172_6 Depth=2
	v_lshlrev_b64_e32 v[3:4], 2, v[1:2]
	v_mov_b32_e32 v6, s7
	s_mov_b32 s26, s6
	s_delay_alu instid0(VALU_DEP_2) | instskip(SKIP_1) | instid1(VALU_DEP_3)
	v_add_co_u32 v3, vcc_lo, s16, v3
	s_wait_alu 0xfffd
	v_add_co_ci_u32_e64 v4, null, s17, v4, vcc_lo
	s_branch .LBB172_9
.LBB172_8:                              ;   in Loop: Header=BB172_9 Depth=3
	s_or_b32 exec_lo, exec_lo, s27
	v_add_co_u32 v7, vcc_lo, s8, v3
	s_wait_alu 0xfffd
	v_add_co_ci_u32_e64 v8, null, s9, v4, vcc_lo
	v_add_co_u32 v3, vcc_lo, v3, s14
	s_wait_alu 0xfffd
	v_add_co_ci_u32_e64 v4, null, s15, v4, vcc_lo
	s_add_co_i32 s26, s26, -1
	global_store_b32 v[7:8], v6, off
	s_cmp_eq_u32 s26, 0
	s_cbranch_scc1 .LBB172_5
.LBB172_9:                              ;   Parent Loop BB172_3 Depth=1
                                        ;     Parent Loop BB172_6 Depth=2
                                        ; =>    This Inner Loop Header: Depth=3
	s_delay_alu instid0(VALU_DEP_2) | instskip(SKIP_1) | instid1(VALU_DEP_2)
	v_add_co_u32 v7, vcc_lo, s10, v3
	s_wait_alu 0xfffd
	v_add_co_ci_u32_e64 v8, null, s11, v4, vcc_lo
	v_cmp_u_f32_e32 vcc_lo, v6, v6
	global_load_b32 v5, v[7:8], off
	s_wait_loadcnt 0x0
	v_dual_max_num_f32 v7, v6, v6 :: v_dual_max_num_f32 v8, v5, v5
	s_delay_alu instid0(VALU_DEP_1) | instskip(SKIP_1) | instid1(VALU_DEP_1)
	v_min_num_f32_e32 v9, v7, v8
	s_wait_alu 0xfffd
	v_dual_max_num_f32 v7, v7, v8 :: v_dual_cndmask_b32 v8, v9, v6
	s_delay_alu instid0(VALU_DEP_1) | instskip(SKIP_2) | instid1(VALU_DEP_3)
	v_cndmask_b32_e32 v9, v7, v6, vcc_lo
	v_cmp_u_f32_e32 vcc_lo, v5, v5
	s_wait_alu 0xfffd
	v_cndmask_b32_e32 v7, v8, v5, vcc_lo
	s_delay_alu instid0(VALU_DEP_3) | instskip(NEXT) | instid1(VALU_DEP_2)
	v_cndmask_b32_e32 v5, v9, v5, vcc_lo
	v_cmp_class_f32_e64 s27, v7, 0x1f8
	s_delay_alu instid0(VALU_DEP_2) | instskip(SKIP_1) | instid1(SALU_CYCLE_1)
	v_cmp_neq_f32_e32 vcc_lo, v7, v5
	s_or_b32 s28, vcc_lo, s27
	s_and_saveexec_b32 s27, s28
	s_cbranch_execz .LBB172_8
; %bb.10:                               ;   in Loop: Header=BB172_9 Depth=3
	v_sub_f32_e32 v6, v7, v5
	s_delay_alu instid0(VALU_DEP_1) | instskip(SKIP_1) | instid1(VALU_DEP_2)
	v_mul_f32_e32 v7, 0x3fb8aa3b, v6
	v_cmp_ngt_f32_e32 vcc_lo, 0xc2ce8ed0, v6
	v_fma_f32 v8, 0x3fb8aa3b, v6, -v7
	v_rndne_f32_e32 v9, v7
	s_delay_alu instid0(VALU_DEP_1) | instskip(NEXT) | instid1(VALU_DEP_1)
	v_dual_fmac_f32 v8, 0x32a5705f, v6 :: v_dual_sub_f32 v7, v7, v9
	v_add_f32_e32 v7, v7, v8
	v_cvt_i32_f32_e32 v8, v9
	s_delay_alu instid0(VALU_DEP_2) | instskip(NEXT) | instid1(TRANS32_DEP_1)
	v_exp_f32_e32 v7, v7
	v_ldexp_f32 v7, v7, v8
	s_wait_alu 0xfffd
	s_delay_alu instid0(VALU_DEP_1) | instskip(SKIP_2) | instid1(VALU_DEP_2)
	v_cndmask_b32_e32 v7, 0, v7, vcc_lo
	v_cmp_nlt_f32_e32 vcc_lo, 0x42b17218, v6
	s_wait_alu 0xfffd
	v_cndmask_b32_e32 v8, 0x7f800000, v7, vcc_lo
	s_delay_alu instid0(VALU_DEP_1) | instskip(NEXT) | instid1(VALU_DEP_1)
	v_add_f32_e32 v9, 1.0, v8
	v_cvt_f64_f32_e32 v[6:7], v9
	s_delay_alu instid0(VALU_DEP_1) | instskip(SKIP_1) | instid1(VALU_DEP_1)
	v_frexp_exp_i32_f64_e32 v6, v[6:7]
	v_frexp_mant_f32_e32 v7, v9
	v_cmp_gt_f32_e32 vcc_lo, 0x3f2aaaab, v7
	v_add_f32_e32 v7, -1.0, v9
	s_delay_alu instid0(VALU_DEP_1) | instskip(SKIP_4) | instid1(VALU_DEP_2)
	v_sub_f32_e32 v11, v7, v9
	v_sub_f32_e32 v7, v8, v7
	s_wait_alu 0xfffd
	v_subrev_co_ci_u32_e64 v6, null, 0, v6, vcc_lo
	v_cmp_neq_f32_e32 vcc_lo, 0x7f800000, v8
	v_sub_nc_u32_e32 v10, 0, v6
	v_cvt_f32_i32_e32 v6, v6
	s_delay_alu instid0(VALU_DEP_2) | instskip(NEXT) | instid1(VALU_DEP_1)
	v_ldexp_f32 v9, v9, v10
	v_dual_add_f32 v12, 1.0, v9 :: v_dual_add_f32 v11, 1.0, v11
	s_delay_alu instid0(VALU_DEP_1) | instskip(NEXT) | instid1(VALU_DEP_2)
	v_add_f32_e32 v7, v7, v11
	v_add_f32_e32 v11, -1.0, v12
	s_delay_alu instid0(VALU_DEP_2) | instskip(NEXT) | instid1(VALU_DEP_2)
	v_ldexp_f32 v7, v7, v10
	v_dual_add_f32 v10, -1.0, v9 :: v_dual_sub_f32 v11, v9, v11
	s_delay_alu instid0(VALU_DEP_1) | instskip(NEXT) | instid1(VALU_DEP_2)
	v_add_f32_e32 v13, 1.0, v10
	v_add_f32_e32 v11, v7, v11
	s_delay_alu instid0(VALU_DEP_2) | instskip(NEXT) | instid1(VALU_DEP_2)
	v_sub_f32_e32 v9, v9, v13
	v_add_f32_e32 v13, v12, v11
	s_delay_alu instid0(VALU_DEP_2) | instskip(NEXT) | instid1(VALU_DEP_2)
	v_add_f32_e32 v7, v7, v9
	v_rcp_f32_e32 v9, v13
	v_sub_f32_e32 v12, v12, v13
	s_delay_alu instid0(VALU_DEP_1) | instskip(NEXT) | instid1(VALU_DEP_1)
	v_dual_add_f32 v14, v10, v7 :: v_dual_add_f32 v11, v11, v12
	v_sub_f32_e32 v10, v10, v14
	s_delay_alu instid0(TRANS32_DEP_1) | instskip(NEXT) | instid1(VALU_DEP_1)
	v_mul_f32_e32 v15, v14, v9
	v_dual_add_f32 v7, v7, v10 :: v_dual_mul_f32 v16, v13, v15
	s_delay_alu instid0(VALU_DEP_1) | instskip(NEXT) | instid1(VALU_DEP_1)
	v_fma_f32 v12, v15, v13, -v16
	v_fmac_f32_e32 v12, v15, v11
	s_delay_alu instid0(VALU_DEP_1) | instskip(NEXT) | instid1(VALU_DEP_1)
	v_add_f32_e32 v17, v16, v12
	v_sub_f32_e32 v18, v14, v17
	v_sub_f32_e32 v10, v17, v16
	s_delay_alu instid0(VALU_DEP_2) | instskip(NEXT) | instid1(VALU_DEP_2)
	v_sub_f32_e32 v14, v14, v18
	v_sub_f32_e32 v10, v10, v12
	s_delay_alu instid0(VALU_DEP_2) | instskip(NEXT) | instid1(VALU_DEP_1)
	v_sub_f32_e32 v14, v14, v17
	v_add_f32_e32 v7, v7, v14
	s_delay_alu instid0(VALU_DEP_1) | instskip(NEXT) | instid1(VALU_DEP_1)
	v_add_f32_e32 v7, v10, v7
	v_add_f32_e32 v10, v18, v7
	s_delay_alu instid0(VALU_DEP_1) | instskip(NEXT) | instid1(VALU_DEP_1)
	v_mul_f32_e32 v12, v9, v10
	v_dual_sub_f32 v17, v18, v10 :: v_dual_mul_f32 v14, v13, v12
	s_delay_alu instid0(VALU_DEP_1) | instskip(NEXT) | instid1(VALU_DEP_2)
	v_add_f32_e32 v7, v7, v17
	v_fma_f32 v13, v12, v13, -v14
	s_delay_alu instid0(VALU_DEP_1) | instskip(NEXT) | instid1(VALU_DEP_1)
	v_fmac_f32_e32 v13, v12, v11
	v_add_f32_e32 v11, v14, v13
	s_delay_alu instid0(VALU_DEP_1) | instskip(SKIP_1) | instid1(VALU_DEP_2)
	v_sub_f32_e32 v16, v10, v11
	v_sub_f32_e32 v14, v11, v14
	;; [unrolled: 1-line block ×3, first 2 shown]
	s_delay_alu instid0(VALU_DEP_1) | instskip(NEXT) | instid1(VALU_DEP_3)
	v_sub_f32_e32 v10, v10, v11
	v_sub_f32_e32 v11, v14, v13
	s_delay_alu instid0(VALU_DEP_2) | instskip(SKIP_1) | instid1(VALU_DEP_2)
	v_add_f32_e32 v7, v7, v10
	v_add_f32_e32 v10, v15, v12
	;; [unrolled: 1-line block ×3, first 2 shown]
	s_delay_alu instid0(VALU_DEP_2) | instskip(NEXT) | instid1(VALU_DEP_2)
	v_sub_f32_e32 v11, v10, v15
	v_add_f32_e32 v7, v16, v7
	s_delay_alu instid0(VALU_DEP_2) | instskip(NEXT) | instid1(VALU_DEP_2)
	v_sub_f32_e32 v11, v12, v11
	v_mul_f32_e32 v7, v9, v7
	s_delay_alu instid0(VALU_DEP_1) | instskip(NEXT) | instid1(VALU_DEP_1)
	v_add_f32_e32 v7, v11, v7
	v_add_f32_e32 v9, v10, v7
	s_delay_alu instid0(VALU_DEP_1) | instskip(NEXT) | instid1(VALU_DEP_1)
	v_mul_f32_e32 v11, v9, v9
	v_fmaak_f32 v12, s22, v11, 0x3ecc95a3
	v_mul_f32_e32 v13, v9, v11
	s_delay_alu instid0(VALU_DEP_2) | instskip(SKIP_2) | instid1(VALU_DEP_3)
	v_fmaak_f32 v11, v11, v12, 0x3f2aaada
	v_ldexp_f32 v12, v9, 1
	v_sub_f32_e32 v9, v9, v10
	v_mul_f32_e32 v11, v13, v11
	v_mul_f32_e32 v13, 0x3f317218, v6
	s_delay_alu instid0(VALU_DEP_2) | instskip(NEXT) | instid1(VALU_DEP_1)
	v_dual_sub_f32 v7, v7, v9 :: v_dual_add_f32 v10, v12, v11
	v_ldexp_f32 v7, v7, 1
	s_delay_alu instid0(VALU_DEP_2) | instskip(NEXT) | instid1(VALU_DEP_4)
	v_sub_f32_e32 v9, v10, v12
	v_fma_f32 v12, 0x3f317218, v6, -v13
	s_delay_alu instid0(VALU_DEP_1) | instskip(NEXT) | instid1(VALU_DEP_1)
	v_dual_sub_f32 v9, v11, v9 :: v_dual_fmac_f32 v12, 0xb102e308, v6
	v_dual_add_f32 v6, v7, v9 :: v_dual_add_f32 v7, v13, v12
	s_delay_alu instid0(VALU_DEP_1) | instskip(NEXT) | instid1(VALU_DEP_2)
	v_add_f32_e32 v9, v10, v6
	v_sub_f32_e32 v13, v7, v13
	s_delay_alu instid0(VALU_DEP_2) | instskip(NEXT) | instid1(VALU_DEP_2)
	v_dual_add_f32 v11, v7, v9 :: v_dual_sub_f32 v10, v9, v10
	v_sub_f32_e32 v12, v12, v13
	s_delay_alu instid0(VALU_DEP_2) | instskip(NEXT) | instid1(VALU_DEP_3)
	v_sub_f32_e32 v14, v11, v7
	v_sub_f32_e32 v6, v6, v10
	s_delay_alu instid0(VALU_DEP_2) | instskip(SKIP_1) | instid1(VALU_DEP_2)
	v_sub_f32_e32 v15, v11, v14
	v_sub_f32_e32 v9, v9, v14
	v_dual_add_f32 v10, v12, v6 :: v_dual_sub_f32 v7, v7, v15
	s_delay_alu instid0(VALU_DEP_1) | instskip(NEXT) | instid1(VALU_DEP_2)
	v_add_f32_e32 v7, v9, v7
	v_sub_f32_e32 v9, v10, v12
	s_delay_alu instid0(VALU_DEP_2) | instskip(NEXT) | instid1(VALU_DEP_2)
	v_add_f32_e32 v7, v10, v7
	v_sub_f32_e32 v10, v10, v9
	s_delay_alu instid0(VALU_DEP_2) | instskip(NEXT) | instid1(VALU_DEP_1)
	v_dual_sub_f32 v6, v6, v9 :: v_dual_add_f32 v13, v11, v7
	v_dual_sub_f32 v10, v12, v10 :: v_dual_sub_f32 v9, v13, v11
	s_delay_alu instid0(VALU_DEP_1) | instskip(NEXT) | instid1(VALU_DEP_1)
	v_dual_add_f32 v6, v6, v10 :: v_dual_sub_f32 v7, v7, v9
	v_add_f32_e32 v6, v6, v7
	s_delay_alu instid0(VALU_DEP_1) | instskip(SKIP_1) | instid1(VALU_DEP_1)
	v_add_f32_e32 v6, v13, v6
	s_wait_alu 0xfffd
	v_cndmask_b32_e32 v6, 0x7f800000, v6, vcc_lo
	v_cmp_gt_f32_e64 vcc_lo, 0x33800000, |v8|
	s_wait_alu 0xfffd
	s_delay_alu instid0(VALU_DEP_2) | instskip(NEXT) | instid1(VALU_DEP_1)
	v_cndmask_b32_e32 v6, v6, v8, vcc_lo
	v_add_f32_e32 v6, v5, v6
	s_branch .LBB172_8
.LBB172_11:
	s_endpgm
	.section	.rodata,"a",@progbits
	.p2align	6, 0x0
	.amdhsa_kernel _ZN2at6native28tensor_kernel_scan_outer_dimIfjZZZNS0_31launch_logcumsumexp_cuda_kernelERKNS_10TensorBaseES4_lENKUlvE_clEvENKUlvE0_clEvEUlffE_EEvPT_PKS8_jjjS8_T1_
		.amdhsa_group_segment_fixed_size 0
		.amdhsa_private_segment_fixed_size 0
		.amdhsa_kernarg_size 296
		.amdhsa_user_sgpr_count 2
		.amdhsa_user_sgpr_dispatch_ptr 0
		.amdhsa_user_sgpr_queue_ptr 0
		.amdhsa_user_sgpr_kernarg_segment_ptr 1
		.amdhsa_user_sgpr_dispatch_id 0
		.amdhsa_user_sgpr_private_segment_size 0
		.amdhsa_wavefront_size32 1
		.amdhsa_uses_dynamic_stack 0
		.amdhsa_enable_private_segment 0
		.amdhsa_system_sgpr_workgroup_id_x 1
		.amdhsa_system_sgpr_workgroup_id_y 1
		.amdhsa_system_sgpr_workgroup_id_z 0
		.amdhsa_system_sgpr_workgroup_info 0
		.amdhsa_system_vgpr_workitem_id 0
		.amdhsa_next_free_vgpr 19
		.amdhsa_next_free_sgpr 29
		.amdhsa_reserve_vcc 1
		.amdhsa_float_round_mode_32 0
		.amdhsa_float_round_mode_16_64 0
		.amdhsa_float_denorm_mode_32 3
		.amdhsa_float_denorm_mode_16_64 3
		.amdhsa_fp16_overflow 0
		.amdhsa_workgroup_processor_mode 1
		.amdhsa_memory_ordered 1
		.amdhsa_forward_progress 1
		.amdhsa_inst_pref_size 11
		.amdhsa_round_robin_scheduling 0
		.amdhsa_exception_fp_ieee_invalid_op 0
		.amdhsa_exception_fp_denorm_src 0
		.amdhsa_exception_fp_ieee_div_zero 0
		.amdhsa_exception_fp_ieee_overflow 0
		.amdhsa_exception_fp_ieee_underflow 0
		.amdhsa_exception_fp_ieee_inexact 0
		.amdhsa_exception_int_div_zero 0
	.end_amdhsa_kernel
	.section	.text._ZN2at6native28tensor_kernel_scan_outer_dimIfjZZZNS0_31launch_logcumsumexp_cuda_kernelERKNS_10TensorBaseES4_lENKUlvE_clEvENKUlvE0_clEvEUlffE_EEvPT_PKS8_jjjS8_T1_,"axG",@progbits,_ZN2at6native28tensor_kernel_scan_outer_dimIfjZZZNS0_31launch_logcumsumexp_cuda_kernelERKNS_10TensorBaseES4_lENKUlvE_clEvENKUlvE0_clEvEUlffE_EEvPT_PKS8_jjjS8_T1_,comdat
.Lfunc_end172:
	.size	_ZN2at6native28tensor_kernel_scan_outer_dimIfjZZZNS0_31launch_logcumsumexp_cuda_kernelERKNS_10TensorBaseES4_lENKUlvE_clEvENKUlvE0_clEvEUlffE_EEvPT_PKS8_jjjS8_T1_, .Lfunc_end172-_ZN2at6native28tensor_kernel_scan_outer_dimIfjZZZNS0_31launch_logcumsumexp_cuda_kernelERKNS_10TensorBaseES4_lENKUlvE_clEvENKUlvE0_clEvEUlffE_EEvPT_PKS8_jjjS8_T1_
                                        ; -- End function
	.set _ZN2at6native28tensor_kernel_scan_outer_dimIfjZZZNS0_31launch_logcumsumexp_cuda_kernelERKNS_10TensorBaseES4_lENKUlvE_clEvENKUlvE0_clEvEUlffE_EEvPT_PKS8_jjjS8_T1_.num_vgpr, 19
	.set _ZN2at6native28tensor_kernel_scan_outer_dimIfjZZZNS0_31launch_logcumsumexp_cuda_kernelERKNS_10TensorBaseES4_lENKUlvE_clEvENKUlvE0_clEvEUlffE_EEvPT_PKS8_jjjS8_T1_.num_agpr, 0
	.set _ZN2at6native28tensor_kernel_scan_outer_dimIfjZZZNS0_31launch_logcumsumexp_cuda_kernelERKNS_10TensorBaseES4_lENKUlvE_clEvENKUlvE0_clEvEUlffE_EEvPT_PKS8_jjjS8_T1_.numbered_sgpr, 29
	.set _ZN2at6native28tensor_kernel_scan_outer_dimIfjZZZNS0_31launch_logcumsumexp_cuda_kernelERKNS_10TensorBaseES4_lENKUlvE_clEvENKUlvE0_clEvEUlffE_EEvPT_PKS8_jjjS8_T1_.num_named_barrier, 0
	.set _ZN2at6native28tensor_kernel_scan_outer_dimIfjZZZNS0_31launch_logcumsumexp_cuda_kernelERKNS_10TensorBaseES4_lENKUlvE_clEvENKUlvE0_clEvEUlffE_EEvPT_PKS8_jjjS8_T1_.private_seg_size, 0
	.set _ZN2at6native28tensor_kernel_scan_outer_dimIfjZZZNS0_31launch_logcumsumexp_cuda_kernelERKNS_10TensorBaseES4_lENKUlvE_clEvENKUlvE0_clEvEUlffE_EEvPT_PKS8_jjjS8_T1_.uses_vcc, 1
	.set _ZN2at6native28tensor_kernel_scan_outer_dimIfjZZZNS0_31launch_logcumsumexp_cuda_kernelERKNS_10TensorBaseES4_lENKUlvE_clEvENKUlvE0_clEvEUlffE_EEvPT_PKS8_jjjS8_T1_.uses_flat_scratch, 0
	.set _ZN2at6native28tensor_kernel_scan_outer_dimIfjZZZNS0_31launch_logcumsumexp_cuda_kernelERKNS_10TensorBaseES4_lENKUlvE_clEvENKUlvE0_clEvEUlffE_EEvPT_PKS8_jjjS8_T1_.has_dyn_sized_stack, 0
	.set _ZN2at6native28tensor_kernel_scan_outer_dimIfjZZZNS0_31launch_logcumsumexp_cuda_kernelERKNS_10TensorBaseES4_lENKUlvE_clEvENKUlvE0_clEvEUlffE_EEvPT_PKS8_jjjS8_T1_.has_recursion, 0
	.set _ZN2at6native28tensor_kernel_scan_outer_dimIfjZZZNS0_31launch_logcumsumexp_cuda_kernelERKNS_10TensorBaseES4_lENKUlvE_clEvENKUlvE0_clEvEUlffE_EEvPT_PKS8_jjjS8_T1_.has_indirect_call, 0
	.section	.AMDGPU.csdata,"",@progbits
; Kernel info:
; codeLenInByte = 1292
; TotalNumSgprs: 31
; NumVgprs: 19
; ScratchSize: 0
; MemoryBound: 0
; FloatMode: 240
; IeeeMode: 1
; LDSByteSize: 0 bytes/workgroup (compile time only)
; SGPRBlocks: 0
; VGPRBlocks: 2
; NumSGPRsForWavesPerEU: 31
; NumVGPRsForWavesPerEU: 19
; Occupancy: 16
; WaveLimiterHint : 0
; COMPUTE_PGM_RSRC2:SCRATCH_EN: 0
; COMPUTE_PGM_RSRC2:USER_SGPR: 2
; COMPUTE_PGM_RSRC2:TRAP_HANDLER: 0
; COMPUTE_PGM_RSRC2:TGID_X_EN: 1
; COMPUTE_PGM_RSRC2:TGID_Y_EN: 1
; COMPUTE_PGM_RSRC2:TGID_Z_EN: 0
; COMPUTE_PGM_RSRC2:TIDIG_COMP_CNT: 0
	.section	.text._ZN2at6native28tensor_kernel_scan_outer_dimIfmZZZNS0_31launch_logcumsumexp_cuda_kernelERKNS_10TensorBaseES4_lENKUlvE_clEvENKUlvE0_clEvEUlffE_EEvPT_PKS8_jjjS8_T1_,"axG",@progbits,_ZN2at6native28tensor_kernel_scan_outer_dimIfmZZZNS0_31launch_logcumsumexp_cuda_kernelERKNS_10TensorBaseES4_lENKUlvE_clEvENKUlvE0_clEvEUlffE_EEvPT_PKS8_jjjS8_T1_,comdat
	.globl	_ZN2at6native28tensor_kernel_scan_outer_dimIfmZZZNS0_31launch_logcumsumexp_cuda_kernelERKNS_10TensorBaseES4_lENKUlvE_clEvENKUlvE0_clEvEUlffE_EEvPT_PKS8_jjjS8_T1_ ; -- Begin function _ZN2at6native28tensor_kernel_scan_outer_dimIfmZZZNS0_31launch_logcumsumexp_cuda_kernelERKNS_10TensorBaseES4_lENKUlvE_clEvENKUlvE0_clEvEUlffE_EEvPT_PKS8_jjjS8_T1_
	.p2align	8
	.type	_ZN2at6native28tensor_kernel_scan_outer_dimIfmZZZNS0_31launch_logcumsumexp_cuda_kernelERKNS_10TensorBaseES4_lENKUlvE_clEvENKUlvE0_clEvEUlffE_EEvPT_PKS8_jjjS8_T1_,@function
_ZN2at6native28tensor_kernel_scan_outer_dimIfmZZZNS0_31launch_logcumsumexp_cuda_kernelERKNS_10TensorBaseES4_lENKUlvE_clEvENKUlvE0_clEvEUlffE_EEvPT_PKS8_jjjS8_T1_: ; @_ZN2at6native28tensor_kernel_scan_outer_dimIfmZZZNS0_31launch_logcumsumexp_cuda_kernelERKNS_10TensorBaseES4_lENKUlvE_clEvENKUlvE0_clEvEUlffE_EEvPT_PKS8_jjjS8_T1_
; %bb.0:
	s_load_b128 s[4:7], s[0:1], 0x10
	s_wait_kmcnt 0x0
	s_cmp_ge_u32 ttmp9, s4
	s_cbranch_scc1 .LBB173_11
; %bb.1:
	s_clause 0x2
	s_load_b32 s12, s[0:1], 0x34
	s_load_b128 s[8:11], s[0:1], 0x0
	s_load_b32 s20, s[0:1], 0x28
	s_mov_b32 s3, 0
	s_mov_b32 s2, s6
	;; [unrolled: 1-line block ×4, first 2 shown]
	v_mov_b32_e32 v2, 0
	s_mul_u64 s[14:15], s[2:3], s[16:17]
	s_mov_b32 s22, 0x3e9b6dac
	s_mov_b32 s2, ttmp9
	s_wait_kmcnt 0x0
	s_and_b32 s21, s12, 0xffff
	s_add_nc_u64 s[12:13], s[0:1], 40
	v_mad_co_u64_u32 v[0:1], null, ttmp7, s21, v[0:1]
	s_cmp_lg_u32 s6, 0
	s_cselect_b32 s1, -1, 0
	s_lshl_b64 s[14:15], s[14:15], 2
	s_lshl_b64 s[16:17], s[16:17], 2
	v_cmp_gt_u32_e64 s0, s5, v0
	s_branch .LBB173_3
.LBB173_2:                              ;   in Loop: Header=BB173_3 Depth=1
	s_wait_alu 0xfffe
	s_or_b32 exec_lo, exec_lo, s23
	s_add_co_i32 s2, s2, s20
	s_delay_alu instid0(SALU_CYCLE_1)
	s_cmp_ge_u32 s2, s4
	s_cbranch_scc1 .LBB173_11
.LBB173_3:                              ; =>This Loop Header: Depth=1
                                        ;     Child Loop BB173_6 Depth 2
                                        ;       Child Loop BB173_9 Depth 3
	s_delay_alu instid0(VALU_DEP_1)
	s_and_saveexec_b32 s23, s0
	s_cbranch_execz .LBB173_2
; %bb.4:                                ;   in Loop: Header=BB173_3 Depth=1
	s_load_b32 s24, s[12:13], 0x4
	v_mov_b32_e32 v1, v0
	s_mul_u64 s[18:19], s[14:15], s[2:3]
	s_mov_b32 s25, 0
	s_wait_kmcnt 0x0
	s_mul_i32 s24, s24, s21
	s_branch .LBB173_6
.LBB173_5:                              ;   in Loop: Header=BB173_6 Depth=2
	s_wait_alu 0xfffe
	v_add_nc_u32_e32 v1, s24, v1
	s_delay_alu instid0(VALU_DEP_1)
	v_cmp_le_u32_e32 vcc_lo, s5, v1
	s_or_b32 s25, vcc_lo, s25
	s_wait_alu 0xfffe
	s_and_not1_b32 exec_lo, exec_lo, s25
	s_cbranch_execz .LBB173_2
.LBB173_6:                              ;   Parent Loop BB173_3 Depth=1
                                        ; =>  This Loop Header: Depth=2
                                        ;       Child Loop BB173_9 Depth 3
	s_and_not1_b32 vcc_lo, exec_lo, s1
	s_wait_alu 0xfffe
	s_cbranch_vccnz .LBB173_5
; %bb.7:                                ;   in Loop: Header=BB173_6 Depth=2
	v_lshlrev_b64_e32 v[3:4], 2, v[1:2]
	v_mov_b32_e32 v6, s7
	s_mov_b32 s26, s6
	s_delay_alu instid0(VALU_DEP_2) | instskip(SKIP_1) | instid1(VALU_DEP_3)
	v_add_co_u32 v3, vcc_lo, s18, v3
	s_wait_alu 0xfffd
	v_add_co_ci_u32_e64 v4, null, s19, v4, vcc_lo
	s_branch .LBB173_9
.LBB173_8:                              ;   in Loop: Header=BB173_9 Depth=3
	s_or_b32 exec_lo, exec_lo, s27
	v_add_co_u32 v7, vcc_lo, s8, v3
	s_wait_alu 0xfffd
	v_add_co_ci_u32_e64 v8, null, s9, v4, vcc_lo
	v_add_co_u32 v3, vcc_lo, v3, s16
	s_wait_alu 0xfffd
	v_add_co_ci_u32_e64 v4, null, s17, v4, vcc_lo
	s_add_co_i32 s26, s26, -1
	global_store_b32 v[7:8], v6, off
	s_cmp_eq_u32 s26, 0
	s_cbranch_scc1 .LBB173_5
.LBB173_9:                              ;   Parent Loop BB173_3 Depth=1
                                        ;     Parent Loop BB173_6 Depth=2
                                        ; =>    This Inner Loop Header: Depth=3
	s_delay_alu instid0(VALU_DEP_2) | instskip(SKIP_1) | instid1(VALU_DEP_2)
	v_add_co_u32 v7, vcc_lo, s10, v3
	s_wait_alu 0xfffd
	v_add_co_ci_u32_e64 v8, null, s11, v4, vcc_lo
	v_cmp_u_f32_e32 vcc_lo, v6, v6
	global_load_b32 v5, v[7:8], off
	s_wait_loadcnt 0x0
	v_dual_max_num_f32 v7, v6, v6 :: v_dual_max_num_f32 v8, v5, v5
	s_delay_alu instid0(VALU_DEP_1) | instskip(SKIP_1) | instid1(VALU_DEP_1)
	v_min_num_f32_e32 v9, v7, v8
	s_wait_alu 0xfffd
	v_dual_max_num_f32 v7, v7, v8 :: v_dual_cndmask_b32 v8, v9, v6
	s_delay_alu instid0(VALU_DEP_1) | instskip(SKIP_2) | instid1(VALU_DEP_3)
	v_cndmask_b32_e32 v9, v7, v6, vcc_lo
	v_cmp_u_f32_e32 vcc_lo, v5, v5
	s_wait_alu 0xfffd
	v_cndmask_b32_e32 v7, v8, v5, vcc_lo
	s_delay_alu instid0(VALU_DEP_3) | instskip(NEXT) | instid1(VALU_DEP_2)
	v_cndmask_b32_e32 v5, v9, v5, vcc_lo
	v_cmp_class_f32_e64 s27, v7, 0x1f8
	s_delay_alu instid0(VALU_DEP_2) | instskip(SKIP_1) | instid1(SALU_CYCLE_1)
	v_cmp_neq_f32_e32 vcc_lo, v7, v5
	s_or_b32 s28, vcc_lo, s27
	s_and_saveexec_b32 s27, s28
	s_cbranch_execz .LBB173_8
; %bb.10:                               ;   in Loop: Header=BB173_9 Depth=3
	v_sub_f32_e32 v6, v7, v5
	s_delay_alu instid0(VALU_DEP_1) | instskip(SKIP_1) | instid1(VALU_DEP_2)
	v_mul_f32_e32 v7, 0x3fb8aa3b, v6
	v_cmp_ngt_f32_e32 vcc_lo, 0xc2ce8ed0, v6
	v_fma_f32 v8, 0x3fb8aa3b, v6, -v7
	v_rndne_f32_e32 v9, v7
	s_delay_alu instid0(VALU_DEP_1) | instskip(NEXT) | instid1(VALU_DEP_1)
	v_dual_fmac_f32 v8, 0x32a5705f, v6 :: v_dual_sub_f32 v7, v7, v9
	v_add_f32_e32 v7, v7, v8
	v_cvt_i32_f32_e32 v8, v9
	s_delay_alu instid0(VALU_DEP_2) | instskip(NEXT) | instid1(TRANS32_DEP_1)
	v_exp_f32_e32 v7, v7
	v_ldexp_f32 v7, v7, v8
	s_wait_alu 0xfffd
	s_delay_alu instid0(VALU_DEP_1) | instskip(SKIP_2) | instid1(VALU_DEP_2)
	v_cndmask_b32_e32 v7, 0, v7, vcc_lo
	v_cmp_nlt_f32_e32 vcc_lo, 0x42b17218, v6
	s_wait_alu 0xfffd
	v_cndmask_b32_e32 v8, 0x7f800000, v7, vcc_lo
	s_delay_alu instid0(VALU_DEP_1) | instskip(NEXT) | instid1(VALU_DEP_1)
	v_add_f32_e32 v9, 1.0, v8
	v_cvt_f64_f32_e32 v[6:7], v9
	s_delay_alu instid0(VALU_DEP_1) | instskip(SKIP_1) | instid1(VALU_DEP_1)
	v_frexp_exp_i32_f64_e32 v6, v[6:7]
	v_frexp_mant_f32_e32 v7, v9
	v_cmp_gt_f32_e32 vcc_lo, 0x3f2aaaab, v7
	v_add_f32_e32 v7, -1.0, v9
	s_delay_alu instid0(VALU_DEP_1) | instskip(SKIP_4) | instid1(VALU_DEP_2)
	v_sub_f32_e32 v11, v7, v9
	v_sub_f32_e32 v7, v8, v7
	s_wait_alu 0xfffd
	v_subrev_co_ci_u32_e64 v6, null, 0, v6, vcc_lo
	v_cmp_neq_f32_e32 vcc_lo, 0x7f800000, v8
	v_sub_nc_u32_e32 v10, 0, v6
	v_cvt_f32_i32_e32 v6, v6
	s_delay_alu instid0(VALU_DEP_2) | instskip(NEXT) | instid1(VALU_DEP_1)
	v_ldexp_f32 v9, v9, v10
	v_dual_add_f32 v12, 1.0, v9 :: v_dual_add_f32 v11, 1.0, v11
	s_delay_alu instid0(VALU_DEP_1) | instskip(NEXT) | instid1(VALU_DEP_2)
	v_add_f32_e32 v7, v7, v11
	v_add_f32_e32 v11, -1.0, v12
	s_delay_alu instid0(VALU_DEP_2) | instskip(NEXT) | instid1(VALU_DEP_2)
	v_ldexp_f32 v7, v7, v10
	v_dual_add_f32 v10, -1.0, v9 :: v_dual_sub_f32 v11, v9, v11
	s_delay_alu instid0(VALU_DEP_1) | instskip(NEXT) | instid1(VALU_DEP_2)
	v_add_f32_e32 v13, 1.0, v10
	v_add_f32_e32 v11, v7, v11
	s_delay_alu instid0(VALU_DEP_2) | instskip(NEXT) | instid1(VALU_DEP_2)
	v_sub_f32_e32 v9, v9, v13
	v_add_f32_e32 v13, v12, v11
	s_delay_alu instid0(VALU_DEP_2) | instskip(NEXT) | instid1(VALU_DEP_2)
	v_add_f32_e32 v7, v7, v9
	v_rcp_f32_e32 v9, v13
	v_sub_f32_e32 v12, v12, v13
	s_delay_alu instid0(VALU_DEP_1) | instskip(NEXT) | instid1(VALU_DEP_1)
	v_dual_add_f32 v14, v10, v7 :: v_dual_add_f32 v11, v11, v12
	v_sub_f32_e32 v10, v10, v14
	s_delay_alu instid0(TRANS32_DEP_1) | instskip(NEXT) | instid1(VALU_DEP_1)
	v_mul_f32_e32 v15, v14, v9
	v_dual_add_f32 v7, v7, v10 :: v_dual_mul_f32 v16, v13, v15
	s_delay_alu instid0(VALU_DEP_1) | instskip(NEXT) | instid1(VALU_DEP_1)
	v_fma_f32 v12, v15, v13, -v16
	v_fmac_f32_e32 v12, v15, v11
	s_delay_alu instid0(VALU_DEP_1) | instskip(NEXT) | instid1(VALU_DEP_1)
	v_add_f32_e32 v17, v16, v12
	v_sub_f32_e32 v18, v14, v17
	v_sub_f32_e32 v10, v17, v16
	s_delay_alu instid0(VALU_DEP_2) | instskip(NEXT) | instid1(VALU_DEP_2)
	v_sub_f32_e32 v14, v14, v18
	v_sub_f32_e32 v10, v10, v12
	s_delay_alu instid0(VALU_DEP_2) | instskip(NEXT) | instid1(VALU_DEP_1)
	v_sub_f32_e32 v14, v14, v17
	v_add_f32_e32 v7, v7, v14
	s_delay_alu instid0(VALU_DEP_1) | instskip(NEXT) | instid1(VALU_DEP_1)
	v_add_f32_e32 v7, v10, v7
	v_add_f32_e32 v10, v18, v7
	s_delay_alu instid0(VALU_DEP_1) | instskip(NEXT) | instid1(VALU_DEP_1)
	v_mul_f32_e32 v12, v9, v10
	v_dual_sub_f32 v17, v18, v10 :: v_dual_mul_f32 v14, v13, v12
	s_delay_alu instid0(VALU_DEP_1) | instskip(NEXT) | instid1(VALU_DEP_2)
	v_add_f32_e32 v7, v7, v17
	v_fma_f32 v13, v12, v13, -v14
	s_delay_alu instid0(VALU_DEP_1) | instskip(NEXT) | instid1(VALU_DEP_1)
	v_fmac_f32_e32 v13, v12, v11
	v_add_f32_e32 v11, v14, v13
	s_delay_alu instid0(VALU_DEP_1) | instskip(SKIP_1) | instid1(VALU_DEP_2)
	v_sub_f32_e32 v16, v10, v11
	v_sub_f32_e32 v14, v11, v14
	;; [unrolled: 1-line block ×3, first 2 shown]
	s_delay_alu instid0(VALU_DEP_1) | instskip(NEXT) | instid1(VALU_DEP_3)
	v_sub_f32_e32 v10, v10, v11
	v_sub_f32_e32 v11, v14, v13
	s_delay_alu instid0(VALU_DEP_2) | instskip(SKIP_1) | instid1(VALU_DEP_2)
	v_add_f32_e32 v7, v7, v10
	v_add_f32_e32 v10, v15, v12
	;; [unrolled: 1-line block ×3, first 2 shown]
	s_delay_alu instid0(VALU_DEP_2) | instskip(NEXT) | instid1(VALU_DEP_2)
	v_sub_f32_e32 v11, v10, v15
	v_add_f32_e32 v7, v16, v7
	s_delay_alu instid0(VALU_DEP_2) | instskip(NEXT) | instid1(VALU_DEP_2)
	v_sub_f32_e32 v11, v12, v11
	v_mul_f32_e32 v7, v9, v7
	s_delay_alu instid0(VALU_DEP_1) | instskip(NEXT) | instid1(VALU_DEP_1)
	v_add_f32_e32 v7, v11, v7
	v_add_f32_e32 v9, v10, v7
	s_delay_alu instid0(VALU_DEP_1) | instskip(NEXT) | instid1(VALU_DEP_1)
	v_mul_f32_e32 v11, v9, v9
	v_fmaak_f32 v12, s22, v11, 0x3ecc95a3
	v_mul_f32_e32 v13, v9, v11
	s_delay_alu instid0(VALU_DEP_2) | instskip(SKIP_2) | instid1(VALU_DEP_3)
	v_fmaak_f32 v11, v11, v12, 0x3f2aaada
	v_ldexp_f32 v12, v9, 1
	v_sub_f32_e32 v9, v9, v10
	v_mul_f32_e32 v11, v13, v11
	v_mul_f32_e32 v13, 0x3f317218, v6
	s_delay_alu instid0(VALU_DEP_2) | instskip(NEXT) | instid1(VALU_DEP_1)
	v_dual_sub_f32 v7, v7, v9 :: v_dual_add_f32 v10, v12, v11
	v_ldexp_f32 v7, v7, 1
	s_delay_alu instid0(VALU_DEP_2) | instskip(NEXT) | instid1(VALU_DEP_4)
	v_sub_f32_e32 v9, v10, v12
	v_fma_f32 v12, 0x3f317218, v6, -v13
	s_delay_alu instid0(VALU_DEP_1) | instskip(NEXT) | instid1(VALU_DEP_1)
	v_dual_sub_f32 v9, v11, v9 :: v_dual_fmac_f32 v12, 0xb102e308, v6
	v_dual_add_f32 v6, v7, v9 :: v_dual_add_f32 v7, v13, v12
	s_delay_alu instid0(VALU_DEP_1) | instskip(NEXT) | instid1(VALU_DEP_2)
	v_add_f32_e32 v9, v10, v6
	v_sub_f32_e32 v13, v7, v13
	s_delay_alu instid0(VALU_DEP_2) | instskip(NEXT) | instid1(VALU_DEP_2)
	v_dual_add_f32 v11, v7, v9 :: v_dual_sub_f32 v10, v9, v10
	v_sub_f32_e32 v12, v12, v13
	s_delay_alu instid0(VALU_DEP_2) | instskip(NEXT) | instid1(VALU_DEP_3)
	v_sub_f32_e32 v14, v11, v7
	v_sub_f32_e32 v6, v6, v10
	s_delay_alu instid0(VALU_DEP_2) | instskip(SKIP_1) | instid1(VALU_DEP_2)
	v_sub_f32_e32 v15, v11, v14
	v_sub_f32_e32 v9, v9, v14
	v_dual_add_f32 v10, v12, v6 :: v_dual_sub_f32 v7, v7, v15
	s_delay_alu instid0(VALU_DEP_1) | instskip(NEXT) | instid1(VALU_DEP_2)
	v_add_f32_e32 v7, v9, v7
	v_sub_f32_e32 v9, v10, v12
	s_delay_alu instid0(VALU_DEP_2) | instskip(NEXT) | instid1(VALU_DEP_2)
	v_add_f32_e32 v7, v10, v7
	v_sub_f32_e32 v10, v10, v9
	s_delay_alu instid0(VALU_DEP_2) | instskip(NEXT) | instid1(VALU_DEP_1)
	v_dual_sub_f32 v6, v6, v9 :: v_dual_add_f32 v13, v11, v7
	v_dual_sub_f32 v10, v12, v10 :: v_dual_sub_f32 v9, v13, v11
	s_delay_alu instid0(VALU_DEP_1) | instskip(NEXT) | instid1(VALU_DEP_1)
	v_dual_add_f32 v6, v6, v10 :: v_dual_sub_f32 v7, v7, v9
	v_add_f32_e32 v6, v6, v7
	s_delay_alu instid0(VALU_DEP_1) | instskip(SKIP_1) | instid1(VALU_DEP_1)
	v_add_f32_e32 v6, v13, v6
	s_wait_alu 0xfffd
	v_cndmask_b32_e32 v6, 0x7f800000, v6, vcc_lo
	v_cmp_gt_f32_e64 vcc_lo, 0x33800000, |v8|
	s_wait_alu 0xfffd
	s_delay_alu instid0(VALU_DEP_2) | instskip(NEXT) | instid1(VALU_DEP_1)
	v_cndmask_b32_e32 v6, v6, v8, vcc_lo
	v_add_f32_e32 v6, v5, v6
	s_branch .LBB173_8
.LBB173_11:
	s_endpgm
	.section	.rodata,"a",@progbits
	.p2align	6, 0x0
	.amdhsa_kernel _ZN2at6native28tensor_kernel_scan_outer_dimIfmZZZNS0_31launch_logcumsumexp_cuda_kernelERKNS_10TensorBaseES4_lENKUlvE_clEvENKUlvE0_clEvEUlffE_EEvPT_PKS8_jjjS8_T1_
		.amdhsa_group_segment_fixed_size 0
		.amdhsa_private_segment_fixed_size 0
		.amdhsa_kernarg_size 296
		.amdhsa_user_sgpr_count 2
		.amdhsa_user_sgpr_dispatch_ptr 0
		.amdhsa_user_sgpr_queue_ptr 0
		.amdhsa_user_sgpr_kernarg_segment_ptr 1
		.amdhsa_user_sgpr_dispatch_id 0
		.amdhsa_user_sgpr_private_segment_size 0
		.amdhsa_wavefront_size32 1
		.amdhsa_uses_dynamic_stack 0
		.amdhsa_enable_private_segment 0
		.amdhsa_system_sgpr_workgroup_id_x 1
		.amdhsa_system_sgpr_workgroup_id_y 1
		.amdhsa_system_sgpr_workgroup_id_z 0
		.amdhsa_system_sgpr_workgroup_info 0
		.amdhsa_system_vgpr_workitem_id 0
		.amdhsa_next_free_vgpr 19
		.amdhsa_next_free_sgpr 29
		.amdhsa_reserve_vcc 1
		.amdhsa_float_round_mode_32 0
		.amdhsa_float_round_mode_16_64 0
		.amdhsa_float_denorm_mode_32 3
		.amdhsa_float_denorm_mode_16_64 3
		.amdhsa_fp16_overflow 0
		.amdhsa_workgroup_processor_mode 1
		.amdhsa_memory_ordered 1
		.amdhsa_forward_progress 1
		.amdhsa_inst_pref_size 11
		.amdhsa_round_robin_scheduling 0
		.amdhsa_exception_fp_ieee_invalid_op 0
		.amdhsa_exception_fp_denorm_src 0
		.amdhsa_exception_fp_ieee_div_zero 0
		.amdhsa_exception_fp_ieee_overflow 0
		.amdhsa_exception_fp_ieee_underflow 0
		.amdhsa_exception_fp_ieee_inexact 0
		.amdhsa_exception_int_div_zero 0
	.end_amdhsa_kernel
	.section	.text._ZN2at6native28tensor_kernel_scan_outer_dimIfmZZZNS0_31launch_logcumsumexp_cuda_kernelERKNS_10TensorBaseES4_lENKUlvE_clEvENKUlvE0_clEvEUlffE_EEvPT_PKS8_jjjS8_T1_,"axG",@progbits,_ZN2at6native28tensor_kernel_scan_outer_dimIfmZZZNS0_31launch_logcumsumexp_cuda_kernelERKNS_10TensorBaseES4_lENKUlvE_clEvENKUlvE0_clEvEUlffE_EEvPT_PKS8_jjjS8_T1_,comdat
.Lfunc_end173:
	.size	_ZN2at6native28tensor_kernel_scan_outer_dimIfmZZZNS0_31launch_logcumsumexp_cuda_kernelERKNS_10TensorBaseES4_lENKUlvE_clEvENKUlvE0_clEvEUlffE_EEvPT_PKS8_jjjS8_T1_, .Lfunc_end173-_ZN2at6native28tensor_kernel_scan_outer_dimIfmZZZNS0_31launch_logcumsumexp_cuda_kernelERKNS_10TensorBaseES4_lENKUlvE_clEvENKUlvE0_clEvEUlffE_EEvPT_PKS8_jjjS8_T1_
                                        ; -- End function
	.set _ZN2at6native28tensor_kernel_scan_outer_dimIfmZZZNS0_31launch_logcumsumexp_cuda_kernelERKNS_10TensorBaseES4_lENKUlvE_clEvENKUlvE0_clEvEUlffE_EEvPT_PKS8_jjjS8_T1_.num_vgpr, 19
	.set _ZN2at6native28tensor_kernel_scan_outer_dimIfmZZZNS0_31launch_logcumsumexp_cuda_kernelERKNS_10TensorBaseES4_lENKUlvE_clEvENKUlvE0_clEvEUlffE_EEvPT_PKS8_jjjS8_T1_.num_agpr, 0
	.set _ZN2at6native28tensor_kernel_scan_outer_dimIfmZZZNS0_31launch_logcumsumexp_cuda_kernelERKNS_10TensorBaseES4_lENKUlvE_clEvENKUlvE0_clEvEUlffE_EEvPT_PKS8_jjjS8_T1_.numbered_sgpr, 29
	.set _ZN2at6native28tensor_kernel_scan_outer_dimIfmZZZNS0_31launch_logcumsumexp_cuda_kernelERKNS_10TensorBaseES4_lENKUlvE_clEvENKUlvE0_clEvEUlffE_EEvPT_PKS8_jjjS8_T1_.num_named_barrier, 0
	.set _ZN2at6native28tensor_kernel_scan_outer_dimIfmZZZNS0_31launch_logcumsumexp_cuda_kernelERKNS_10TensorBaseES4_lENKUlvE_clEvENKUlvE0_clEvEUlffE_EEvPT_PKS8_jjjS8_T1_.private_seg_size, 0
	.set _ZN2at6native28tensor_kernel_scan_outer_dimIfmZZZNS0_31launch_logcumsumexp_cuda_kernelERKNS_10TensorBaseES4_lENKUlvE_clEvENKUlvE0_clEvEUlffE_EEvPT_PKS8_jjjS8_T1_.uses_vcc, 1
	.set _ZN2at6native28tensor_kernel_scan_outer_dimIfmZZZNS0_31launch_logcumsumexp_cuda_kernelERKNS_10TensorBaseES4_lENKUlvE_clEvENKUlvE0_clEvEUlffE_EEvPT_PKS8_jjjS8_T1_.uses_flat_scratch, 0
	.set _ZN2at6native28tensor_kernel_scan_outer_dimIfmZZZNS0_31launch_logcumsumexp_cuda_kernelERKNS_10TensorBaseES4_lENKUlvE_clEvENKUlvE0_clEvEUlffE_EEvPT_PKS8_jjjS8_T1_.has_dyn_sized_stack, 0
	.set _ZN2at6native28tensor_kernel_scan_outer_dimIfmZZZNS0_31launch_logcumsumexp_cuda_kernelERKNS_10TensorBaseES4_lENKUlvE_clEvENKUlvE0_clEvEUlffE_EEvPT_PKS8_jjjS8_T1_.has_recursion, 0
	.set _ZN2at6native28tensor_kernel_scan_outer_dimIfmZZZNS0_31launch_logcumsumexp_cuda_kernelERKNS_10TensorBaseES4_lENKUlvE_clEvENKUlvE0_clEvEUlffE_EEvPT_PKS8_jjjS8_T1_.has_indirect_call, 0
	.section	.AMDGPU.csdata,"",@progbits
; Kernel info:
; codeLenInByte = 1288
; TotalNumSgprs: 31
; NumVgprs: 19
; ScratchSize: 0
; MemoryBound: 0
; FloatMode: 240
; IeeeMode: 1
; LDSByteSize: 0 bytes/workgroup (compile time only)
; SGPRBlocks: 0
; VGPRBlocks: 2
; NumSGPRsForWavesPerEU: 31
; NumVGPRsForWavesPerEU: 19
; Occupancy: 16
; WaveLimiterHint : 0
; COMPUTE_PGM_RSRC2:SCRATCH_EN: 0
; COMPUTE_PGM_RSRC2:USER_SGPR: 2
; COMPUTE_PGM_RSRC2:TRAP_HANDLER: 0
; COMPUTE_PGM_RSRC2:TGID_X_EN: 1
; COMPUTE_PGM_RSRC2:TGID_Y_EN: 1
; COMPUTE_PGM_RSRC2:TGID_Z_EN: 0
; COMPUTE_PGM_RSRC2:TIDIG_COMP_CNT: 0
	.section	.text._ZN7rocprim17ROCPRIM_400000_NS6detail31init_lookback_scan_state_kernelINS1_19lookback_scan_stateIN3c107complexIdEELb0ELb0EEENS1_16block_id_wrapperIjLb0EEEEEvT_jT0_jPNSA_10value_typeE,"axG",@progbits,_ZN7rocprim17ROCPRIM_400000_NS6detail31init_lookback_scan_state_kernelINS1_19lookback_scan_stateIN3c107complexIdEELb0ELb0EEENS1_16block_id_wrapperIjLb0EEEEEvT_jT0_jPNSA_10value_typeE,comdat
	.protected	_ZN7rocprim17ROCPRIM_400000_NS6detail31init_lookback_scan_state_kernelINS1_19lookback_scan_stateIN3c107complexIdEELb0ELb0EEENS1_16block_id_wrapperIjLb0EEEEEvT_jT0_jPNSA_10value_typeE ; -- Begin function _ZN7rocprim17ROCPRIM_400000_NS6detail31init_lookback_scan_state_kernelINS1_19lookback_scan_stateIN3c107complexIdEELb0ELb0EEENS1_16block_id_wrapperIjLb0EEEEEvT_jT0_jPNSA_10value_typeE
	.globl	_ZN7rocprim17ROCPRIM_400000_NS6detail31init_lookback_scan_state_kernelINS1_19lookback_scan_stateIN3c107complexIdEELb0ELb0EEENS1_16block_id_wrapperIjLb0EEEEEvT_jT0_jPNSA_10value_typeE
	.p2align	8
	.type	_ZN7rocprim17ROCPRIM_400000_NS6detail31init_lookback_scan_state_kernelINS1_19lookback_scan_stateIN3c107complexIdEELb0ELb0EEENS1_16block_id_wrapperIjLb0EEEEEvT_jT0_jPNSA_10value_typeE,@function
_ZN7rocprim17ROCPRIM_400000_NS6detail31init_lookback_scan_state_kernelINS1_19lookback_scan_stateIN3c107complexIdEELb0ELb0EEENS1_16block_id_wrapperIjLb0EEEEEvT_jT0_jPNSA_10value_typeE: ; @_ZN7rocprim17ROCPRIM_400000_NS6detail31init_lookback_scan_state_kernelINS1_19lookback_scan_stateIN3c107complexIdEELb0ELb0EEENS1_16block_id_wrapperIjLb0EEEEEvT_jT0_jPNSA_10value_typeE
; %bb.0:
	s_clause 0x2
	s_load_b32 s2, s[0:1], 0x3c
	s_load_b64 s[8:9], s[0:1], 0x28
	s_load_b96 s[4:6], s[0:1], 0x10
	s_wait_kmcnt 0x0
	s_and_b32 s2, s2, 0xffff
	s_cmp_eq_u64 s[8:9], 0
	v_mad_co_u64_u32 v[0:1], null, ttmp9, s2, v[0:1]
	s_cbranch_scc1 .LBB174_7
; %bb.1:
	s_load_b32 s2, s[0:1], 0x20
	s_mov_b32 s11, 0
	s_mov_b32 s7, exec_lo
	s_wait_kmcnt 0x0
	s_cmp_lt_u32 s2, s6
	s_cselect_b32 s3, s2, 0
	s_wait_alu 0xfffe
	v_cmpx_eq_u32_e64 s3, v0
	s_cbranch_execz .LBB174_6
; %bb.2:
	s_add_co_i32 s10, s2, 32
	s_load_b128 s[0:3], s[0:1], 0x0
	v_mov_b32_e32 v1, s10
	global_load_u8 v1, v1, s[4:5] scope:SCOPE_DEV
	s_wait_loadcnt 0x0
	v_and_b32_e32 v2, 0xffff, v1
	v_readfirstlane_b32 s14, v1
	s_delay_alu instid0(VALU_DEP_2)
	v_cmp_ne_u32_e32 vcc_lo, 0, v2
	s_cbranch_vccnz .LBB174_5
; %bb.3:
	v_mov_b32_e32 v1, 0
	s_add_nc_u64 s[12:13], s[4:5], s[10:11]
.LBB174_4:                              ; =>This Inner Loop Header: Depth=1
	global_load_u8 v2, v1, s[12:13] scope:SCOPE_DEV
	s_wait_loadcnt 0x0
	v_and_b32_e32 v3, 0xffff, v2
	v_readfirstlane_b32 s14, v2
	s_delay_alu instid0(VALU_DEP_2)
	v_cmp_eq_u32_e32 vcc_lo, 0, v3
	s_cbranch_vccnz .LBB174_4
.LBB174_5:
	s_and_b32 s12, 0xffff, s14
	v_mov_b32_e32 v5, 0
	s_cmp_eq_u32 s12, 1
	global_inv scope:SCOPE_DEV
	s_wait_kmcnt 0x0
	s_cselect_b32 s1, s1, s3
	s_cselect_b32 s0, s0, s2
	s_lshl_b64 s[2:3], s[10:11], 4
	s_wait_alu 0xfffe
	s_add_nc_u64 s[0:1], s[0:1], s[2:3]
	global_load_b128 v[1:4], v5, s[0:1]
	s_wait_loadcnt 0x0
	global_store_b128 v5, v[1:4], s[8:9]
.LBB174_6:
	s_or_b32 exec_lo, exec_lo, s7
.LBB174_7:
	s_delay_alu instid0(SALU_CYCLE_1)
	s_mov_b32 s0, exec_lo
	v_cmpx_gt_u32_e64 s6, v0
	s_cbranch_execz .LBB174_9
; %bb.8:
	v_dual_mov_b32 v2, 0 :: v_dual_add_nc_u32 v1, 32, v0
	global_store_b8 v1, v2, s[4:5]
.LBB174_9:
	s_wait_alu 0xfffe
	s_or_b32 exec_lo, exec_lo, s0
	s_delay_alu instid0(SALU_CYCLE_1)
	s_mov_b32 s0, exec_lo
	v_cmpx_gt_u32_e32 32, v0
	s_cbranch_execz .LBB174_11
; %bb.10:
	v_mov_b32_e32 v1, 0xff
	global_store_b8 v0, v1, s[4:5]
.LBB174_11:
	s_endpgm
	.section	.rodata,"a",@progbits
	.p2align	6, 0x0
	.amdhsa_kernel _ZN7rocprim17ROCPRIM_400000_NS6detail31init_lookback_scan_state_kernelINS1_19lookback_scan_stateIN3c107complexIdEELb0ELb0EEENS1_16block_id_wrapperIjLb0EEEEEvT_jT0_jPNSA_10value_typeE
		.amdhsa_group_segment_fixed_size 0
		.amdhsa_private_segment_fixed_size 0
		.amdhsa_kernarg_size 304
		.amdhsa_user_sgpr_count 2
		.amdhsa_user_sgpr_dispatch_ptr 0
		.amdhsa_user_sgpr_queue_ptr 0
		.amdhsa_user_sgpr_kernarg_segment_ptr 1
		.amdhsa_user_sgpr_dispatch_id 0
		.amdhsa_user_sgpr_private_segment_size 0
		.amdhsa_wavefront_size32 1
		.amdhsa_uses_dynamic_stack 0
		.amdhsa_enable_private_segment 0
		.amdhsa_system_sgpr_workgroup_id_x 1
		.amdhsa_system_sgpr_workgroup_id_y 0
		.amdhsa_system_sgpr_workgroup_id_z 0
		.amdhsa_system_sgpr_workgroup_info 0
		.amdhsa_system_vgpr_workitem_id 0
		.amdhsa_next_free_vgpr 6
		.amdhsa_next_free_sgpr 15
		.amdhsa_reserve_vcc 1
		.amdhsa_float_round_mode_32 0
		.amdhsa_float_round_mode_16_64 0
		.amdhsa_float_denorm_mode_32 3
		.amdhsa_float_denorm_mode_16_64 3
		.amdhsa_fp16_overflow 0
		.amdhsa_workgroup_processor_mode 1
		.amdhsa_memory_ordered 1
		.amdhsa_forward_progress 1
		.amdhsa_inst_pref_size 3
		.amdhsa_round_robin_scheduling 0
		.amdhsa_exception_fp_ieee_invalid_op 0
		.amdhsa_exception_fp_denorm_src 0
		.amdhsa_exception_fp_ieee_div_zero 0
		.amdhsa_exception_fp_ieee_overflow 0
		.amdhsa_exception_fp_ieee_underflow 0
		.amdhsa_exception_fp_ieee_inexact 0
		.amdhsa_exception_int_div_zero 0
	.end_amdhsa_kernel
	.section	.text._ZN7rocprim17ROCPRIM_400000_NS6detail31init_lookback_scan_state_kernelINS1_19lookback_scan_stateIN3c107complexIdEELb0ELb0EEENS1_16block_id_wrapperIjLb0EEEEEvT_jT0_jPNSA_10value_typeE,"axG",@progbits,_ZN7rocprim17ROCPRIM_400000_NS6detail31init_lookback_scan_state_kernelINS1_19lookback_scan_stateIN3c107complexIdEELb0ELb0EEENS1_16block_id_wrapperIjLb0EEEEEvT_jT0_jPNSA_10value_typeE,comdat
.Lfunc_end174:
	.size	_ZN7rocprim17ROCPRIM_400000_NS6detail31init_lookback_scan_state_kernelINS1_19lookback_scan_stateIN3c107complexIdEELb0ELb0EEENS1_16block_id_wrapperIjLb0EEEEEvT_jT0_jPNSA_10value_typeE, .Lfunc_end174-_ZN7rocprim17ROCPRIM_400000_NS6detail31init_lookback_scan_state_kernelINS1_19lookback_scan_stateIN3c107complexIdEELb0ELb0EEENS1_16block_id_wrapperIjLb0EEEEEvT_jT0_jPNSA_10value_typeE
                                        ; -- End function
	.set _ZN7rocprim17ROCPRIM_400000_NS6detail31init_lookback_scan_state_kernelINS1_19lookback_scan_stateIN3c107complexIdEELb0ELb0EEENS1_16block_id_wrapperIjLb0EEEEEvT_jT0_jPNSA_10value_typeE.num_vgpr, 6
	.set _ZN7rocprim17ROCPRIM_400000_NS6detail31init_lookback_scan_state_kernelINS1_19lookback_scan_stateIN3c107complexIdEELb0ELb0EEENS1_16block_id_wrapperIjLb0EEEEEvT_jT0_jPNSA_10value_typeE.num_agpr, 0
	.set _ZN7rocprim17ROCPRIM_400000_NS6detail31init_lookback_scan_state_kernelINS1_19lookback_scan_stateIN3c107complexIdEELb0ELb0EEENS1_16block_id_wrapperIjLb0EEEEEvT_jT0_jPNSA_10value_typeE.numbered_sgpr, 15
	.set _ZN7rocprim17ROCPRIM_400000_NS6detail31init_lookback_scan_state_kernelINS1_19lookback_scan_stateIN3c107complexIdEELb0ELb0EEENS1_16block_id_wrapperIjLb0EEEEEvT_jT0_jPNSA_10value_typeE.num_named_barrier, 0
	.set _ZN7rocprim17ROCPRIM_400000_NS6detail31init_lookback_scan_state_kernelINS1_19lookback_scan_stateIN3c107complexIdEELb0ELb0EEENS1_16block_id_wrapperIjLb0EEEEEvT_jT0_jPNSA_10value_typeE.private_seg_size, 0
	.set _ZN7rocprim17ROCPRIM_400000_NS6detail31init_lookback_scan_state_kernelINS1_19lookback_scan_stateIN3c107complexIdEELb0ELb0EEENS1_16block_id_wrapperIjLb0EEEEEvT_jT0_jPNSA_10value_typeE.uses_vcc, 1
	.set _ZN7rocprim17ROCPRIM_400000_NS6detail31init_lookback_scan_state_kernelINS1_19lookback_scan_stateIN3c107complexIdEELb0ELb0EEENS1_16block_id_wrapperIjLb0EEEEEvT_jT0_jPNSA_10value_typeE.uses_flat_scratch, 0
	.set _ZN7rocprim17ROCPRIM_400000_NS6detail31init_lookback_scan_state_kernelINS1_19lookback_scan_stateIN3c107complexIdEELb0ELb0EEENS1_16block_id_wrapperIjLb0EEEEEvT_jT0_jPNSA_10value_typeE.has_dyn_sized_stack, 0
	.set _ZN7rocprim17ROCPRIM_400000_NS6detail31init_lookback_scan_state_kernelINS1_19lookback_scan_stateIN3c107complexIdEELb0ELb0EEENS1_16block_id_wrapperIjLb0EEEEEvT_jT0_jPNSA_10value_typeE.has_recursion, 0
	.set _ZN7rocprim17ROCPRIM_400000_NS6detail31init_lookback_scan_state_kernelINS1_19lookback_scan_stateIN3c107complexIdEELb0ELb0EEENS1_16block_id_wrapperIjLb0EEEEEvT_jT0_jPNSA_10value_typeE.has_indirect_call, 0
	.section	.AMDGPU.csdata,"",@progbits
; Kernel info:
; codeLenInByte = 376
; TotalNumSgprs: 17
; NumVgprs: 6
; ScratchSize: 0
; MemoryBound: 0
; FloatMode: 240
; IeeeMode: 1
; LDSByteSize: 0 bytes/workgroup (compile time only)
; SGPRBlocks: 0
; VGPRBlocks: 0
; NumSGPRsForWavesPerEU: 17
; NumVGPRsForWavesPerEU: 6
; Occupancy: 16
; WaveLimiterHint : 0
; COMPUTE_PGM_RSRC2:SCRATCH_EN: 0
; COMPUTE_PGM_RSRC2:USER_SGPR: 2
; COMPUTE_PGM_RSRC2:TRAP_HANDLER: 0
; COMPUTE_PGM_RSRC2:TGID_X_EN: 1
; COMPUTE_PGM_RSRC2:TGID_Y_EN: 0
; COMPUTE_PGM_RSRC2:TGID_Z_EN: 0
; COMPUTE_PGM_RSRC2:TIDIG_COMP_CNT: 0
	.section	.text._ZN7rocprim17ROCPRIM_400000_NS6detail17trampoline_kernelINS0_14default_configENS1_20scan_config_selectorIN3c107complexIdEEEEZZNS1_9scan_implILNS1_25lookback_scan_determinismE0ELb0ELb0ES3_PKS7_PS7_S7_ZZZN2at6native31launch_logcumsumexp_cuda_kernelERKNSE_10TensorBaseESI_lENKUlvE_clEvENKUlvE1_clEvEUlS7_S7_E_S7_EEDaPvRmT3_T4_T5_mT6_P12ihipStream_tbENKUlT_T0_E_clISt17integral_constantIbLb0EESZ_EEDaSU_SV_EUlSU_E_NS1_11comp_targetILNS1_3genE0ELNS1_11target_archE4294967295ELNS1_3gpuE0ELNS1_3repE0EEENS1_30default_config_static_selectorELNS0_4arch9wavefront6targetE0EEEvT1_,"axG",@progbits,_ZN7rocprim17ROCPRIM_400000_NS6detail17trampoline_kernelINS0_14default_configENS1_20scan_config_selectorIN3c107complexIdEEEEZZNS1_9scan_implILNS1_25lookback_scan_determinismE0ELb0ELb0ES3_PKS7_PS7_S7_ZZZN2at6native31launch_logcumsumexp_cuda_kernelERKNSE_10TensorBaseESI_lENKUlvE_clEvENKUlvE1_clEvEUlS7_S7_E_S7_EEDaPvRmT3_T4_T5_mT6_P12ihipStream_tbENKUlT_T0_E_clISt17integral_constantIbLb0EESZ_EEDaSU_SV_EUlSU_E_NS1_11comp_targetILNS1_3genE0ELNS1_11target_archE4294967295ELNS1_3gpuE0ELNS1_3repE0EEENS1_30default_config_static_selectorELNS0_4arch9wavefront6targetE0EEEvT1_,comdat
	.globl	_ZN7rocprim17ROCPRIM_400000_NS6detail17trampoline_kernelINS0_14default_configENS1_20scan_config_selectorIN3c107complexIdEEEEZZNS1_9scan_implILNS1_25lookback_scan_determinismE0ELb0ELb0ES3_PKS7_PS7_S7_ZZZN2at6native31launch_logcumsumexp_cuda_kernelERKNSE_10TensorBaseESI_lENKUlvE_clEvENKUlvE1_clEvEUlS7_S7_E_S7_EEDaPvRmT3_T4_T5_mT6_P12ihipStream_tbENKUlT_T0_E_clISt17integral_constantIbLb0EESZ_EEDaSU_SV_EUlSU_E_NS1_11comp_targetILNS1_3genE0ELNS1_11target_archE4294967295ELNS1_3gpuE0ELNS1_3repE0EEENS1_30default_config_static_selectorELNS0_4arch9wavefront6targetE0EEEvT1_ ; -- Begin function _ZN7rocprim17ROCPRIM_400000_NS6detail17trampoline_kernelINS0_14default_configENS1_20scan_config_selectorIN3c107complexIdEEEEZZNS1_9scan_implILNS1_25lookback_scan_determinismE0ELb0ELb0ES3_PKS7_PS7_S7_ZZZN2at6native31launch_logcumsumexp_cuda_kernelERKNSE_10TensorBaseESI_lENKUlvE_clEvENKUlvE1_clEvEUlS7_S7_E_S7_EEDaPvRmT3_T4_T5_mT6_P12ihipStream_tbENKUlT_T0_E_clISt17integral_constantIbLb0EESZ_EEDaSU_SV_EUlSU_E_NS1_11comp_targetILNS1_3genE0ELNS1_11target_archE4294967295ELNS1_3gpuE0ELNS1_3repE0EEENS1_30default_config_static_selectorELNS0_4arch9wavefront6targetE0EEEvT1_
	.p2align	8
	.type	_ZN7rocprim17ROCPRIM_400000_NS6detail17trampoline_kernelINS0_14default_configENS1_20scan_config_selectorIN3c107complexIdEEEEZZNS1_9scan_implILNS1_25lookback_scan_determinismE0ELb0ELb0ES3_PKS7_PS7_S7_ZZZN2at6native31launch_logcumsumexp_cuda_kernelERKNSE_10TensorBaseESI_lENKUlvE_clEvENKUlvE1_clEvEUlS7_S7_E_S7_EEDaPvRmT3_T4_T5_mT6_P12ihipStream_tbENKUlT_T0_E_clISt17integral_constantIbLb0EESZ_EEDaSU_SV_EUlSU_E_NS1_11comp_targetILNS1_3genE0ELNS1_11target_archE4294967295ELNS1_3gpuE0ELNS1_3repE0EEENS1_30default_config_static_selectorELNS0_4arch9wavefront6targetE0EEEvT1_,@function
_ZN7rocprim17ROCPRIM_400000_NS6detail17trampoline_kernelINS0_14default_configENS1_20scan_config_selectorIN3c107complexIdEEEEZZNS1_9scan_implILNS1_25lookback_scan_determinismE0ELb0ELb0ES3_PKS7_PS7_S7_ZZZN2at6native31launch_logcumsumexp_cuda_kernelERKNSE_10TensorBaseESI_lENKUlvE_clEvENKUlvE1_clEvEUlS7_S7_E_S7_EEDaPvRmT3_T4_T5_mT6_P12ihipStream_tbENKUlT_T0_E_clISt17integral_constantIbLb0EESZ_EEDaSU_SV_EUlSU_E_NS1_11comp_targetILNS1_3genE0ELNS1_11target_archE4294967295ELNS1_3gpuE0ELNS1_3repE0EEENS1_30default_config_static_selectorELNS0_4arch9wavefront6targetE0EEEvT1_: ; @_ZN7rocprim17ROCPRIM_400000_NS6detail17trampoline_kernelINS0_14default_configENS1_20scan_config_selectorIN3c107complexIdEEEEZZNS1_9scan_implILNS1_25lookback_scan_determinismE0ELb0ELb0ES3_PKS7_PS7_S7_ZZZN2at6native31launch_logcumsumexp_cuda_kernelERKNSE_10TensorBaseESI_lENKUlvE_clEvENKUlvE1_clEvEUlS7_S7_E_S7_EEDaPvRmT3_T4_T5_mT6_P12ihipStream_tbENKUlT_T0_E_clISt17integral_constantIbLb0EESZ_EEDaSU_SV_EUlSU_E_NS1_11comp_targetILNS1_3genE0ELNS1_11target_archE4294967295ELNS1_3gpuE0ELNS1_3repE0EEENS1_30default_config_static_selectorELNS0_4arch9wavefront6targetE0EEEvT1_
; %bb.0:
	.section	.rodata,"a",@progbits
	.p2align	6, 0x0
	.amdhsa_kernel _ZN7rocprim17ROCPRIM_400000_NS6detail17trampoline_kernelINS0_14default_configENS1_20scan_config_selectorIN3c107complexIdEEEEZZNS1_9scan_implILNS1_25lookback_scan_determinismE0ELb0ELb0ES3_PKS7_PS7_S7_ZZZN2at6native31launch_logcumsumexp_cuda_kernelERKNSE_10TensorBaseESI_lENKUlvE_clEvENKUlvE1_clEvEUlS7_S7_E_S7_EEDaPvRmT3_T4_T5_mT6_P12ihipStream_tbENKUlT_T0_E_clISt17integral_constantIbLb0EESZ_EEDaSU_SV_EUlSU_E_NS1_11comp_targetILNS1_3genE0ELNS1_11target_archE4294967295ELNS1_3gpuE0ELNS1_3repE0EEENS1_30default_config_static_selectorELNS0_4arch9wavefront6targetE0EEEvT1_
		.amdhsa_group_segment_fixed_size 0
		.amdhsa_private_segment_fixed_size 0
		.amdhsa_kernarg_size 128
		.amdhsa_user_sgpr_count 2
		.amdhsa_user_sgpr_dispatch_ptr 0
		.amdhsa_user_sgpr_queue_ptr 0
		.amdhsa_user_sgpr_kernarg_segment_ptr 1
		.amdhsa_user_sgpr_dispatch_id 0
		.amdhsa_user_sgpr_private_segment_size 0
		.amdhsa_wavefront_size32 1
		.amdhsa_uses_dynamic_stack 0
		.amdhsa_enable_private_segment 0
		.amdhsa_system_sgpr_workgroup_id_x 1
		.amdhsa_system_sgpr_workgroup_id_y 0
		.amdhsa_system_sgpr_workgroup_id_z 0
		.amdhsa_system_sgpr_workgroup_info 0
		.amdhsa_system_vgpr_workitem_id 0
		.amdhsa_next_free_vgpr 1
		.amdhsa_next_free_sgpr 1
		.amdhsa_reserve_vcc 0
		.amdhsa_float_round_mode_32 0
		.amdhsa_float_round_mode_16_64 0
		.amdhsa_float_denorm_mode_32 3
		.amdhsa_float_denorm_mode_16_64 3
		.amdhsa_fp16_overflow 0
		.amdhsa_workgroup_processor_mode 1
		.amdhsa_memory_ordered 1
		.amdhsa_forward_progress 1
		.amdhsa_inst_pref_size 0
		.amdhsa_round_robin_scheduling 0
		.amdhsa_exception_fp_ieee_invalid_op 0
		.amdhsa_exception_fp_denorm_src 0
		.amdhsa_exception_fp_ieee_div_zero 0
		.amdhsa_exception_fp_ieee_overflow 0
		.amdhsa_exception_fp_ieee_underflow 0
		.amdhsa_exception_fp_ieee_inexact 0
		.amdhsa_exception_int_div_zero 0
	.end_amdhsa_kernel
	.section	.text._ZN7rocprim17ROCPRIM_400000_NS6detail17trampoline_kernelINS0_14default_configENS1_20scan_config_selectorIN3c107complexIdEEEEZZNS1_9scan_implILNS1_25lookback_scan_determinismE0ELb0ELb0ES3_PKS7_PS7_S7_ZZZN2at6native31launch_logcumsumexp_cuda_kernelERKNSE_10TensorBaseESI_lENKUlvE_clEvENKUlvE1_clEvEUlS7_S7_E_S7_EEDaPvRmT3_T4_T5_mT6_P12ihipStream_tbENKUlT_T0_E_clISt17integral_constantIbLb0EESZ_EEDaSU_SV_EUlSU_E_NS1_11comp_targetILNS1_3genE0ELNS1_11target_archE4294967295ELNS1_3gpuE0ELNS1_3repE0EEENS1_30default_config_static_selectorELNS0_4arch9wavefront6targetE0EEEvT1_,"axG",@progbits,_ZN7rocprim17ROCPRIM_400000_NS6detail17trampoline_kernelINS0_14default_configENS1_20scan_config_selectorIN3c107complexIdEEEEZZNS1_9scan_implILNS1_25lookback_scan_determinismE0ELb0ELb0ES3_PKS7_PS7_S7_ZZZN2at6native31launch_logcumsumexp_cuda_kernelERKNSE_10TensorBaseESI_lENKUlvE_clEvENKUlvE1_clEvEUlS7_S7_E_S7_EEDaPvRmT3_T4_T5_mT6_P12ihipStream_tbENKUlT_T0_E_clISt17integral_constantIbLb0EESZ_EEDaSU_SV_EUlSU_E_NS1_11comp_targetILNS1_3genE0ELNS1_11target_archE4294967295ELNS1_3gpuE0ELNS1_3repE0EEENS1_30default_config_static_selectorELNS0_4arch9wavefront6targetE0EEEvT1_,comdat
.Lfunc_end175:
	.size	_ZN7rocprim17ROCPRIM_400000_NS6detail17trampoline_kernelINS0_14default_configENS1_20scan_config_selectorIN3c107complexIdEEEEZZNS1_9scan_implILNS1_25lookback_scan_determinismE0ELb0ELb0ES3_PKS7_PS7_S7_ZZZN2at6native31launch_logcumsumexp_cuda_kernelERKNSE_10TensorBaseESI_lENKUlvE_clEvENKUlvE1_clEvEUlS7_S7_E_S7_EEDaPvRmT3_T4_T5_mT6_P12ihipStream_tbENKUlT_T0_E_clISt17integral_constantIbLb0EESZ_EEDaSU_SV_EUlSU_E_NS1_11comp_targetILNS1_3genE0ELNS1_11target_archE4294967295ELNS1_3gpuE0ELNS1_3repE0EEENS1_30default_config_static_selectorELNS0_4arch9wavefront6targetE0EEEvT1_, .Lfunc_end175-_ZN7rocprim17ROCPRIM_400000_NS6detail17trampoline_kernelINS0_14default_configENS1_20scan_config_selectorIN3c107complexIdEEEEZZNS1_9scan_implILNS1_25lookback_scan_determinismE0ELb0ELb0ES3_PKS7_PS7_S7_ZZZN2at6native31launch_logcumsumexp_cuda_kernelERKNSE_10TensorBaseESI_lENKUlvE_clEvENKUlvE1_clEvEUlS7_S7_E_S7_EEDaPvRmT3_T4_T5_mT6_P12ihipStream_tbENKUlT_T0_E_clISt17integral_constantIbLb0EESZ_EEDaSU_SV_EUlSU_E_NS1_11comp_targetILNS1_3genE0ELNS1_11target_archE4294967295ELNS1_3gpuE0ELNS1_3repE0EEENS1_30default_config_static_selectorELNS0_4arch9wavefront6targetE0EEEvT1_
                                        ; -- End function
	.set _ZN7rocprim17ROCPRIM_400000_NS6detail17trampoline_kernelINS0_14default_configENS1_20scan_config_selectorIN3c107complexIdEEEEZZNS1_9scan_implILNS1_25lookback_scan_determinismE0ELb0ELb0ES3_PKS7_PS7_S7_ZZZN2at6native31launch_logcumsumexp_cuda_kernelERKNSE_10TensorBaseESI_lENKUlvE_clEvENKUlvE1_clEvEUlS7_S7_E_S7_EEDaPvRmT3_T4_T5_mT6_P12ihipStream_tbENKUlT_T0_E_clISt17integral_constantIbLb0EESZ_EEDaSU_SV_EUlSU_E_NS1_11comp_targetILNS1_3genE0ELNS1_11target_archE4294967295ELNS1_3gpuE0ELNS1_3repE0EEENS1_30default_config_static_selectorELNS0_4arch9wavefront6targetE0EEEvT1_.num_vgpr, 0
	.set _ZN7rocprim17ROCPRIM_400000_NS6detail17trampoline_kernelINS0_14default_configENS1_20scan_config_selectorIN3c107complexIdEEEEZZNS1_9scan_implILNS1_25lookback_scan_determinismE0ELb0ELb0ES3_PKS7_PS7_S7_ZZZN2at6native31launch_logcumsumexp_cuda_kernelERKNSE_10TensorBaseESI_lENKUlvE_clEvENKUlvE1_clEvEUlS7_S7_E_S7_EEDaPvRmT3_T4_T5_mT6_P12ihipStream_tbENKUlT_T0_E_clISt17integral_constantIbLb0EESZ_EEDaSU_SV_EUlSU_E_NS1_11comp_targetILNS1_3genE0ELNS1_11target_archE4294967295ELNS1_3gpuE0ELNS1_3repE0EEENS1_30default_config_static_selectorELNS0_4arch9wavefront6targetE0EEEvT1_.num_agpr, 0
	.set _ZN7rocprim17ROCPRIM_400000_NS6detail17trampoline_kernelINS0_14default_configENS1_20scan_config_selectorIN3c107complexIdEEEEZZNS1_9scan_implILNS1_25lookback_scan_determinismE0ELb0ELb0ES3_PKS7_PS7_S7_ZZZN2at6native31launch_logcumsumexp_cuda_kernelERKNSE_10TensorBaseESI_lENKUlvE_clEvENKUlvE1_clEvEUlS7_S7_E_S7_EEDaPvRmT3_T4_T5_mT6_P12ihipStream_tbENKUlT_T0_E_clISt17integral_constantIbLb0EESZ_EEDaSU_SV_EUlSU_E_NS1_11comp_targetILNS1_3genE0ELNS1_11target_archE4294967295ELNS1_3gpuE0ELNS1_3repE0EEENS1_30default_config_static_selectorELNS0_4arch9wavefront6targetE0EEEvT1_.numbered_sgpr, 0
	.set _ZN7rocprim17ROCPRIM_400000_NS6detail17trampoline_kernelINS0_14default_configENS1_20scan_config_selectorIN3c107complexIdEEEEZZNS1_9scan_implILNS1_25lookback_scan_determinismE0ELb0ELb0ES3_PKS7_PS7_S7_ZZZN2at6native31launch_logcumsumexp_cuda_kernelERKNSE_10TensorBaseESI_lENKUlvE_clEvENKUlvE1_clEvEUlS7_S7_E_S7_EEDaPvRmT3_T4_T5_mT6_P12ihipStream_tbENKUlT_T0_E_clISt17integral_constantIbLb0EESZ_EEDaSU_SV_EUlSU_E_NS1_11comp_targetILNS1_3genE0ELNS1_11target_archE4294967295ELNS1_3gpuE0ELNS1_3repE0EEENS1_30default_config_static_selectorELNS0_4arch9wavefront6targetE0EEEvT1_.num_named_barrier, 0
	.set _ZN7rocprim17ROCPRIM_400000_NS6detail17trampoline_kernelINS0_14default_configENS1_20scan_config_selectorIN3c107complexIdEEEEZZNS1_9scan_implILNS1_25lookback_scan_determinismE0ELb0ELb0ES3_PKS7_PS7_S7_ZZZN2at6native31launch_logcumsumexp_cuda_kernelERKNSE_10TensorBaseESI_lENKUlvE_clEvENKUlvE1_clEvEUlS7_S7_E_S7_EEDaPvRmT3_T4_T5_mT6_P12ihipStream_tbENKUlT_T0_E_clISt17integral_constantIbLb0EESZ_EEDaSU_SV_EUlSU_E_NS1_11comp_targetILNS1_3genE0ELNS1_11target_archE4294967295ELNS1_3gpuE0ELNS1_3repE0EEENS1_30default_config_static_selectorELNS0_4arch9wavefront6targetE0EEEvT1_.private_seg_size, 0
	.set _ZN7rocprim17ROCPRIM_400000_NS6detail17trampoline_kernelINS0_14default_configENS1_20scan_config_selectorIN3c107complexIdEEEEZZNS1_9scan_implILNS1_25lookback_scan_determinismE0ELb0ELb0ES3_PKS7_PS7_S7_ZZZN2at6native31launch_logcumsumexp_cuda_kernelERKNSE_10TensorBaseESI_lENKUlvE_clEvENKUlvE1_clEvEUlS7_S7_E_S7_EEDaPvRmT3_T4_T5_mT6_P12ihipStream_tbENKUlT_T0_E_clISt17integral_constantIbLb0EESZ_EEDaSU_SV_EUlSU_E_NS1_11comp_targetILNS1_3genE0ELNS1_11target_archE4294967295ELNS1_3gpuE0ELNS1_3repE0EEENS1_30default_config_static_selectorELNS0_4arch9wavefront6targetE0EEEvT1_.uses_vcc, 0
	.set _ZN7rocprim17ROCPRIM_400000_NS6detail17trampoline_kernelINS0_14default_configENS1_20scan_config_selectorIN3c107complexIdEEEEZZNS1_9scan_implILNS1_25lookback_scan_determinismE0ELb0ELb0ES3_PKS7_PS7_S7_ZZZN2at6native31launch_logcumsumexp_cuda_kernelERKNSE_10TensorBaseESI_lENKUlvE_clEvENKUlvE1_clEvEUlS7_S7_E_S7_EEDaPvRmT3_T4_T5_mT6_P12ihipStream_tbENKUlT_T0_E_clISt17integral_constantIbLb0EESZ_EEDaSU_SV_EUlSU_E_NS1_11comp_targetILNS1_3genE0ELNS1_11target_archE4294967295ELNS1_3gpuE0ELNS1_3repE0EEENS1_30default_config_static_selectorELNS0_4arch9wavefront6targetE0EEEvT1_.uses_flat_scratch, 0
	.set _ZN7rocprim17ROCPRIM_400000_NS6detail17trampoline_kernelINS0_14default_configENS1_20scan_config_selectorIN3c107complexIdEEEEZZNS1_9scan_implILNS1_25lookback_scan_determinismE0ELb0ELb0ES3_PKS7_PS7_S7_ZZZN2at6native31launch_logcumsumexp_cuda_kernelERKNSE_10TensorBaseESI_lENKUlvE_clEvENKUlvE1_clEvEUlS7_S7_E_S7_EEDaPvRmT3_T4_T5_mT6_P12ihipStream_tbENKUlT_T0_E_clISt17integral_constantIbLb0EESZ_EEDaSU_SV_EUlSU_E_NS1_11comp_targetILNS1_3genE0ELNS1_11target_archE4294967295ELNS1_3gpuE0ELNS1_3repE0EEENS1_30default_config_static_selectorELNS0_4arch9wavefront6targetE0EEEvT1_.has_dyn_sized_stack, 0
	.set _ZN7rocprim17ROCPRIM_400000_NS6detail17trampoline_kernelINS0_14default_configENS1_20scan_config_selectorIN3c107complexIdEEEEZZNS1_9scan_implILNS1_25lookback_scan_determinismE0ELb0ELb0ES3_PKS7_PS7_S7_ZZZN2at6native31launch_logcumsumexp_cuda_kernelERKNSE_10TensorBaseESI_lENKUlvE_clEvENKUlvE1_clEvEUlS7_S7_E_S7_EEDaPvRmT3_T4_T5_mT6_P12ihipStream_tbENKUlT_T0_E_clISt17integral_constantIbLb0EESZ_EEDaSU_SV_EUlSU_E_NS1_11comp_targetILNS1_3genE0ELNS1_11target_archE4294967295ELNS1_3gpuE0ELNS1_3repE0EEENS1_30default_config_static_selectorELNS0_4arch9wavefront6targetE0EEEvT1_.has_recursion, 0
	.set _ZN7rocprim17ROCPRIM_400000_NS6detail17trampoline_kernelINS0_14default_configENS1_20scan_config_selectorIN3c107complexIdEEEEZZNS1_9scan_implILNS1_25lookback_scan_determinismE0ELb0ELb0ES3_PKS7_PS7_S7_ZZZN2at6native31launch_logcumsumexp_cuda_kernelERKNSE_10TensorBaseESI_lENKUlvE_clEvENKUlvE1_clEvEUlS7_S7_E_S7_EEDaPvRmT3_T4_T5_mT6_P12ihipStream_tbENKUlT_T0_E_clISt17integral_constantIbLb0EESZ_EEDaSU_SV_EUlSU_E_NS1_11comp_targetILNS1_3genE0ELNS1_11target_archE4294967295ELNS1_3gpuE0ELNS1_3repE0EEENS1_30default_config_static_selectorELNS0_4arch9wavefront6targetE0EEEvT1_.has_indirect_call, 0
	.section	.AMDGPU.csdata,"",@progbits
; Kernel info:
; codeLenInByte = 0
; TotalNumSgprs: 0
; NumVgprs: 0
; ScratchSize: 0
; MemoryBound: 0
; FloatMode: 240
; IeeeMode: 1
; LDSByteSize: 0 bytes/workgroup (compile time only)
; SGPRBlocks: 0
; VGPRBlocks: 0
; NumSGPRsForWavesPerEU: 1
; NumVGPRsForWavesPerEU: 1
; Occupancy: 16
; WaveLimiterHint : 0
; COMPUTE_PGM_RSRC2:SCRATCH_EN: 0
; COMPUTE_PGM_RSRC2:USER_SGPR: 2
; COMPUTE_PGM_RSRC2:TRAP_HANDLER: 0
; COMPUTE_PGM_RSRC2:TGID_X_EN: 1
; COMPUTE_PGM_RSRC2:TGID_Y_EN: 0
; COMPUTE_PGM_RSRC2:TGID_Z_EN: 0
; COMPUTE_PGM_RSRC2:TIDIG_COMP_CNT: 0
	.section	.text._ZN7rocprim17ROCPRIM_400000_NS6detail17trampoline_kernelINS0_14default_configENS1_20scan_config_selectorIN3c107complexIdEEEEZZNS1_9scan_implILNS1_25lookback_scan_determinismE0ELb0ELb0ES3_PKS7_PS7_S7_ZZZN2at6native31launch_logcumsumexp_cuda_kernelERKNSE_10TensorBaseESI_lENKUlvE_clEvENKUlvE1_clEvEUlS7_S7_E_S7_EEDaPvRmT3_T4_T5_mT6_P12ihipStream_tbENKUlT_T0_E_clISt17integral_constantIbLb0EESZ_EEDaSU_SV_EUlSU_E_NS1_11comp_targetILNS1_3genE5ELNS1_11target_archE942ELNS1_3gpuE9ELNS1_3repE0EEENS1_30default_config_static_selectorELNS0_4arch9wavefront6targetE0EEEvT1_,"axG",@progbits,_ZN7rocprim17ROCPRIM_400000_NS6detail17trampoline_kernelINS0_14default_configENS1_20scan_config_selectorIN3c107complexIdEEEEZZNS1_9scan_implILNS1_25lookback_scan_determinismE0ELb0ELb0ES3_PKS7_PS7_S7_ZZZN2at6native31launch_logcumsumexp_cuda_kernelERKNSE_10TensorBaseESI_lENKUlvE_clEvENKUlvE1_clEvEUlS7_S7_E_S7_EEDaPvRmT3_T4_T5_mT6_P12ihipStream_tbENKUlT_T0_E_clISt17integral_constantIbLb0EESZ_EEDaSU_SV_EUlSU_E_NS1_11comp_targetILNS1_3genE5ELNS1_11target_archE942ELNS1_3gpuE9ELNS1_3repE0EEENS1_30default_config_static_selectorELNS0_4arch9wavefront6targetE0EEEvT1_,comdat
	.globl	_ZN7rocprim17ROCPRIM_400000_NS6detail17trampoline_kernelINS0_14default_configENS1_20scan_config_selectorIN3c107complexIdEEEEZZNS1_9scan_implILNS1_25lookback_scan_determinismE0ELb0ELb0ES3_PKS7_PS7_S7_ZZZN2at6native31launch_logcumsumexp_cuda_kernelERKNSE_10TensorBaseESI_lENKUlvE_clEvENKUlvE1_clEvEUlS7_S7_E_S7_EEDaPvRmT3_T4_T5_mT6_P12ihipStream_tbENKUlT_T0_E_clISt17integral_constantIbLb0EESZ_EEDaSU_SV_EUlSU_E_NS1_11comp_targetILNS1_3genE5ELNS1_11target_archE942ELNS1_3gpuE9ELNS1_3repE0EEENS1_30default_config_static_selectorELNS0_4arch9wavefront6targetE0EEEvT1_ ; -- Begin function _ZN7rocprim17ROCPRIM_400000_NS6detail17trampoline_kernelINS0_14default_configENS1_20scan_config_selectorIN3c107complexIdEEEEZZNS1_9scan_implILNS1_25lookback_scan_determinismE0ELb0ELb0ES3_PKS7_PS7_S7_ZZZN2at6native31launch_logcumsumexp_cuda_kernelERKNSE_10TensorBaseESI_lENKUlvE_clEvENKUlvE1_clEvEUlS7_S7_E_S7_EEDaPvRmT3_T4_T5_mT6_P12ihipStream_tbENKUlT_T0_E_clISt17integral_constantIbLb0EESZ_EEDaSU_SV_EUlSU_E_NS1_11comp_targetILNS1_3genE5ELNS1_11target_archE942ELNS1_3gpuE9ELNS1_3repE0EEENS1_30default_config_static_selectorELNS0_4arch9wavefront6targetE0EEEvT1_
	.p2align	8
	.type	_ZN7rocprim17ROCPRIM_400000_NS6detail17trampoline_kernelINS0_14default_configENS1_20scan_config_selectorIN3c107complexIdEEEEZZNS1_9scan_implILNS1_25lookback_scan_determinismE0ELb0ELb0ES3_PKS7_PS7_S7_ZZZN2at6native31launch_logcumsumexp_cuda_kernelERKNSE_10TensorBaseESI_lENKUlvE_clEvENKUlvE1_clEvEUlS7_S7_E_S7_EEDaPvRmT3_T4_T5_mT6_P12ihipStream_tbENKUlT_T0_E_clISt17integral_constantIbLb0EESZ_EEDaSU_SV_EUlSU_E_NS1_11comp_targetILNS1_3genE5ELNS1_11target_archE942ELNS1_3gpuE9ELNS1_3repE0EEENS1_30default_config_static_selectorELNS0_4arch9wavefront6targetE0EEEvT1_,@function
_ZN7rocprim17ROCPRIM_400000_NS6detail17trampoline_kernelINS0_14default_configENS1_20scan_config_selectorIN3c107complexIdEEEEZZNS1_9scan_implILNS1_25lookback_scan_determinismE0ELb0ELb0ES3_PKS7_PS7_S7_ZZZN2at6native31launch_logcumsumexp_cuda_kernelERKNSE_10TensorBaseESI_lENKUlvE_clEvENKUlvE1_clEvEUlS7_S7_E_S7_EEDaPvRmT3_T4_T5_mT6_P12ihipStream_tbENKUlT_T0_E_clISt17integral_constantIbLb0EESZ_EEDaSU_SV_EUlSU_E_NS1_11comp_targetILNS1_3genE5ELNS1_11target_archE942ELNS1_3gpuE9ELNS1_3repE0EEENS1_30default_config_static_selectorELNS0_4arch9wavefront6targetE0EEEvT1_: ; @_ZN7rocprim17ROCPRIM_400000_NS6detail17trampoline_kernelINS0_14default_configENS1_20scan_config_selectorIN3c107complexIdEEEEZZNS1_9scan_implILNS1_25lookback_scan_determinismE0ELb0ELb0ES3_PKS7_PS7_S7_ZZZN2at6native31launch_logcumsumexp_cuda_kernelERKNSE_10TensorBaseESI_lENKUlvE_clEvENKUlvE1_clEvEUlS7_S7_E_S7_EEDaPvRmT3_T4_T5_mT6_P12ihipStream_tbENKUlT_T0_E_clISt17integral_constantIbLb0EESZ_EEDaSU_SV_EUlSU_E_NS1_11comp_targetILNS1_3genE5ELNS1_11target_archE942ELNS1_3gpuE9ELNS1_3repE0EEENS1_30default_config_static_selectorELNS0_4arch9wavefront6targetE0EEEvT1_
; %bb.0:
	.section	.rodata,"a",@progbits
	.p2align	6, 0x0
	.amdhsa_kernel _ZN7rocprim17ROCPRIM_400000_NS6detail17trampoline_kernelINS0_14default_configENS1_20scan_config_selectorIN3c107complexIdEEEEZZNS1_9scan_implILNS1_25lookback_scan_determinismE0ELb0ELb0ES3_PKS7_PS7_S7_ZZZN2at6native31launch_logcumsumexp_cuda_kernelERKNSE_10TensorBaseESI_lENKUlvE_clEvENKUlvE1_clEvEUlS7_S7_E_S7_EEDaPvRmT3_T4_T5_mT6_P12ihipStream_tbENKUlT_T0_E_clISt17integral_constantIbLb0EESZ_EEDaSU_SV_EUlSU_E_NS1_11comp_targetILNS1_3genE5ELNS1_11target_archE942ELNS1_3gpuE9ELNS1_3repE0EEENS1_30default_config_static_selectorELNS0_4arch9wavefront6targetE0EEEvT1_
		.amdhsa_group_segment_fixed_size 0
		.amdhsa_private_segment_fixed_size 0
		.amdhsa_kernarg_size 128
		.amdhsa_user_sgpr_count 2
		.amdhsa_user_sgpr_dispatch_ptr 0
		.amdhsa_user_sgpr_queue_ptr 0
		.amdhsa_user_sgpr_kernarg_segment_ptr 1
		.amdhsa_user_sgpr_dispatch_id 0
		.amdhsa_user_sgpr_private_segment_size 0
		.amdhsa_wavefront_size32 1
		.amdhsa_uses_dynamic_stack 0
		.amdhsa_enable_private_segment 0
		.amdhsa_system_sgpr_workgroup_id_x 1
		.amdhsa_system_sgpr_workgroup_id_y 0
		.amdhsa_system_sgpr_workgroup_id_z 0
		.amdhsa_system_sgpr_workgroup_info 0
		.amdhsa_system_vgpr_workitem_id 0
		.amdhsa_next_free_vgpr 1
		.amdhsa_next_free_sgpr 1
		.amdhsa_reserve_vcc 0
		.amdhsa_float_round_mode_32 0
		.amdhsa_float_round_mode_16_64 0
		.amdhsa_float_denorm_mode_32 3
		.amdhsa_float_denorm_mode_16_64 3
		.amdhsa_fp16_overflow 0
		.amdhsa_workgroup_processor_mode 1
		.amdhsa_memory_ordered 1
		.amdhsa_forward_progress 1
		.amdhsa_inst_pref_size 0
		.amdhsa_round_robin_scheduling 0
		.amdhsa_exception_fp_ieee_invalid_op 0
		.amdhsa_exception_fp_denorm_src 0
		.amdhsa_exception_fp_ieee_div_zero 0
		.amdhsa_exception_fp_ieee_overflow 0
		.amdhsa_exception_fp_ieee_underflow 0
		.amdhsa_exception_fp_ieee_inexact 0
		.amdhsa_exception_int_div_zero 0
	.end_amdhsa_kernel
	.section	.text._ZN7rocprim17ROCPRIM_400000_NS6detail17trampoline_kernelINS0_14default_configENS1_20scan_config_selectorIN3c107complexIdEEEEZZNS1_9scan_implILNS1_25lookback_scan_determinismE0ELb0ELb0ES3_PKS7_PS7_S7_ZZZN2at6native31launch_logcumsumexp_cuda_kernelERKNSE_10TensorBaseESI_lENKUlvE_clEvENKUlvE1_clEvEUlS7_S7_E_S7_EEDaPvRmT3_T4_T5_mT6_P12ihipStream_tbENKUlT_T0_E_clISt17integral_constantIbLb0EESZ_EEDaSU_SV_EUlSU_E_NS1_11comp_targetILNS1_3genE5ELNS1_11target_archE942ELNS1_3gpuE9ELNS1_3repE0EEENS1_30default_config_static_selectorELNS0_4arch9wavefront6targetE0EEEvT1_,"axG",@progbits,_ZN7rocprim17ROCPRIM_400000_NS6detail17trampoline_kernelINS0_14default_configENS1_20scan_config_selectorIN3c107complexIdEEEEZZNS1_9scan_implILNS1_25lookback_scan_determinismE0ELb0ELb0ES3_PKS7_PS7_S7_ZZZN2at6native31launch_logcumsumexp_cuda_kernelERKNSE_10TensorBaseESI_lENKUlvE_clEvENKUlvE1_clEvEUlS7_S7_E_S7_EEDaPvRmT3_T4_T5_mT6_P12ihipStream_tbENKUlT_T0_E_clISt17integral_constantIbLb0EESZ_EEDaSU_SV_EUlSU_E_NS1_11comp_targetILNS1_3genE5ELNS1_11target_archE942ELNS1_3gpuE9ELNS1_3repE0EEENS1_30default_config_static_selectorELNS0_4arch9wavefront6targetE0EEEvT1_,comdat
.Lfunc_end176:
	.size	_ZN7rocprim17ROCPRIM_400000_NS6detail17trampoline_kernelINS0_14default_configENS1_20scan_config_selectorIN3c107complexIdEEEEZZNS1_9scan_implILNS1_25lookback_scan_determinismE0ELb0ELb0ES3_PKS7_PS7_S7_ZZZN2at6native31launch_logcumsumexp_cuda_kernelERKNSE_10TensorBaseESI_lENKUlvE_clEvENKUlvE1_clEvEUlS7_S7_E_S7_EEDaPvRmT3_T4_T5_mT6_P12ihipStream_tbENKUlT_T0_E_clISt17integral_constantIbLb0EESZ_EEDaSU_SV_EUlSU_E_NS1_11comp_targetILNS1_3genE5ELNS1_11target_archE942ELNS1_3gpuE9ELNS1_3repE0EEENS1_30default_config_static_selectorELNS0_4arch9wavefront6targetE0EEEvT1_, .Lfunc_end176-_ZN7rocprim17ROCPRIM_400000_NS6detail17trampoline_kernelINS0_14default_configENS1_20scan_config_selectorIN3c107complexIdEEEEZZNS1_9scan_implILNS1_25lookback_scan_determinismE0ELb0ELb0ES3_PKS7_PS7_S7_ZZZN2at6native31launch_logcumsumexp_cuda_kernelERKNSE_10TensorBaseESI_lENKUlvE_clEvENKUlvE1_clEvEUlS7_S7_E_S7_EEDaPvRmT3_T4_T5_mT6_P12ihipStream_tbENKUlT_T0_E_clISt17integral_constantIbLb0EESZ_EEDaSU_SV_EUlSU_E_NS1_11comp_targetILNS1_3genE5ELNS1_11target_archE942ELNS1_3gpuE9ELNS1_3repE0EEENS1_30default_config_static_selectorELNS0_4arch9wavefront6targetE0EEEvT1_
                                        ; -- End function
	.set _ZN7rocprim17ROCPRIM_400000_NS6detail17trampoline_kernelINS0_14default_configENS1_20scan_config_selectorIN3c107complexIdEEEEZZNS1_9scan_implILNS1_25lookback_scan_determinismE0ELb0ELb0ES3_PKS7_PS7_S7_ZZZN2at6native31launch_logcumsumexp_cuda_kernelERKNSE_10TensorBaseESI_lENKUlvE_clEvENKUlvE1_clEvEUlS7_S7_E_S7_EEDaPvRmT3_T4_T5_mT6_P12ihipStream_tbENKUlT_T0_E_clISt17integral_constantIbLb0EESZ_EEDaSU_SV_EUlSU_E_NS1_11comp_targetILNS1_3genE5ELNS1_11target_archE942ELNS1_3gpuE9ELNS1_3repE0EEENS1_30default_config_static_selectorELNS0_4arch9wavefront6targetE0EEEvT1_.num_vgpr, 0
	.set _ZN7rocprim17ROCPRIM_400000_NS6detail17trampoline_kernelINS0_14default_configENS1_20scan_config_selectorIN3c107complexIdEEEEZZNS1_9scan_implILNS1_25lookback_scan_determinismE0ELb0ELb0ES3_PKS7_PS7_S7_ZZZN2at6native31launch_logcumsumexp_cuda_kernelERKNSE_10TensorBaseESI_lENKUlvE_clEvENKUlvE1_clEvEUlS7_S7_E_S7_EEDaPvRmT3_T4_T5_mT6_P12ihipStream_tbENKUlT_T0_E_clISt17integral_constantIbLb0EESZ_EEDaSU_SV_EUlSU_E_NS1_11comp_targetILNS1_3genE5ELNS1_11target_archE942ELNS1_3gpuE9ELNS1_3repE0EEENS1_30default_config_static_selectorELNS0_4arch9wavefront6targetE0EEEvT1_.num_agpr, 0
	.set _ZN7rocprim17ROCPRIM_400000_NS6detail17trampoline_kernelINS0_14default_configENS1_20scan_config_selectorIN3c107complexIdEEEEZZNS1_9scan_implILNS1_25lookback_scan_determinismE0ELb0ELb0ES3_PKS7_PS7_S7_ZZZN2at6native31launch_logcumsumexp_cuda_kernelERKNSE_10TensorBaseESI_lENKUlvE_clEvENKUlvE1_clEvEUlS7_S7_E_S7_EEDaPvRmT3_T4_T5_mT6_P12ihipStream_tbENKUlT_T0_E_clISt17integral_constantIbLb0EESZ_EEDaSU_SV_EUlSU_E_NS1_11comp_targetILNS1_3genE5ELNS1_11target_archE942ELNS1_3gpuE9ELNS1_3repE0EEENS1_30default_config_static_selectorELNS0_4arch9wavefront6targetE0EEEvT1_.numbered_sgpr, 0
	.set _ZN7rocprim17ROCPRIM_400000_NS6detail17trampoline_kernelINS0_14default_configENS1_20scan_config_selectorIN3c107complexIdEEEEZZNS1_9scan_implILNS1_25lookback_scan_determinismE0ELb0ELb0ES3_PKS7_PS7_S7_ZZZN2at6native31launch_logcumsumexp_cuda_kernelERKNSE_10TensorBaseESI_lENKUlvE_clEvENKUlvE1_clEvEUlS7_S7_E_S7_EEDaPvRmT3_T4_T5_mT6_P12ihipStream_tbENKUlT_T0_E_clISt17integral_constantIbLb0EESZ_EEDaSU_SV_EUlSU_E_NS1_11comp_targetILNS1_3genE5ELNS1_11target_archE942ELNS1_3gpuE9ELNS1_3repE0EEENS1_30default_config_static_selectorELNS0_4arch9wavefront6targetE0EEEvT1_.num_named_barrier, 0
	.set _ZN7rocprim17ROCPRIM_400000_NS6detail17trampoline_kernelINS0_14default_configENS1_20scan_config_selectorIN3c107complexIdEEEEZZNS1_9scan_implILNS1_25lookback_scan_determinismE0ELb0ELb0ES3_PKS7_PS7_S7_ZZZN2at6native31launch_logcumsumexp_cuda_kernelERKNSE_10TensorBaseESI_lENKUlvE_clEvENKUlvE1_clEvEUlS7_S7_E_S7_EEDaPvRmT3_T4_T5_mT6_P12ihipStream_tbENKUlT_T0_E_clISt17integral_constantIbLb0EESZ_EEDaSU_SV_EUlSU_E_NS1_11comp_targetILNS1_3genE5ELNS1_11target_archE942ELNS1_3gpuE9ELNS1_3repE0EEENS1_30default_config_static_selectorELNS0_4arch9wavefront6targetE0EEEvT1_.private_seg_size, 0
	.set _ZN7rocprim17ROCPRIM_400000_NS6detail17trampoline_kernelINS0_14default_configENS1_20scan_config_selectorIN3c107complexIdEEEEZZNS1_9scan_implILNS1_25lookback_scan_determinismE0ELb0ELb0ES3_PKS7_PS7_S7_ZZZN2at6native31launch_logcumsumexp_cuda_kernelERKNSE_10TensorBaseESI_lENKUlvE_clEvENKUlvE1_clEvEUlS7_S7_E_S7_EEDaPvRmT3_T4_T5_mT6_P12ihipStream_tbENKUlT_T0_E_clISt17integral_constantIbLb0EESZ_EEDaSU_SV_EUlSU_E_NS1_11comp_targetILNS1_3genE5ELNS1_11target_archE942ELNS1_3gpuE9ELNS1_3repE0EEENS1_30default_config_static_selectorELNS0_4arch9wavefront6targetE0EEEvT1_.uses_vcc, 0
	.set _ZN7rocprim17ROCPRIM_400000_NS6detail17trampoline_kernelINS0_14default_configENS1_20scan_config_selectorIN3c107complexIdEEEEZZNS1_9scan_implILNS1_25lookback_scan_determinismE0ELb0ELb0ES3_PKS7_PS7_S7_ZZZN2at6native31launch_logcumsumexp_cuda_kernelERKNSE_10TensorBaseESI_lENKUlvE_clEvENKUlvE1_clEvEUlS7_S7_E_S7_EEDaPvRmT3_T4_T5_mT6_P12ihipStream_tbENKUlT_T0_E_clISt17integral_constantIbLb0EESZ_EEDaSU_SV_EUlSU_E_NS1_11comp_targetILNS1_3genE5ELNS1_11target_archE942ELNS1_3gpuE9ELNS1_3repE0EEENS1_30default_config_static_selectorELNS0_4arch9wavefront6targetE0EEEvT1_.uses_flat_scratch, 0
	.set _ZN7rocprim17ROCPRIM_400000_NS6detail17trampoline_kernelINS0_14default_configENS1_20scan_config_selectorIN3c107complexIdEEEEZZNS1_9scan_implILNS1_25lookback_scan_determinismE0ELb0ELb0ES3_PKS7_PS7_S7_ZZZN2at6native31launch_logcumsumexp_cuda_kernelERKNSE_10TensorBaseESI_lENKUlvE_clEvENKUlvE1_clEvEUlS7_S7_E_S7_EEDaPvRmT3_T4_T5_mT6_P12ihipStream_tbENKUlT_T0_E_clISt17integral_constantIbLb0EESZ_EEDaSU_SV_EUlSU_E_NS1_11comp_targetILNS1_3genE5ELNS1_11target_archE942ELNS1_3gpuE9ELNS1_3repE0EEENS1_30default_config_static_selectorELNS0_4arch9wavefront6targetE0EEEvT1_.has_dyn_sized_stack, 0
	.set _ZN7rocprim17ROCPRIM_400000_NS6detail17trampoline_kernelINS0_14default_configENS1_20scan_config_selectorIN3c107complexIdEEEEZZNS1_9scan_implILNS1_25lookback_scan_determinismE0ELb0ELb0ES3_PKS7_PS7_S7_ZZZN2at6native31launch_logcumsumexp_cuda_kernelERKNSE_10TensorBaseESI_lENKUlvE_clEvENKUlvE1_clEvEUlS7_S7_E_S7_EEDaPvRmT3_T4_T5_mT6_P12ihipStream_tbENKUlT_T0_E_clISt17integral_constantIbLb0EESZ_EEDaSU_SV_EUlSU_E_NS1_11comp_targetILNS1_3genE5ELNS1_11target_archE942ELNS1_3gpuE9ELNS1_3repE0EEENS1_30default_config_static_selectorELNS0_4arch9wavefront6targetE0EEEvT1_.has_recursion, 0
	.set _ZN7rocprim17ROCPRIM_400000_NS6detail17trampoline_kernelINS0_14default_configENS1_20scan_config_selectorIN3c107complexIdEEEEZZNS1_9scan_implILNS1_25lookback_scan_determinismE0ELb0ELb0ES3_PKS7_PS7_S7_ZZZN2at6native31launch_logcumsumexp_cuda_kernelERKNSE_10TensorBaseESI_lENKUlvE_clEvENKUlvE1_clEvEUlS7_S7_E_S7_EEDaPvRmT3_T4_T5_mT6_P12ihipStream_tbENKUlT_T0_E_clISt17integral_constantIbLb0EESZ_EEDaSU_SV_EUlSU_E_NS1_11comp_targetILNS1_3genE5ELNS1_11target_archE942ELNS1_3gpuE9ELNS1_3repE0EEENS1_30default_config_static_selectorELNS0_4arch9wavefront6targetE0EEEvT1_.has_indirect_call, 0
	.section	.AMDGPU.csdata,"",@progbits
; Kernel info:
; codeLenInByte = 0
; TotalNumSgprs: 0
; NumVgprs: 0
; ScratchSize: 0
; MemoryBound: 0
; FloatMode: 240
; IeeeMode: 1
; LDSByteSize: 0 bytes/workgroup (compile time only)
; SGPRBlocks: 0
; VGPRBlocks: 0
; NumSGPRsForWavesPerEU: 1
; NumVGPRsForWavesPerEU: 1
; Occupancy: 16
; WaveLimiterHint : 0
; COMPUTE_PGM_RSRC2:SCRATCH_EN: 0
; COMPUTE_PGM_RSRC2:USER_SGPR: 2
; COMPUTE_PGM_RSRC2:TRAP_HANDLER: 0
; COMPUTE_PGM_RSRC2:TGID_X_EN: 1
; COMPUTE_PGM_RSRC2:TGID_Y_EN: 0
; COMPUTE_PGM_RSRC2:TGID_Z_EN: 0
; COMPUTE_PGM_RSRC2:TIDIG_COMP_CNT: 0
	.section	.text._ZN7rocprim17ROCPRIM_400000_NS6detail17trampoline_kernelINS0_14default_configENS1_20scan_config_selectorIN3c107complexIdEEEEZZNS1_9scan_implILNS1_25lookback_scan_determinismE0ELb0ELb0ES3_PKS7_PS7_S7_ZZZN2at6native31launch_logcumsumexp_cuda_kernelERKNSE_10TensorBaseESI_lENKUlvE_clEvENKUlvE1_clEvEUlS7_S7_E_S7_EEDaPvRmT3_T4_T5_mT6_P12ihipStream_tbENKUlT_T0_E_clISt17integral_constantIbLb0EESZ_EEDaSU_SV_EUlSU_E_NS1_11comp_targetILNS1_3genE4ELNS1_11target_archE910ELNS1_3gpuE8ELNS1_3repE0EEENS1_30default_config_static_selectorELNS0_4arch9wavefront6targetE0EEEvT1_,"axG",@progbits,_ZN7rocprim17ROCPRIM_400000_NS6detail17trampoline_kernelINS0_14default_configENS1_20scan_config_selectorIN3c107complexIdEEEEZZNS1_9scan_implILNS1_25lookback_scan_determinismE0ELb0ELb0ES3_PKS7_PS7_S7_ZZZN2at6native31launch_logcumsumexp_cuda_kernelERKNSE_10TensorBaseESI_lENKUlvE_clEvENKUlvE1_clEvEUlS7_S7_E_S7_EEDaPvRmT3_T4_T5_mT6_P12ihipStream_tbENKUlT_T0_E_clISt17integral_constantIbLb0EESZ_EEDaSU_SV_EUlSU_E_NS1_11comp_targetILNS1_3genE4ELNS1_11target_archE910ELNS1_3gpuE8ELNS1_3repE0EEENS1_30default_config_static_selectorELNS0_4arch9wavefront6targetE0EEEvT1_,comdat
	.globl	_ZN7rocprim17ROCPRIM_400000_NS6detail17trampoline_kernelINS0_14default_configENS1_20scan_config_selectorIN3c107complexIdEEEEZZNS1_9scan_implILNS1_25lookback_scan_determinismE0ELb0ELb0ES3_PKS7_PS7_S7_ZZZN2at6native31launch_logcumsumexp_cuda_kernelERKNSE_10TensorBaseESI_lENKUlvE_clEvENKUlvE1_clEvEUlS7_S7_E_S7_EEDaPvRmT3_T4_T5_mT6_P12ihipStream_tbENKUlT_T0_E_clISt17integral_constantIbLb0EESZ_EEDaSU_SV_EUlSU_E_NS1_11comp_targetILNS1_3genE4ELNS1_11target_archE910ELNS1_3gpuE8ELNS1_3repE0EEENS1_30default_config_static_selectorELNS0_4arch9wavefront6targetE0EEEvT1_ ; -- Begin function _ZN7rocprim17ROCPRIM_400000_NS6detail17trampoline_kernelINS0_14default_configENS1_20scan_config_selectorIN3c107complexIdEEEEZZNS1_9scan_implILNS1_25lookback_scan_determinismE0ELb0ELb0ES3_PKS7_PS7_S7_ZZZN2at6native31launch_logcumsumexp_cuda_kernelERKNSE_10TensorBaseESI_lENKUlvE_clEvENKUlvE1_clEvEUlS7_S7_E_S7_EEDaPvRmT3_T4_T5_mT6_P12ihipStream_tbENKUlT_T0_E_clISt17integral_constantIbLb0EESZ_EEDaSU_SV_EUlSU_E_NS1_11comp_targetILNS1_3genE4ELNS1_11target_archE910ELNS1_3gpuE8ELNS1_3repE0EEENS1_30default_config_static_selectorELNS0_4arch9wavefront6targetE0EEEvT1_
	.p2align	8
	.type	_ZN7rocprim17ROCPRIM_400000_NS6detail17trampoline_kernelINS0_14default_configENS1_20scan_config_selectorIN3c107complexIdEEEEZZNS1_9scan_implILNS1_25lookback_scan_determinismE0ELb0ELb0ES3_PKS7_PS7_S7_ZZZN2at6native31launch_logcumsumexp_cuda_kernelERKNSE_10TensorBaseESI_lENKUlvE_clEvENKUlvE1_clEvEUlS7_S7_E_S7_EEDaPvRmT3_T4_T5_mT6_P12ihipStream_tbENKUlT_T0_E_clISt17integral_constantIbLb0EESZ_EEDaSU_SV_EUlSU_E_NS1_11comp_targetILNS1_3genE4ELNS1_11target_archE910ELNS1_3gpuE8ELNS1_3repE0EEENS1_30default_config_static_selectorELNS0_4arch9wavefront6targetE0EEEvT1_,@function
_ZN7rocprim17ROCPRIM_400000_NS6detail17trampoline_kernelINS0_14default_configENS1_20scan_config_selectorIN3c107complexIdEEEEZZNS1_9scan_implILNS1_25lookback_scan_determinismE0ELb0ELb0ES3_PKS7_PS7_S7_ZZZN2at6native31launch_logcumsumexp_cuda_kernelERKNSE_10TensorBaseESI_lENKUlvE_clEvENKUlvE1_clEvEUlS7_S7_E_S7_EEDaPvRmT3_T4_T5_mT6_P12ihipStream_tbENKUlT_T0_E_clISt17integral_constantIbLb0EESZ_EEDaSU_SV_EUlSU_E_NS1_11comp_targetILNS1_3genE4ELNS1_11target_archE910ELNS1_3gpuE8ELNS1_3repE0EEENS1_30default_config_static_selectorELNS0_4arch9wavefront6targetE0EEEvT1_: ; @_ZN7rocprim17ROCPRIM_400000_NS6detail17trampoline_kernelINS0_14default_configENS1_20scan_config_selectorIN3c107complexIdEEEEZZNS1_9scan_implILNS1_25lookback_scan_determinismE0ELb0ELb0ES3_PKS7_PS7_S7_ZZZN2at6native31launch_logcumsumexp_cuda_kernelERKNSE_10TensorBaseESI_lENKUlvE_clEvENKUlvE1_clEvEUlS7_S7_E_S7_EEDaPvRmT3_T4_T5_mT6_P12ihipStream_tbENKUlT_T0_E_clISt17integral_constantIbLb0EESZ_EEDaSU_SV_EUlSU_E_NS1_11comp_targetILNS1_3genE4ELNS1_11target_archE910ELNS1_3gpuE8ELNS1_3repE0EEENS1_30default_config_static_selectorELNS0_4arch9wavefront6targetE0EEEvT1_
; %bb.0:
	.section	.rodata,"a",@progbits
	.p2align	6, 0x0
	.amdhsa_kernel _ZN7rocprim17ROCPRIM_400000_NS6detail17trampoline_kernelINS0_14default_configENS1_20scan_config_selectorIN3c107complexIdEEEEZZNS1_9scan_implILNS1_25lookback_scan_determinismE0ELb0ELb0ES3_PKS7_PS7_S7_ZZZN2at6native31launch_logcumsumexp_cuda_kernelERKNSE_10TensorBaseESI_lENKUlvE_clEvENKUlvE1_clEvEUlS7_S7_E_S7_EEDaPvRmT3_T4_T5_mT6_P12ihipStream_tbENKUlT_T0_E_clISt17integral_constantIbLb0EESZ_EEDaSU_SV_EUlSU_E_NS1_11comp_targetILNS1_3genE4ELNS1_11target_archE910ELNS1_3gpuE8ELNS1_3repE0EEENS1_30default_config_static_selectorELNS0_4arch9wavefront6targetE0EEEvT1_
		.amdhsa_group_segment_fixed_size 0
		.amdhsa_private_segment_fixed_size 0
		.amdhsa_kernarg_size 128
		.amdhsa_user_sgpr_count 2
		.amdhsa_user_sgpr_dispatch_ptr 0
		.amdhsa_user_sgpr_queue_ptr 0
		.amdhsa_user_sgpr_kernarg_segment_ptr 1
		.amdhsa_user_sgpr_dispatch_id 0
		.amdhsa_user_sgpr_private_segment_size 0
		.amdhsa_wavefront_size32 1
		.amdhsa_uses_dynamic_stack 0
		.amdhsa_enable_private_segment 0
		.amdhsa_system_sgpr_workgroup_id_x 1
		.amdhsa_system_sgpr_workgroup_id_y 0
		.amdhsa_system_sgpr_workgroup_id_z 0
		.amdhsa_system_sgpr_workgroup_info 0
		.amdhsa_system_vgpr_workitem_id 0
		.amdhsa_next_free_vgpr 1
		.amdhsa_next_free_sgpr 1
		.amdhsa_reserve_vcc 0
		.amdhsa_float_round_mode_32 0
		.amdhsa_float_round_mode_16_64 0
		.amdhsa_float_denorm_mode_32 3
		.amdhsa_float_denorm_mode_16_64 3
		.amdhsa_fp16_overflow 0
		.amdhsa_workgroup_processor_mode 1
		.amdhsa_memory_ordered 1
		.amdhsa_forward_progress 1
		.amdhsa_inst_pref_size 0
		.amdhsa_round_robin_scheduling 0
		.amdhsa_exception_fp_ieee_invalid_op 0
		.amdhsa_exception_fp_denorm_src 0
		.amdhsa_exception_fp_ieee_div_zero 0
		.amdhsa_exception_fp_ieee_overflow 0
		.amdhsa_exception_fp_ieee_underflow 0
		.amdhsa_exception_fp_ieee_inexact 0
		.amdhsa_exception_int_div_zero 0
	.end_amdhsa_kernel
	.section	.text._ZN7rocprim17ROCPRIM_400000_NS6detail17trampoline_kernelINS0_14default_configENS1_20scan_config_selectorIN3c107complexIdEEEEZZNS1_9scan_implILNS1_25lookback_scan_determinismE0ELb0ELb0ES3_PKS7_PS7_S7_ZZZN2at6native31launch_logcumsumexp_cuda_kernelERKNSE_10TensorBaseESI_lENKUlvE_clEvENKUlvE1_clEvEUlS7_S7_E_S7_EEDaPvRmT3_T4_T5_mT6_P12ihipStream_tbENKUlT_T0_E_clISt17integral_constantIbLb0EESZ_EEDaSU_SV_EUlSU_E_NS1_11comp_targetILNS1_3genE4ELNS1_11target_archE910ELNS1_3gpuE8ELNS1_3repE0EEENS1_30default_config_static_selectorELNS0_4arch9wavefront6targetE0EEEvT1_,"axG",@progbits,_ZN7rocprim17ROCPRIM_400000_NS6detail17trampoline_kernelINS0_14default_configENS1_20scan_config_selectorIN3c107complexIdEEEEZZNS1_9scan_implILNS1_25lookback_scan_determinismE0ELb0ELb0ES3_PKS7_PS7_S7_ZZZN2at6native31launch_logcumsumexp_cuda_kernelERKNSE_10TensorBaseESI_lENKUlvE_clEvENKUlvE1_clEvEUlS7_S7_E_S7_EEDaPvRmT3_T4_T5_mT6_P12ihipStream_tbENKUlT_T0_E_clISt17integral_constantIbLb0EESZ_EEDaSU_SV_EUlSU_E_NS1_11comp_targetILNS1_3genE4ELNS1_11target_archE910ELNS1_3gpuE8ELNS1_3repE0EEENS1_30default_config_static_selectorELNS0_4arch9wavefront6targetE0EEEvT1_,comdat
.Lfunc_end177:
	.size	_ZN7rocprim17ROCPRIM_400000_NS6detail17trampoline_kernelINS0_14default_configENS1_20scan_config_selectorIN3c107complexIdEEEEZZNS1_9scan_implILNS1_25lookback_scan_determinismE0ELb0ELb0ES3_PKS7_PS7_S7_ZZZN2at6native31launch_logcumsumexp_cuda_kernelERKNSE_10TensorBaseESI_lENKUlvE_clEvENKUlvE1_clEvEUlS7_S7_E_S7_EEDaPvRmT3_T4_T5_mT6_P12ihipStream_tbENKUlT_T0_E_clISt17integral_constantIbLb0EESZ_EEDaSU_SV_EUlSU_E_NS1_11comp_targetILNS1_3genE4ELNS1_11target_archE910ELNS1_3gpuE8ELNS1_3repE0EEENS1_30default_config_static_selectorELNS0_4arch9wavefront6targetE0EEEvT1_, .Lfunc_end177-_ZN7rocprim17ROCPRIM_400000_NS6detail17trampoline_kernelINS0_14default_configENS1_20scan_config_selectorIN3c107complexIdEEEEZZNS1_9scan_implILNS1_25lookback_scan_determinismE0ELb0ELb0ES3_PKS7_PS7_S7_ZZZN2at6native31launch_logcumsumexp_cuda_kernelERKNSE_10TensorBaseESI_lENKUlvE_clEvENKUlvE1_clEvEUlS7_S7_E_S7_EEDaPvRmT3_T4_T5_mT6_P12ihipStream_tbENKUlT_T0_E_clISt17integral_constantIbLb0EESZ_EEDaSU_SV_EUlSU_E_NS1_11comp_targetILNS1_3genE4ELNS1_11target_archE910ELNS1_3gpuE8ELNS1_3repE0EEENS1_30default_config_static_selectorELNS0_4arch9wavefront6targetE0EEEvT1_
                                        ; -- End function
	.set _ZN7rocprim17ROCPRIM_400000_NS6detail17trampoline_kernelINS0_14default_configENS1_20scan_config_selectorIN3c107complexIdEEEEZZNS1_9scan_implILNS1_25lookback_scan_determinismE0ELb0ELb0ES3_PKS7_PS7_S7_ZZZN2at6native31launch_logcumsumexp_cuda_kernelERKNSE_10TensorBaseESI_lENKUlvE_clEvENKUlvE1_clEvEUlS7_S7_E_S7_EEDaPvRmT3_T4_T5_mT6_P12ihipStream_tbENKUlT_T0_E_clISt17integral_constantIbLb0EESZ_EEDaSU_SV_EUlSU_E_NS1_11comp_targetILNS1_3genE4ELNS1_11target_archE910ELNS1_3gpuE8ELNS1_3repE0EEENS1_30default_config_static_selectorELNS0_4arch9wavefront6targetE0EEEvT1_.num_vgpr, 0
	.set _ZN7rocprim17ROCPRIM_400000_NS6detail17trampoline_kernelINS0_14default_configENS1_20scan_config_selectorIN3c107complexIdEEEEZZNS1_9scan_implILNS1_25lookback_scan_determinismE0ELb0ELb0ES3_PKS7_PS7_S7_ZZZN2at6native31launch_logcumsumexp_cuda_kernelERKNSE_10TensorBaseESI_lENKUlvE_clEvENKUlvE1_clEvEUlS7_S7_E_S7_EEDaPvRmT3_T4_T5_mT6_P12ihipStream_tbENKUlT_T0_E_clISt17integral_constantIbLb0EESZ_EEDaSU_SV_EUlSU_E_NS1_11comp_targetILNS1_3genE4ELNS1_11target_archE910ELNS1_3gpuE8ELNS1_3repE0EEENS1_30default_config_static_selectorELNS0_4arch9wavefront6targetE0EEEvT1_.num_agpr, 0
	.set _ZN7rocprim17ROCPRIM_400000_NS6detail17trampoline_kernelINS0_14default_configENS1_20scan_config_selectorIN3c107complexIdEEEEZZNS1_9scan_implILNS1_25lookback_scan_determinismE0ELb0ELb0ES3_PKS7_PS7_S7_ZZZN2at6native31launch_logcumsumexp_cuda_kernelERKNSE_10TensorBaseESI_lENKUlvE_clEvENKUlvE1_clEvEUlS7_S7_E_S7_EEDaPvRmT3_T4_T5_mT6_P12ihipStream_tbENKUlT_T0_E_clISt17integral_constantIbLb0EESZ_EEDaSU_SV_EUlSU_E_NS1_11comp_targetILNS1_3genE4ELNS1_11target_archE910ELNS1_3gpuE8ELNS1_3repE0EEENS1_30default_config_static_selectorELNS0_4arch9wavefront6targetE0EEEvT1_.numbered_sgpr, 0
	.set _ZN7rocprim17ROCPRIM_400000_NS6detail17trampoline_kernelINS0_14default_configENS1_20scan_config_selectorIN3c107complexIdEEEEZZNS1_9scan_implILNS1_25lookback_scan_determinismE0ELb0ELb0ES3_PKS7_PS7_S7_ZZZN2at6native31launch_logcumsumexp_cuda_kernelERKNSE_10TensorBaseESI_lENKUlvE_clEvENKUlvE1_clEvEUlS7_S7_E_S7_EEDaPvRmT3_T4_T5_mT6_P12ihipStream_tbENKUlT_T0_E_clISt17integral_constantIbLb0EESZ_EEDaSU_SV_EUlSU_E_NS1_11comp_targetILNS1_3genE4ELNS1_11target_archE910ELNS1_3gpuE8ELNS1_3repE0EEENS1_30default_config_static_selectorELNS0_4arch9wavefront6targetE0EEEvT1_.num_named_barrier, 0
	.set _ZN7rocprim17ROCPRIM_400000_NS6detail17trampoline_kernelINS0_14default_configENS1_20scan_config_selectorIN3c107complexIdEEEEZZNS1_9scan_implILNS1_25lookback_scan_determinismE0ELb0ELb0ES3_PKS7_PS7_S7_ZZZN2at6native31launch_logcumsumexp_cuda_kernelERKNSE_10TensorBaseESI_lENKUlvE_clEvENKUlvE1_clEvEUlS7_S7_E_S7_EEDaPvRmT3_T4_T5_mT6_P12ihipStream_tbENKUlT_T0_E_clISt17integral_constantIbLb0EESZ_EEDaSU_SV_EUlSU_E_NS1_11comp_targetILNS1_3genE4ELNS1_11target_archE910ELNS1_3gpuE8ELNS1_3repE0EEENS1_30default_config_static_selectorELNS0_4arch9wavefront6targetE0EEEvT1_.private_seg_size, 0
	.set _ZN7rocprim17ROCPRIM_400000_NS6detail17trampoline_kernelINS0_14default_configENS1_20scan_config_selectorIN3c107complexIdEEEEZZNS1_9scan_implILNS1_25lookback_scan_determinismE0ELb0ELb0ES3_PKS7_PS7_S7_ZZZN2at6native31launch_logcumsumexp_cuda_kernelERKNSE_10TensorBaseESI_lENKUlvE_clEvENKUlvE1_clEvEUlS7_S7_E_S7_EEDaPvRmT3_T4_T5_mT6_P12ihipStream_tbENKUlT_T0_E_clISt17integral_constantIbLb0EESZ_EEDaSU_SV_EUlSU_E_NS1_11comp_targetILNS1_3genE4ELNS1_11target_archE910ELNS1_3gpuE8ELNS1_3repE0EEENS1_30default_config_static_selectorELNS0_4arch9wavefront6targetE0EEEvT1_.uses_vcc, 0
	.set _ZN7rocprim17ROCPRIM_400000_NS6detail17trampoline_kernelINS0_14default_configENS1_20scan_config_selectorIN3c107complexIdEEEEZZNS1_9scan_implILNS1_25lookback_scan_determinismE0ELb0ELb0ES3_PKS7_PS7_S7_ZZZN2at6native31launch_logcumsumexp_cuda_kernelERKNSE_10TensorBaseESI_lENKUlvE_clEvENKUlvE1_clEvEUlS7_S7_E_S7_EEDaPvRmT3_T4_T5_mT6_P12ihipStream_tbENKUlT_T0_E_clISt17integral_constantIbLb0EESZ_EEDaSU_SV_EUlSU_E_NS1_11comp_targetILNS1_3genE4ELNS1_11target_archE910ELNS1_3gpuE8ELNS1_3repE0EEENS1_30default_config_static_selectorELNS0_4arch9wavefront6targetE0EEEvT1_.uses_flat_scratch, 0
	.set _ZN7rocprim17ROCPRIM_400000_NS6detail17trampoline_kernelINS0_14default_configENS1_20scan_config_selectorIN3c107complexIdEEEEZZNS1_9scan_implILNS1_25lookback_scan_determinismE0ELb0ELb0ES3_PKS7_PS7_S7_ZZZN2at6native31launch_logcumsumexp_cuda_kernelERKNSE_10TensorBaseESI_lENKUlvE_clEvENKUlvE1_clEvEUlS7_S7_E_S7_EEDaPvRmT3_T4_T5_mT6_P12ihipStream_tbENKUlT_T0_E_clISt17integral_constantIbLb0EESZ_EEDaSU_SV_EUlSU_E_NS1_11comp_targetILNS1_3genE4ELNS1_11target_archE910ELNS1_3gpuE8ELNS1_3repE0EEENS1_30default_config_static_selectorELNS0_4arch9wavefront6targetE0EEEvT1_.has_dyn_sized_stack, 0
	.set _ZN7rocprim17ROCPRIM_400000_NS6detail17trampoline_kernelINS0_14default_configENS1_20scan_config_selectorIN3c107complexIdEEEEZZNS1_9scan_implILNS1_25lookback_scan_determinismE0ELb0ELb0ES3_PKS7_PS7_S7_ZZZN2at6native31launch_logcumsumexp_cuda_kernelERKNSE_10TensorBaseESI_lENKUlvE_clEvENKUlvE1_clEvEUlS7_S7_E_S7_EEDaPvRmT3_T4_T5_mT6_P12ihipStream_tbENKUlT_T0_E_clISt17integral_constantIbLb0EESZ_EEDaSU_SV_EUlSU_E_NS1_11comp_targetILNS1_3genE4ELNS1_11target_archE910ELNS1_3gpuE8ELNS1_3repE0EEENS1_30default_config_static_selectorELNS0_4arch9wavefront6targetE0EEEvT1_.has_recursion, 0
	.set _ZN7rocprim17ROCPRIM_400000_NS6detail17trampoline_kernelINS0_14default_configENS1_20scan_config_selectorIN3c107complexIdEEEEZZNS1_9scan_implILNS1_25lookback_scan_determinismE0ELb0ELb0ES3_PKS7_PS7_S7_ZZZN2at6native31launch_logcumsumexp_cuda_kernelERKNSE_10TensorBaseESI_lENKUlvE_clEvENKUlvE1_clEvEUlS7_S7_E_S7_EEDaPvRmT3_T4_T5_mT6_P12ihipStream_tbENKUlT_T0_E_clISt17integral_constantIbLb0EESZ_EEDaSU_SV_EUlSU_E_NS1_11comp_targetILNS1_3genE4ELNS1_11target_archE910ELNS1_3gpuE8ELNS1_3repE0EEENS1_30default_config_static_selectorELNS0_4arch9wavefront6targetE0EEEvT1_.has_indirect_call, 0
	.section	.AMDGPU.csdata,"",@progbits
; Kernel info:
; codeLenInByte = 0
; TotalNumSgprs: 0
; NumVgprs: 0
; ScratchSize: 0
; MemoryBound: 0
; FloatMode: 240
; IeeeMode: 1
; LDSByteSize: 0 bytes/workgroup (compile time only)
; SGPRBlocks: 0
; VGPRBlocks: 0
; NumSGPRsForWavesPerEU: 1
; NumVGPRsForWavesPerEU: 1
; Occupancy: 16
; WaveLimiterHint : 0
; COMPUTE_PGM_RSRC2:SCRATCH_EN: 0
; COMPUTE_PGM_RSRC2:USER_SGPR: 2
; COMPUTE_PGM_RSRC2:TRAP_HANDLER: 0
; COMPUTE_PGM_RSRC2:TGID_X_EN: 1
; COMPUTE_PGM_RSRC2:TGID_Y_EN: 0
; COMPUTE_PGM_RSRC2:TGID_Z_EN: 0
; COMPUTE_PGM_RSRC2:TIDIG_COMP_CNT: 0
	.section	.text._ZN7rocprim17ROCPRIM_400000_NS6detail17trampoline_kernelINS0_14default_configENS1_20scan_config_selectorIN3c107complexIdEEEEZZNS1_9scan_implILNS1_25lookback_scan_determinismE0ELb0ELb0ES3_PKS7_PS7_S7_ZZZN2at6native31launch_logcumsumexp_cuda_kernelERKNSE_10TensorBaseESI_lENKUlvE_clEvENKUlvE1_clEvEUlS7_S7_E_S7_EEDaPvRmT3_T4_T5_mT6_P12ihipStream_tbENKUlT_T0_E_clISt17integral_constantIbLb0EESZ_EEDaSU_SV_EUlSU_E_NS1_11comp_targetILNS1_3genE3ELNS1_11target_archE908ELNS1_3gpuE7ELNS1_3repE0EEENS1_30default_config_static_selectorELNS0_4arch9wavefront6targetE0EEEvT1_,"axG",@progbits,_ZN7rocprim17ROCPRIM_400000_NS6detail17trampoline_kernelINS0_14default_configENS1_20scan_config_selectorIN3c107complexIdEEEEZZNS1_9scan_implILNS1_25lookback_scan_determinismE0ELb0ELb0ES3_PKS7_PS7_S7_ZZZN2at6native31launch_logcumsumexp_cuda_kernelERKNSE_10TensorBaseESI_lENKUlvE_clEvENKUlvE1_clEvEUlS7_S7_E_S7_EEDaPvRmT3_T4_T5_mT6_P12ihipStream_tbENKUlT_T0_E_clISt17integral_constantIbLb0EESZ_EEDaSU_SV_EUlSU_E_NS1_11comp_targetILNS1_3genE3ELNS1_11target_archE908ELNS1_3gpuE7ELNS1_3repE0EEENS1_30default_config_static_selectorELNS0_4arch9wavefront6targetE0EEEvT1_,comdat
	.globl	_ZN7rocprim17ROCPRIM_400000_NS6detail17trampoline_kernelINS0_14default_configENS1_20scan_config_selectorIN3c107complexIdEEEEZZNS1_9scan_implILNS1_25lookback_scan_determinismE0ELb0ELb0ES3_PKS7_PS7_S7_ZZZN2at6native31launch_logcumsumexp_cuda_kernelERKNSE_10TensorBaseESI_lENKUlvE_clEvENKUlvE1_clEvEUlS7_S7_E_S7_EEDaPvRmT3_T4_T5_mT6_P12ihipStream_tbENKUlT_T0_E_clISt17integral_constantIbLb0EESZ_EEDaSU_SV_EUlSU_E_NS1_11comp_targetILNS1_3genE3ELNS1_11target_archE908ELNS1_3gpuE7ELNS1_3repE0EEENS1_30default_config_static_selectorELNS0_4arch9wavefront6targetE0EEEvT1_ ; -- Begin function _ZN7rocprim17ROCPRIM_400000_NS6detail17trampoline_kernelINS0_14default_configENS1_20scan_config_selectorIN3c107complexIdEEEEZZNS1_9scan_implILNS1_25lookback_scan_determinismE0ELb0ELb0ES3_PKS7_PS7_S7_ZZZN2at6native31launch_logcumsumexp_cuda_kernelERKNSE_10TensorBaseESI_lENKUlvE_clEvENKUlvE1_clEvEUlS7_S7_E_S7_EEDaPvRmT3_T4_T5_mT6_P12ihipStream_tbENKUlT_T0_E_clISt17integral_constantIbLb0EESZ_EEDaSU_SV_EUlSU_E_NS1_11comp_targetILNS1_3genE3ELNS1_11target_archE908ELNS1_3gpuE7ELNS1_3repE0EEENS1_30default_config_static_selectorELNS0_4arch9wavefront6targetE0EEEvT1_
	.p2align	8
	.type	_ZN7rocprim17ROCPRIM_400000_NS6detail17trampoline_kernelINS0_14default_configENS1_20scan_config_selectorIN3c107complexIdEEEEZZNS1_9scan_implILNS1_25lookback_scan_determinismE0ELb0ELb0ES3_PKS7_PS7_S7_ZZZN2at6native31launch_logcumsumexp_cuda_kernelERKNSE_10TensorBaseESI_lENKUlvE_clEvENKUlvE1_clEvEUlS7_S7_E_S7_EEDaPvRmT3_T4_T5_mT6_P12ihipStream_tbENKUlT_T0_E_clISt17integral_constantIbLb0EESZ_EEDaSU_SV_EUlSU_E_NS1_11comp_targetILNS1_3genE3ELNS1_11target_archE908ELNS1_3gpuE7ELNS1_3repE0EEENS1_30default_config_static_selectorELNS0_4arch9wavefront6targetE0EEEvT1_,@function
_ZN7rocprim17ROCPRIM_400000_NS6detail17trampoline_kernelINS0_14default_configENS1_20scan_config_selectorIN3c107complexIdEEEEZZNS1_9scan_implILNS1_25lookback_scan_determinismE0ELb0ELb0ES3_PKS7_PS7_S7_ZZZN2at6native31launch_logcumsumexp_cuda_kernelERKNSE_10TensorBaseESI_lENKUlvE_clEvENKUlvE1_clEvEUlS7_S7_E_S7_EEDaPvRmT3_T4_T5_mT6_P12ihipStream_tbENKUlT_T0_E_clISt17integral_constantIbLb0EESZ_EEDaSU_SV_EUlSU_E_NS1_11comp_targetILNS1_3genE3ELNS1_11target_archE908ELNS1_3gpuE7ELNS1_3repE0EEENS1_30default_config_static_selectorELNS0_4arch9wavefront6targetE0EEEvT1_: ; @_ZN7rocprim17ROCPRIM_400000_NS6detail17trampoline_kernelINS0_14default_configENS1_20scan_config_selectorIN3c107complexIdEEEEZZNS1_9scan_implILNS1_25lookback_scan_determinismE0ELb0ELb0ES3_PKS7_PS7_S7_ZZZN2at6native31launch_logcumsumexp_cuda_kernelERKNSE_10TensorBaseESI_lENKUlvE_clEvENKUlvE1_clEvEUlS7_S7_E_S7_EEDaPvRmT3_T4_T5_mT6_P12ihipStream_tbENKUlT_T0_E_clISt17integral_constantIbLb0EESZ_EEDaSU_SV_EUlSU_E_NS1_11comp_targetILNS1_3genE3ELNS1_11target_archE908ELNS1_3gpuE7ELNS1_3repE0EEENS1_30default_config_static_selectorELNS0_4arch9wavefront6targetE0EEEvT1_
; %bb.0:
	.section	.rodata,"a",@progbits
	.p2align	6, 0x0
	.amdhsa_kernel _ZN7rocprim17ROCPRIM_400000_NS6detail17trampoline_kernelINS0_14default_configENS1_20scan_config_selectorIN3c107complexIdEEEEZZNS1_9scan_implILNS1_25lookback_scan_determinismE0ELb0ELb0ES3_PKS7_PS7_S7_ZZZN2at6native31launch_logcumsumexp_cuda_kernelERKNSE_10TensorBaseESI_lENKUlvE_clEvENKUlvE1_clEvEUlS7_S7_E_S7_EEDaPvRmT3_T4_T5_mT6_P12ihipStream_tbENKUlT_T0_E_clISt17integral_constantIbLb0EESZ_EEDaSU_SV_EUlSU_E_NS1_11comp_targetILNS1_3genE3ELNS1_11target_archE908ELNS1_3gpuE7ELNS1_3repE0EEENS1_30default_config_static_selectorELNS0_4arch9wavefront6targetE0EEEvT1_
		.amdhsa_group_segment_fixed_size 0
		.amdhsa_private_segment_fixed_size 0
		.amdhsa_kernarg_size 128
		.amdhsa_user_sgpr_count 2
		.amdhsa_user_sgpr_dispatch_ptr 0
		.amdhsa_user_sgpr_queue_ptr 0
		.amdhsa_user_sgpr_kernarg_segment_ptr 1
		.amdhsa_user_sgpr_dispatch_id 0
		.amdhsa_user_sgpr_private_segment_size 0
		.amdhsa_wavefront_size32 1
		.amdhsa_uses_dynamic_stack 0
		.amdhsa_enable_private_segment 0
		.amdhsa_system_sgpr_workgroup_id_x 1
		.amdhsa_system_sgpr_workgroup_id_y 0
		.amdhsa_system_sgpr_workgroup_id_z 0
		.amdhsa_system_sgpr_workgroup_info 0
		.amdhsa_system_vgpr_workitem_id 0
		.amdhsa_next_free_vgpr 1
		.amdhsa_next_free_sgpr 1
		.amdhsa_reserve_vcc 0
		.amdhsa_float_round_mode_32 0
		.amdhsa_float_round_mode_16_64 0
		.amdhsa_float_denorm_mode_32 3
		.amdhsa_float_denorm_mode_16_64 3
		.amdhsa_fp16_overflow 0
		.amdhsa_workgroup_processor_mode 1
		.amdhsa_memory_ordered 1
		.amdhsa_forward_progress 1
		.amdhsa_inst_pref_size 0
		.amdhsa_round_robin_scheduling 0
		.amdhsa_exception_fp_ieee_invalid_op 0
		.amdhsa_exception_fp_denorm_src 0
		.amdhsa_exception_fp_ieee_div_zero 0
		.amdhsa_exception_fp_ieee_overflow 0
		.amdhsa_exception_fp_ieee_underflow 0
		.amdhsa_exception_fp_ieee_inexact 0
		.amdhsa_exception_int_div_zero 0
	.end_amdhsa_kernel
	.section	.text._ZN7rocprim17ROCPRIM_400000_NS6detail17trampoline_kernelINS0_14default_configENS1_20scan_config_selectorIN3c107complexIdEEEEZZNS1_9scan_implILNS1_25lookback_scan_determinismE0ELb0ELb0ES3_PKS7_PS7_S7_ZZZN2at6native31launch_logcumsumexp_cuda_kernelERKNSE_10TensorBaseESI_lENKUlvE_clEvENKUlvE1_clEvEUlS7_S7_E_S7_EEDaPvRmT3_T4_T5_mT6_P12ihipStream_tbENKUlT_T0_E_clISt17integral_constantIbLb0EESZ_EEDaSU_SV_EUlSU_E_NS1_11comp_targetILNS1_3genE3ELNS1_11target_archE908ELNS1_3gpuE7ELNS1_3repE0EEENS1_30default_config_static_selectorELNS0_4arch9wavefront6targetE0EEEvT1_,"axG",@progbits,_ZN7rocprim17ROCPRIM_400000_NS6detail17trampoline_kernelINS0_14default_configENS1_20scan_config_selectorIN3c107complexIdEEEEZZNS1_9scan_implILNS1_25lookback_scan_determinismE0ELb0ELb0ES3_PKS7_PS7_S7_ZZZN2at6native31launch_logcumsumexp_cuda_kernelERKNSE_10TensorBaseESI_lENKUlvE_clEvENKUlvE1_clEvEUlS7_S7_E_S7_EEDaPvRmT3_T4_T5_mT6_P12ihipStream_tbENKUlT_T0_E_clISt17integral_constantIbLb0EESZ_EEDaSU_SV_EUlSU_E_NS1_11comp_targetILNS1_3genE3ELNS1_11target_archE908ELNS1_3gpuE7ELNS1_3repE0EEENS1_30default_config_static_selectorELNS0_4arch9wavefront6targetE0EEEvT1_,comdat
.Lfunc_end178:
	.size	_ZN7rocprim17ROCPRIM_400000_NS6detail17trampoline_kernelINS0_14default_configENS1_20scan_config_selectorIN3c107complexIdEEEEZZNS1_9scan_implILNS1_25lookback_scan_determinismE0ELb0ELb0ES3_PKS7_PS7_S7_ZZZN2at6native31launch_logcumsumexp_cuda_kernelERKNSE_10TensorBaseESI_lENKUlvE_clEvENKUlvE1_clEvEUlS7_S7_E_S7_EEDaPvRmT3_T4_T5_mT6_P12ihipStream_tbENKUlT_T0_E_clISt17integral_constantIbLb0EESZ_EEDaSU_SV_EUlSU_E_NS1_11comp_targetILNS1_3genE3ELNS1_11target_archE908ELNS1_3gpuE7ELNS1_3repE0EEENS1_30default_config_static_selectorELNS0_4arch9wavefront6targetE0EEEvT1_, .Lfunc_end178-_ZN7rocprim17ROCPRIM_400000_NS6detail17trampoline_kernelINS0_14default_configENS1_20scan_config_selectorIN3c107complexIdEEEEZZNS1_9scan_implILNS1_25lookback_scan_determinismE0ELb0ELb0ES3_PKS7_PS7_S7_ZZZN2at6native31launch_logcumsumexp_cuda_kernelERKNSE_10TensorBaseESI_lENKUlvE_clEvENKUlvE1_clEvEUlS7_S7_E_S7_EEDaPvRmT3_T4_T5_mT6_P12ihipStream_tbENKUlT_T0_E_clISt17integral_constantIbLb0EESZ_EEDaSU_SV_EUlSU_E_NS1_11comp_targetILNS1_3genE3ELNS1_11target_archE908ELNS1_3gpuE7ELNS1_3repE0EEENS1_30default_config_static_selectorELNS0_4arch9wavefront6targetE0EEEvT1_
                                        ; -- End function
	.set _ZN7rocprim17ROCPRIM_400000_NS6detail17trampoline_kernelINS0_14default_configENS1_20scan_config_selectorIN3c107complexIdEEEEZZNS1_9scan_implILNS1_25lookback_scan_determinismE0ELb0ELb0ES3_PKS7_PS7_S7_ZZZN2at6native31launch_logcumsumexp_cuda_kernelERKNSE_10TensorBaseESI_lENKUlvE_clEvENKUlvE1_clEvEUlS7_S7_E_S7_EEDaPvRmT3_T4_T5_mT6_P12ihipStream_tbENKUlT_T0_E_clISt17integral_constantIbLb0EESZ_EEDaSU_SV_EUlSU_E_NS1_11comp_targetILNS1_3genE3ELNS1_11target_archE908ELNS1_3gpuE7ELNS1_3repE0EEENS1_30default_config_static_selectorELNS0_4arch9wavefront6targetE0EEEvT1_.num_vgpr, 0
	.set _ZN7rocprim17ROCPRIM_400000_NS6detail17trampoline_kernelINS0_14default_configENS1_20scan_config_selectorIN3c107complexIdEEEEZZNS1_9scan_implILNS1_25lookback_scan_determinismE0ELb0ELb0ES3_PKS7_PS7_S7_ZZZN2at6native31launch_logcumsumexp_cuda_kernelERKNSE_10TensorBaseESI_lENKUlvE_clEvENKUlvE1_clEvEUlS7_S7_E_S7_EEDaPvRmT3_T4_T5_mT6_P12ihipStream_tbENKUlT_T0_E_clISt17integral_constantIbLb0EESZ_EEDaSU_SV_EUlSU_E_NS1_11comp_targetILNS1_3genE3ELNS1_11target_archE908ELNS1_3gpuE7ELNS1_3repE0EEENS1_30default_config_static_selectorELNS0_4arch9wavefront6targetE0EEEvT1_.num_agpr, 0
	.set _ZN7rocprim17ROCPRIM_400000_NS6detail17trampoline_kernelINS0_14default_configENS1_20scan_config_selectorIN3c107complexIdEEEEZZNS1_9scan_implILNS1_25lookback_scan_determinismE0ELb0ELb0ES3_PKS7_PS7_S7_ZZZN2at6native31launch_logcumsumexp_cuda_kernelERKNSE_10TensorBaseESI_lENKUlvE_clEvENKUlvE1_clEvEUlS7_S7_E_S7_EEDaPvRmT3_T4_T5_mT6_P12ihipStream_tbENKUlT_T0_E_clISt17integral_constantIbLb0EESZ_EEDaSU_SV_EUlSU_E_NS1_11comp_targetILNS1_3genE3ELNS1_11target_archE908ELNS1_3gpuE7ELNS1_3repE0EEENS1_30default_config_static_selectorELNS0_4arch9wavefront6targetE0EEEvT1_.numbered_sgpr, 0
	.set _ZN7rocprim17ROCPRIM_400000_NS6detail17trampoline_kernelINS0_14default_configENS1_20scan_config_selectorIN3c107complexIdEEEEZZNS1_9scan_implILNS1_25lookback_scan_determinismE0ELb0ELb0ES3_PKS7_PS7_S7_ZZZN2at6native31launch_logcumsumexp_cuda_kernelERKNSE_10TensorBaseESI_lENKUlvE_clEvENKUlvE1_clEvEUlS7_S7_E_S7_EEDaPvRmT3_T4_T5_mT6_P12ihipStream_tbENKUlT_T0_E_clISt17integral_constantIbLb0EESZ_EEDaSU_SV_EUlSU_E_NS1_11comp_targetILNS1_3genE3ELNS1_11target_archE908ELNS1_3gpuE7ELNS1_3repE0EEENS1_30default_config_static_selectorELNS0_4arch9wavefront6targetE0EEEvT1_.num_named_barrier, 0
	.set _ZN7rocprim17ROCPRIM_400000_NS6detail17trampoline_kernelINS0_14default_configENS1_20scan_config_selectorIN3c107complexIdEEEEZZNS1_9scan_implILNS1_25lookback_scan_determinismE0ELb0ELb0ES3_PKS7_PS7_S7_ZZZN2at6native31launch_logcumsumexp_cuda_kernelERKNSE_10TensorBaseESI_lENKUlvE_clEvENKUlvE1_clEvEUlS7_S7_E_S7_EEDaPvRmT3_T4_T5_mT6_P12ihipStream_tbENKUlT_T0_E_clISt17integral_constantIbLb0EESZ_EEDaSU_SV_EUlSU_E_NS1_11comp_targetILNS1_3genE3ELNS1_11target_archE908ELNS1_3gpuE7ELNS1_3repE0EEENS1_30default_config_static_selectorELNS0_4arch9wavefront6targetE0EEEvT1_.private_seg_size, 0
	.set _ZN7rocprim17ROCPRIM_400000_NS6detail17trampoline_kernelINS0_14default_configENS1_20scan_config_selectorIN3c107complexIdEEEEZZNS1_9scan_implILNS1_25lookback_scan_determinismE0ELb0ELb0ES3_PKS7_PS7_S7_ZZZN2at6native31launch_logcumsumexp_cuda_kernelERKNSE_10TensorBaseESI_lENKUlvE_clEvENKUlvE1_clEvEUlS7_S7_E_S7_EEDaPvRmT3_T4_T5_mT6_P12ihipStream_tbENKUlT_T0_E_clISt17integral_constantIbLb0EESZ_EEDaSU_SV_EUlSU_E_NS1_11comp_targetILNS1_3genE3ELNS1_11target_archE908ELNS1_3gpuE7ELNS1_3repE0EEENS1_30default_config_static_selectorELNS0_4arch9wavefront6targetE0EEEvT1_.uses_vcc, 0
	.set _ZN7rocprim17ROCPRIM_400000_NS6detail17trampoline_kernelINS0_14default_configENS1_20scan_config_selectorIN3c107complexIdEEEEZZNS1_9scan_implILNS1_25lookback_scan_determinismE0ELb0ELb0ES3_PKS7_PS7_S7_ZZZN2at6native31launch_logcumsumexp_cuda_kernelERKNSE_10TensorBaseESI_lENKUlvE_clEvENKUlvE1_clEvEUlS7_S7_E_S7_EEDaPvRmT3_T4_T5_mT6_P12ihipStream_tbENKUlT_T0_E_clISt17integral_constantIbLb0EESZ_EEDaSU_SV_EUlSU_E_NS1_11comp_targetILNS1_3genE3ELNS1_11target_archE908ELNS1_3gpuE7ELNS1_3repE0EEENS1_30default_config_static_selectorELNS0_4arch9wavefront6targetE0EEEvT1_.uses_flat_scratch, 0
	.set _ZN7rocprim17ROCPRIM_400000_NS6detail17trampoline_kernelINS0_14default_configENS1_20scan_config_selectorIN3c107complexIdEEEEZZNS1_9scan_implILNS1_25lookback_scan_determinismE0ELb0ELb0ES3_PKS7_PS7_S7_ZZZN2at6native31launch_logcumsumexp_cuda_kernelERKNSE_10TensorBaseESI_lENKUlvE_clEvENKUlvE1_clEvEUlS7_S7_E_S7_EEDaPvRmT3_T4_T5_mT6_P12ihipStream_tbENKUlT_T0_E_clISt17integral_constantIbLb0EESZ_EEDaSU_SV_EUlSU_E_NS1_11comp_targetILNS1_3genE3ELNS1_11target_archE908ELNS1_3gpuE7ELNS1_3repE0EEENS1_30default_config_static_selectorELNS0_4arch9wavefront6targetE0EEEvT1_.has_dyn_sized_stack, 0
	.set _ZN7rocprim17ROCPRIM_400000_NS6detail17trampoline_kernelINS0_14default_configENS1_20scan_config_selectorIN3c107complexIdEEEEZZNS1_9scan_implILNS1_25lookback_scan_determinismE0ELb0ELb0ES3_PKS7_PS7_S7_ZZZN2at6native31launch_logcumsumexp_cuda_kernelERKNSE_10TensorBaseESI_lENKUlvE_clEvENKUlvE1_clEvEUlS7_S7_E_S7_EEDaPvRmT3_T4_T5_mT6_P12ihipStream_tbENKUlT_T0_E_clISt17integral_constantIbLb0EESZ_EEDaSU_SV_EUlSU_E_NS1_11comp_targetILNS1_3genE3ELNS1_11target_archE908ELNS1_3gpuE7ELNS1_3repE0EEENS1_30default_config_static_selectorELNS0_4arch9wavefront6targetE0EEEvT1_.has_recursion, 0
	.set _ZN7rocprim17ROCPRIM_400000_NS6detail17trampoline_kernelINS0_14default_configENS1_20scan_config_selectorIN3c107complexIdEEEEZZNS1_9scan_implILNS1_25lookback_scan_determinismE0ELb0ELb0ES3_PKS7_PS7_S7_ZZZN2at6native31launch_logcumsumexp_cuda_kernelERKNSE_10TensorBaseESI_lENKUlvE_clEvENKUlvE1_clEvEUlS7_S7_E_S7_EEDaPvRmT3_T4_T5_mT6_P12ihipStream_tbENKUlT_T0_E_clISt17integral_constantIbLb0EESZ_EEDaSU_SV_EUlSU_E_NS1_11comp_targetILNS1_3genE3ELNS1_11target_archE908ELNS1_3gpuE7ELNS1_3repE0EEENS1_30default_config_static_selectorELNS0_4arch9wavefront6targetE0EEEvT1_.has_indirect_call, 0
	.section	.AMDGPU.csdata,"",@progbits
; Kernel info:
; codeLenInByte = 0
; TotalNumSgprs: 0
; NumVgprs: 0
; ScratchSize: 0
; MemoryBound: 0
; FloatMode: 240
; IeeeMode: 1
; LDSByteSize: 0 bytes/workgroup (compile time only)
; SGPRBlocks: 0
; VGPRBlocks: 0
; NumSGPRsForWavesPerEU: 1
; NumVGPRsForWavesPerEU: 1
; Occupancy: 16
; WaveLimiterHint : 0
; COMPUTE_PGM_RSRC2:SCRATCH_EN: 0
; COMPUTE_PGM_RSRC2:USER_SGPR: 2
; COMPUTE_PGM_RSRC2:TRAP_HANDLER: 0
; COMPUTE_PGM_RSRC2:TGID_X_EN: 1
; COMPUTE_PGM_RSRC2:TGID_Y_EN: 0
; COMPUTE_PGM_RSRC2:TGID_Z_EN: 0
; COMPUTE_PGM_RSRC2:TIDIG_COMP_CNT: 0
	.section	.text._ZN7rocprim17ROCPRIM_400000_NS6detail17trampoline_kernelINS0_14default_configENS1_20scan_config_selectorIN3c107complexIdEEEEZZNS1_9scan_implILNS1_25lookback_scan_determinismE0ELb0ELb0ES3_PKS7_PS7_S7_ZZZN2at6native31launch_logcumsumexp_cuda_kernelERKNSE_10TensorBaseESI_lENKUlvE_clEvENKUlvE1_clEvEUlS7_S7_E_S7_EEDaPvRmT3_T4_T5_mT6_P12ihipStream_tbENKUlT_T0_E_clISt17integral_constantIbLb0EESZ_EEDaSU_SV_EUlSU_E_NS1_11comp_targetILNS1_3genE2ELNS1_11target_archE906ELNS1_3gpuE6ELNS1_3repE0EEENS1_30default_config_static_selectorELNS0_4arch9wavefront6targetE0EEEvT1_,"axG",@progbits,_ZN7rocprim17ROCPRIM_400000_NS6detail17trampoline_kernelINS0_14default_configENS1_20scan_config_selectorIN3c107complexIdEEEEZZNS1_9scan_implILNS1_25lookback_scan_determinismE0ELb0ELb0ES3_PKS7_PS7_S7_ZZZN2at6native31launch_logcumsumexp_cuda_kernelERKNSE_10TensorBaseESI_lENKUlvE_clEvENKUlvE1_clEvEUlS7_S7_E_S7_EEDaPvRmT3_T4_T5_mT6_P12ihipStream_tbENKUlT_T0_E_clISt17integral_constantIbLb0EESZ_EEDaSU_SV_EUlSU_E_NS1_11comp_targetILNS1_3genE2ELNS1_11target_archE906ELNS1_3gpuE6ELNS1_3repE0EEENS1_30default_config_static_selectorELNS0_4arch9wavefront6targetE0EEEvT1_,comdat
	.globl	_ZN7rocprim17ROCPRIM_400000_NS6detail17trampoline_kernelINS0_14default_configENS1_20scan_config_selectorIN3c107complexIdEEEEZZNS1_9scan_implILNS1_25lookback_scan_determinismE0ELb0ELb0ES3_PKS7_PS7_S7_ZZZN2at6native31launch_logcumsumexp_cuda_kernelERKNSE_10TensorBaseESI_lENKUlvE_clEvENKUlvE1_clEvEUlS7_S7_E_S7_EEDaPvRmT3_T4_T5_mT6_P12ihipStream_tbENKUlT_T0_E_clISt17integral_constantIbLb0EESZ_EEDaSU_SV_EUlSU_E_NS1_11comp_targetILNS1_3genE2ELNS1_11target_archE906ELNS1_3gpuE6ELNS1_3repE0EEENS1_30default_config_static_selectorELNS0_4arch9wavefront6targetE0EEEvT1_ ; -- Begin function _ZN7rocprim17ROCPRIM_400000_NS6detail17trampoline_kernelINS0_14default_configENS1_20scan_config_selectorIN3c107complexIdEEEEZZNS1_9scan_implILNS1_25lookback_scan_determinismE0ELb0ELb0ES3_PKS7_PS7_S7_ZZZN2at6native31launch_logcumsumexp_cuda_kernelERKNSE_10TensorBaseESI_lENKUlvE_clEvENKUlvE1_clEvEUlS7_S7_E_S7_EEDaPvRmT3_T4_T5_mT6_P12ihipStream_tbENKUlT_T0_E_clISt17integral_constantIbLb0EESZ_EEDaSU_SV_EUlSU_E_NS1_11comp_targetILNS1_3genE2ELNS1_11target_archE906ELNS1_3gpuE6ELNS1_3repE0EEENS1_30default_config_static_selectorELNS0_4arch9wavefront6targetE0EEEvT1_
	.p2align	8
	.type	_ZN7rocprim17ROCPRIM_400000_NS6detail17trampoline_kernelINS0_14default_configENS1_20scan_config_selectorIN3c107complexIdEEEEZZNS1_9scan_implILNS1_25lookback_scan_determinismE0ELb0ELb0ES3_PKS7_PS7_S7_ZZZN2at6native31launch_logcumsumexp_cuda_kernelERKNSE_10TensorBaseESI_lENKUlvE_clEvENKUlvE1_clEvEUlS7_S7_E_S7_EEDaPvRmT3_T4_T5_mT6_P12ihipStream_tbENKUlT_T0_E_clISt17integral_constantIbLb0EESZ_EEDaSU_SV_EUlSU_E_NS1_11comp_targetILNS1_3genE2ELNS1_11target_archE906ELNS1_3gpuE6ELNS1_3repE0EEENS1_30default_config_static_selectorELNS0_4arch9wavefront6targetE0EEEvT1_,@function
_ZN7rocprim17ROCPRIM_400000_NS6detail17trampoline_kernelINS0_14default_configENS1_20scan_config_selectorIN3c107complexIdEEEEZZNS1_9scan_implILNS1_25lookback_scan_determinismE0ELb0ELb0ES3_PKS7_PS7_S7_ZZZN2at6native31launch_logcumsumexp_cuda_kernelERKNSE_10TensorBaseESI_lENKUlvE_clEvENKUlvE1_clEvEUlS7_S7_E_S7_EEDaPvRmT3_T4_T5_mT6_P12ihipStream_tbENKUlT_T0_E_clISt17integral_constantIbLb0EESZ_EEDaSU_SV_EUlSU_E_NS1_11comp_targetILNS1_3genE2ELNS1_11target_archE906ELNS1_3gpuE6ELNS1_3repE0EEENS1_30default_config_static_selectorELNS0_4arch9wavefront6targetE0EEEvT1_: ; @_ZN7rocprim17ROCPRIM_400000_NS6detail17trampoline_kernelINS0_14default_configENS1_20scan_config_selectorIN3c107complexIdEEEEZZNS1_9scan_implILNS1_25lookback_scan_determinismE0ELb0ELb0ES3_PKS7_PS7_S7_ZZZN2at6native31launch_logcumsumexp_cuda_kernelERKNSE_10TensorBaseESI_lENKUlvE_clEvENKUlvE1_clEvEUlS7_S7_E_S7_EEDaPvRmT3_T4_T5_mT6_P12ihipStream_tbENKUlT_T0_E_clISt17integral_constantIbLb0EESZ_EEDaSU_SV_EUlSU_E_NS1_11comp_targetILNS1_3genE2ELNS1_11target_archE906ELNS1_3gpuE6ELNS1_3repE0EEENS1_30default_config_static_selectorELNS0_4arch9wavefront6targetE0EEEvT1_
; %bb.0:
	.section	.rodata,"a",@progbits
	.p2align	6, 0x0
	.amdhsa_kernel _ZN7rocprim17ROCPRIM_400000_NS6detail17trampoline_kernelINS0_14default_configENS1_20scan_config_selectorIN3c107complexIdEEEEZZNS1_9scan_implILNS1_25lookback_scan_determinismE0ELb0ELb0ES3_PKS7_PS7_S7_ZZZN2at6native31launch_logcumsumexp_cuda_kernelERKNSE_10TensorBaseESI_lENKUlvE_clEvENKUlvE1_clEvEUlS7_S7_E_S7_EEDaPvRmT3_T4_T5_mT6_P12ihipStream_tbENKUlT_T0_E_clISt17integral_constantIbLb0EESZ_EEDaSU_SV_EUlSU_E_NS1_11comp_targetILNS1_3genE2ELNS1_11target_archE906ELNS1_3gpuE6ELNS1_3repE0EEENS1_30default_config_static_selectorELNS0_4arch9wavefront6targetE0EEEvT1_
		.amdhsa_group_segment_fixed_size 0
		.amdhsa_private_segment_fixed_size 0
		.amdhsa_kernarg_size 128
		.amdhsa_user_sgpr_count 2
		.amdhsa_user_sgpr_dispatch_ptr 0
		.amdhsa_user_sgpr_queue_ptr 0
		.amdhsa_user_sgpr_kernarg_segment_ptr 1
		.amdhsa_user_sgpr_dispatch_id 0
		.amdhsa_user_sgpr_private_segment_size 0
		.amdhsa_wavefront_size32 1
		.amdhsa_uses_dynamic_stack 0
		.amdhsa_enable_private_segment 0
		.amdhsa_system_sgpr_workgroup_id_x 1
		.amdhsa_system_sgpr_workgroup_id_y 0
		.amdhsa_system_sgpr_workgroup_id_z 0
		.amdhsa_system_sgpr_workgroup_info 0
		.amdhsa_system_vgpr_workitem_id 0
		.amdhsa_next_free_vgpr 1
		.amdhsa_next_free_sgpr 1
		.amdhsa_reserve_vcc 0
		.amdhsa_float_round_mode_32 0
		.amdhsa_float_round_mode_16_64 0
		.amdhsa_float_denorm_mode_32 3
		.amdhsa_float_denorm_mode_16_64 3
		.amdhsa_fp16_overflow 0
		.amdhsa_workgroup_processor_mode 1
		.amdhsa_memory_ordered 1
		.amdhsa_forward_progress 1
		.amdhsa_inst_pref_size 0
		.amdhsa_round_robin_scheduling 0
		.amdhsa_exception_fp_ieee_invalid_op 0
		.amdhsa_exception_fp_denorm_src 0
		.amdhsa_exception_fp_ieee_div_zero 0
		.amdhsa_exception_fp_ieee_overflow 0
		.amdhsa_exception_fp_ieee_underflow 0
		.amdhsa_exception_fp_ieee_inexact 0
		.amdhsa_exception_int_div_zero 0
	.end_amdhsa_kernel
	.section	.text._ZN7rocprim17ROCPRIM_400000_NS6detail17trampoline_kernelINS0_14default_configENS1_20scan_config_selectorIN3c107complexIdEEEEZZNS1_9scan_implILNS1_25lookback_scan_determinismE0ELb0ELb0ES3_PKS7_PS7_S7_ZZZN2at6native31launch_logcumsumexp_cuda_kernelERKNSE_10TensorBaseESI_lENKUlvE_clEvENKUlvE1_clEvEUlS7_S7_E_S7_EEDaPvRmT3_T4_T5_mT6_P12ihipStream_tbENKUlT_T0_E_clISt17integral_constantIbLb0EESZ_EEDaSU_SV_EUlSU_E_NS1_11comp_targetILNS1_3genE2ELNS1_11target_archE906ELNS1_3gpuE6ELNS1_3repE0EEENS1_30default_config_static_selectorELNS0_4arch9wavefront6targetE0EEEvT1_,"axG",@progbits,_ZN7rocprim17ROCPRIM_400000_NS6detail17trampoline_kernelINS0_14default_configENS1_20scan_config_selectorIN3c107complexIdEEEEZZNS1_9scan_implILNS1_25lookback_scan_determinismE0ELb0ELb0ES3_PKS7_PS7_S7_ZZZN2at6native31launch_logcumsumexp_cuda_kernelERKNSE_10TensorBaseESI_lENKUlvE_clEvENKUlvE1_clEvEUlS7_S7_E_S7_EEDaPvRmT3_T4_T5_mT6_P12ihipStream_tbENKUlT_T0_E_clISt17integral_constantIbLb0EESZ_EEDaSU_SV_EUlSU_E_NS1_11comp_targetILNS1_3genE2ELNS1_11target_archE906ELNS1_3gpuE6ELNS1_3repE0EEENS1_30default_config_static_selectorELNS0_4arch9wavefront6targetE0EEEvT1_,comdat
.Lfunc_end179:
	.size	_ZN7rocprim17ROCPRIM_400000_NS6detail17trampoline_kernelINS0_14default_configENS1_20scan_config_selectorIN3c107complexIdEEEEZZNS1_9scan_implILNS1_25lookback_scan_determinismE0ELb0ELb0ES3_PKS7_PS7_S7_ZZZN2at6native31launch_logcumsumexp_cuda_kernelERKNSE_10TensorBaseESI_lENKUlvE_clEvENKUlvE1_clEvEUlS7_S7_E_S7_EEDaPvRmT3_T4_T5_mT6_P12ihipStream_tbENKUlT_T0_E_clISt17integral_constantIbLb0EESZ_EEDaSU_SV_EUlSU_E_NS1_11comp_targetILNS1_3genE2ELNS1_11target_archE906ELNS1_3gpuE6ELNS1_3repE0EEENS1_30default_config_static_selectorELNS0_4arch9wavefront6targetE0EEEvT1_, .Lfunc_end179-_ZN7rocprim17ROCPRIM_400000_NS6detail17trampoline_kernelINS0_14default_configENS1_20scan_config_selectorIN3c107complexIdEEEEZZNS1_9scan_implILNS1_25lookback_scan_determinismE0ELb0ELb0ES3_PKS7_PS7_S7_ZZZN2at6native31launch_logcumsumexp_cuda_kernelERKNSE_10TensorBaseESI_lENKUlvE_clEvENKUlvE1_clEvEUlS7_S7_E_S7_EEDaPvRmT3_T4_T5_mT6_P12ihipStream_tbENKUlT_T0_E_clISt17integral_constantIbLb0EESZ_EEDaSU_SV_EUlSU_E_NS1_11comp_targetILNS1_3genE2ELNS1_11target_archE906ELNS1_3gpuE6ELNS1_3repE0EEENS1_30default_config_static_selectorELNS0_4arch9wavefront6targetE0EEEvT1_
                                        ; -- End function
	.set _ZN7rocprim17ROCPRIM_400000_NS6detail17trampoline_kernelINS0_14default_configENS1_20scan_config_selectorIN3c107complexIdEEEEZZNS1_9scan_implILNS1_25lookback_scan_determinismE0ELb0ELb0ES3_PKS7_PS7_S7_ZZZN2at6native31launch_logcumsumexp_cuda_kernelERKNSE_10TensorBaseESI_lENKUlvE_clEvENKUlvE1_clEvEUlS7_S7_E_S7_EEDaPvRmT3_T4_T5_mT6_P12ihipStream_tbENKUlT_T0_E_clISt17integral_constantIbLb0EESZ_EEDaSU_SV_EUlSU_E_NS1_11comp_targetILNS1_3genE2ELNS1_11target_archE906ELNS1_3gpuE6ELNS1_3repE0EEENS1_30default_config_static_selectorELNS0_4arch9wavefront6targetE0EEEvT1_.num_vgpr, 0
	.set _ZN7rocprim17ROCPRIM_400000_NS6detail17trampoline_kernelINS0_14default_configENS1_20scan_config_selectorIN3c107complexIdEEEEZZNS1_9scan_implILNS1_25lookback_scan_determinismE0ELb0ELb0ES3_PKS7_PS7_S7_ZZZN2at6native31launch_logcumsumexp_cuda_kernelERKNSE_10TensorBaseESI_lENKUlvE_clEvENKUlvE1_clEvEUlS7_S7_E_S7_EEDaPvRmT3_T4_T5_mT6_P12ihipStream_tbENKUlT_T0_E_clISt17integral_constantIbLb0EESZ_EEDaSU_SV_EUlSU_E_NS1_11comp_targetILNS1_3genE2ELNS1_11target_archE906ELNS1_3gpuE6ELNS1_3repE0EEENS1_30default_config_static_selectorELNS0_4arch9wavefront6targetE0EEEvT1_.num_agpr, 0
	.set _ZN7rocprim17ROCPRIM_400000_NS6detail17trampoline_kernelINS0_14default_configENS1_20scan_config_selectorIN3c107complexIdEEEEZZNS1_9scan_implILNS1_25lookback_scan_determinismE0ELb0ELb0ES3_PKS7_PS7_S7_ZZZN2at6native31launch_logcumsumexp_cuda_kernelERKNSE_10TensorBaseESI_lENKUlvE_clEvENKUlvE1_clEvEUlS7_S7_E_S7_EEDaPvRmT3_T4_T5_mT6_P12ihipStream_tbENKUlT_T0_E_clISt17integral_constantIbLb0EESZ_EEDaSU_SV_EUlSU_E_NS1_11comp_targetILNS1_3genE2ELNS1_11target_archE906ELNS1_3gpuE6ELNS1_3repE0EEENS1_30default_config_static_selectorELNS0_4arch9wavefront6targetE0EEEvT1_.numbered_sgpr, 0
	.set _ZN7rocprim17ROCPRIM_400000_NS6detail17trampoline_kernelINS0_14default_configENS1_20scan_config_selectorIN3c107complexIdEEEEZZNS1_9scan_implILNS1_25lookback_scan_determinismE0ELb0ELb0ES3_PKS7_PS7_S7_ZZZN2at6native31launch_logcumsumexp_cuda_kernelERKNSE_10TensorBaseESI_lENKUlvE_clEvENKUlvE1_clEvEUlS7_S7_E_S7_EEDaPvRmT3_T4_T5_mT6_P12ihipStream_tbENKUlT_T0_E_clISt17integral_constantIbLb0EESZ_EEDaSU_SV_EUlSU_E_NS1_11comp_targetILNS1_3genE2ELNS1_11target_archE906ELNS1_3gpuE6ELNS1_3repE0EEENS1_30default_config_static_selectorELNS0_4arch9wavefront6targetE0EEEvT1_.num_named_barrier, 0
	.set _ZN7rocprim17ROCPRIM_400000_NS6detail17trampoline_kernelINS0_14default_configENS1_20scan_config_selectorIN3c107complexIdEEEEZZNS1_9scan_implILNS1_25lookback_scan_determinismE0ELb0ELb0ES3_PKS7_PS7_S7_ZZZN2at6native31launch_logcumsumexp_cuda_kernelERKNSE_10TensorBaseESI_lENKUlvE_clEvENKUlvE1_clEvEUlS7_S7_E_S7_EEDaPvRmT3_T4_T5_mT6_P12ihipStream_tbENKUlT_T0_E_clISt17integral_constantIbLb0EESZ_EEDaSU_SV_EUlSU_E_NS1_11comp_targetILNS1_3genE2ELNS1_11target_archE906ELNS1_3gpuE6ELNS1_3repE0EEENS1_30default_config_static_selectorELNS0_4arch9wavefront6targetE0EEEvT1_.private_seg_size, 0
	.set _ZN7rocprim17ROCPRIM_400000_NS6detail17trampoline_kernelINS0_14default_configENS1_20scan_config_selectorIN3c107complexIdEEEEZZNS1_9scan_implILNS1_25lookback_scan_determinismE0ELb0ELb0ES3_PKS7_PS7_S7_ZZZN2at6native31launch_logcumsumexp_cuda_kernelERKNSE_10TensorBaseESI_lENKUlvE_clEvENKUlvE1_clEvEUlS7_S7_E_S7_EEDaPvRmT3_T4_T5_mT6_P12ihipStream_tbENKUlT_T0_E_clISt17integral_constantIbLb0EESZ_EEDaSU_SV_EUlSU_E_NS1_11comp_targetILNS1_3genE2ELNS1_11target_archE906ELNS1_3gpuE6ELNS1_3repE0EEENS1_30default_config_static_selectorELNS0_4arch9wavefront6targetE0EEEvT1_.uses_vcc, 0
	.set _ZN7rocprim17ROCPRIM_400000_NS6detail17trampoline_kernelINS0_14default_configENS1_20scan_config_selectorIN3c107complexIdEEEEZZNS1_9scan_implILNS1_25lookback_scan_determinismE0ELb0ELb0ES3_PKS7_PS7_S7_ZZZN2at6native31launch_logcumsumexp_cuda_kernelERKNSE_10TensorBaseESI_lENKUlvE_clEvENKUlvE1_clEvEUlS7_S7_E_S7_EEDaPvRmT3_T4_T5_mT6_P12ihipStream_tbENKUlT_T0_E_clISt17integral_constantIbLb0EESZ_EEDaSU_SV_EUlSU_E_NS1_11comp_targetILNS1_3genE2ELNS1_11target_archE906ELNS1_3gpuE6ELNS1_3repE0EEENS1_30default_config_static_selectorELNS0_4arch9wavefront6targetE0EEEvT1_.uses_flat_scratch, 0
	.set _ZN7rocprim17ROCPRIM_400000_NS6detail17trampoline_kernelINS0_14default_configENS1_20scan_config_selectorIN3c107complexIdEEEEZZNS1_9scan_implILNS1_25lookback_scan_determinismE0ELb0ELb0ES3_PKS7_PS7_S7_ZZZN2at6native31launch_logcumsumexp_cuda_kernelERKNSE_10TensorBaseESI_lENKUlvE_clEvENKUlvE1_clEvEUlS7_S7_E_S7_EEDaPvRmT3_T4_T5_mT6_P12ihipStream_tbENKUlT_T0_E_clISt17integral_constantIbLb0EESZ_EEDaSU_SV_EUlSU_E_NS1_11comp_targetILNS1_3genE2ELNS1_11target_archE906ELNS1_3gpuE6ELNS1_3repE0EEENS1_30default_config_static_selectorELNS0_4arch9wavefront6targetE0EEEvT1_.has_dyn_sized_stack, 0
	.set _ZN7rocprim17ROCPRIM_400000_NS6detail17trampoline_kernelINS0_14default_configENS1_20scan_config_selectorIN3c107complexIdEEEEZZNS1_9scan_implILNS1_25lookback_scan_determinismE0ELb0ELb0ES3_PKS7_PS7_S7_ZZZN2at6native31launch_logcumsumexp_cuda_kernelERKNSE_10TensorBaseESI_lENKUlvE_clEvENKUlvE1_clEvEUlS7_S7_E_S7_EEDaPvRmT3_T4_T5_mT6_P12ihipStream_tbENKUlT_T0_E_clISt17integral_constantIbLb0EESZ_EEDaSU_SV_EUlSU_E_NS1_11comp_targetILNS1_3genE2ELNS1_11target_archE906ELNS1_3gpuE6ELNS1_3repE0EEENS1_30default_config_static_selectorELNS0_4arch9wavefront6targetE0EEEvT1_.has_recursion, 0
	.set _ZN7rocprim17ROCPRIM_400000_NS6detail17trampoline_kernelINS0_14default_configENS1_20scan_config_selectorIN3c107complexIdEEEEZZNS1_9scan_implILNS1_25lookback_scan_determinismE0ELb0ELb0ES3_PKS7_PS7_S7_ZZZN2at6native31launch_logcumsumexp_cuda_kernelERKNSE_10TensorBaseESI_lENKUlvE_clEvENKUlvE1_clEvEUlS7_S7_E_S7_EEDaPvRmT3_T4_T5_mT6_P12ihipStream_tbENKUlT_T0_E_clISt17integral_constantIbLb0EESZ_EEDaSU_SV_EUlSU_E_NS1_11comp_targetILNS1_3genE2ELNS1_11target_archE906ELNS1_3gpuE6ELNS1_3repE0EEENS1_30default_config_static_selectorELNS0_4arch9wavefront6targetE0EEEvT1_.has_indirect_call, 0
	.section	.AMDGPU.csdata,"",@progbits
; Kernel info:
; codeLenInByte = 0
; TotalNumSgprs: 0
; NumVgprs: 0
; ScratchSize: 0
; MemoryBound: 0
; FloatMode: 240
; IeeeMode: 1
; LDSByteSize: 0 bytes/workgroup (compile time only)
; SGPRBlocks: 0
; VGPRBlocks: 0
; NumSGPRsForWavesPerEU: 1
; NumVGPRsForWavesPerEU: 1
; Occupancy: 16
; WaveLimiterHint : 0
; COMPUTE_PGM_RSRC2:SCRATCH_EN: 0
; COMPUTE_PGM_RSRC2:USER_SGPR: 2
; COMPUTE_PGM_RSRC2:TRAP_HANDLER: 0
; COMPUTE_PGM_RSRC2:TGID_X_EN: 1
; COMPUTE_PGM_RSRC2:TGID_Y_EN: 0
; COMPUTE_PGM_RSRC2:TGID_Z_EN: 0
; COMPUTE_PGM_RSRC2:TIDIG_COMP_CNT: 0
	.text
	.p2align	2                               ; -- Begin function _ZZZZN2at6native31launch_logcumsumexp_cuda_kernelERKNS_10TensorBaseES3_lENKUlvE_clEvENKUlvE1_clEvENKUlN3c107complexIdEES8_E_clES8_S8_
	.type	_ZZZZN2at6native31launch_logcumsumexp_cuda_kernelERKNS_10TensorBaseES3_lENKUlvE_clEvENKUlvE1_clEvENKUlN3c107complexIdEES8_E_clES8_S8_,@function
_ZZZZN2at6native31launch_logcumsumexp_cuda_kernelERKNS_10TensorBaseES3_lENKUlvE_clEvENKUlvE1_clEvENKUlN3c107complexIdEES8_E_clES8_S8_: ; @_ZZZZN2at6native31launch_logcumsumexp_cuda_kernelERKNS_10TensorBaseES3_lENKUlvE_clEvENKUlvE1_clEvENKUlN3c107complexIdEES8_E_clES8_S8_
; %bb.0:
	s_wait_loadcnt_dscnt 0x0
	s_wait_expcnt 0x0
	s_wait_samplecnt 0x0
	s_wait_bvhcnt 0x0
	s_wait_kmcnt 0x0
	v_cmp_o_f64_e32 vcc_lo, v[4:5], v[6:7]
	v_dual_mov_b32 v9, v7 :: v_dual_mov_b32 v8, v6
	v_dual_mov_b32 v11, v5 :: v_dual_mov_b32 v10, v4
	s_and_saveexec_b32 s2, vcc_lo
	s_cbranch_execz .LBB180_2
; %bb.1:
	v_cmp_u_f64_e64 s0, v[0:1], v[2:3]
	v_cmp_lt_f64_e64 s1, v[0:1], v[4:5]
	s_or_b32 s0, s1, s0
	s_wait_alu 0xfffe
	v_cndmask_b32_e64 v11, v5, v1, s0
	v_cndmask_b32_e64 v10, v4, v0, s0
	;; [unrolled: 1-line block ×4, first 2 shown]
.LBB180_2:
	s_wait_alu 0xfffe
	s_or_b32 exec_lo, exec_lo, s2
	s_and_saveexec_b32 s1, vcc_lo
	s_cbranch_execz .LBB180_4
; %bb.3:
	v_cmp_u_f64_e32 vcc_lo, v[0:1], v[2:3]
	v_cmp_ge_f64_e64 s0, v[0:1], v[4:5]
	s_or_b32 vcc_lo, s0, vcc_lo
	s_wait_alu 0xfffe
	v_dual_cndmask_b32 v5, v5, v1 :: v_dual_cndmask_b32 v4, v4, v0
	v_dual_cndmask_b32 v7, v7, v3 :: v_dual_cndmask_b32 v6, v6, v2
.LBB180_4:
	s_wait_alu 0xfffe
	s_or_b32 exec_lo, exec_lo, s1
	v_mov_b32_e32 v0, 0
	v_dual_mov_b32 v1, 0x7ff80000 :: v_dual_mov_b32 v2, 0
	v_mov_b32_e32 v3, 0x7ff80000
	s_mov_b32 s10, exec_lo
	v_cmpx_o_f64_e32 v[10:11], v[8:9]
	s_cbranch_execz .LBB180_48
; %bb.5:
	v_cmp_class_f64_e64 s0, v[10:11], 0x1f8
	v_cmp_neq_f64_e32 vcc_lo, v[10:11], v[4:5]
	s_or_b32 s0, s0, vcc_lo
	s_wait_alu 0xfffe
	s_and_saveexec_b32 s1, s0
	s_wait_alu 0xfffe
	s_xor_b32 s11, exec_lo, s1
	s_cbranch_execz .LBB180_21
; %bb.6:
	v_add_f64_e64 v[0:1], v[8:9], -v[6:7]
                                        ; implicit-def: $vgpr24
                                        ; implicit-def: $vgpr2_vgpr3
                                        ; implicit-def: $vgpr8_vgpr9
	s_delay_alu instid0(VALU_DEP_1)
	v_cmp_ngt_f64_e64 s0, 0x41d00000, |v[0:1]|
	v_trig_preop_f64 v[20:21], |v[0:1]|, 0
	v_trig_preop_f64 v[18:19], |v[0:1]|, 1
	v_ldexp_f64 v[22:23], |v[0:1]|, 0xffffff80
	v_trig_preop_f64 v[16:17], |v[0:1]|, 2
	v_and_b32_e32 v26, 0x7fffffff, v1
	s_and_saveexec_b32 s1, s0
	s_wait_alu 0xfffe
	s_xor_b32 s1, exec_lo, s1
	s_cbranch_execz .LBB180_8
; %bb.7:
	v_cmp_le_f64_e64 vcc_lo, 0x7b000000, |v[0:1]|
	v_mov_b32_e32 v37, 0
	s_mov_b32 s2, 0x54442d18
	s_mov_b32 s3, 0x3ff921fb
	;; [unrolled: 1-line block ×4, first 2 shown]
	s_wait_alu 0xfffd
	v_dual_cndmask_b32 v3, v26, v23 :: v_dual_cndmask_b32 v2, v0, v22
	s_delay_alu instid0(VALU_DEP_1) | instskip(SKIP_2) | instid1(VALU_DEP_3)
	v_mul_f64_e32 v[8:9], v[20:21], v[2:3]
	v_mul_f64_e32 v[12:13], v[18:19], v[2:3]
	;; [unrolled: 1-line block ×3, first 2 shown]
	v_fma_f64 v[14:15], v[20:21], v[2:3], -v[8:9]
	s_delay_alu instid0(VALU_DEP_3) | instskip(NEXT) | instid1(VALU_DEP_3)
	v_fma_f64 v[35:36], v[18:19], v[2:3], -v[12:13]
	v_fma_f64 v[2:3], v[16:17], v[2:3], -v[33:34]
	s_delay_alu instid0(VALU_DEP_3) | instskip(NEXT) | instid1(VALU_DEP_1)
	v_add_f64_e32 v[24:25], v[12:13], v[14:15]
	v_add_f64_e64 v[27:28], v[24:25], -v[12:13]
	v_add_f64_e32 v[31:32], v[8:9], v[24:25]
	s_delay_alu instid0(VALU_DEP_2) | instskip(SKIP_1) | instid1(VALU_DEP_3)
	v_add_f64_e64 v[29:30], v[24:25], -v[27:28]
	v_add_f64_e64 v[14:15], v[14:15], -v[27:28]
	v_ldexp_f64 v[27:28], v[31:32], -2
	v_add_f64_e64 v[8:9], v[31:32], -v[8:9]
	s_delay_alu instid0(VALU_DEP_4) | instskip(SKIP_1) | instid1(VALU_DEP_4)
	v_add_f64_e64 v[12:13], v[12:13], -v[29:30]
	v_add_f64_e32 v[29:30], v[33:34], v[35:36]
	v_cmp_neq_f64_e64 vcc_lo, 0x7ff00000, |v[27:28]|
	s_delay_alu instid0(VALU_DEP_4) | instskip(NEXT) | instid1(VALU_DEP_4)
	v_add_f64_e64 v[8:9], v[24:25], -v[8:9]
	v_add_f64_e32 v[12:13], v[14:15], v[12:13]
	v_fract_f64_e32 v[14:15], v[27:28]
	s_delay_alu instid0(VALU_DEP_2) | instskip(NEXT) | instid1(VALU_DEP_2)
	v_add_f64_e32 v[24:25], v[29:30], v[12:13]
	v_ldexp_f64 v[14:15], v[14:15], 2
	s_delay_alu instid0(VALU_DEP_2) | instskip(SKIP_1) | instid1(VALU_DEP_2)
	v_add_f64_e32 v[27:28], v[8:9], v[24:25]
	s_wait_alu 0xfffd
	v_dual_cndmask_b32 v15, 0, v15 :: v_dual_cndmask_b32 v14, 0, v14
	s_delay_alu instid0(VALU_DEP_1) | instskip(SKIP_1) | instid1(VALU_DEP_2)
	v_add_f64_e32 v[31:32], v[27:28], v[14:15]
	v_add_f64_e64 v[8:9], v[27:28], -v[8:9]
	v_cmp_gt_f64_e32 vcc_lo, 0, v[31:32]
	v_add_f64_e64 v[31:32], v[29:30], -v[33:34]
	s_delay_alu instid0(VALU_DEP_3) | instskip(SKIP_2) | instid1(VALU_DEP_3)
	v_add_f64_e64 v[8:9], v[24:25], -v[8:9]
	s_wait_alu 0xfffd
	v_cndmask_b32_e64 v38, 0, 0x40100000, vcc_lo
	v_add_f64_e64 v[50:51], v[29:30], -v[31:32]
	v_add_f64_e64 v[31:32], v[35:36], -v[31:32]
	s_delay_alu instid0(VALU_DEP_3) | instskip(SKIP_1) | instid1(VALU_DEP_4)
	v_add_f64_e32 v[14:15], v[14:15], v[37:38]
	v_add_f64_e64 v[38:39], v[24:25], -v[29:30]
	v_add_f64_e64 v[35:36], v[33:34], -v[50:51]
	s_delay_alu instid0(VALU_DEP_3) | instskip(NEXT) | instid1(VALU_DEP_3)
	v_add_f64_e32 v[48:49], v[27:28], v[14:15]
	v_add_f64_e64 v[52:53], v[24:25], -v[38:39]
	v_add_f64_e64 v[12:13], v[12:13], -v[38:39]
	s_delay_alu instid0(VALU_DEP_4) | instskip(NEXT) | instid1(VALU_DEP_4)
	v_add_f64_e32 v[31:32], v[31:32], v[35:36]
	v_cvt_i32_f64_e32 v48, v[48:49]
	s_delay_alu instid0(VALU_DEP_4) | instskip(NEXT) | instid1(VALU_DEP_2)
	v_add_f64_e64 v[29:30], v[29:30], -v[52:53]
	v_cvt_f64_i32_e32 v[38:39], v48
	s_delay_alu instid0(VALU_DEP_2) | instskip(NEXT) | instid1(VALU_DEP_2)
	v_add_f64_e32 v[12:13], v[12:13], v[29:30]
	v_add_f64_e64 v[14:15], v[14:15], -v[38:39]
	s_delay_alu instid0(VALU_DEP_2) | instskip(NEXT) | instid1(VALU_DEP_2)
	v_add_f64_e32 v[12:13], v[31:32], v[12:13]
	v_add_f64_e32 v[29:30], v[27:28], v[14:15]
	s_delay_alu instid0(VALU_DEP_2) | instskip(NEXT) | instid1(VALU_DEP_2)
	v_add_f64_e32 v[2:3], v[2:3], v[12:13]
	v_add_f64_e64 v[12:13], v[29:30], -v[14:15]
	v_cmp_le_f64_e32 vcc_lo, 0.5, v[29:30]
	s_delay_alu instid0(VALU_DEP_3) | instskip(NEXT) | instid1(VALU_DEP_3)
	v_add_f64_e32 v[2:3], v[8:9], v[2:3]
	v_add_f64_e64 v[8:9], v[27:28], -v[12:13]
	s_wait_alu 0xfffd
	v_cndmask_b32_e64 v38, 0, 0x3ff00000, vcc_lo
	v_add_co_ci_u32_e64 v24, null, 0, v48, vcc_lo
	s_delay_alu instid0(VALU_DEP_3) | instskip(NEXT) | instid1(VALU_DEP_3)
	v_add_f64_e32 v[2:3], v[2:3], v[8:9]
	v_add_f64_e64 v[8:9], v[29:30], -v[37:38]
	s_delay_alu instid0(VALU_DEP_1) | instskip(SKIP_1) | instid1(VALU_DEP_1)
	v_add_f64_e32 v[12:13], v[8:9], v[2:3]
	s_wait_alu 0xfffe
	v_mul_f64_e32 v[14:15], s[2:3], v[12:13]
	v_add_f64_e64 v[8:9], v[12:13], -v[8:9]
	s_delay_alu instid0(VALU_DEP_2) | instskip(NEXT) | instid1(VALU_DEP_2)
	v_fma_f64 v[27:28], v[12:13], s[2:3], -v[14:15]
	v_add_f64_e64 v[2:3], v[2:3], -v[8:9]
	s_delay_alu instid0(VALU_DEP_2) | instskip(NEXT) | instid1(VALU_DEP_1)
	v_fma_f64 v[8:9], v[12:13], s[4:5], v[27:28]
	v_fma_f64 v[8:9], v[2:3], s[2:3], v[8:9]
	s_delay_alu instid0(VALU_DEP_1) | instskip(NEXT) | instid1(VALU_DEP_1)
	v_add_f64_e32 v[2:3], v[14:15], v[8:9]
	v_add_f64_e64 v[12:13], v[2:3], -v[14:15]
	s_delay_alu instid0(VALU_DEP_1)
	v_add_f64_e64 v[8:9], v[8:9], -v[12:13]
	s_and_not1_saveexec_b32 s1, s1
	s_cbranch_execz .LBB180_10
	s_branch .LBB180_9
.LBB180_8:
	s_wait_alu 0xfffe
	s_and_not1_saveexec_b32 s1, s1
	s_cbranch_execz .LBB180_10
.LBB180_9:
	s_mov_b32 s2, 0x6dc9c883
	s_mov_b32 s3, 0x3fe45f30
	;; [unrolled: 1-line block ×3, first 2 shown]
	s_wait_alu 0xfffe
	v_mul_f64_e64 v[2:3], |v[0:1]|, s[2:3]
	s_mov_b32 s2, 0x54442d18
	s_mov_b32 s3, 0xbff921fb
	;; [unrolled: 1-line block ×3, first 2 shown]
	s_delay_alu instid0(VALU_DEP_1) | instskip(SKIP_1) | instid1(VALU_DEP_1)
	v_rndne_f64_e32 v[12:13], v[2:3]
	s_wait_alu 0xfffe
	v_fma_f64 v[2:3], v[12:13], s[2:3], |v[0:1]|
	v_mul_f64_e32 v[8:9], s[4:5], v[12:13]
	s_mov_b32 s2, 0x252049c0
	s_mov_b32 s3, 0xb97b839a
	s_delay_alu instid0(VALU_DEP_2) | instskip(NEXT) | instid1(VALU_DEP_2)
	v_fma_f64 v[24:25], v[12:13], s[4:5], v[2:3]
	v_add_f64_e32 v[14:15], v[2:3], v[8:9]
	s_mov_b32 s5, 0x3c91a626
	s_delay_alu instid0(VALU_DEP_1) | instskip(NEXT) | instid1(VALU_DEP_3)
	v_add_f64_e64 v[2:3], v[2:3], -v[14:15]
	v_add_f64_e64 v[14:15], v[14:15], -v[24:25]
	s_delay_alu instid0(VALU_DEP_2) | instskip(SKIP_2) | instid1(VALU_DEP_2)
	v_add_f64_e32 v[2:3], v[2:3], v[8:9]
	s_wait_alu 0xfffe
	v_fma_f64 v[8:9], v[12:13], s[4:5], v[8:9]
	v_add_f64_e32 v[2:3], v[14:15], v[2:3]
	s_delay_alu instid0(VALU_DEP_1) | instskip(NEXT) | instid1(VALU_DEP_1)
	v_add_f64_e64 v[2:3], v[2:3], -v[8:9]
	v_fma_f64 v[8:9], v[12:13], s[2:3], v[2:3]
	s_delay_alu instid0(VALU_DEP_1) | instskip(NEXT) | instid1(VALU_DEP_1)
	v_add_f64_e32 v[2:3], v[24:25], v[8:9]
	v_add_f64_e64 v[14:15], v[2:3], -v[24:25]
	v_cvt_i32_f64_e32 v24, v[12:13]
	s_delay_alu instid0(VALU_DEP_2)
	v_add_f64_e64 v[8:9], v[8:9], -v[14:15]
.LBB180_10:
	s_wait_alu 0xfffe
	s_or_b32 exec_lo, exec_lo, s1
                                        ; implicit-def: $vgpr25
                                        ; implicit-def: $vgpr12_vgpr13
                                        ; implicit-def: $vgpr14_vgpr15
	s_and_saveexec_b32 s1, s0
	s_wait_alu 0xfffe
	s_xor_b32 s0, exec_lo, s1
	s_cbranch_execz .LBB180_12
; %bb.11:
	v_cmp_le_f64_e64 vcc_lo, 0x7b000000, |v[0:1]|
	v_mov_b32_e32 v35, 0
	s_mov_b32 s2, 0x54442d18
	s_mov_b32 s3, 0x3ff921fb
	;; [unrolled: 1-line block ×4, first 2 shown]
	s_wait_alu 0xfffd
	v_dual_cndmask_b32 v13, v26, v23 :: v_dual_cndmask_b32 v12, v0, v22
	s_delay_alu instid0(VALU_DEP_1) | instskip(SKIP_2) | instid1(VALU_DEP_3)
	v_mul_f64_e32 v[14:15], v[20:21], v[12:13]
	v_mul_f64_e32 v[22:23], v[18:19], v[12:13]
	;; [unrolled: 1-line block ×3, first 2 shown]
	v_fma_f64 v[20:21], v[20:21], v[12:13], -v[14:15]
	s_delay_alu instid0(VALU_DEP_3) | instskip(NEXT) | instid1(VALU_DEP_3)
	v_fma_f64 v[18:19], v[18:19], v[12:13], -v[22:23]
	v_fma_f64 v[12:13], v[16:17], v[12:13], -v[33:34]
	s_delay_alu instid0(VALU_DEP_3) | instskip(NEXT) | instid1(VALU_DEP_1)
	v_add_f64_e32 v[25:26], v[22:23], v[20:21]
	v_add_f64_e64 v[27:28], v[25:26], -v[22:23]
	v_add_f64_e32 v[31:32], v[14:15], v[25:26]
	s_delay_alu instid0(VALU_DEP_2) | instskip(SKIP_1) | instid1(VALU_DEP_3)
	v_add_f64_e64 v[29:30], v[25:26], -v[27:28]
	v_add_f64_e64 v[20:21], v[20:21], -v[27:28]
	v_ldexp_f64 v[27:28], v[31:32], -2
	v_add_f64_e64 v[14:15], v[31:32], -v[14:15]
	s_delay_alu instid0(VALU_DEP_4) | instskip(SKIP_1) | instid1(VALU_DEP_4)
	v_add_f64_e64 v[22:23], v[22:23], -v[29:30]
	v_add_f64_e32 v[29:30], v[33:34], v[18:19]
	v_cmp_neq_f64_e64 vcc_lo, 0x7ff00000, |v[27:28]|
	s_delay_alu instid0(VALU_DEP_4) | instskip(NEXT) | instid1(VALU_DEP_4)
	v_add_f64_e64 v[14:15], v[25:26], -v[14:15]
	v_add_f64_e32 v[20:21], v[20:21], v[22:23]
	v_fract_f64_e32 v[22:23], v[27:28]
	s_delay_alu instid0(VALU_DEP_2) | instskip(NEXT) | instid1(VALU_DEP_2)
	v_add_f64_e32 v[25:26], v[29:30], v[20:21]
	v_ldexp_f64 v[22:23], v[22:23], 2
	s_delay_alu instid0(VALU_DEP_2) | instskip(SKIP_1) | instid1(VALU_DEP_2)
	v_add_f64_e32 v[27:28], v[14:15], v[25:26]
	s_wait_alu 0xfffd
	v_dual_cndmask_b32 v23, 0, v23 :: v_dual_cndmask_b32 v22, 0, v22
	s_delay_alu instid0(VALU_DEP_1) | instskip(SKIP_1) | instid1(VALU_DEP_2)
	v_add_f64_e32 v[31:32], v[27:28], v[22:23]
	v_add_f64_e64 v[14:15], v[27:28], -v[14:15]
	v_cmp_gt_f64_e32 vcc_lo, 0, v[31:32]
	v_add_f64_e64 v[31:32], v[29:30], -v[33:34]
	s_delay_alu instid0(VALU_DEP_3) | instskip(SKIP_2) | instid1(VALU_DEP_3)
	v_add_f64_e64 v[14:15], v[25:26], -v[14:15]
	s_wait_alu 0xfffd
	v_cndmask_b32_e64 v36, 0, 0x40100000, vcc_lo
	v_add_f64_e64 v[48:49], v[29:30], -v[31:32]
	v_add_f64_e64 v[18:19], v[18:19], -v[31:32]
	s_delay_alu instid0(VALU_DEP_3) | instskip(SKIP_1) | instid1(VALU_DEP_4)
	v_add_f64_e32 v[22:23], v[22:23], v[35:36]
	v_add_f64_e64 v[36:37], v[25:26], -v[29:30]
	v_add_f64_e64 v[31:32], v[33:34], -v[48:49]
	s_delay_alu instid0(VALU_DEP_3) | instskip(NEXT) | instid1(VALU_DEP_3)
	v_add_f64_e32 v[38:39], v[27:28], v[22:23]
	v_add_f64_e64 v[50:51], v[25:26], -v[36:37]
	v_add_f64_e64 v[20:21], v[20:21], -v[36:37]
	s_delay_alu instid0(VALU_DEP_4) | instskip(NEXT) | instid1(VALU_DEP_4)
	v_add_f64_e32 v[18:19], v[18:19], v[31:32]
	v_cvt_i32_f64_e32 v38, v[38:39]
	s_delay_alu instid0(VALU_DEP_4) | instskip(NEXT) | instid1(VALU_DEP_2)
	v_add_f64_e64 v[29:30], v[29:30], -v[50:51]
	v_cvt_f64_i32_e32 v[36:37], v38
	s_delay_alu instid0(VALU_DEP_2) | instskip(NEXT) | instid1(VALU_DEP_2)
	v_add_f64_e32 v[20:21], v[20:21], v[29:30]
	v_add_f64_e64 v[22:23], v[22:23], -v[36:37]
	s_delay_alu instid0(VALU_DEP_2) | instskip(NEXT) | instid1(VALU_DEP_2)
	v_add_f64_e32 v[16:17], v[18:19], v[20:21]
	v_add_f64_e32 v[18:19], v[27:28], v[22:23]
	s_delay_alu instid0(VALU_DEP_2) | instskip(NEXT) | instid1(VALU_DEP_2)
	v_add_f64_e32 v[12:13], v[12:13], v[16:17]
	v_add_f64_e64 v[16:17], v[18:19], -v[22:23]
	v_cmp_le_f64_e32 vcc_lo, 0.5, v[18:19]
	s_delay_alu instid0(VALU_DEP_3) | instskip(NEXT) | instid1(VALU_DEP_3)
	v_add_f64_e32 v[12:13], v[14:15], v[12:13]
	v_add_f64_e64 v[14:15], v[27:28], -v[16:17]
	s_wait_alu 0xfffd
	v_cndmask_b32_e64 v36, 0, 0x3ff00000, vcc_lo
	v_add_co_ci_u32_e64 v25, null, 0, v38, vcc_lo
	s_delay_alu instid0(VALU_DEP_3) | instskip(NEXT) | instid1(VALU_DEP_3)
	v_add_f64_e32 v[12:13], v[12:13], v[14:15]
	v_add_f64_e64 v[14:15], v[18:19], -v[35:36]
	s_delay_alu instid0(VALU_DEP_1) | instskip(SKIP_1) | instid1(VALU_DEP_1)
	v_add_f64_e32 v[16:17], v[14:15], v[12:13]
	s_wait_alu 0xfffe
	v_mul_f64_e32 v[18:19], s[2:3], v[16:17]
	v_add_f64_e64 v[14:15], v[16:17], -v[14:15]
	s_delay_alu instid0(VALU_DEP_2) | instskip(NEXT) | instid1(VALU_DEP_2)
	v_fma_f64 v[20:21], v[16:17], s[2:3], -v[18:19]
	v_add_f64_e64 v[12:13], v[12:13], -v[14:15]
	s_delay_alu instid0(VALU_DEP_2) | instskip(NEXT) | instid1(VALU_DEP_1)
	v_fma_f64 v[14:15], v[16:17], s[4:5], v[20:21]
	v_fma_f64 v[14:15], v[12:13], s[2:3], v[14:15]
	s_delay_alu instid0(VALU_DEP_1) | instskip(NEXT) | instid1(VALU_DEP_1)
	v_add_f64_e32 v[12:13], v[18:19], v[14:15]
	v_add_f64_e64 v[16:17], v[12:13], -v[18:19]
	s_delay_alu instid0(VALU_DEP_1)
	v_add_f64_e64 v[14:15], v[14:15], -v[16:17]
	s_and_not1_saveexec_b32 s0, s0
	s_cbranch_execnz .LBB180_13
	s_branch .LBB180_14
.LBB180_12:
	s_wait_alu 0xfffe
	s_and_not1_saveexec_b32 s0, s0
	s_cbranch_execz .LBB180_14
.LBB180_13:
	s_mov_b32 s2, 0x6dc9c883
	s_mov_b32 s3, 0x3fe45f30
	;; [unrolled: 1-line block ×3, first 2 shown]
	s_wait_alu 0xfffe
	v_mul_f64_e64 v[12:13], |v[0:1]|, s[2:3]
	s_mov_b32 s2, 0x54442d18
	s_mov_b32 s3, 0xbff921fb
	;; [unrolled: 1-line block ×3, first 2 shown]
	s_delay_alu instid0(VALU_DEP_1) | instskip(SKIP_1) | instid1(VALU_DEP_1)
	v_rndne_f64_e32 v[16:17], v[12:13]
	s_wait_alu 0xfffe
	v_fma_f64 v[12:13], v[16:17], s[2:3], |v[0:1]|
	v_mul_f64_e32 v[14:15], s[4:5], v[16:17]
	s_mov_b32 s2, 0x252049c0
	s_mov_b32 s3, 0xb97b839a
	v_cvt_i32_f64_e32 v25, v[16:17]
	s_delay_alu instid0(VALU_DEP_3) | instskip(NEXT) | instid1(VALU_DEP_3)
	v_fma_f64 v[20:21], v[16:17], s[4:5], v[12:13]
	v_add_f64_e32 v[18:19], v[12:13], v[14:15]
	s_mov_b32 s5, 0x3c91a626
	s_delay_alu instid0(VALU_DEP_1) | instskip(NEXT) | instid1(VALU_DEP_3)
	v_add_f64_e64 v[12:13], v[12:13], -v[18:19]
	v_add_f64_e64 v[18:19], v[18:19], -v[20:21]
	s_delay_alu instid0(VALU_DEP_2) | instskip(SKIP_2) | instid1(VALU_DEP_2)
	v_add_f64_e32 v[12:13], v[12:13], v[14:15]
	s_wait_alu 0xfffe
	v_fma_f64 v[14:15], v[16:17], s[4:5], v[14:15]
	v_add_f64_e32 v[12:13], v[18:19], v[12:13]
	s_delay_alu instid0(VALU_DEP_1) | instskip(NEXT) | instid1(VALU_DEP_1)
	v_add_f64_e64 v[12:13], v[12:13], -v[14:15]
	v_fma_f64 v[14:15], v[16:17], s[2:3], v[12:13]
	s_delay_alu instid0(VALU_DEP_1) | instskip(NEXT) | instid1(VALU_DEP_1)
	v_add_f64_e32 v[12:13], v[20:21], v[14:15]
	v_add_f64_e64 v[18:19], v[12:13], -v[20:21]
	s_delay_alu instid0(VALU_DEP_1)
	v_add_f64_e64 v[14:15], v[14:15], -v[18:19]
.LBB180_14:
	s_wait_alu 0xfffe
	s_or_b32 exec_lo, exec_lo, s0
	v_add_f64_e64 v[10:11], v[10:11], -v[4:5]
	s_mov_b32 s0, 0x652b82fe
	s_mov_b32 s1, 0x3ff71547
	;; [unrolled: 1-line block ×8, first 2 shown]
	v_mul_f64_e32 v[22:23], v[2:3], v[2:3]
	v_mul_f64_e32 v[26:27], v[12:13], v[12:13]
	s_mov_b32 s8, 0x1852b7b0
	s_mov_b32 s9, 0x3f56c16c
	;; [unrolled: 1-line block ×8, first 2 shown]
	s_delay_alu instid0(VALU_DEP_4)
	v_mul_f64_e32 v[52:53], 0.5, v[8:9]
	v_mul_f64_e32 v[66:67], 0.5, v[14:15]
	s_wait_alu 0xfffe
	v_mul_f64_e32 v[16:17], s[0:1], v[10:11]
	s_mov_b32 s0, 0xfca7ab0c
	s_mov_b32 s1, 0x3e928af3
	v_mul_f64_e32 v[32:33], 0.5, v[22:23]
	v_fma_f64 v[34:35], v[22:23], s[16:17], s[14:15]
	v_mul_f64_e32 v[36:37], 0.5, v[26:27]
	v_fma_f64 v[38:39], v[26:27], s[16:17], s[14:15]
	v_mul_f64_e64 v[54:55], v[2:3], -v[22:23]
	s_mov_b32 s16, 0x19f4ec90
	s_mov_b32 s17, 0x3efa01a0
	;; [unrolled: 1-line block ×4, first 2 shown]
	v_mul_f64_e64 v[68:69], v[12:13], -v[26:27]
	v_rndne_f64_e32 v[16:17], v[16:17]
	v_add_f64_e64 v[48:49], -v[32:33], 1.0
	v_add_f64_e64 v[50:51], -v[36:37], 1.0
	s_delay_alu instid0(VALU_DEP_3) | instskip(NEXT) | instid1(VALU_DEP_3)
	v_fma_f64 v[18:19], v[16:17], s[6:7], v[10:11]
	v_add_f64_e64 v[64:65], -v[48:49], 1.0
	s_delay_alu instid0(VALU_DEP_3) | instskip(NEXT) | instid1(VALU_DEP_3)
	v_add_f64_e64 v[70:71], -v[50:51], 1.0
	v_fma_f64 v[18:19], v[16:17], s[4:5], v[18:19]
	s_delay_alu instid0(VALU_DEP_3) | instskip(NEXT) | instid1(VALU_DEP_3)
	v_add_f64_e64 v[32:33], v[64:65], -v[32:33]
	v_add_f64_e64 v[36:37], v[70:71], -v[36:37]
	s_wait_alu 0xfffe
	s_delay_alu instid0(VALU_DEP_3) | instskip(SKIP_4) | instid1(VALU_DEP_3)
	v_fma_f64 v[20:21], v[18:19], s[2:3], s[0:1]
	s_mov_b32 s0, 0x623fde64
	s_mov_b32 s1, 0x3ec71dee
	;; [unrolled: 1-line block ×4, first 2 shown]
	v_fma_f64 v[32:33], v[2:3], -v[8:9], v[32:33]
	s_wait_alu 0xfffe
	s_delay_alu instid0(VALU_DEP_2) | instskip(SKIP_3) | instid1(VALU_DEP_1)
	v_fma_f64 v[20:21], v[18:19], v[20:21], s[0:1]
	s_mov_b32 s0, 0x7c89e6b0
	s_mov_b32 s1, 0x3efa0199
	s_wait_alu 0xfffe
	v_fma_f64 v[20:21], v[18:19], v[20:21], s[0:1]
	s_mov_b32 s0, 0x14761f6e
	s_mov_b32 s1, 0x3f2a01a0
	s_wait_alu 0xfffe
	s_delay_alu instid0(VALU_DEP_1)
	v_fma_f64 v[20:21], v[18:19], v[20:21], s[0:1]
	s_mov_b32 s0, 0xb42fdfa7
	s_mov_b32 s1, 0xbe5ae600
	s_wait_alu 0xfffe
	v_fma_f64 v[28:29], v[22:23], s[2:3], s[0:1]
	v_fma_f64 v[30:31], v[26:27], s[2:3], s[0:1]
	s_mov_b32 s0, 0x796cde01
	s_mov_b32 s1, 0x3ec71de3
	;; [unrolled: 1-line block ×4, first 2 shown]
	s_wait_alu 0xfffe
	v_fma_f64 v[34:35], v[22:23], v[34:35], s[2:3]
	v_fma_f64 v[38:39], v[26:27], v[38:39], s[2:3]
	s_mov_b32 s2, 0x16c16967
	s_mov_b32 s3, 0xbf56c16c
	v_fma_f64 v[20:21], v[18:19], v[20:21], s[8:9]
	s_mov_b32 s9, 0x3fa55555
	s_mov_b32 s8, 0x555502a1
	v_fma_f64 v[28:29], v[22:23], v[28:29], s[0:1]
	v_fma_f64 v[30:31], v[26:27], v[30:31], s[0:1]
	s_mov_b32 s0, 0x19e83e5c
	s_mov_b32 s1, 0xbf2a01a0
	v_fma_f64 v[34:35], v[22:23], v[34:35], s[16:17]
	v_fma_f64 v[38:39], v[26:27], v[38:39], s[16:17]
	v_fma_f64 v[20:21], v[18:19], v[20:21], s[12:13]
	s_mov_b32 s12, 0x11110bb3
	s_wait_alu 0xfffe
	v_fma_f64 v[28:29], v[22:23], v[28:29], s[0:1]
	v_fma_f64 v[30:31], v[26:27], v[30:31], s[0:1]
	s_mov_b32 s0, 11
	s_mov_b32 s1, 0x3fe00000
	v_fma_f64 v[34:35], v[22:23], v[34:35], s[2:3]
	v_fma_f64 v[38:39], v[26:27], v[38:39], s[2:3]
	v_cmp_ngt_f64_e64 s2, 0xc090cc00, v[10:11]
	v_fma_f64 v[20:21], v[18:19], v[20:21], s[8:9]
	s_mov_b32 s8, 0x55555555
	v_fma_f64 v[28:29], v[22:23], v[28:29], s[12:13]
	v_fma_f64 v[30:31], v[26:27], v[30:31], s[12:13]
	s_wait_alu 0xfffe
	v_fma_f64 v[34:35], v[22:23], v[34:35], s[8:9]
	s_delay_alu instid0(VALU_DEP_4) | instskip(NEXT) | instid1(VALU_DEP_4)
	v_fma_f64 v[20:21], v[18:19], v[20:21], s[14:15]
	v_fma_f64 v[28:29], v[54:55], v[28:29], v[52:53]
	s_delay_alu instid0(VALU_DEP_4) | instskip(SKIP_1) | instid1(VALU_DEP_4)
	v_fma_f64 v[30:31], v[68:69], v[30:31], v[66:67]
	v_mul_f64_e32 v[52:53], v[22:23], v[22:23]
	v_fma_f64 v[20:21], v[18:19], v[20:21], s[0:1]
	s_mov_b32 s1, 0xbfc55555
	s_mov_b32 s0, s8
	s_delay_alu instid0(VALU_DEP_4)
	v_fma_f64 v[8:9], v[22:23], v[28:29], -v[8:9]
	v_mul_f64_e32 v[22:23], v[26:27], v[26:27]
	v_fma_f64 v[28:29], v[12:13], -v[14:15], v[36:37]
	v_fma_f64 v[36:37], v[26:27], v[38:39], s[8:9]
	v_fma_f64 v[14:15], v[26:27], v[30:31], -v[14:15]
	v_fma_f64 v[26:27], v[52:53], v[34:35], v[32:33]
	v_cvt_i32_f64_e32 v30, v[16:17]
	v_fma_f64 v[20:21], v[18:19], v[20:21], 1.0
	s_wait_alu 0xfffe
	v_fma_f64 v[8:9], v[54:55], s[0:1], v[8:9]
	v_fma_f64 v[14:15], v[68:69], s[0:1], v[14:15]
	v_cmp_nlt_f64_e64 s1, 0x40900000, v[10:11]
	v_cmp_class_f64_e64 s0, v[0:1], 0x1f8
	v_lshlrev_b32_e32 v0, 30, v25
	v_lshlrev_b32_e32 v10, 30, v24
	v_and_b32_e32 v11, 1, v25
	s_delay_alu instid0(VALU_DEP_3) | instskip(NEXT) | instid1(VALU_DEP_2)
	v_xor_b32_e32 v0, v0, v1
	v_cmp_eq_u32_e64 s3, 0, v11
	s_delay_alu instid0(VALU_DEP_2)
	v_and_b32_e32 v0, 0x80000000, v0
	v_fma_f64 v[16:17], v[18:19], v[20:21], 1.0
	v_fma_f64 v[18:19], v[22:23], v[36:37], v[28:29]
	v_add_f64_e32 v[20:21], v[48:49], v[26:27]
	v_add_f64_e64 v[2:3], v[2:3], -v[8:9]
	v_add_f64_e64 v[12:13], v[12:13], -v[14:15]
	v_ldexp_f64 v[8:9], v[16:17], v30
	v_add_f64_e32 v[16:17], v[50:51], v[18:19]
	s_delay_alu instid0(VALU_DEP_4) | instskip(SKIP_1) | instid1(VALU_DEP_1)
	v_xor_b32_e32 v3, 0x80000000, v3
	v_and_b32_e32 v22, 1, v24
	v_cmp_eq_u32_e32 vcc_lo, 0, v22
	s_wait_alu 0xfffd
	s_delay_alu instid0(VALU_DEP_3) | instskip(SKIP_2) | instid1(VALU_DEP_2)
	v_dual_cndmask_b32 v2, v2, v20 :: v_dual_cndmask_b32 v3, v3, v21
	s_and_b32 vcc_lo, s2, s1
	v_and_b32_e32 v1, 0x80000000, v10
	v_cndmask_b32_e64 v2, 0, v2, s0
	v_cndmask_b32_e64 v9, 0x7ff00000, v9, s1
	;; [unrolled: 1-line block ×4, first 2 shown]
	s_wait_alu 0xfffe
	v_cndmask_b32_e32 v8, 0, v8, vcc_lo
	v_xor_b32_e32 v1, v3, v1
	v_cndmask_b32_e64 v9, 0, v9, s2
	v_xor_b32_e32 v11, v11, v0
	v_cndmask_b32_e64 v0, 0, v10, s0
	s_delay_alu instid0(VALU_DEP_4) | instskip(NEXT) | instid1(VALU_DEP_3)
	v_cndmask_b32_e64 v3, 0x7ff80000, v1, s0
	v_cndmask_b32_e64 v1, 0x7ff80000, v11, s0
	s_delay_alu instid0(VALU_DEP_2) | instskip(SKIP_1) | instid1(VALU_DEP_3)
	v_mul_f64_e32 v[10:11], v[8:9], v[2:3]
	v_fma_f64 v[2:3], v[8:9], v[2:3], 1.0
	v_mul_f64_e32 v[0:1], v[8:9], v[0:1]
	s_delay_alu instid0(VALU_DEP_3) | instskip(NEXT) | instid1(VALU_DEP_3)
	v_cmp_class_f64_e64 s2, v[10:11], 0x204
	v_cmp_class_f64_e64 s13, v[2:3], 0x204
	s_delay_alu instid0(VALU_DEP_3) | instskip(SKIP_3) | instid1(VALU_DEP_4)
	v_max_num_f64_e64 v[12:13], |v[10:11]|, |v[0:1]|
	v_cmp_class_f64_e64 s12, v[0:1], 0x204
	v_max_num_f64_e64 v[8:9], |v[2:3]|, |v[0:1]|
	v_cmp_u_f64_e64 s0, v[2:3], v[0:1]
	v_frexp_exp_i32_f64_e32 v20, v[12:13]
	s_or_b32 s2, s2, s12
	s_delay_alu instid0(VALU_DEP_1) | instskip(NEXT) | instid1(VALU_DEP_1)
	v_sub_nc_u32_e32 v14, 0, v20
	v_ldexp_f64 v[12:13], |v[0:1]|, v14
	v_ldexp_f64 v[14:15], |v[10:11]|, v14
	s_delay_alu instid0(VALU_DEP_2) | instskip(NEXT) | instid1(VALU_DEP_1)
	v_mul_f64_e32 v[12:13], v[12:13], v[12:13]
	v_fma_f64 v[12:13], v[14:15], v[14:15], v[12:13]
	s_delay_alu instid0(VALU_DEP_1) | instskip(SKIP_1) | instid1(TRANS32_DEP_1)
	v_rsq_f64_e32 v[14:15], v[12:13]
	v_cmp_eq_f64_e32 vcc_lo, 0, v[12:13]
	v_mul_f64_e32 v[16:17], v[12:13], v[14:15]
	v_mul_f64_e32 v[14:15], 0.5, v[14:15]
	s_delay_alu instid0(VALU_DEP_1) | instskip(NEXT) | instid1(VALU_DEP_1)
	v_fma_f64 v[18:19], -v[14:15], v[16:17], 0.5
	v_fma_f64 v[16:17], v[16:17], v[18:19], v[16:17]
	v_fma_f64 v[14:15], v[14:15], v[18:19], v[14:15]
	s_delay_alu instid0(VALU_DEP_2) | instskip(NEXT) | instid1(VALU_DEP_1)
	v_fma_f64 v[18:19], -v[16:17], v[16:17], v[12:13]
	v_fma_f64 v[14:15], v[18:19], v[14:15], v[16:17]
	s_wait_alu 0xfffd
	s_delay_alu instid0(VALU_DEP_1) | instskip(SKIP_1) | instid1(VALU_DEP_2)
	v_dual_cndmask_b32 v13, v15, v13 :: v_dual_cndmask_b32 v12, v14, v12
	v_cmp_u_f64_e32 vcc_lo, v[10:11], v[0:1]
	v_ldexp_f64 v[12:13], v[12:13], v20
	s_wait_alu 0xfffe
	s_or_b32 s2, s2, vcc_lo
	s_delay_alu instid0(VALU_DEP_1)
	v_cmp_ngt_f64_e64 s1, 0.5, v[12:13]
	s_wait_alu 0xfffe
	s_or_b32 s1, s2, s1
	s_wait_alu 0xfffe
	s_and_saveexec_b32 s2, s1
	s_wait_alu 0xfffe
	s_xor_b32 s1, exec_lo, s2
	s_cbranch_execz .LBB180_16
; %bb.15:
	v_frexp_exp_i32_f64_e32 v18, v[8:9]
	s_or_b32 s2, s13, s12
	s_mov_b32 s9, 0x3fe55555
	s_mov_b32 s14, 0xbf559e2b
	;; [unrolled: 1-line block ×5, first 2 shown]
	s_delay_alu instid0(VALU_DEP_1) | instskip(NEXT) | instid1(VALU_DEP_1)
	v_sub_nc_u32_e32 v12, 0, v18
	v_ldexp_f64 v[10:11], |v[0:1]|, v12
	v_ldexp_f64 v[12:13], |v[2:3]|, v12
	s_delay_alu instid0(VALU_DEP_2) | instskip(NEXT) | instid1(VALU_DEP_1)
	v_mul_f64_e32 v[10:11], v[10:11], v[10:11]
	v_fma_f64 v[10:11], v[12:13], v[12:13], v[10:11]
	s_delay_alu instid0(VALU_DEP_1) | instskip(SKIP_1) | instid1(TRANS32_DEP_1)
	v_rsq_f64_e32 v[12:13], v[10:11]
	v_cmp_eq_f64_e32 vcc_lo, 0, v[10:11]
	v_mul_f64_e32 v[14:15], v[10:11], v[12:13]
	v_mul_f64_e32 v[12:13], 0.5, v[12:13]
	s_delay_alu instid0(VALU_DEP_1) | instskip(NEXT) | instid1(VALU_DEP_1)
	v_fma_f64 v[16:17], -v[12:13], v[14:15], 0.5
	v_fma_f64 v[14:15], v[14:15], v[16:17], v[14:15]
	v_fma_f64 v[12:13], v[12:13], v[16:17], v[12:13]
	s_delay_alu instid0(VALU_DEP_2) | instskip(NEXT) | instid1(VALU_DEP_1)
	v_fma_f64 v[16:17], -v[14:15], v[14:15], v[10:11]
	v_fma_f64 v[12:13], v[16:17], v[12:13], v[14:15]
	s_wait_alu 0xfffd
	s_delay_alu instid0(VALU_DEP_1) | instskip(NEXT) | instid1(VALU_DEP_1)
	v_dual_cndmask_b32 v11, v13, v11 :: v_dual_cndmask_b32 v10, v12, v10
	v_ldexp_f64 v[10:11], v[10:11], v18
	s_delay_alu instid0(VALU_DEP_1) | instskip(SKIP_1) | instid1(VALU_DEP_1)
	v_cndmask_b32_e64 v11, v11, 0x7ff80000, s0
	s_wait_alu 0xfffe
	v_cndmask_b32_e64 v12, v11, 0x7ff00000, s2
	s_or_b32 s2, s2, s0
	s_wait_alu 0xfffe
	s_delay_alu instid0(VALU_DEP_3) | instskip(SKIP_2) | instid1(VALU_DEP_1)
	v_cndmask_b32_e64 v11, v10, 0, s2
	s_mov_b32 s2, 0x6b47b09a
	s_mov_b32 s3, 0x3fc38538
	v_frexp_mant_f64_e32 v[13:14], v[11:12]
	s_delay_alu instid0(VALU_DEP_1) | instskip(SKIP_3) | instid1(VALU_DEP_1)
	v_cmp_gt_f64_e32 vcc_lo, s[8:9], v[13:14]
	s_mov_b32 s8, 0x55555780
	s_wait_alu 0xfffd
	v_cndmask_b32_e64 v10, 0, 1, vcc_lo
	v_ldexp_f64 v[13:14], v[13:14], v10
	v_frexp_exp_i32_f64_e32 v10, v[11:12]
	s_delay_alu instid0(VALU_DEP_2) | instskip(SKIP_1) | instid1(VALU_DEP_3)
	v_add_f64_e32 v[15:16], 1.0, v[13:14]
	v_add_f64_e32 v[21:22], -1.0, v[13:14]
	v_subrev_co_ci_u32_e64 v10, null, 0, v10, vcc_lo
	v_cmp_class_f64_e64 vcc_lo, v[11:12], 0x204
	s_delay_alu instid0(VALU_DEP_4) | instskip(SKIP_1) | instid1(VALU_DEP_1)
	v_rcp_f64_e32 v[17:18], v[15:16]
	v_add_f64_e32 v[23:24], -1.0, v[15:16]
	v_add_f64_e64 v[13:14], v[13:14], -v[23:24]
	s_delay_alu instid0(TRANS32_DEP_1) | instskip(NEXT) | instid1(VALU_DEP_1)
	v_fma_f64 v[19:20], -v[15:16], v[17:18], 1.0
	v_fma_f64 v[17:18], v[19:20], v[17:18], v[17:18]
	s_delay_alu instid0(VALU_DEP_1) | instskip(NEXT) | instid1(VALU_DEP_1)
	v_fma_f64 v[19:20], -v[15:16], v[17:18], 1.0
	v_fma_f64 v[17:18], v[19:20], v[17:18], v[17:18]
	s_delay_alu instid0(VALU_DEP_1) | instskip(NEXT) | instid1(VALU_DEP_1)
	v_mul_f64_e32 v[19:20], v[21:22], v[17:18]
	v_mul_f64_e32 v[25:26], v[15:16], v[19:20]
	s_delay_alu instid0(VALU_DEP_1) | instskip(NEXT) | instid1(VALU_DEP_1)
	v_fma_f64 v[15:16], v[19:20], v[15:16], -v[25:26]
	v_fma_f64 v[13:14], v[19:20], v[13:14], v[15:16]
	s_delay_alu instid0(VALU_DEP_1) | instskip(NEXT) | instid1(VALU_DEP_1)
	v_add_f64_e32 v[15:16], v[25:26], v[13:14]
	v_add_f64_e64 v[23:24], v[21:22], -v[15:16]
	v_add_f64_e64 v[25:26], v[15:16], -v[25:26]
	s_delay_alu instid0(VALU_DEP_2) | instskip(NEXT) | instid1(VALU_DEP_2)
	v_add_f64_e64 v[21:22], v[21:22], -v[23:24]
	v_add_f64_e64 v[13:14], v[25:26], -v[13:14]
	s_delay_alu instid0(VALU_DEP_2) | instskip(NEXT) | instid1(VALU_DEP_1)
	v_add_f64_e64 v[15:16], v[21:22], -v[15:16]
	v_add_f64_e32 v[13:14], v[13:14], v[15:16]
	s_delay_alu instid0(VALU_DEP_1) | instskip(NEXT) | instid1(VALU_DEP_1)
	v_add_f64_e32 v[13:14], v[23:24], v[13:14]
	v_mul_f64_e32 v[13:14], v[17:18], v[13:14]
	s_delay_alu instid0(VALU_DEP_1) | instskip(NEXT) | instid1(VALU_DEP_1)
	v_add_f64_e32 v[15:16], v[19:20], v[13:14]
	v_mul_f64_e32 v[17:18], v[15:16], v[15:16]
	s_wait_alu 0xfffe
	s_delay_alu instid0(VALU_DEP_1) | instskip(SKIP_4) | instid1(VALU_DEP_2)
	v_fma_f64 v[21:22], v[17:18], s[14:15], s[2:3]
	s_mov_b32 s2, 0xd7f4df2e
	s_mov_b32 s3, 0x3fc7474d
	v_mul_f64_e32 v[23:24], v[15:16], v[17:18]
	s_wait_alu 0xfffe
	v_fma_f64 v[21:22], v[17:18], v[21:22], s[2:3]
	s_mov_b32 s2, 0x16291751
	s_mov_b32 s3, 0x3fcc71c0
	s_wait_alu 0xfffe
	s_delay_alu instid0(VALU_DEP_1) | instskip(SKIP_3) | instid1(VALU_DEP_1)
	v_fma_f64 v[21:22], v[17:18], v[21:22], s[2:3]
	s_mov_b32 s2, 0x9b27acf1
	s_mov_b32 s3, 0x3fd24924
	s_wait_alu 0xfffe
	v_fma_f64 v[21:22], v[17:18], v[21:22], s[2:3]
	s_mov_b32 s2, 0x998ef7b6
	s_mov_b32 s3, 0x3fd99999
	s_wait_alu 0xfffe
	s_delay_alu instid0(VALU_DEP_1) | instskip(NEXT) | instid1(VALU_DEP_1)
	v_fma_f64 v[21:22], v[17:18], v[21:22], s[2:3]
	v_fma_f64 v[17:18], v[17:18], v[21:22], s[8:9]
	v_ldexp_f64 v[21:22], v[15:16], 1
	v_add_f64_e64 v[15:16], v[15:16], -v[19:20]
	s_delay_alu instid0(VALU_DEP_3) | instskip(SKIP_1) | instid1(VALU_DEP_3)
	v_mul_f64_e32 v[17:18], v[23:24], v[17:18]
	v_cvt_f64_i32_e32 v[23:24], v10
	v_add_f64_e64 v[13:14], v[13:14], -v[15:16]
	s_delay_alu instid0(VALU_DEP_3) | instskip(NEXT) | instid1(VALU_DEP_3)
	v_add_f64_e32 v[19:20], v[21:22], v[17:18]
	v_mul_f64_e32 v[25:26], s[6:7], v[23:24]
	s_delay_alu instid0(VALU_DEP_3) | instskip(NEXT) | instid1(VALU_DEP_3)
	v_ldexp_f64 v[13:14], v[13:14], 1
	v_add_f64_e64 v[15:16], v[19:20], -v[21:22]
	s_delay_alu instid0(VALU_DEP_3) | instskip(NEXT) | instid1(VALU_DEP_2)
	v_fma_f64 v[21:22], v[23:24], s[6:7], -v[25:26]
	v_add_f64_e64 v[15:16], v[17:18], -v[15:16]
	s_delay_alu instid0(VALU_DEP_2) | instskip(NEXT) | instid1(VALU_DEP_2)
	v_fma_f64 v[17:18], v[23:24], s[4:5], v[21:22]
	v_add_f64_e32 v[13:14], v[13:14], v[15:16]
	s_delay_alu instid0(VALU_DEP_2) | instskip(NEXT) | instid1(VALU_DEP_2)
	v_add_f64_e32 v[15:16], v[25:26], v[17:18]
	v_add_f64_e32 v[21:22], v[19:20], v[13:14]
	s_delay_alu instid0(VALU_DEP_2) | instskip(NEXT) | instid1(VALU_DEP_2)
	v_add_f64_e64 v[25:26], v[15:16], -v[25:26]
	v_add_f64_e32 v[23:24], v[15:16], v[21:22]
	v_add_f64_e64 v[19:20], v[21:22], -v[19:20]
	s_delay_alu instid0(VALU_DEP_3) | instskip(NEXT) | instid1(VALU_DEP_3)
	v_add_f64_e64 v[17:18], v[17:18], -v[25:26]
	v_add_f64_e64 v[27:28], v[23:24], -v[15:16]
	s_delay_alu instid0(VALU_DEP_3) | instskip(NEXT) | instid1(VALU_DEP_2)
	v_add_f64_e64 v[13:14], v[13:14], -v[19:20]
	v_add_f64_e64 v[29:30], v[23:24], -v[27:28]
	;; [unrolled: 1-line block ×3, first 2 shown]
	s_delay_alu instid0(VALU_DEP_3) | instskip(NEXT) | instid1(VALU_DEP_3)
	v_add_f64_e32 v[21:22], v[17:18], v[13:14]
	v_add_f64_e64 v[15:16], v[15:16], -v[29:30]
	s_delay_alu instid0(VALU_DEP_1) | instskip(NEXT) | instid1(VALU_DEP_3)
	v_add_f64_e32 v[15:16], v[19:20], v[15:16]
	v_add_f64_e64 v[19:20], v[21:22], -v[17:18]
	s_delay_alu instid0(VALU_DEP_2) | instskip(NEXT) | instid1(VALU_DEP_2)
	v_add_f64_e32 v[15:16], v[21:22], v[15:16]
	v_add_f64_e64 v[21:22], v[21:22], -v[19:20]
	v_add_f64_e64 v[13:14], v[13:14], -v[19:20]
	s_delay_alu instid0(VALU_DEP_3) | instskip(NEXT) | instid1(VALU_DEP_3)
	v_add_f64_e32 v[25:26], v[23:24], v[15:16]
	v_add_f64_e64 v[17:18], v[17:18], -v[21:22]
	s_delay_alu instid0(VALU_DEP_2) | instskip(NEXT) | instid1(VALU_DEP_2)
	v_add_f64_e64 v[19:20], v[25:26], -v[23:24]
	v_add_f64_e32 v[13:14], v[13:14], v[17:18]
	s_delay_alu instid0(VALU_DEP_2) | instskip(NEXT) | instid1(VALU_DEP_1)
	v_add_f64_e64 v[15:16], v[15:16], -v[19:20]
	v_add_f64_e32 v[13:14], v[13:14], v[15:16]
	s_delay_alu instid0(VALU_DEP_1) | instskip(SKIP_1) | instid1(VALU_DEP_1)
	v_add_f64_e32 v[13:14], v[25:26], v[13:14]
	s_wait_alu 0xfffd
	v_dual_cndmask_b32 v10, v13, v11 :: v_dual_cndmask_b32 v13, v14, v12
	v_cmp_ngt_f64_e32 vcc_lo, 0, v[11:12]
	s_wait_alu 0xfffd
	s_delay_alu instid0(VALU_DEP_2)
	v_cndmask_b32_e32 v13, 0x7ff80000, v13, vcc_lo
	v_cmp_nge_f64_e32 vcc_lo, 0, v[11:12]
	s_wait_alu 0xfffd
	v_cndmask_b32_e32 v10, 0, v10, vcc_lo
	v_cmp_neq_f64_e32 vcc_lo, 0, v[11:12]
	s_wait_alu 0xfffd
	v_cndmask_b32_e32 v11, 0xfff00000, v13, vcc_lo
.LBB180_16:
	s_wait_alu 0xfffe
	s_and_not1_saveexec_b32 s4, s1
	s_cbranch_execz .LBB180_20
; %bb.17:
	s_delay_alu instid0(VALU_DEP_1) | instskip(SKIP_2) | instid1(VALU_DEP_1)
	v_add_f64_e32 v[12:13], 2.0, v[10:11]
	v_mul_f64_e32 v[14:15], v[0:1], v[0:1]
	s_mov_b32 s5, exec_lo
	v_fma_f64 v[12:13], v[10:11], v[12:13], v[14:15]
	s_delay_alu instid0(VALU_DEP_1)
	v_cmpx_neq_f64_e32 0, v[12:13]
	s_cbranch_execz .LBB180_19
; %bb.18:
	v_add_f64_e32 v[10:11], 1.0, v[12:13]
	s_mov_b32 s3, 0x3fe55555
	s_mov_b32 s2, 0x55555555
	s_mov_b32 s6, 0x6b47b09a
	s_mov_b32 s8, 0xbf559e2b
	s_mov_b32 s7, 0x3fc38538
	s_mov_b32 s9, 0x3fc3ab76
	v_cmp_neq_f64_e64 s1, 0x7ff00000, v[12:13]
	s_delay_alu instid0(VALU_DEP_2) | instskip(SKIP_3) | instid1(VALU_DEP_3)
	v_frexp_mant_f64_e32 v[14:15], v[10:11]
	v_frexp_exp_i32_f64_e32 v18, v[10:11]
	v_add_f64_e32 v[16:17], -1.0, v[10:11]
	s_wait_alu 0xfffe
	v_cmp_gt_f64_e32 vcc_lo, s[2:3], v[14:15]
	s_mov_b32 s2, 0x55555780
	s_delay_alu instid0(VALU_DEP_2) | instskip(SKIP_3) | instid1(VALU_DEP_3)
	v_add_f64_e64 v[14:15], v[16:17], -v[10:11]
	v_add_f64_e64 v[16:17], v[12:13], -v[16:17]
	s_wait_alu 0xfffd
	v_subrev_co_ci_u32_e64 v34, null, 0, v18, vcc_lo
	v_add_f64_e32 v[14:15], 1.0, v[14:15]
	v_cmp_nge_f64_e32 vcc_lo, -1.0, v[12:13]
	s_delay_alu instid0(VALU_DEP_3) | instskip(NEXT) | instid1(VALU_DEP_1)
	v_sub_nc_u32_e32 v20, 0, v34
	v_ldexp_f64 v[10:11], v[10:11], v20
	s_delay_alu instid0(VALU_DEP_4) | instskip(SKIP_1) | instid1(VALU_DEP_2)
	v_add_f64_e32 v[14:15], v[16:17], v[14:15]
	s_and_b32 vcc_lo, vcc_lo, s1
	v_add_f64_e32 v[18:19], 1.0, v[10:11]
	v_add_f64_e32 v[24:25], -1.0, v[10:11]
	s_delay_alu instid0(VALU_DEP_3) | instskip(NEXT) | instid1(VALU_DEP_3)
	v_ldexp_f64 v[14:15], v[14:15], v20
	v_add_f64_e32 v[16:17], -1.0, v[18:19]
	s_delay_alu instid0(VALU_DEP_3) | instskip(NEXT) | instid1(VALU_DEP_2)
	v_add_f64_e32 v[26:27], 1.0, v[24:25]
	v_add_f64_e64 v[16:17], v[10:11], -v[16:17]
	s_delay_alu instid0(VALU_DEP_2) | instskip(NEXT) | instid1(VALU_DEP_2)
	v_add_f64_e64 v[10:11], v[10:11], -v[26:27]
	v_add_f64_e32 v[16:17], v[14:15], v[16:17]
	s_delay_alu instid0(VALU_DEP_2) | instskip(NEXT) | instid1(VALU_DEP_2)
	v_add_f64_e32 v[10:11], v[14:15], v[10:11]
	v_add_f64_e32 v[20:21], v[18:19], v[16:17]
	s_delay_alu instid0(VALU_DEP_2) | instskip(NEXT) | instid1(VALU_DEP_2)
	v_add_f64_e32 v[26:27], v[24:25], v[10:11]
	v_rcp_f64_e32 v[22:23], v[20:21]
	v_add_f64_e64 v[18:19], v[20:21], -v[18:19]
	s_delay_alu instid0(VALU_DEP_2) | instskip(NEXT) | instid1(VALU_DEP_2)
	v_add_f64_e64 v[24:25], v[26:27], -v[24:25]
	v_add_f64_e64 v[16:17], v[16:17], -v[18:19]
	s_delay_alu instid0(TRANS32_DEP_1) | instskip(NEXT) | instid1(VALU_DEP_3)
	v_fma_f64 v[28:29], -v[20:21], v[22:23], 1.0
	v_add_f64_e64 v[10:11], v[10:11], -v[24:25]
	s_delay_alu instid0(VALU_DEP_2) | instskip(NEXT) | instid1(VALU_DEP_1)
	v_fma_f64 v[22:23], v[28:29], v[22:23], v[22:23]
	v_fma_f64 v[14:15], -v[20:21], v[22:23], 1.0
	s_delay_alu instid0(VALU_DEP_1) | instskip(NEXT) | instid1(VALU_DEP_1)
	v_fma_f64 v[14:15], v[14:15], v[22:23], v[22:23]
	v_mul_f64_e32 v[22:23], v[26:27], v[14:15]
	s_delay_alu instid0(VALU_DEP_1) | instskip(NEXT) | instid1(VALU_DEP_1)
	v_mul_f64_e32 v[28:29], v[20:21], v[22:23]
	v_fma_f64 v[18:19], v[22:23], v[20:21], -v[28:29]
	s_delay_alu instid0(VALU_DEP_1) | instskip(NEXT) | instid1(VALU_DEP_1)
	v_fma_f64 v[18:19], v[22:23], v[16:17], v[18:19]
	v_add_f64_e32 v[30:31], v[28:29], v[18:19]
	s_delay_alu instid0(VALU_DEP_1) | instskip(SKIP_1) | instid1(VALU_DEP_2)
	v_add_f64_e64 v[32:33], v[26:27], -v[30:31]
	v_add_f64_e64 v[24:25], v[30:31], -v[28:29]
	;; [unrolled: 1-line block ×3, first 2 shown]
	s_delay_alu instid0(VALU_DEP_2) | instskip(NEXT) | instid1(VALU_DEP_2)
	v_add_f64_e64 v[18:19], v[24:25], -v[18:19]
	v_add_f64_e64 v[26:27], v[26:27], -v[30:31]
	s_delay_alu instid0(VALU_DEP_1) | instskip(NEXT) | instid1(VALU_DEP_1)
	v_add_f64_e32 v[10:11], v[10:11], v[26:27]
	v_add_f64_e32 v[10:11], v[18:19], v[10:11]
	s_delay_alu instid0(VALU_DEP_1) | instskip(NEXT) | instid1(VALU_DEP_1)
	v_add_f64_e32 v[18:19], v[32:33], v[10:11]
	v_mul_f64_e32 v[24:25], v[14:15], v[18:19]
	v_add_f64_e64 v[30:31], v[32:33], -v[18:19]
	s_delay_alu instid0(VALU_DEP_2) | instskip(NEXT) | instid1(VALU_DEP_2)
	v_mul_f64_e32 v[26:27], v[20:21], v[24:25]
	v_add_f64_e32 v[10:11], v[10:11], v[30:31]
	s_delay_alu instid0(VALU_DEP_2) | instskip(NEXT) | instid1(VALU_DEP_1)
	v_fma_f64 v[20:21], v[24:25], v[20:21], -v[26:27]
	v_fma_f64 v[16:17], v[24:25], v[16:17], v[20:21]
	s_delay_alu instid0(VALU_DEP_1) | instskip(NEXT) | instid1(VALU_DEP_1)
	v_add_f64_e32 v[20:21], v[26:27], v[16:17]
	v_add_f64_e64 v[28:29], v[18:19], -v[20:21]
	v_add_f64_e64 v[26:27], v[20:21], -v[26:27]
	s_delay_alu instid0(VALU_DEP_2) | instskip(NEXT) | instid1(VALU_DEP_2)
	v_add_f64_e64 v[18:19], v[18:19], -v[28:29]
	v_add_f64_e64 v[16:17], v[26:27], -v[16:17]
	s_delay_alu instid0(VALU_DEP_2) | instskip(NEXT) | instid1(VALU_DEP_1)
	v_add_f64_e64 v[18:19], v[18:19], -v[20:21]
	v_add_f64_e32 v[10:11], v[10:11], v[18:19]
	v_add_f64_e32 v[18:19], v[22:23], v[24:25]
	s_delay_alu instid0(VALU_DEP_2) | instskip(NEXT) | instid1(VALU_DEP_2)
	v_add_f64_e32 v[10:11], v[16:17], v[10:11]
	v_add_f64_e64 v[16:17], v[18:19], -v[22:23]
	s_delay_alu instid0(VALU_DEP_2) | instskip(NEXT) | instid1(VALU_DEP_2)
	v_add_f64_e32 v[10:11], v[28:29], v[10:11]
	v_add_f64_e64 v[16:17], v[24:25], -v[16:17]
	s_delay_alu instid0(VALU_DEP_2) | instskip(NEXT) | instid1(VALU_DEP_1)
	v_mul_f64_e32 v[10:11], v[14:15], v[10:11]
	v_add_f64_e32 v[10:11], v[16:17], v[10:11]
	s_delay_alu instid0(VALU_DEP_1) | instskip(NEXT) | instid1(VALU_DEP_1)
	v_add_f64_e32 v[14:15], v[18:19], v[10:11]
	v_mul_f64_e32 v[16:17], v[14:15], v[14:15]
	s_delay_alu instid0(VALU_DEP_1) | instskip(SKIP_4) | instid1(VALU_DEP_2)
	v_fma_f64 v[20:21], v[16:17], s[8:9], s[6:7]
	s_mov_b32 s6, 0xd7f4df2e
	s_mov_b32 s7, 0x3fc7474d
	v_mul_f64_e32 v[22:23], v[14:15], v[16:17]
	s_wait_alu 0xfffe
	v_fma_f64 v[20:21], v[16:17], v[20:21], s[6:7]
	s_mov_b32 s6, 0x16291751
	s_mov_b32 s7, 0x3fcc71c0
	s_wait_alu 0xfffe
	s_delay_alu instid0(VALU_DEP_1) | instskip(SKIP_3) | instid1(VALU_DEP_1)
	v_fma_f64 v[20:21], v[16:17], v[20:21], s[6:7]
	s_mov_b32 s6, 0x9b27acf1
	s_mov_b32 s7, 0x3fd24924
	s_wait_alu 0xfffe
	v_fma_f64 v[20:21], v[16:17], v[20:21], s[6:7]
	s_mov_b32 s6, 0x998ef7b6
	s_mov_b32 s7, 0x3fd99999
	s_wait_alu 0xfffe
	s_delay_alu instid0(VALU_DEP_1) | instskip(NEXT) | instid1(VALU_DEP_1)
	v_fma_f64 v[20:21], v[16:17], v[20:21], s[6:7]
	v_fma_f64 v[16:17], v[16:17], v[20:21], s[2:3]
	v_ldexp_f64 v[20:21], v[14:15], 1
	v_add_f64_e64 v[14:15], v[14:15], -v[18:19]
	s_mov_b32 s2, 0xfefa39ef
	s_mov_b32 s3, 0x3fe62e42
	s_delay_alu instid0(VALU_DEP_3) | instskip(SKIP_1) | instid1(VALU_DEP_3)
	v_mul_f64_e32 v[16:17], v[22:23], v[16:17]
	v_cvt_f64_i32_e32 v[22:23], v34
	v_add_f64_e64 v[10:11], v[10:11], -v[14:15]
	s_delay_alu instid0(VALU_DEP_3) | instskip(SKIP_1) | instid1(VALU_DEP_3)
	v_add_f64_e32 v[18:19], v[20:21], v[16:17]
	s_wait_alu 0xfffe
	v_mul_f64_e32 v[24:25], s[2:3], v[22:23]
	s_delay_alu instid0(VALU_DEP_3) | instskip(NEXT) | instid1(VALU_DEP_3)
	v_ldexp_f64 v[10:11], v[10:11], 1
	v_add_f64_e64 v[14:15], v[18:19], -v[20:21]
	s_delay_alu instid0(VALU_DEP_3) | instskip(SKIP_2) | instid1(VALU_DEP_2)
	v_fma_f64 v[20:21], v[22:23], s[2:3], -v[24:25]
	s_mov_b32 s2, 0x3b39803f
	s_mov_b32 s3, 0x3c7abc9e
	v_add_f64_e64 v[14:15], v[16:17], -v[14:15]
	s_wait_alu 0xfffe
	s_delay_alu instid0(VALU_DEP_2) | instskip(SKIP_1) | instid1(VALU_DEP_3)
	v_fma_f64 v[16:17], v[22:23], s[2:3], v[20:21]
	v_cmp_ngt_f64_e64 s2, -1.0, v[12:13]
	v_add_f64_e32 v[10:11], v[10:11], v[14:15]
	s_delay_alu instid0(VALU_DEP_3) | instskip(NEXT) | instid1(VALU_DEP_2)
	v_add_f64_e32 v[14:15], v[24:25], v[16:17]
	v_add_f64_e32 v[20:21], v[18:19], v[10:11]
	s_delay_alu instid0(VALU_DEP_2) | instskip(NEXT) | instid1(VALU_DEP_2)
	v_add_f64_e64 v[24:25], v[14:15], -v[24:25]
	v_add_f64_e32 v[22:23], v[14:15], v[20:21]
	v_add_f64_e64 v[18:19], v[20:21], -v[18:19]
	s_delay_alu instid0(VALU_DEP_3) | instskip(NEXT) | instid1(VALU_DEP_3)
	v_add_f64_e64 v[16:17], v[16:17], -v[24:25]
	v_add_f64_e64 v[26:27], v[22:23], -v[14:15]
	s_delay_alu instid0(VALU_DEP_3) | instskip(NEXT) | instid1(VALU_DEP_2)
	v_add_f64_e64 v[10:11], v[10:11], -v[18:19]
	v_add_f64_e64 v[28:29], v[22:23], -v[26:27]
	;; [unrolled: 1-line block ×3, first 2 shown]
	s_delay_alu instid0(VALU_DEP_3) | instskip(NEXT) | instid1(VALU_DEP_3)
	v_add_f64_e32 v[20:21], v[16:17], v[10:11]
	v_add_f64_e64 v[14:15], v[14:15], -v[28:29]
	s_delay_alu instid0(VALU_DEP_1) | instskip(NEXT) | instid1(VALU_DEP_3)
	v_add_f64_e32 v[14:15], v[18:19], v[14:15]
	v_add_f64_e64 v[18:19], v[20:21], -v[16:17]
	s_delay_alu instid0(VALU_DEP_2) | instskip(NEXT) | instid1(VALU_DEP_2)
	v_add_f64_e32 v[14:15], v[20:21], v[14:15]
	v_add_f64_e64 v[20:21], v[20:21], -v[18:19]
	v_add_f64_e64 v[10:11], v[10:11], -v[18:19]
	s_delay_alu instid0(VALU_DEP_3) | instskip(NEXT) | instid1(VALU_DEP_3)
	v_add_f64_e32 v[24:25], v[22:23], v[14:15]
	v_add_f64_e64 v[16:17], v[16:17], -v[20:21]
	s_delay_alu instid0(VALU_DEP_2) | instskip(NEXT) | instid1(VALU_DEP_2)
	v_add_f64_e64 v[18:19], v[24:25], -v[22:23]
	v_add_f64_e32 v[10:11], v[10:11], v[16:17]
	s_delay_alu instid0(VALU_DEP_2) | instskip(NEXT) | instid1(VALU_DEP_1)
	v_add_f64_e64 v[14:15], v[14:15], -v[18:19]
	v_add_f64_e32 v[10:11], v[10:11], v[14:15]
	s_delay_alu instid0(VALU_DEP_1) | instskip(NEXT) | instid1(VALU_DEP_1)
	v_add_f64_e32 v[10:11], v[24:25], v[10:11]
	v_mul_f64_e32 v[10:11], 0.5, v[10:11]
	s_delay_alu instid0(VALU_DEP_1) | instskip(SKIP_1) | instid1(VALU_DEP_3)
	v_cndmask_b32_e32 v10, 0, v10, vcc_lo
	v_cmp_neq_f64_e32 vcc_lo, -1.0, v[12:13]
	v_cndmask_b32_e64 v11, 0x7ff00000, v11, s1
	s_wait_alu 0xf1ff
	s_delay_alu instid0(VALU_DEP_1) | instskip(SKIP_1) | instid1(VALU_DEP_1)
	v_cndmask_b32_e64 v11, 0x7ff80000, v11, s2
	s_wait_alu 0xfffd
	v_cndmask_b32_e32 v11, 0xfff00000, v11, vcc_lo
.LBB180_19:
	s_wait_alu 0xfffe
	s_or_b32 exec_lo, exec_lo, s5
.LBB180_20:
	s_wait_alu 0xfffe
	s_or_b32 exec_lo, exec_lo, s4
	v_max_num_f64_e64 v[12:13], |v[0:1]|, |v[0:1]|
	v_max_num_f64_e64 v[14:15], |v[2:3]|, |v[2:3]|
	s_mov_b32 s2, 0xbd3237f4
	s_mov_b32 s4, 0xb5e68a13
	;; [unrolled: 1-line block ×4, first 2 shown]
	v_cmp_eq_f64_e64 s1, 0, v[0:1]
	v_add_f64_e32 v[10:11], v[4:5], v[10:11]
	s_delay_alu instid0(VALU_DEP_3) | instskip(NEXT) | instid1(VALU_DEP_1)
	v_min_num_f64_e32 v[12:13], v[14:15], v[12:13]
	v_div_scale_f64 v[14:15], null, v[8:9], v[8:9], v[12:13]
	v_div_scale_f64 v[20:21], vcc_lo, v[12:13], v[8:9], v[12:13]
	s_delay_alu instid0(VALU_DEP_2) | instskip(NEXT) | instid1(TRANS32_DEP_1)
	v_rcp_f64_e32 v[16:17], v[14:15]
	v_fma_f64 v[18:19], -v[14:15], v[16:17], 1.0
	s_delay_alu instid0(VALU_DEP_1) | instskip(NEXT) | instid1(VALU_DEP_1)
	v_fma_f64 v[16:17], v[16:17], v[18:19], v[16:17]
	v_fma_f64 v[18:19], -v[14:15], v[16:17], 1.0
	s_delay_alu instid0(VALU_DEP_1) | instskip(NEXT) | instid1(VALU_DEP_1)
	v_fma_f64 v[16:17], v[16:17], v[18:19], v[16:17]
	v_mul_f64_e32 v[18:19], v[20:21], v[16:17]
	s_delay_alu instid0(VALU_DEP_1) | instskip(SKIP_1) | instid1(VALU_DEP_1)
	v_fma_f64 v[14:15], -v[14:15], v[18:19], v[20:21]
	s_wait_alu 0xfffd
	v_div_fmas_f64 v[14:15], v[14:15], v[16:17], v[18:19]
	v_cmp_lt_f64_e64 vcc_lo, |v[2:3]|, |v[0:1]|
	v_mov_b32_e32 v0, 0x4002d97c
	s_delay_alu instid0(VALU_DEP_3) | instskip(NEXT) | instid1(VALU_DEP_1)
	v_div_fixup_f64 v[8:9], v[14:15], v[8:9], v[12:13]
	v_mul_f64_e32 v[12:13], v[8:9], v[8:9]
	s_wait_alu 0xfffe
	s_delay_alu instid0(VALU_DEP_1) | instskip(SKIP_3) | instid1(VALU_DEP_1)
	v_fma_f64 v[14:15], v[12:13], s[4:5], s[2:3]
	s_mov_b32 s2, 0x69efb384
	s_mov_b32 s3, 0x3f4b2bb0
	s_wait_alu 0xfffe
	v_fma_f64 v[14:15], v[12:13], v[14:15], s[2:3]
	s_mov_b32 s2, 0xaf56de9b
	s_mov_b32 s3, 0xbf67952d
	s_wait_alu 0xfffe
	s_delay_alu instid0(VALU_DEP_1) | instskip(SKIP_3) | instid1(VALU_DEP_1)
	v_fma_f64 v[14:15], v[12:13], v[14:15], s[2:3]
	s_mov_b32 s2, 0xa595c56f
	s_mov_b32 s3, 0x3f7d6d43
	s_wait_alu 0xfffe
	v_fma_f64 v[14:15], v[12:13], v[14:15], s[2:3]
	s_mov_b32 s2, 0xa57d9582
	s_mov_b32 s3, 0xbf8c6ea4
	;; [unrolled: 9-line block ×9, first 2 shown]
	s_wait_alu 0xfffe
	s_delay_alu instid0(VALU_DEP_1) | instskip(SKIP_2) | instid1(VALU_DEP_1)
	v_fma_f64 v[14:15], v[12:13], v[14:15], s[2:3]
	s_mov_b32 s2, 0x54442d18
	s_mov_b32 s3, 0x3ff921fb
	v_mul_f64_e32 v[12:13], v[12:13], v[14:15]
	v_ashrrev_i32_e32 v14, 31, v3
	s_delay_alu instid0(VALU_DEP_2) | instskip(SKIP_1) | instid1(VALU_DEP_1)
	v_fma_f64 v[8:9], v[8:9], v[12:13], v[8:9]
	s_wait_alu 0xfffe
	v_add_f64_e64 v[12:13], -v[8:9], s[2:3]
	s_mov_b32 s3, 0x400921fb
	s_wait_alu 0xfffd
	s_delay_alu instid0(VALU_DEP_1) | instskip(SKIP_2) | instid1(VALU_DEP_2)
	v_dual_cndmask_b32 v9, v9, v13 :: v_dual_cndmask_b32 v8, v8, v12
	v_cmp_gt_i32_e32 vcc_lo, 0, v3
	s_wait_alu 0xfffe
	v_add_f64_e64 v[12:13], -v[8:9], s[2:3]
	v_mov_b32_e32 v2, 0x7f3321d2
	v_and_b32_e32 v3, 0x54442d18, v14
	s_wait_alu 0xfffd
	v_cndmask_b32_e32 v0, 0x3fe921fb, v0, vcc_lo
	s_delay_alu instid0(VALU_DEP_4) | instskip(SKIP_3) | instid1(VALU_DEP_3)
	v_cndmask_b32_e32 v8, v8, v12, vcc_lo
	v_dual_cndmask_b32 v9, v9, v13 :: v_dual_and_b32 v12, 0x400921fb, v14
	v_cndmask_b32_e32 v2, 0x54442d18, v2, vcc_lo
	s_and_b32 vcc_lo, s13, s12
	v_cndmask_b32_e64 v3, v8, v3, s1
	s_delay_alu instid0(VALU_DEP_3) | instskip(SKIP_1) | instid1(VALU_DEP_2)
	v_cndmask_b32_e64 v8, v9, v12, s1
	s_wait_alu 0xfffe
	v_cndmask_b32_e32 v2, v3, v2, vcc_lo
	s_delay_alu instid0(VALU_DEP_2) | instskip(NEXT) | instid1(VALU_DEP_1)
	v_cndmask_b32_e32 v0, v8, v0, vcc_lo
	v_cndmask_b32_e64 v3, v0, 0x7ff80000, s0
	s_delay_alu instid0(VALU_DEP_3) | instskip(NEXT) | instid1(VALU_DEP_2)
	v_cndmask_b32_e64 v0, v2, 0, s0
	v_bfi_b32 v1, 0x7fffffff, v3, v1
	s_delay_alu instid0(VALU_DEP_1)
	v_add_f64_e32 v[8:9], v[6:7], v[0:1]
                                        ; implicit-def: $vgpr6_vgpr7
.LBB180_21:
	s_wait_alu 0xfffe
	s_and_not1_saveexec_b32 s5, s11
	s_cbranch_execz .LBB180_47
; %bb.22:
	s_mov_b32 s8, exec_lo
	v_cmpx_ngt_f64_e32 0, v[10:11]
	s_cbranch_execz .LBB180_46
; %bb.23:
	s_delay_alu instid0(VALU_DEP_2)
	v_cmp_ngt_f64_e64 s0, 0x41d00000, |v[8:9]|
	v_trig_preop_f64 v[16:17], |v[8:9]|, 0
	v_trig_preop_f64 v[14:15], |v[8:9]|, 1
	v_ldexp_f64 v[18:19], |v[8:9]|, 0xffffff80
	v_trig_preop_f64 v[12:13], |v[8:9]|, 2
	v_and_b32_e32 v20, 0x7fffffff, v9
                                        ; implicit-def: $vgpr28
                                        ; implicit-def: $vgpr0_vgpr1
                                        ; implicit-def: $vgpr2_vgpr3
	s_and_saveexec_b32 s1, s0
	s_wait_alu 0xfffe
	s_xor_b32 s1, exec_lo, s1
	s_cbranch_execz .LBB180_25
; %bb.24:
	v_cmp_le_f64_e64 vcc_lo, 0x7b000000, |v[8:9]|
	v_mov_b32_e32 v33, 0
	s_mov_b32 s2, 0x54442d18
	s_mov_b32 s3, 0x3ff921fb
	;; [unrolled: 1-line block ×4, first 2 shown]
	s_wait_alu 0xfffd
	v_cndmask_b32_e32 v1, v20, v19, vcc_lo
	v_cndmask_b32_e32 v0, v8, v18, vcc_lo
	s_delay_alu instid0(VALU_DEP_1) | instskip(SKIP_1) | instid1(VALU_DEP_2)
	v_mul_f64_e32 v[2:3], v[16:17], v[0:1]
	v_mul_f64_e32 v[4:5], v[14:15], v[0:1]
	v_fma_f64 v[10:11], v[16:17], v[0:1], -v[2:3]
	s_delay_alu instid0(VALU_DEP_2) | instskip(NEXT) | instid1(VALU_DEP_2)
	v_fma_f64 v[31:32], v[14:15], v[0:1], -v[4:5]
	v_add_f64_e32 v[21:22], v[4:5], v[10:11]
	s_delay_alu instid0(VALU_DEP_1) | instskip(SKIP_1) | instid1(VALU_DEP_2)
	v_add_f64_e64 v[23:24], v[21:22], -v[4:5]
	v_add_f64_e32 v[27:28], v[2:3], v[21:22]
	v_add_f64_e64 v[25:26], v[21:22], -v[23:24]
	v_add_f64_e64 v[10:11], v[10:11], -v[23:24]
	s_delay_alu instid0(VALU_DEP_3) | instskip(SKIP_1) | instid1(VALU_DEP_4)
	v_ldexp_f64 v[23:24], v[27:28], -2
	v_add_f64_e64 v[2:3], v[27:28], -v[2:3]
	v_add_f64_e64 v[4:5], v[4:5], -v[25:26]
	s_delay_alu instid0(VALU_DEP_3) | instskip(NEXT) | instid1(VALU_DEP_3)
	v_cmp_neq_f64_e64 vcc_lo, 0x7ff00000, |v[23:24]|
	v_add_f64_e64 v[2:3], v[21:22], -v[2:3]
	s_delay_alu instid0(VALU_DEP_3) | instskip(SKIP_1) | instid1(VALU_DEP_1)
	v_add_f64_e32 v[4:5], v[10:11], v[4:5]
	v_fract_f64_e32 v[10:11], v[23:24]
	v_ldexp_f64 v[10:11], v[10:11], 2
	s_wait_alu 0xfffd
	s_delay_alu instid0(VALU_DEP_1) | instskip(SKIP_1) | instid1(VALU_DEP_1)
	v_dual_cndmask_b32 v11, 0, v11 :: v_dual_cndmask_b32 v10, 0, v10
	v_mul_f64_e32 v[29:30], v[12:13], v[0:1]
	v_add_f64_e32 v[25:26], v[29:30], v[31:32]
	v_fma_f64 v[0:1], v[12:13], v[0:1], -v[29:30]
	s_delay_alu instid0(VALU_DEP_2) | instskip(NEXT) | instid1(VALU_DEP_1)
	v_add_f64_e32 v[21:22], v[25:26], v[4:5]
	v_add_f64_e32 v[23:24], v[2:3], v[21:22]
	s_delay_alu instid0(VALU_DEP_1) | instskip(SKIP_1) | instid1(VALU_DEP_2)
	v_add_f64_e32 v[27:28], v[23:24], v[10:11]
	v_add_f64_e64 v[2:3], v[23:24], -v[2:3]
	v_cmp_gt_f64_e32 vcc_lo, 0, v[27:28]
	v_add_f64_e64 v[27:28], v[25:26], -v[29:30]
	s_delay_alu instid0(VALU_DEP_3) | instskip(SKIP_2) | instid1(VALU_DEP_3)
	v_add_f64_e64 v[2:3], v[21:22], -v[2:3]
	s_wait_alu 0xfffd
	v_cndmask_b32_e64 v34, 0, 0x40100000, vcc_lo
	v_add_f64_e64 v[38:39], v[25:26], -v[27:28]
	v_add_f64_e64 v[27:28], v[31:32], -v[27:28]
	s_delay_alu instid0(VALU_DEP_3) | instskip(SKIP_1) | instid1(VALU_DEP_4)
	v_add_f64_e32 v[10:11], v[10:11], v[33:34]
	v_add_f64_e64 v[34:35], v[21:22], -v[25:26]
	v_add_f64_e64 v[31:32], v[29:30], -v[38:39]
	s_delay_alu instid0(VALU_DEP_3) | instskip(NEXT) | instid1(VALU_DEP_3)
	v_add_f64_e32 v[36:37], v[23:24], v[10:11]
	v_add_f64_e64 v[48:49], v[21:22], -v[34:35]
	v_add_f64_e64 v[4:5], v[4:5], -v[34:35]
	s_delay_alu instid0(VALU_DEP_4) | instskip(NEXT) | instid1(VALU_DEP_4)
	v_add_f64_e32 v[27:28], v[27:28], v[31:32]
	v_cvt_i32_f64_e32 v36, v[36:37]
	s_delay_alu instid0(VALU_DEP_4) | instskip(NEXT) | instid1(VALU_DEP_2)
	v_add_f64_e64 v[25:26], v[25:26], -v[48:49]
	v_cvt_f64_i32_e32 v[34:35], v36
	s_delay_alu instid0(VALU_DEP_2) | instskip(NEXT) | instid1(VALU_DEP_2)
	v_add_f64_e32 v[4:5], v[4:5], v[25:26]
	v_add_f64_e64 v[10:11], v[10:11], -v[34:35]
	s_delay_alu instid0(VALU_DEP_2) | instskip(NEXT) | instid1(VALU_DEP_2)
	v_add_f64_e32 v[4:5], v[27:28], v[4:5]
	v_add_f64_e32 v[25:26], v[23:24], v[10:11]
	s_delay_alu instid0(VALU_DEP_2) | instskip(NEXT) | instid1(VALU_DEP_2)
	v_add_f64_e32 v[0:1], v[0:1], v[4:5]
	v_add_f64_e64 v[4:5], v[25:26], -v[10:11]
	v_cmp_le_f64_e32 vcc_lo, 0.5, v[25:26]
	s_delay_alu instid0(VALU_DEP_3) | instskip(NEXT) | instid1(VALU_DEP_3)
	v_add_f64_e32 v[0:1], v[2:3], v[0:1]
	v_add_f64_e64 v[2:3], v[23:24], -v[4:5]
	s_wait_alu 0xfffd
	v_cndmask_b32_e64 v34, 0, 0x3ff00000, vcc_lo
	v_add_co_ci_u32_e64 v28, null, 0, v36, vcc_lo
	s_delay_alu instid0(VALU_DEP_3) | instskip(NEXT) | instid1(VALU_DEP_3)
	v_add_f64_e32 v[0:1], v[0:1], v[2:3]
	v_add_f64_e64 v[2:3], v[25:26], -v[33:34]
	s_delay_alu instid0(VALU_DEP_1) | instskip(SKIP_1) | instid1(VALU_DEP_1)
	v_add_f64_e32 v[4:5], v[2:3], v[0:1]
	s_wait_alu 0xfffe
	v_mul_f64_e32 v[10:11], s[2:3], v[4:5]
	v_add_f64_e64 v[2:3], v[4:5], -v[2:3]
	s_delay_alu instid0(VALU_DEP_2) | instskip(NEXT) | instid1(VALU_DEP_2)
	v_fma_f64 v[21:22], v[4:5], s[2:3], -v[10:11]
	v_add_f64_e64 v[0:1], v[0:1], -v[2:3]
	s_delay_alu instid0(VALU_DEP_2) | instskip(NEXT) | instid1(VALU_DEP_1)
	v_fma_f64 v[2:3], v[4:5], s[6:7], v[21:22]
	v_fma_f64 v[2:3], v[0:1], s[2:3], v[2:3]
	s_delay_alu instid0(VALU_DEP_1) | instskip(NEXT) | instid1(VALU_DEP_1)
	v_add_f64_e32 v[0:1], v[10:11], v[2:3]
	v_add_f64_e64 v[4:5], v[0:1], -v[10:11]
	s_delay_alu instid0(VALU_DEP_1)
	v_add_f64_e64 v[2:3], v[2:3], -v[4:5]
	s_and_not1_saveexec_b32 s1, s1
	s_cbranch_execz .LBB180_27
	s_branch .LBB180_26
.LBB180_25:
	s_wait_alu 0xfffe
	s_and_not1_saveexec_b32 s1, s1
	s_cbranch_execz .LBB180_27
.LBB180_26:
	s_mov_b32 s2, 0x6dc9c883
	s_mov_b32 s3, 0x3fe45f30
	;; [unrolled: 1-line block ×3, first 2 shown]
	s_wait_alu 0xfffe
	v_mul_f64_e64 v[0:1], |v[8:9]|, s[2:3]
	s_mov_b32 s2, 0x54442d18
	s_mov_b32 s3, 0xbff921fb
	s_mov_b32 s6, 0x33145c00
	s_delay_alu instid0(VALU_DEP_1) | instskip(SKIP_1) | instid1(VALU_DEP_1)
	v_rndne_f64_e32 v[4:5], v[0:1]
	s_wait_alu 0xfffe
	v_fma_f64 v[0:1], v[4:5], s[2:3], |v[8:9]|
	v_mul_f64_e32 v[2:3], s[6:7], v[4:5]
	s_mov_b32 s2, 0x252049c0
	s_mov_b32 s3, 0xb97b839a
	v_cvt_i32_f64_e32 v28, v[4:5]
	s_delay_alu instid0(VALU_DEP_3) | instskip(NEXT) | instid1(VALU_DEP_3)
	v_fma_f64 v[21:22], v[4:5], s[6:7], v[0:1]
	v_add_f64_e32 v[10:11], v[0:1], v[2:3]
	s_mov_b32 s7, 0x3c91a626
	s_delay_alu instid0(VALU_DEP_1) | instskip(NEXT) | instid1(VALU_DEP_3)
	v_add_f64_e64 v[0:1], v[0:1], -v[10:11]
	v_add_f64_e64 v[10:11], v[10:11], -v[21:22]
	s_delay_alu instid0(VALU_DEP_2) | instskip(SKIP_2) | instid1(VALU_DEP_2)
	v_add_f64_e32 v[0:1], v[0:1], v[2:3]
	s_wait_alu 0xfffe
	v_fma_f64 v[2:3], v[4:5], s[6:7], v[2:3]
	v_add_f64_e32 v[0:1], v[10:11], v[0:1]
	s_delay_alu instid0(VALU_DEP_1) | instskip(NEXT) | instid1(VALU_DEP_1)
	v_add_f64_e64 v[0:1], v[0:1], -v[2:3]
	v_fma_f64 v[2:3], v[4:5], s[2:3], v[0:1]
	s_delay_alu instid0(VALU_DEP_1) | instskip(NEXT) | instid1(VALU_DEP_1)
	v_add_f64_e32 v[0:1], v[21:22], v[2:3]
	v_add_f64_e64 v[10:11], v[0:1], -v[21:22]
	s_delay_alu instid0(VALU_DEP_1)
	v_add_f64_e64 v[2:3], v[2:3], -v[10:11]
.LBB180_27:
	s_wait_alu 0xfffe
	s_or_b32 exec_lo, exec_lo, s1
                                        ; implicit-def: $vgpr29
                                        ; implicit-def: $vgpr4_vgpr5
                                        ; implicit-def: $vgpr10_vgpr11
	s_and_saveexec_b32 s1, s0
	s_wait_alu 0xfffe
	s_xor_b32 s0, exec_lo, s1
	s_cbranch_execz .LBB180_29
; %bb.28:
	v_cmp_le_f64_e64 vcc_lo, 0x7b000000, |v[8:9]|
	v_mov_b32_e32 v31, 0
	s_mov_b32 s2, 0x54442d18
	s_mov_b32 s3, 0x3ff921fb
	;; [unrolled: 1-line block ×4, first 2 shown]
	s_wait_alu 0xfffd
	v_cndmask_b32_e32 v5, v20, v19, vcc_lo
	v_cndmask_b32_e32 v4, v8, v18, vcc_lo
	s_delay_alu instid0(VALU_DEP_1) | instskip(SKIP_1) | instid1(VALU_DEP_2)
	v_mul_f64_e32 v[10:11], v[16:17], v[4:5]
	v_mul_f64_e32 v[18:19], v[14:15], v[4:5]
	v_fma_f64 v[16:17], v[16:17], v[4:5], -v[10:11]
	s_delay_alu instid0(VALU_DEP_2) | instskip(NEXT) | instid1(VALU_DEP_2)
	v_fma_f64 v[14:15], v[14:15], v[4:5], -v[18:19]
	v_add_f64_e32 v[20:21], v[18:19], v[16:17]
	s_delay_alu instid0(VALU_DEP_1) | instskip(SKIP_1) | instid1(VALU_DEP_2)
	v_add_f64_e64 v[22:23], v[20:21], -v[18:19]
	v_add_f64_e32 v[26:27], v[10:11], v[20:21]
	v_add_f64_e64 v[24:25], v[20:21], -v[22:23]
	v_add_f64_e64 v[16:17], v[16:17], -v[22:23]
	s_delay_alu instid0(VALU_DEP_3) | instskip(SKIP_1) | instid1(VALU_DEP_4)
	v_ldexp_f64 v[22:23], v[26:27], -2
	v_add_f64_e64 v[10:11], v[26:27], -v[10:11]
	v_add_f64_e64 v[18:19], v[18:19], -v[24:25]
	s_delay_alu instid0(VALU_DEP_3) | instskip(NEXT) | instid1(VALU_DEP_3)
	v_cmp_neq_f64_e64 vcc_lo, 0x7ff00000, |v[22:23]|
	v_add_f64_e64 v[10:11], v[20:21], -v[10:11]
	s_delay_alu instid0(VALU_DEP_3) | instskip(SKIP_1) | instid1(VALU_DEP_1)
	v_add_f64_e32 v[16:17], v[16:17], v[18:19]
	v_fract_f64_e32 v[18:19], v[22:23]
	v_ldexp_f64 v[18:19], v[18:19], 2
	s_wait_alu 0xfffd
	s_delay_alu instid0(VALU_DEP_1) | instskip(SKIP_1) | instid1(VALU_DEP_1)
	v_dual_cndmask_b32 v19, 0, v19 :: v_dual_cndmask_b32 v18, 0, v18
	v_mul_f64_e32 v[29:30], v[12:13], v[4:5]
	v_add_f64_e32 v[24:25], v[29:30], v[14:15]
	v_fma_f64 v[4:5], v[12:13], v[4:5], -v[29:30]
	s_delay_alu instid0(VALU_DEP_2) | instskip(NEXT) | instid1(VALU_DEP_1)
	v_add_f64_e32 v[20:21], v[24:25], v[16:17]
	v_add_f64_e32 v[22:23], v[10:11], v[20:21]
	s_delay_alu instid0(VALU_DEP_1) | instskip(SKIP_1) | instid1(VALU_DEP_2)
	v_add_f64_e32 v[26:27], v[22:23], v[18:19]
	v_add_f64_e64 v[10:11], v[22:23], -v[10:11]
	v_cmp_gt_f64_e32 vcc_lo, 0, v[26:27]
	v_add_f64_e64 v[26:27], v[24:25], -v[29:30]
	s_delay_alu instid0(VALU_DEP_3) | instskip(SKIP_2) | instid1(VALU_DEP_3)
	v_add_f64_e64 v[10:11], v[20:21], -v[10:11]
	s_wait_alu 0xfffd
	v_cndmask_b32_e64 v32, 0, 0x40100000, vcc_lo
	v_add_f64_e64 v[36:37], v[24:25], -v[26:27]
	v_add_f64_e64 v[14:15], v[14:15], -v[26:27]
	s_delay_alu instid0(VALU_DEP_3) | instskip(SKIP_1) | instid1(VALU_DEP_4)
	v_add_f64_e32 v[18:19], v[18:19], v[31:32]
	v_add_f64_e64 v[32:33], v[20:21], -v[24:25]
	v_add_f64_e64 v[26:27], v[29:30], -v[36:37]
	s_delay_alu instid0(VALU_DEP_3) | instskip(NEXT) | instid1(VALU_DEP_3)
	v_add_f64_e32 v[34:35], v[22:23], v[18:19]
	v_add_f64_e64 v[38:39], v[20:21], -v[32:33]
	v_add_f64_e64 v[16:17], v[16:17], -v[32:33]
	s_delay_alu instid0(VALU_DEP_4) | instskip(NEXT) | instid1(VALU_DEP_4)
	v_add_f64_e32 v[14:15], v[14:15], v[26:27]
	v_cvt_i32_f64_e32 v34, v[34:35]
	s_delay_alu instid0(VALU_DEP_4) | instskip(NEXT) | instid1(VALU_DEP_2)
	v_add_f64_e64 v[24:25], v[24:25], -v[38:39]
	v_cvt_f64_i32_e32 v[32:33], v34
	s_delay_alu instid0(VALU_DEP_2) | instskip(NEXT) | instid1(VALU_DEP_2)
	v_add_f64_e32 v[16:17], v[16:17], v[24:25]
	v_add_f64_e64 v[18:19], v[18:19], -v[32:33]
	s_delay_alu instid0(VALU_DEP_2) | instskip(NEXT) | instid1(VALU_DEP_2)
	v_add_f64_e32 v[12:13], v[14:15], v[16:17]
	v_add_f64_e32 v[14:15], v[22:23], v[18:19]
	s_delay_alu instid0(VALU_DEP_2) | instskip(NEXT) | instid1(VALU_DEP_2)
	v_add_f64_e32 v[4:5], v[4:5], v[12:13]
	v_add_f64_e64 v[12:13], v[14:15], -v[18:19]
	v_cmp_le_f64_e32 vcc_lo, 0.5, v[14:15]
	s_delay_alu instid0(VALU_DEP_3) | instskip(NEXT) | instid1(VALU_DEP_3)
	v_add_f64_e32 v[4:5], v[10:11], v[4:5]
	v_add_f64_e64 v[10:11], v[22:23], -v[12:13]
	s_wait_alu 0xfffd
	v_cndmask_b32_e64 v32, 0, 0x3ff00000, vcc_lo
	v_add_co_ci_u32_e64 v29, null, 0, v34, vcc_lo
	s_delay_alu instid0(VALU_DEP_3) | instskip(NEXT) | instid1(VALU_DEP_3)
	v_add_f64_e32 v[4:5], v[4:5], v[10:11]
	v_add_f64_e64 v[10:11], v[14:15], -v[31:32]
	s_delay_alu instid0(VALU_DEP_1) | instskip(SKIP_1) | instid1(VALU_DEP_1)
	v_add_f64_e32 v[12:13], v[10:11], v[4:5]
	s_wait_alu 0xfffe
	v_mul_f64_e32 v[14:15], s[2:3], v[12:13]
	v_add_f64_e64 v[10:11], v[12:13], -v[10:11]
	s_delay_alu instid0(VALU_DEP_2) | instskip(NEXT) | instid1(VALU_DEP_2)
	v_fma_f64 v[16:17], v[12:13], s[2:3], -v[14:15]
	v_add_f64_e64 v[4:5], v[4:5], -v[10:11]
	s_delay_alu instid0(VALU_DEP_2) | instskip(NEXT) | instid1(VALU_DEP_1)
	v_fma_f64 v[10:11], v[12:13], s[6:7], v[16:17]
	v_fma_f64 v[10:11], v[4:5], s[2:3], v[10:11]
	s_delay_alu instid0(VALU_DEP_1) | instskip(NEXT) | instid1(VALU_DEP_1)
	v_add_f64_e32 v[4:5], v[14:15], v[10:11]
	v_add_f64_e64 v[12:13], v[4:5], -v[14:15]
	s_delay_alu instid0(VALU_DEP_1)
	v_add_f64_e64 v[10:11], v[10:11], -v[12:13]
	s_and_not1_saveexec_b32 s0, s0
	s_cbranch_execnz .LBB180_30
	s_branch .LBB180_31
.LBB180_29:
	s_wait_alu 0xfffe
	s_and_not1_saveexec_b32 s0, s0
	s_cbranch_execz .LBB180_31
.LBB180_30:
	s_mov_b32 s2, 0x6dc9c883
	s_mov_b32 s3, 0x3fe45f30
	;; [unrolled: 1-line block ×3, first 2 shown]
	s_wait_alu 0xfffe
	v_mul_f64_e64 v[4:5], |v[8:9]|, s[2:3]
	s_mov_b32 s2, 0x54442d18
	s_mov_b32 s3, 0xbff921fb
	;; [unrolled: 1-line block ×3, first 2 shown]
	s_delay_alu instid0(VALU_DEP_1) | instskip(SKIP_1) | instid1(VALU_DEP_1)
	v_rndne_f64_e32 v[12:13], v[4:5]
	s_wait_alu 0xfffe
	v_fma_f64 v[4:5], v[12:13], s[2:3], |v[8:9]|
	v_mul_f64_e32 v[10:11], s[6:7], v[12:13]
	s_mov_b32 s2, 0x252049c0
	s_mov_b32 s3, 0xb97b839a
	v_cvt_i32_f64_e32 v29, v[12:13]
	s_delay_alu instid0(VALU_DEP_3) | instskip(NEXT) | instid1(VALU_DEP_3)
	v_fma_f64 v[16:17], v[12:13], s[6:7], v[4:5]
	v_add_f64_e32 v[14:15], v[4:5], v[10:11]
	s_mov_b32 s7, 0x3c91a626
	s_delay_alu instid0(VALU_DEP_1) | instskip(NEXT) | instid1(VALU_DEP_3)
	v_add_f64_e64 v[4:5], v[4:5], -v[14:15]
	v_add_f64_e64 v[14:15], v[14:15], -v[16:17]
	s_delay_alu instid0(VALU_DEP_2) | instskip(SKIP_2) | instid1(VALU_DEP_2)
	v_add_f64_e32 v[4:5], v[4:5], v[10:11]
	s_wait_alu 0xfffe
	v_fma_f64 v[10:11], v[12:13], s[6:7], v[10:11]
	v_add_f64_e32 v[4:5], v[14:15], v[4:5]
	s_delay_alu instid0(VALU_DEP_1) | instskip(NEXT) | instid1(VALU_DEP_1)
	v_add_f64_e64 v[4:5], v[4:5], -v[10:11]
	v_fma_f64 v[10:11], v[12:13], s[2:3], v[4:5]
	s_delay_alu instid0(VALU_DEP_1) | instskip(NEXT) | instid1(VALU_DEP_1)
	v_add_f64_e32 v[4:5], v[16:17], v[10:11]
	v_add_f64_e64 v[14:15], v[4:5], -v[16:17]
	s_delay_alu instid0(VALU_DEP_1)
	v_add_f64_e64 v[10:11], v[10:11], -v[14:15]
.LBB180_31:
	s_wait_alu 0xfffe
	s_or_b32 exec_lo, exec_lo, s0
	v_cmp_ngt_f64_e64 s0, 0x41d00000, |v[6:7]|
	v_trig_preop_f64 v[24:25], |v[6:7]|, 0
	v_trig_preop_f64 v[22:23], |v[6:7]|, 1
	v_ldexp_f64 v[26:27], |v[6:7]|, 0xffffff80
	v_trig_preop_f64 v[20:21], |v[6:7]|, 2
	v_and_b32_e32 v32, 0x7fffffff, v7
                                        ; implicit-def: $vgpr30
                                        ; implicit-def: $vgpr12_vgpr13
                                        ; implicit-def: $vgpr14_vgpr15
	s_and_saveexec_b32 s1, s0
	s_wait_alu 0xfffe
	s_xor_b32 s1, exec_lo, s1
	s_cbranch_execz .LBB180_33
; %bb.32:
	v_cmp_le_f64_e64 vcc_lo, 0x7b000000, |v[6:7]|
	v_mov_b32_e32 v52, 0
	s_mov_b32 s2, 0x54442d18
	s_mov_b32 s3, 0x3ff921fb
	;; [unrolled: 1-line block ×4, first 2 shown]
	s_wait_alu 0xfffd
	v_dual_cndmask_b32 v13, v32, v27 :: v_dual_cndmask_b32 v12, v6, v26
	s_delay_alu instid0(VALU_DEP_1) | instskip(SKIP_2) | instid1(VALU_DEP_3)
	v_mul_f64_e32 v[14:15], v[24:25], v[12:13]
	v_mul_f64_e32 v[16:17], v[22:23], v[12:13]
	;; [unrolled: 1-line block ×3, first 2 shown]
	v_fma_f64 v[18:19], v[24:25], v[12:13], -v[14:15]
	s_delay_alu instid0(VALU_DEP_3) | instskip(NEXT) | instid1(VALU_DEP_3)
	v_fma_f64 v[50:51], v[22:23], v[12:13], -v[16:17]
	v_fma_f64 v[12:13], v[20:21], v[12:13], -v[48:49]
	s_delay_alu instid0(VALU_DEP_3) | instskip(NEXT) | instid1(VALU_DEP_1)
	v_add_f64_e32 v[30:31], v[16:17], v[18:19]
	v_add_f64_e64 v[33:34], v[30:31], -v[16:17]
	v_add_f64_e32 v[37:38], v[14:15], v[30:31]
	s_delay_alu instid0(VALU_DEP_2) | instskip(SKIP_1) | instid1(VALU_DEP_3)
	v_add_f64_e64 v[35:36], v[30:31], -v[33:34]
	v_add_f64_e64 v[18:19], v[18:19], -v[33:34]
	v_ldexp_f64 v[33:34], v[37:38], -2
	v_add_f64_e64 v[14:15], v[37:38], -v[14:15]
	s_delay_alu instid0(VALU_DEP_4) | instskip(SKIP_1) | instid1(VALU_DEP_4)
	v_add_f64_e64 v[16:17], v[16:17], -v[35:36]
	v_add_f64_e32 v[35:36], v[48:49], v[50:51]
	v_cmp_neq_f64_e64 vcc_lo, 0x7ff00000, |v[33:34]|
	s_delay_alu instid0(VALU_DEP_4) | instskip(NEXT) | instid1(VALU_DEP_4)
	v_add_f64_e64 v[14:15], v[30:31], -v[14:15]
	v_add_f64_e32 v[16:17], v[18:19], v[16:17]
	v_fract_f64_e32 v[18:19], v[33:34]
	s_delay_alu instid0(VALU_DEP_2) | instskip(NEXT) | instid1(VALU_DEP_2)
	v_add_f64_e32 v[30:31], v[35:36], v[16:17]
	v_ldexp_f64 v[18:19], v[18:19], 2
	s_delay_alu instid0(VALU_DEP_2) | instskip(SKIP_1) | instid1(VALU_DEP_2)
	v_add_f64_e32 v[33:34], v[14:15], v[30:31]
	s_wait_alu 0xfffd
	v_dual_cndmask_b32 v19, 0, v19 :: v_dual_cndmask_b32 v18, 0, v18
	s_delay_alu instid0(VALU_DEP_1) | instskip(SKIP_1) | instid1(VALU_DEP_2)
	v_add_f64_e32 v[37:38], v[33:34], v[18:19]
	v_add_f64_e64 v[14:15], v[33:34], -v[14:15]
	v_cmp_gt_f64_e32 vcc_lo, 0, v[37:38]
	v_add_f64_e64 v[37:38], v[35:36], -v[48:49]
	s_delay_alu instid0(VALU_DEP_3) | instskip(SKIP_2) | instid1(VALU_DEP_3)
	v_add_f64_e64 v[14:15], v[30:31], -v[14:15]
	s_wait_alu 0xfffd
	v_cndmask_b32_e64 v53, 0, 0x40100000, vcc_lo
	v_add_f64_e64 v[66:67], v[35:36], -v[37:38]
	v_add_f64_e64 v[37:38], v[50:51], -v[37:38]
	s_delay_alu instid0(VALU_DEP_3) | instskip(SKIP_1) | instid1(VALU_DEP_4)
	v_add_f64_e32 v[18:19], v[18:19], v[52:53]
	v_add_f64_e64 v[53:54], v[30:31], -v[35:36]
	v_add_f64_e64 v[50:51], v[48:49], -v[66:67]
	s_delay_alu instid0(VALU_DEP_3) | instskip(NEXT) | instid1(VALU_DEP_3)
	v_add_f64_e32 v[64:65], v[33:34], v[18:19]
	v_add_f64_e64 v[68:69], v[30:31], -v[53:54]
	v_add_f64_e64 v[16:17], v[16:17], -v[53:54]
	s_delay_alu instid0(VALU_DEP_4) | instskip(NEXT) | instid1(VALU_DEP_4)
	v_add_f64_e32 v[37:38], v[37:38], v[50:51]
	v_cvt_i32_f64_e32 v39, v[64:65]
	s_delay_alu instid0(VALU_DEP_4) | instskip(NEXT) | instid1(VALU_DEP_2)
	v_add_f64_e64 v[35:36], v[35:36], -v[68:69]
	v_cvt_f64_i32_e32 v[53:54], v39
	s_delay_alu instid0(VALU_DEP_2) | instskip(NEXT) | instid1(VALU_DEP_2)
	v_add_f64_e32 v[16:17], v[16:17], v[35:36]
	v_add_f64_e64 v[18:19], v[18:19], -v[53:54]
	s_delay_alu instid0(VALU_DEP_2) | instskip(NEXT) | instid1(VALU_DEP_2)
	v_add_f64_e32 v[16:17], v[37:38], v[16:17]
	v_add_f64_e32 v[35:36], v[33:34], v[18:19]
	s_delay_alu instid0(VALU_DEP_2) | instskip(NEXT) | instid1(VALU_DEP_2)
	v_add_f64_e32 v[12:13], v[12:13], v[16:17]
	v_add_f64_e64 v[16:17], v[35:36], -v[18:19]
	v_cmp_le_f64_e32 vcc_lo, 0.5, v[35:36]
	s_delay_alu instid0(VALU_DEP_3) | instskip(NEXT) | instid1(VALU_DEP_3)
	v_add_f64_e32 v[12:13], v[14:15], v[12:13]
	v_add_f64_e64 v[14:15], v[33:34], -v[16:17]
	s_wait_alu 0xfffd
	v_cndmask_b32_e64 v53, 0, 0x3ff00000, vcc_lo
	v_add_co_ci_u32_e64 v30, null, 0, v39, vcc_lo
	s_delay_alu instid0(VALU_DEP_3) | instskip(NEXT) | instid1(VALU_DEP_3)
	v_add_f64_e32 v[12:13], v[12:13], v[14:15]
	v_add_f64_e64 v[14:15], v[35:36], -v[52:53]
	s_delay_alu instid0(VALU_DEP_1) | instskip(SKIP_1) | instid1(VALU_DEP_1)
	v_add_f64_e32 v[16:17], v[14:15], v[12:13]
	s_wait_alu 0xfffe
	v_mul_f64_e32 v[18:19], s[2:3], v[16:17]
	v_add_f64_e64 v[14:15], v[16:17], -v[14:15]
	s_delay_alu instid0(VALU_DEP_2) | instskip(NEXT) | instid1(VALU_DEP_2)
	v_fma_f64 v[33:34], v[16:17], s[2:3], -v[18:19]
	v_add_f64_e64 v[12:13], v[12:13], -v[14:15]
	s_delay_alu instid0(VALU_DEP_2) | instskip(NEXT) | instid1(VALU_DEP_1)
	v_fma_f64 v[14:15], v[16:17], s[6:7], v[33:34]
	v_fma_f64 v[14:15], v[12:13], s[2:3], v[14:15]
	s_delay_alu instid0(VALU_DEP_1) | instskip(NEXT) | instid1(VALU_DEP_1)
	v_add_f64_e32 v[12:13], v[18:19], v[14:15]
	v_add_f64_e64 v[16:17], v[12:13], -v[18:19]
	s_delay_alu instid0(VALU_DEP_1)
	v_add_f64_e64 v[14:15], v[14:15], -v[16:17]
	s_and_not1_saveexec_b32 s1, s1
	s_cbranch_execz .LBB180_35
	s_branch .LBB180_34
.LBB180_33:
	s_wait_alu 0xfffe
	s_and_not1_saveexec_b32 s1, s1
	s_cbranch_execz .LBB180_35
.LBB180_34:
	s_mov_b32 s2, 0x6dc9c883
	s_mov_b32 s3, 0x3fe45f30
	;; [unrolled: 1-line block ×3, first 2 shown]
	s_wait_alu 0xfffe
	v_mul_f64_e64 v[12:13], |v[6:7]|, s[2:3]
	s_mov_b32 s2, 0x54442d18
	s_mov_b32 s3, 0xbff921fb
	;; [unrolled: 1-line block ×3, first 2 shown]
	s_delay_alu instid0(VALU_DEP_1) | instskip(SKIP_1) | instid1(VALU_DEP_1)
	v_rndne_f64_e32 v[16:17], v[12:13]
	s_wait_alu 0xfffe
	v_fma_f64 v[12:13], v[16:17], s[2:3], |v[6:7]|
	v_mul_f64_e32 v[14:15], s[6:7], v[16:17]
	s_mov_b32 s2, 0x252049c0
	s_mov_b32 s3, 0xb97b839a
	s_delay_alu instid0(VALU_DEP_2) | instskip(NEXT) | instid1(VALU_DEP_2)
	v_fma_f64 v[30:31], v[16:17], s[6:7], v[12:13]
	v_add_f64_e32 v[18:19], v[12:13], v[14:15]
	s_mov_b32 s7, 0x3c91a626
	s_delay_alu instid0(VALU_DEP_1) | instskip(NEXT) | instid1(VALU_DEP_3)
	v_add_f64_e64 v[12:13], v[12:13], -v[18:19]
	v_add_f64_e64 v[18:19], v[18:19], -v[30:31]
	s_delay_alu instid0(VALU_DEP_2) | instskip(SKIP_2) | instid1(VALU_DEP_2)
	v_add_f64_e32 v[12:13], v[12:13], v[14:15]
	s_wait_alu 0xfffe
	v_fma_f64 v[14:15], v[16:17], s[6:7], v[14:15]
	v_add_f64_e32 v[12:13], v[18:19], v[12:13]
	s_delay_alu instid0(VALU_DEP_1) | instskip(NEXT) | instid1(VALU_DEP_1)
	v_add_f64_e64 v[12:13], v[12:13], -v[14:15]
	v_fma_f64 v[14:15], v[16:17], s[2:3], v[12:13]
	s_delay_alu instid0(VALU_DEP_1) | instskip(NEXT) | instid1(VALU_DEP_1)
	v_add_f64_e32 v[12:13], v[30:31], v[14:15]
	v_add_f64_e64 v[18:19], v[12:13], -v[30:31]
	v_cvt_i32_f64_e32 v30, v[16:17]
	s_delay_alu instid0(VALU_DEP_2)
	v_add_f64_e64 v[14:15], v[14:15], -v[18:19]
.LBB180_35:
	s_wait_alu 0xfffe
	s_or_b32 exec_lo, exec_lo, s1
                                        ; implicit-def: $vgpr31
                                        ; implicit-def: $vgpr16_vgpr17
                                        ; implicit-def: $vgpr18_vgpr19
	s_and_saveexec_b32 s1, s0
	s_wait_alu 0xfffe
	s_xor_b32 s0, exec_lo, s1
	s_cbranch_execz .LBB180_37
; %bb.36:
	v_cmp_le_f64_e64 vcc_lo, 0x7b000000, |v[6:7]|
	v_mov_b32_e32 v50, 0
	s_mov_b32 s2, 0x54442d18
	s_mov_b32 s3, 0x3ff921fb
	;; [unrolled: 1-line block ×4, first 2 shown]
	s_wait_alu 0xfffd
	v_dual_cndmask_b32 v17, v32, v27 :: v_dual_cndmask_b32 v16, v6, v26
	s_delay_alu instid0(VALU_DEP_1) | instskip(SKIP_2) | instid1(VALU_DEP_3)
	v_mul_f64_e32 v[18:19], v[24:25], v[16:17]
	v_mul_f64_e32 v[26:27], v[22:23], v[16:17]
	;; [unrolled: 1-line block ×3, first 2 shown]
	v_fma_f64 v[24:25], v[24:25], v[16:17], -v[18:19]
	s_delay_alu instid0(VALU_DEP_3) | instskip(NEXT) | instid1(VALU_DEP_3)
	v_fma_f64 v[22:23], v[22:23], v[16:17], -v[26:27]
	v_fma_f64 v[16:17], v[20:21], v[16:17], -v[48:49]
	s_delay_alu instid0(VALU_DEP_3) | instskip(NEXT) | instid1(VALU_DEP_1)
	v_add_f64_e32 v[31:32], v[26:27], v[24:25]
	v_add_f64_e64 v[33:34], v[31:32], -v[26:27]
	v_add_f64_e32 v[37:38], v[18:19], v[31:32]
	s_delay_alu instid0(VALU_DEP_2) | instskip(SKIP_1) | instid1(VALU_DEP_3)
	v_add_f64_e64 v[35:36], v[31:32], -v[33:34]
	v_add_f64_e64 v[24:25], v[24:25], -v[33:34]
	v_ldexp_f64 v[33:34], v[37:38], -2
	v_add_f64_e64 v[18:19], v[37:38], -v[18:19]
	s_delay_alu instid0(VALU_DEP_4) | instskip(SKIP_1) | instid1(VALU_DEP_4)
	v_add_f64_e64 v[26:27], v[26:27], -v[35:36]
	v_add_f64_e32 v[35:36], v[48:49], v[22:23]
	v_cmp_neq_f64_e64 vcc_lo, 0x7ff00000, |v[33:34]|
	s_delay_alu instid0(VALU_DEP_4) | instskip(NEXT) | instid1(VALU_DEP_4)
	v_add_f64_e64 v[18:19], v[31:32], -v[18:19]
	v_add_f64_e32 v[24:25], v[24:25], v[26:27]
	v_fract_f64_e32 v[26:27], v[33:34]
	s_delay_alu instid0(VALU_DEP_2) | instskip(NEXT) | instid1(VALU_DEP_2)
	v_add_f64_e32 v[31:32], v[35:36], v[24:25]
	v_ldexp_f64 v[26:27], v[26:27], 2
	s_delay_alu instid0(VALU_DEP_2) | instskip(SKIP_1) | instid1(VALU_DEP_2)
	v_add_f64_e32 v[33:34], v[18:19], v[31:32]
	s_wait_alu 0xfffd
	v_dual_cndmask_b32 v27, 0, v27 :: v_dual_cndmask_b32 v26, 0, v26
	s_delay_alu instid0(VALU_DEP_1) | instskip(SKIP_1) | instid1(VALU_DEP_2)
	v_add_f64_e32 v[37:38], v[33:34], v[26:27]
	v_add_f64_e64 v[18:19], v[33:34], -v[18:19]
	v_cmp_gt_f64_e32 vcc_lo, 0, v[37:38]
	v_add_f64_e64 v[37:38], v[35:36], -v[48:49]
	s_delay_alu instid0(VALU_DEP_3) | instskip(SKIP_2) | instid1(VALU_DEP_3)
	v_add_f64_e64 v[18:19], v[31:32], -v[18:19]
	s_wait_alu 0xfffd
	v_cndmask_b32_e64 v51, 0, 0x40100000, vcc_lo
	v_add_f64_e64 v[64:65], v[35:36], -v[37:38]
	v_add_f64_e64 v[22:23], v[22:23], -v[37:38]
	s_delay_alu instid0(VALU_DEP_3) | instskip(SKIP_1) | instid1(VALU_DEP_4)
	v_add_f64_e32 v[26:27], v[26:27], v[50:51]
	v_add_f64_e64 v[51:52], v[31:32], -v[35:36]
	v_add_f64_e64 v[37:38], v[48:49], -v[64:65]
	s_delay_alu instid0(VALU_DEP_3) | instskip(NEXT) | instid1(VALU_DEP_3)
	v_add_f64_e32 v[53:54], v[33:34], v[26:27]
	v_add_f64_e64 v[66:67], v[31:32], -v[51:52]
	v_add_f64_e64 v[24:25], v[24:25], -v[51:52]
	s_delay_alu instid0(VALU_DEP_4) | instskip(NEXT) | instid1(VALU_DEP_4)
	v_add_f64_e32 v[22:23], v[22:23], v[37:38]
	v_cvt_i32_f64_e32 v39, v[53:54]
	s_delay_alu instid0(VALU_DEP_4) | instskip(NEXT) | instid1(VALU_DEP_2)
	v_add_f64_e64 v[35:36], v[35:36], -v[66:67]
	v_cvt_f64_i32_e32 v[51:52], v39
	s_delay_alu instid0(VALU_DEP_2) | instskip(NEXT) | instid1(VALU_DEP_2)
	v_add_f64_e32 v[24:25], v[24:25], v[35:36]
	v_add_f64_e64 v[26:27], v[26:27], -v[51:52]
	s_delay_alu instid0(VALU_DEP_2) | instskip(NEXT) | instid1(VALU_DEP_2)
	v_add_f64_e32 v[20:21], v[22:23], v[24:25]
	v_add_f64_e32 v[22:23], v[33:34], v[26:27]
	s_delay_alu instid0(VALU_DEP_2) | instskip(NEXT) | instid1(VALU_DEP_2)
	v_add_f64_e32 v[16:17], v[16:17], v[20:21]
	v_add_f64_e64 v[20:21], v[22:23], -v[26:27]
	v_cmp_le_f64_e32 vcc_lo, 0.5, v[22:23]
	s_delay_alu instid0(VALU_DEP_3) | instskip(NEXT) | instid1(VALU_DEP_3)
	v_add_f64_e32 v[16:17], v[18:19], v[16:17]
	v_add_f64_e64 v[18:19], v[33:34], -v[20:21]
	s_wait_alu 0xfffd
	v_cndmask_b32_e64 v51, 0, 0x3ff00000, vcc_lo
	v_add_co_ci_u32_e64 v31, null, 0, v39, vcc_lo
	s_delay_alu instid0(VALU_DEP_3) | instskip(NEXT) | instid1(VALU_DEP_3)
	v_add_f64_e32 v[16:17], v[16:17], v[18:19]
	v_add_f64_e64 v[18:19], v[22:23], -v[50:51]
	s_delay_alu instid0(VALU_DEP_1) | instskip(SKIP_1) | instid1(VALU_DEP_1)
	v_add_f64_e32 v[20:21], v[18:19], v[16:17]
	s_wait_alu 0xfffe
	v_mul_f64_e32 v[22:23], s[2:3], v[20:21]
	v_add_f64_e64 v[18:19], v[20:21], -v[18:19]
	s_delay_alu instid0(VALU_DEP_2) | instskip(NEXT) | instid1(VALU_DEP_2)
	v_fma_f64 v[24:25], v[20:21], s[2:3], -v[22:23]
	v_add_f64_e64 v[16:17], v[16:17], -v[18:19]
	s_delay_alu instid0(VALU_DEP_2) | instskip(NEXT) | instid1(VALU_DEP_1)
	v_fma_f64 v[18:19], v[20:21], s[6:7], v[24:25]
	v_fma_f64 v[18:19], v[16:17], s[2:3], v[18:19]
	s_delay_alu instid0(VALU_DEP_1) | instskip(NEXT) | instid1(VALU_DEP_1)
	v_add_f64_e32 v[16:17], v[22:23], v[18:19]
	v_add_f64_e64 v[20:21], v[16:17], -v[22:23]
	s_delay_alu instid0(VALU_DEP_1)
	v_add_f64_e64 v[18:19], v[18:19], -v[20:21]
	s_and_not1_saveexec_b32 s0, s0
	s_cbranch_execnz .LBB180_38
	s_branch .LBB180_39
.LBB180_37:
	s_wait_alu 0xfffe
	s_and_not1_saveexec_b32 s0, s0
	s_cbranch_execz .LBB180_39
.LBB180_38:
	s_mov_b32 s2, 0x6dc9c883
	s_mov_b32 s3, 0x3fe45f30
	;; [unrolled: 1-line block ×3, first 2 shown]
	s_wait_alu 0xfffe
	v_mul_f64_e64 v[16:17], |v[6:7]|, s[2:3]
	s_mov_b32 s2, 0x54442d18
	s_mov_b32 s3, 0xbff921fb
	;; [unrolled: 1-line block ×3, first 2 shown]
	s_delay_alu instid0(VALU_DEP_1) | instskip(SKIP_1) | instid1(VALU_DEP_1)
	v_rndne_f64_e32 v[20:21], v[16:17]
	s_wait_alu 0xfffe
	v_fma_f64 v[16:17], v[20:21], s[2:3], |v[6:7]|
	v_mul_f64_e32 v[18:19], s[6:7], v[20:21]
	s_mov_b32 s2, 0x252049c0
	s_mov_b32 s3, 0xb97b839a
	v_cvt_i32_f64_e32 v31, v[20:21]
	s_delay_alu instid0(VALU_DEP_3) | instskip(NEXT) | instid1(VALU_DEP_3)
	v_fma_f64 v[24:25], v[20:21], s[6:7], v[16:17]
	v_add_f64_e32 v[22:23], v[16:17], v[18:19]
	s_mov_b32 s7, 0x3c91a626
	s_delay_alu instid0(VALU_DEP_1) | instskip(NEXT) | instid1(VALU_DEP_3)
	v_add_f64_e64 v[16:17], v[16:17], -v[22:23]
	v_add_f64_e64 v[22:23], v[22:23], -v[24:25]
	s_delay_alu instid0(VALU_DEP_2) | instskip(SKIP_2) | instid1(VALU_DEP_2)
	v_add_f64_e32 v[16:17], v[16:17], v[18:19]
	s_wait_alu 0xfffe
	v_fma_f64 v[18:19], v[20:21], s[6:7], v[18:19]
	v_add_f64_e32 v[16:17], v[22:23], v[16:17]
	s_delay_alu instid0(VALU_DEP_1) | instskip(NEXT) | instid1(VALU_DEP_1)
	v_add_f64_e64 v[16:17], v[16:17], -v[18:19]
	v_fma_f64 v[18:19], v[20:21], s[2:3], v[16:17]
	s_delay_alu instid0(VALU_DEP_1) | instskip(NEXT) | instid1(VALU_DEP_1)
	v_add_f64_e32 v[16:17], v[24:25], v[18:19]
	v_add_f64_e64 v[22:23], v[16:17], -v[24:25]
	s_delay_alu instid0(VALU_DEP_1)
	v_add_f64_e64 v[18:19], v[18:19], -v[22:23]
.LBB180_39:
	s_wait_alu 0xfffe
	s_or_b32 exec_lo, exec_lo, s0
	v_mul_f64_e32 v[20:21], v[0:1], v[0:1]
	v_mul_f64_e32 v[22:23], v[12:13], v[12:13]
	v_mul_f64_e32 v[24:25], v[4:5], v[4:5]
	v_mul_f64_e32 v[26:27], v[16:17], v[16:17]
	s_mov_b32 s0, 0xb42fdfa7
	s_mov_b32 s2, 0xf9a43bb8
	;; [unrolled: 1-line block ×6, first 2 shown]
	v_mul_f64_e32 v[84:85], 0.5, v[2:3]
	v_mul_f64_e32 v[98:99], 0.5, v[14:15]
	;; [unrolled: 1-line block ×4, first 2 shown]
	s_wait_alu 0xfffe
	v_fma_f64 v[32:33], v[20:21], s[2:3], s[0:1]
	v_fma_f64 v[34:35], v[22:23], s[2:3], s[0:1]
	;; [unrolled: 1-line block ×4, first 2 shown]
	s_mov_b32 s0, 0x796cde01
	s_mov_b32 s2, 0x9037ab78
	s_mov_b32 s1, 0x3ec71de3
	s_mov_b32 s3, 0x3e21eeb6
	v_mul_f64_e32 v[50:51], 0.5, v[20:21]
	s_wait_alu 0xfffe
	v_fma_f64 v[48:49], v[20:21], s[6:7], s[2:3]
	v_fma_f64 v[52:53], v[22:23], s[6:7], s[2:3]
	v_mul_f64_e32 v[54:55], 0.5, v[22:23]
	v_fma_f64 v[64:65], v[24:25], s[6:7], s[2:3]
	v_mul_f64_e32 v[66:67], 0.5, v[24:25]
	;; [unrolled: 2-line block ×3, first 2 shown]
	s_mov_b32 s2, 0xa17f65f6
	s_mov_b32 s3, 0xbe927e4f
	;; [unrolled: 1-line block ×4, first 2 shown]
	v_mul_f64_e64 v[100:101], v[0:1], -v[20:21]
	v_mul_f64_e64 v[102:103], v[12:13], -v[22:23]
	;; [unrolled: 1-line block ×4, first 2 shown]
	v_fma_f64 v[32:33], v[20:21], v[32:33], s[0:1]
	v_fma_f64 v[34:35], v[22:23], v[34:35], s[0:1]
	;; [unrolled: 1-line block ×4, first 2 shown]
	s_mov_b32 s0, 0x19e83e5c
	s_mov_b32 s1, 0xbf2a01a0
	v_add_f64_e64 v[80:81], -v[50:51], 1.0
	s_wait_alu 0xfffe
	v_fma_f64 v[48:49], v[20:21], v[48:49], s[2:3]
	v_fma_f64 v[52:53], v[22:23], v[52:53], s[2:3]
	v_add_f64_e64 v[82:83], -v[54:55], 1.0
	v_fma_f64 v[64:65], v[24:25], v[64:65], s[2:3]
	v_add_f64_e64 v[86:87], -v[66:67], 1.0
	;; [unrolled: 2-line block ×3, first 2 shown]
	v_cmp_class_f64_e64 s2, v[6:7], 0x1f8
	v_lshlrev_b32_e32 v6, 30, v28
	s_delay_alu instid0(VALU_DEP_1) | instskip(NEXT) | instid1(VALU_DEP_1)
	v_xor_b32_e32 v6, v6, v9
	v_and_b32_e32 v6, 0x80000000, v6
	v_fma_f64 v[32:33], v[20:21], v[32:33], s[0:1]
	v_fma_f64 v[34:35], v[22:23], v[34:35], s[0:1]
	;; [unrolled: 1-line block ×4, first 2 shown]
	s_mov_b32 s0, 0x19f4ec90
	s_mov_b32 s1, 0x3efa01a0
	v_add_f64_e64 v[112:113], -v[80:81], 1.0
	s_wait_alu 0xfffe
	v_fma_f64 v[48:49], v[20:21], v[48:49], s[0:1]
	v_fma_f64 v[52:53], v[22:23], v[52:53], s[0:1]
	v_add_f64_e64 v[114:115], -v[82:83], 1.0
	v_fma_f64 v[64:65], v[24:25], v[64:65], s[0:1]
	v_add_f64_e64 v[132:133], -v[86:87], 1.0
	;; [unrolled: 2-line block ×3, first 2 shown]
	s_mov_b32 s0, 0x16c16967
	s_mov_b32 s1, 0xbf56c16c
	v_fma_f64 v[32:33], v[20:21], v[32:33], s[6:7]
	v_fma_f64 v[34:35], v[22:23], v[34:35], s[6:7]
	;; [unrolled: 1-line block ×4, first 2 shown]
	s_mov_b32 s6, 0x55555555
	s_mov_b32 s7, 0xbfc55555
	v_add_f64_e64 v[50:51], v[112:113], -v[50:51]
	s_wait_alu 0xfffe
	v_fma_f64 v[48:49], v[20:21], v[48:49], s[0:1]
	v_fma_f64 v[52:53], v[22:23], v[52:53], s[0:1]
	v_add_f64_e64 v[54:55], v[114:115], -v[54:55]
	v_fma_f64 v[64:65], v[24:25], v[64:65], s[0:1]
	v_add_f64_e64 v[66:67], v[132:133], -v[66:67]
	;; [unrolled: 2-line block ×3, first 2 shown]
	s_mov_b32 s1, 0x3fa55555
	s_mov_b32 s0, s6
	v_fma_f64 v[32:33], v[100:101], v[32:33], v[84:85]
	v_fma_f64 v[34:35], v[102:103], v[34:35], v[98:99]
	;; [unrolled: 1-line block ×4, first 2 shown]
	v_mul_f64_e32 v[84:85], v[20:21], v[20:21]
	v_mul_f64_e32 v[98:99], v[22:23], v[22:23]
	v_fma_f64 v[50:51], v[0:1], -v[2:3], v[50:51]
	s_wait_alu 0xfffe
	v_fma_f64 v[48:49], v[20:21], v[48:49], s[0:1]
	v_fma_f64 v[2:3], v[20:21], v[32:33], -v[2:3]
	v_fma_f64 v[20:21], v[22:23], v[52:53], s[0:1]
	v_fma_f64 v[32:33], v[12:13], -v[14:15], v[54:55]
	v_fma_f64 v[14:15], v[22:23], v[34:35], -v[14:15]
	v_fma_f64 v[34:35], v[24:25], v[36:37], -v[10:11]
	v_mul_f64_e32 v[22:23], v[24:25], v[24:25]
	v_fma_f64 v[24:25], v[24:25], v[64:65], s[0:1]
	v_fma_f64 v[10:11], v[4:5], -v[10:11], v[66:67]
	v_fma_f64 v[36:37], v[26:27], v[38:39], -v[18:19]
	v_mul_f64_e32 v[38:39], v[26:27], v[26:27]
	v_fma_f64 v[26:27], v[26:27], v[68:69], s[0:1]
	v_fma_f64 v[18:19], v[16:17], -v[18:19], v[70:71]
	v_fma_f64 v[48:49], v[84:85], v[48:49], v[50:51]
	v_cmp_class_f64_e64 s0, v[8:9], 0x1f8
	v_lshlrev_b32_e32 v8, 30, v30
	s_delay_alu instid0(VALU_DEP_1) | instskip(SKIP_1) | instid1(VALU_DEP_2)
	v_xor_b32_e32 v7, v8, v7
	v_and_b32_e32 v8, 1, v31
	v_and_b32_e32 v7, 0x80000000, v7
	s_delay_alu instid0(VALU_DEP_2)
	v_cmp_eq_u32_e64 s4, 0, v8
	v_fma_f64 v[2:3], v[100:101], s[6:7], v[2:3]
	v_fma_f64 v[20:21], v[98:99], v[20:21], v[32:33]
	;; [unrolled: 1-line block ×7, first 2 shown]
	v_add_f64_e32 v[24:25], v[80:81], v[48:49]
	v_add_f64_e64 v[0:1], v[0:1], -v[2:3]
	v_add_f64_e32 v[2:3], v[82:83], v[20:21]
	v_add_f64_e64 v[12:13], v[12:13], -v[14:15]
	v_add_f64_e64 v[4:5], v[4:5], -v[32:33]
	v_add_f64_e32 v[10:11], v[86:87], v[10:11]
	v_add_f64_e64 v[14:15], v[16:17], -v[22:23]
	v_add_f64_e32 v[16:17], v[96:97], v[18:19]
	v_and_b32_e32 v18, 1, v28
	s_delay_alu instid0(VALU_DEP_1) | instskip(SKIP_3) | instid1(VALU_DEP_1)
	v_cmp_eq_u32_e32 vcc_lo, 0, v18
	v_and_b32_e32 v19, 1, v30
	v_lshlrev_b32_e32 v18, 30, v29
	s_wait_alu 0xfffd
	v_dual_cndmask_b32 v0, v24, v0 :: v_dual_and_b32 v9, 0x80000000, v18
	s_delay_alu instid0(VALU_DEP_3)
	v_cmp_eq_u32_e64 s1, 0, v19
	v_cndmask_b32_e32 v1, v25, v1, vcc_lo
	v_xor_b32_e32 v5, 0x80000000, v5
	s_wait_alu 0xf1ff
	v_cndmask_b32_e64 v0, 0, v0, s0
	v_cndmask_b32_e64 v2, v2, v12, s1
	v_and_b32_e32 v12, 1, v29
	v_xor_b32_e32 v8, 0x80000000, v15
	v_xor_b32_e32 v1, v1, v6
	v_cndmask_b32_e64 v3, v3, v13, s1
	v_cndmask_b32_e64 v2, 0, v2, s2
	v_cmp_eq_u32_e64 s3, 0, v12
	v_cndmask_b32_e64 v6, v8, v17, s4
	v_cndmask_b32_e64 v1, 0x7ff80000, v1, s0
	v_xor_b32_e32 v3, v3, v7
	s_wait_alu 0xf1ff
	v_cndmask_b32_e64 v5, v5, v11, s3
	v_cndmask_b32_e64 v4, v4, v10, s3
	;; [unrolled: 1-line block ×4, first 2 shown]
	s_delay_alu instid0(VALU_DEP_4) | instskip(NEXT) | instid1(VALU_DEP_4)
	v_xor_b32_e32 v5, v5, v9
	v_cndmask_b32_e64 v4, 0, v4, s0
	s_delay_alu instid0(VALU_DEP_2) | instskip(SKIP_1) | instid1(VALU_DEP_2)
	v_cndmask_b32_e64 v5, 0x7ff80000, v5, s0
	v_cmp_neq_f64_e64 s0, 0, v[0:1]
	v_mul_f64_e32 v[8:9], 0x7ff00000, v[4:5]
	v_cmp_neq_f64_e32 vcc_lo, 0, v[4:5]
	v_lshlrev_b32_e32 v19, 30, v31
	v_mul_f64_e32 v[4:5], 0x7ff00000, v[0:1]
	s_delay_alu instid0(VALU_DEP_2) | instskip(NEXT) | instid1(VALU_DEP_1)
	v_and_b32_e32 v18, 0x80000000, v19
	v_xor_b32_e32 v7, v6, v18
	v_cndmask_b32_e64 v6, 0, v10, s2
	s_delay_alu instid0(VALU_DEP_2) | instskip(SKIP_1) | instid1(VALU_DEP_2)
	v_cndmask_b32_e64 v7, 0x7ff80000, v7, s2
	v_cmp_neq_f64_e64 s2, 0, v[2:3]
	v_mul_f64_e32 v[0:1], 0x7ff00000, v[6:7]
	v_cmp_neq_f64_e64 s1, 0, v[6:7]
	v_mul_f64_e32 v[6:7], 0x7ff00000, v[2:3]
	s_wait_alu 0xfffd
	v_dual_cndmask_b32 v3, 0, v9 :: v_dual_cndmask_b32 v2, 0, v8
	s_wait_alu 0xf1ff
	v_cndmask_b32_e64 v5, 0, v5, s0
	v_cndmask_b32_e64 v4, 0, v4, s0
	;; [unrolled: 1-line block ×6, first 2 shown]
	s_delay_alu instid0(VALU_DEP_3) | instskip(NEXT) | instid1(VALU_DEP_2)
	v_add_f64_e32 v[2:3], v[2:3], v[0:1]
	v_add_f64_e32 v[0:1], v[4:5], v[6:7]
	s_delay_alu instid0(VALU_DEP_2) | instskip(NEXT) | instid1(VALU_DEP_2)
	v_add_f64_e32 v[10:11], -1.0, v[2:3]
	v_max_num_f64_e64 v[4:5], |v[0:1]|, |v[0:1]|
	v_cmp_class_f64_e64 s4, v[0:1], 0x204
	s_delay_alu instid0(VALU_DEP_3) | instskip(NEXT) | instid1(VALU_DEP_3)
	v_cmp_class_f64_e64 s2, v[10:11], 0x204
	v_max_num_f64_e64 v[2:3], |v[10:11]|, v[4:5]
	s_or_b32 s2, s4, s2
	s_delay_alu instid0(VALU_DEP_1) | instskip(NEXT) | instid1(VALU_DEP_1)
	v_frexp_exp_i32_f64_e32 v14, v[2:3]
	v_sub_nc_u32_e32 v6, 0, v14
	s_delay_alu instid0(VALU_DEP_1) | instskip(SKIP_1) | instid1(VALU_DEP_2)
	v_ldexp_f64 v[2:3], |v[0:1]|, v6
	v_ldexp_f64 v[6:7], |v[10:11]|, v6
	v_mul_f64_e32 v[2:3], v[2:3], v[2:3]
	s_delay_alu instid0(VALU_DEP_1) | instskip(NEXT) | instid1(VALU_DEP_1)
	v_fma_f64 v[2:3], v[6:7], v[6:7], v[2:3]
	v_rsq_f64_e32 v[6:7], v[2:3]
	v_cmp_eq_f64_e32 vcc_lo, 0, v[2:3]
	s_delay_alu instid0(TRANS32_DEP_1) | instskip(SKIP_1) | instid1(VALU_DEP_1)
	v_mul_f64_e32 v[8:9], v[2:3], v[6:7]
	v_mul_f64_e32 v[6:7], 0.5, v[6:7]
	v_fma_f64 v[12:13], -v[6:7], v[8:9], 0.5
	s_delay_alu instid0(VALU_DEP_1) | instskip(SKIP_1) | instid1(VALU_DEP_2)
	v_fma_f64 v[8:9], v[8:9], v[12:13], v[8:9]
	v_fma_f64 v[6:7], v[6:7], v[12:13], v[6:7]
	v_fma_f64 v[12:13], -v[8:9], v[8:9], v[2:3]
	s_delay_alu instid0(VALU_DEP_1) | instskip(SKIP_1) | instid1(VALU_DEP_1)
	v_fma_f64 v[6:7], v[12:13], v[6:7], v[8:9]
	s_wait_alu 0xfffd
	v_dual_cndmask_b32 v7, v7, v3 :: v_dual_cndmask_b32 v6, v6, v2
	v_add_f64_e32 v[2:3], 1.0, v[10:11]
	v_cmp_u_f64_e32 vcc_lo, v[10:11], v[0:1]
	s_delay_alu instid0(VALU_DEP_3) | instskip(NEXT) | instid1(VALU_DEP_3)
	v_ldexp_f64 v[8:9], v[6:7], v14
	v_max_num_f64_e64 v[6:7], |v[2:3]|, v[4:5]
	v_cmp_u_f64_e64 s0, v[2:3], v[0:1]
	v_cmp_class_f64_e64 s9, v[2:3], 0x204
	s_wait_alu 0xfffe
	s_or_b32 s2, s2, vcc_lo
	v_cmp_ngt_f64_e64 s1, 0.5, v[8:9]
	s_wait_alu 0xfffe
	s_or_b32 s1, s2, s1
	s_wait_alu 0xfffe
	s_and_saveexec_b32 s2, s1
	s_wait_alu 0xfffe
	s_xor_b32 s1, exec_lo, s2
	s_cbranch_execz .LBB180_41
; %bb.40:
	v_frexp_exp_i32_f64_e32 v16, v[6:7]
	s_or_b32 s2, s4, s9
	s_mov_b32 s7, 0x3fe55555
	s_mov_b32 s12, 0xbf559e2b
	;; [unrolled: 1-line block ×3, first 2 shown]
	s_delay_alu instid0(VALU_DEP_1) | instskip(NEXT) | instid1(VALU_DEP_1)
	v_sub_nc_u32_e32 v10, 0, v16
	v_ldexp_f64 v[8:9], |v[0:1]|, v10
	v_ldexp_f64 v[10:11], |v[2:3]|, v10
	s_delay_alu instid0(VALU_DEP_2) | instskip(NEXT) | instid1(VALU_DEP_1)
	v_mul_f64_e32 v[8:9], v[8:9], v[8:9]
	v_fma_f64 v[8:9], v[10:11], v[10:11], v[8:9]
	s_delay_alu instid0(VALU_DEP_1) | instskip(SKIP_1) | instid1(TRANS32_DEP_1)
	v_rsq_f64_e32 v[10:11], v[8:9]
	v_cmp_eq_f64_e32 vcc_lo, 0, v[8:9]
	v_mul_f64_e32 v[12:13], v[8:9], v[10:11]
	v_mul_f64_e32 v[10:11], 0.5, v[10:11]
	s_delay_alu instid0(VALU_DEP_1) | instskip(NEXT) | instid1(VALU_DEP_1)
	v_fma_f64 v[14:15], -v[10:11], v[12:13], 0.5
	v_fma_f64 v[12:13], v[12:13], v[14:15], v[12:13]
	v_fma_f64 v[10:11], v[10:11], v[14:15], v[10:11]
	s_delay_alu instid0(VALU_DEP_2) | instskip(NEXT) | instid1(VALU_DEP_1)
	v_fma_f64 v[14:15], -v[12:13], v[12:13], v[8:9]
	v_fma_f64 v[10:11], v[14:15], v[10:11], v[12:13]
	s_wait_alu 0xfffd
	s_delay_alu instid0(VALU_DEP_1) | instskip(NEXT) | instid1(VALU_DEP_1)
	v_dual_cndmask_b32 v9, v11, v9 :: v_dual_cndmask_b32 v8, v10, v8
	v_ldexp_f64 v[8:9], v[8:9], v16
	s_delay_alu instid0(VALU_DEP_1) | instskip(SKIP_1) | instid1(VALU_DEP_1)
	v_cndmask_b32_e64 v9, v9, 0x7ff80000, s0
	s_wait_alu 0xfffe
	v_cndmask_b32_e64 v9, v9, 0x7ff00000, s2
	s_or_b32 s2, s2, s0
	s_wait_alu 0xfffe
	s_delay_alu instid0(VALU_DEP_3) | instskip(SKIP_2) | instid1(VALU_DEP_1)
	v_cndmask_b32_e64 v8, v8, 0, s2
	s_mov_b32 s2, 0x6b47b09a
	s_mov_b32 s3, 0x3fc38538
	v_frexp_mant_f64_e32 v[10:11], v[8:9]
	s_delay_alu instid0(VALU_DEP_1) | instskip(SKIP_3) | instid1(VALU_DEP_1)
	v_cmp_gt_f64_e32 vcc_lo, s[6:7], v[10:11]
	s_mov_b32 s6, 0x55555780
	s_wait_alu 0xfffd
	v_cndmask_b32_e64 v12, 0, 1, vcc_lo
	v_ldexp_f64 v[10:11], v[10:11], v12
	s_delay_alu instid0(VALU_DEP_1) | instskip(SKIP_1) | instid1(VALU_DEP_2)
	v_add_f64_e32 v[12:13], 1.0, v[10:11]
	v_add_f64_e32 v[18:19], -1.0, v[10:11]
	v_rcp_f64_e32 v[14:15], v[12:13]
	v_add_f64_e32 v[20:21], -1.0, v[12:13]
	s_delay_alu instid0(VALU_DEP_1) | instskip(NEXT) | instid1(TRANS32_DEP_1)
	v_add_f64_e64 v[10:11], v[10:11], -v[20:21]
	v_fma_f64 v[16:17], -v[12:13], v[14:15], 1.0
	s_delay_alu instid0(VALU_DEP_1) | instskip(NEXT) | instid1(VALU_DEP_1)
	v_fma_f64 v[14:15], v[16:17], v[14:15], v[14:15]
	v_fma_f64 v[16:17], -v[12:13], v[14:15], 1.0
	s_delay_alu instid0(VALU_DEP_1) | instskip(NEXT) | instid1(VALU_DEP_1)
	v_fma_f64 v[14:15], v[16:17], v[14:15], v[14:15]
	v_mul_f64_e32 v[16:17], v[18:19], v[14:15]
	s_delay_alu instid0(VALU_DEP_1) | instskip(NEXT) | instid1(VALU_DEP_1)
	v_mul_f64_e32 v[22:23], v[12:13], v[16:17]
	v_fma_f64 v[12:13], v[16:17], v[12:13], -v[22:23]
	s_delay_alu instid0(VALU_DEP_1) | instskip(NEXT) | instid1(VALU_DEP_1)
	v_fma_f64 v[10:11], v[16:17], v[10:11], v[12:13]
	v_add_f64_e32 v[12:13], v[22:23], v[10:11]
	s_delay_alu instid0(VALU_DEP_1) | instskip(SKIP_1) | instid1(VALU_DEP_2)
	v_add_f64_e64 v[20:21], v[18:19], -v[12:13]
	v_add_f64_e64 v[22:23], v[12:13], -v[22:23]
	;; [unrolled: 1-line block ×3, first 2 shown]
	s_delay_alu instid0(VALU_DEP_2) | instskip(SKIP_1) | instid1(VALU_DEP_3)
	v_add_f64_e64 v[10:11], v[22:23], -v[10:11]
	v_frexp_exp_i32_f64_e32 v22, v[8:9]
	v_add_f64_e64 v[12:13], v[18:19], -v[12:13]
	s_delay_alu instid0(VALU_DEP_1) | instskip(NEXT) | instid1(VALU_DEP_1)
	v_add_f64_e32 v[10:11], v[10:11], v[12:13]
	v_add_f64_e32 v[10:11], v[20:21], v[10:11]
	s_delay_alu instid0(VALU_DEP_1) | instskip(NEXT) | instid1(VALU_DEP_1)
	v_mul_f64_e32 v[10:11], v[14:15], v[10:11]
	v_add_f64_e32 v[12:13], v[16:17], v[10:11]
	s_delay_alu instid0(VALU_DEP_1) | instskip(SKIP_1) | instid1(VALU_DEP_1)
	v_mul_f64_e32 v[14:15], v[12:13], v[12:13]
	s_wait_alu 0xfffe
	v_fma_f64 v[18:19], v[14:15], s[12:13], s[2:3]
	s_mov_b32 s2, 0xd7f4df2e
	s_mov_b32 s3, 0x3fc7474d
	v_mul_f64_e32 v[20:21], v[12:13], v[14:15]
	s_wait_alu 0xfffe
	s_delay_alu instid0(VALU_DEP_2) | instskip(SKIP_3) | instid1(VALU_DEP_1)
	v_fma_f64 v[18:19], v[14:15], v[18:19], s[2:3]
	s_mov_b32 s2, 0x16291751
	s_mov_b32 s3, 0x3fcc71c0
	s_wait_alu 0xfffe
	v_fma_f64 v[18:19], v[14:15], v[18:19], s[2:3]
	s_mov_b32 s2, 0x9b27acf1
	s_mov_b32 s3, 0x3fd24924
	s_wait_alu 0xfffe
	s_delay_alu instid0(VALU_DEP_1) | instskip(SKIP_3) | instid1(VALU_DEP_1)
	v_fma_f64 v[18:19], v[14:15], v[18:19], s[2:3]
	s_mov_b32 s2, 0x998ef7b6
	s_mov_b32 s3, 0x3fd99999
	s_wait_alu 0xfffe
	v_fma_f64 v[18:19], v[14:15], v[18:19], s[2:3]
	s_mov_b32 s2, 0xfefa39ef
	s_mov_b32 s3, 0x3fe62e42
	s_delay_alu instid0(VALU_DEP_1) | instskip(SKIP_2) | instid1(VALU_DEP_3)
	v_fma_f64 v[14:15], v[14:15], v[18:19], s[6:7]
	v_ldexp_f64 v[18:19], v[12:13], 1
	v_add_f64_e64 v[12:13], v[12:13], -v[16:17]
	v_mul_f64_e32 v[14:15], v[20:21], v[14:15]
	v_subrev_co_ci_u32_e64 v20, null, 0, v22, vcc_lo
	s_delay_alu instid0(VALU_DEP_3) | instskip(SKIP_1) | instid1(VALU_DEP_3)
	v_add_f64_e64 v[10:11], v[10:11], -v[12:13]
	v_cmp_class_f64_e64 vcc_lo, v[8:9], 0x204
	v_cvt_f64_i32_e32 v[20:21], v20
	v_add_f64_e32 v[16:17], v[18:19], v[14:15]
	s_delay_alu instid0(VALU_DEP_4) | instskip(SKIP_1) | instid1(VALU_DEP_3)
	v_ldexp_f64 v[10:11], v[10:11], 1
	s_wait_alu 0xfffe
	v_mul_f64_e32 v[22:23], s[2:3], v[20:21]
	s_delay_alu instid0(VALU_DEP_3) | instskip(NEXT) | instid1(VALU_DEP_2)
	v_add_f64_e64 v[12:13], v[16:17], -v[18:19]
	v_fma_f64 v[18:19], v[20:21], s[2:3], -v[22:23]
	s_mov_b32 s2, 0x3b39803f
	s_mov_b32 s3, 0x3c7abc9e
	s_delay_alu instid0(VALU_DEP_2) | instskip(SKIP_1) | instid1(VALU_DEP_2)
	v_add_f64_e64 v[12:13], v[14:15], -v[12:13]
	s_wait_alu 0xfffe
	v_fma_f64 v[14:15], v[20:21], s[2:3], v[18:19]
	s_delay_alu instid0(VALU_DEP_2) | instskip(NEXT) | instid1(VALU_DEP_2)
	v_add_f64_e32 v[10:11], v[10:11], v[12:13]
	v_add_f64_e32 v[12:13], v[22:23], v[14:15]
	s_delay_alu instid0(VALU_DEP_2) | instskip(NEXT) | instid1(VALU_DEP_2)
	v_add_f64_e32 v[18:19], v[16:17], v[10:11]
	v_add_f64_e64 v[22:23], v[12:13], -v[22:23]
	s_delay_alu instid0(VALU_DEP_2) | instskip(SKIP_1) | instid1(VALU_DEP_3)
	v_add_f64_e32 v[20:21], v[12:13], v[18:19]
	v_add_f64_e64 v[16:17], v[18:19], -v[16:17]
	v_add_f64_e64 v[14:15], v[14:15], -v[22:23]
	s_delay_alu instid0(VALU_DEP_3) | instskip(NEXT) | instid1(VALU_DEP_3)
	v_add_f64_e64 v[24:25], v[20:21], -v[12:13]
	v_add_f64_e64 v[10:11], v[10:11], -v[16:17]
	s_delay_alu instid0(VALU_DEP_2) | instskip(SKIP_1) | instid1(VALU_DEP_3)
	v_add_f64_e64 v[26:27], v[20:21], -v[24:25]
	v_add_f64_e64 v[16:17], v[18:19], -v[24:25]
	v_add_f64_e32 v[18:19], v[14:15], v[10:11]
	s_delay_alu instid0(VALU_DEP_3) | instskip(NEXT) | instid1(VALU_DEP_1)
	v_add_f64_e64 v[12:13], v[12:13], -v[26:27]
	v_add_f64_e32 v[12:13], v[16:17], v[12:13]
	s_delay_alu instid0(VALU_DEP_3) | instskip(NEXT) | instid1(VALU_DEP_2)
	v_add_f64_e64 v[16:17], v[18:19], -v[14:15]
	v_add_f64_e32 v[12:13], v[18:19], v[12:13]
	s_delay_alu instid0(VALU_DEP_2) | instskip(SKIP_1) | instid1(VALU_DEP_3)
	v_add_f64_e64 v[18:19], v[18:19], -v[16:17]
	v_add_f64_e64 v[10:11], v[10:11], -v[16:17]
	v_add_f64_e32 v[22:23], v[20:21], v[12:13]
	s_delay_alu instid0(VALU_DEP_3) | instskip(NEXT) | instid1(VALU_DEP_2)
	v_add_f64_e64 v[14:15], v[14:15], -v[18:19]
	v_add_f64_e64 v[16:17], v[22:23], -v[20:21]
	s_delay_alu instid0(VALU_DEP_2) | instskip(NEXT) | instid1(VALU_DEP_2)
	v_add_f64_e32 v[10:11], v[10:11], v[14:15]
	v_add_f64_e64 v[12:13], v[12:13], -v[16:17]
	s_delay_alu instid0(VALU_DEP_1) | instskip(NEXT) | instid1(VALU_DEP_1)
	v_add_f64_e32 v[10:11], v[10:11], v[12:13]
	v_add_f64_e32 v[10:11], v[22:23], v[10:11]
	s_wait_alu 0xfffd
	s_delay_alu instid0(VALU_DEP_1) | instskip(SKIP_2) | instid1(VALU_DEP_2)
	v_dual_cndmask_b32 v10, v10, v8 :: v_dual_cndmask_b32 v11, v11, v9
	v_cmp_ngt_f64_e32 vcc_lo, 0, v[8:9]
	s_wait_alu 0xfffd
	v_cndmask_b32_e32 v11, 0x7ff80000, v11, vcc_lo
	v_cmp_nge_f64_e32 vcc_lo, 0, v[8:9]
	s_wait_alu 0xfffd
	v_cndmask_b32_e32 v10, 0, v10, vcc_lo
	v_cmp_neq_f64_e32 vcc_lo, 0, v[8:9]
	s_wait_alu 0xfffd
	v_cndmask_b32_e32 v11, 0xfff00000, v11, vcc_lo
.LBB180_41:
	s_wait_alu 0xfffe
	s_and_not1_saveexec_b32 s6, s1
	s_cbranch_execz .LBB180_45
; %bb.42:
	s_delay_alu instid0(VALU_DEP_1) | instskip(SKIP_1) | instid1(VALU_DEP_1)
	v_add_f64_e32 v[8:9], 2.0, v[10:11]
	s_mov_b32 s7, exec_lo
	v_mul_f64_e32 v[8:9], v[10:11], v[8:9]
	s_delay_alu instid0(VALU_DEP_1) | instskip(NEXT) | instid1(VALU_DEP_1)
	v_fma_f64 v[8:9], v[0:1], v[0:1], v[8:9]
	v_cmpx_neq_f64_e32 0, v[8:9]
	s_cbranch_execz .LBB180_44
; %bb.43:
	v_add_f64_e32 v[10:11], 1.0, v[8:9]
	s_mov_b32 s3, 0x3fe55555
	s_mov_b32 s2, 0x55555555
	;; [unrolled: 1-line block ×6, first 2 shown]
	v_cmp_neq_f64_e64 s1, 0x7ff00000, v[8:9]
	s_delay_alu instid0(VALU_DEP_2) | instskip(SKIP_3) | instid1(VALU_DEP_3)
	v_frexp_mant_f64_e32 v[12:13], v[10:11]
	v_frexp_exp_i32_f64_e32 v16, v[10:11]
	v_add_f64_e32 v[14:15], -1.0, v[10:11]
	s_wait_alu 0xfffe
	v_cmp_gt_f64_e32 vcc_lo, s[2:3], v[12:13]
	s_mov_b32 s2, 0x55555780
	s_delay_alu instid0(VALU_DEP_2) | instskip(SKIP_3) | instid1(VALU_DEP_3)
	v_add_f64_e64 v[12:13], v[14:15], -v[10:11]
	v_add_f64_e64 v[14:15], v[8:9], -v[14:15]
	s_wait_alu 0xfffd
	v_subrev_co_ci_u32_e64 v32, null, 0, v16, vcc_lo
	v_add_f64_e32 v[12:13], 1.0, v[12:13]
	v_cmp_nge_f64_e32 vcc_lo, -1.0, v[8:9]
	s_delay_alu instid0(VALU_DEP_3) | instskip(NEXT) | instid1(VALU_DEP_1)
	v_sub_nc_u32_e32 v18, 0, v32
	v_ldexp_f64 v[10:11], v[10:11], v18
	s_delay_alu instid0(VALU_DEP_4) | instskip(SKIP_1) | instid1(VALU_DEP_2)
	v_add_f64_e32 v[12:13], v[14:15], v[12:13]
	s_and_b32 vcc_lo, vcc_lo, s1
	v_add_f64_e32 v[16:17], 1.0, v[10:11]
	v_add_f64_e32 v[22:23], -1.0, v[10:11]
	s_delay_alu instid0(VALU_DEP_3) | instskip(NEXT) | instid1(VALU_DEP_3)
	v_ldexp_f64 v[12:13], v[12:13], v18
	v_add_f64_e32 v[14:15], -1.0, v[16:17]
	s_delay_alu instid0(VALU_DEP_3) | instskip(NEXT) | instid1(VALU_DEP_2)
	v_add_f64_e32 v[24:25], 1.0, v[22:23]
	v_add_f64_e64 v[14:15], v[10:11], -v[14:15]
	s_delay_alu instid0(VALU_DEP_2) | instskip(NEXT) | instid1(VALU_DEP_2)
	v_add_f64_e64 v[10:11], v[10:11], -v[24:25]
	v_add_f64_e32 v[14:15], v[12:13], v[14:15]
	s_delay_alu instid0(VALU_DEP_2) | instskip(NEXT) | instid1(VALU_DEP_2)
	v_add_f64_e32 v[10:11], v[12:13], v[10:11]
	v_add_f64_e32 v[18:19], v[16:17], v[14:15]
	s_delay_alu instid0(VALU_DEP_2) | instskip(NEXT) | instid1(VALU_DEP_2)
	v_add_f64_e32 v[24:25], v[22:23], v[10:11]
	v_rcp_f64_e32 v[20:21], v[18:19]
	v_add_f64_e64 v[16:17], v[18:19], -v[16:17]
	s_delay_alu instid0(VALU_DEP_2) | instskip(NEXT) | instid1(VALU_DEP_2)
	v_add_f64_e64 v[22:23], v[24:25], -v[22:23]
	v_add_f64_e64 v[14:15], v[14:15], -v[16:17]
	s_delay_alu instid0(TRANS32_DEP_1) | instskip(NEXT) | instid1(VALU_DEP_3)
	v_fma_f64 v[26:27], -v[18:19], v[20:21], 1.0
	v_add_f64_e64 v[10:11], v[10:11], -v[22:23]
	s_delay_alu instid0(VALU_DEP_2) | instskip(NEXT) | instid1(VALU_DEP_1)
	v_fma_f64 v[20:21], v[26:27], v[20:21], v[20:21]
	v_fma_f64 v[12:13], -v[18:19], v[20:21], 1.0
	s_delay_alu instid0(VALU_DEP_1) | instskip(NEXT) | instid1(VALU_DEP_1)
	v_fma_f64 v[12:13], v[12:13], v[20:21], v[20:21]
	v_mul_f64_e32 v[20:21], v[24:25], v[12:13]
	s_delay_alu instid0(VALU_DEP_1) | instskip(NEXT) | instid1(VALU_DEP_1)
	v_mul_f64_e32 v[26:27], v[18:19], v[20:21]
	v_fma_f64 v[16:17], v[20:21], v[18:19], -v[26:27]
	s_delay_alu instid0(VALU_DEP_1) | instskip(NEXT) | instid1(VALU_DEP_1)
	v_fma_f64 v[16:17], v[20:21], v[14:15], v[16:17]
	v_add_f64_e32 v[28:29], v[26:27], v[16:17]
	s_delay_alu instid0(VALU_DEP_1) | instskip(SKIP_1) | instid1(VALU_DEP_2)
	v_add_f64_e64 v[30:31], v[24:25], -v[28:29]
	v_add_f64_e64 v[22:23], v[28:29], -v[26:27]
	;; [unrolled: 1-line block ×3, first 2 shown]
	s_delay_alu instid0(VALU_DEP_2) | instskip(NEXT) | instid1(VALU_DEP_2)
	v_add_f64_e64 v[16:17], v[22:23], -v[16:17]
	v_add_f64_e64 v[24:25], v[24:25], -v[28:29]
	s_delay_alu instid0(VALU_DEP_1) | instskip(NEXT) | instid1(VALU_DEP_1)
	v_add_f64_e32 v[10:11], v[10:11], v[24:25]
	v_add_f64_e32 v[10:11], v[16:17], v[10:11]
	s_delay_alu instid0(VALU_DEP_1) | instskip(NEXT) | instid1(VALU_DEP_1)
	v_add_f64_e32 v[16:17], v[30:31], v[10:11]
	v_mul_f64_e32 v[22:23], v[12:13], v[16:17]
	v_add_f64_e64 v[28:29], v[30:31], -v[16:17]
	s_delay_alu instid0(VALU_DEP_2) | instskip(NEXT) | instid1(VALU_DEP_2)
	v_mul_f64_e32 v[24:25], v[18:19], v[22:23]
	v_add_f64_e32 v[10:11], v[10:11], v[28:29]
	s_delay_alu instid0(VALU_DEP_2) | instskip(NEXT) | instid1(VALU_DEP_1)
	v_fma_f64 v[18:19], v[22:23], v[18:19], -v[24:25]
	v_fma_f64 v[14:15], v[22:23], v[14:15], v[18:19]
	s_delay_alu instid0(VALU_DEP_1) | instskip(NEXT) | instid1(VALU_DEP_1)
	v_add_f64_e32 v[18:19], v[24:25], v[14:15]
	v_add_f64_e64 v[26:27], v[16:17], -v[18:19]
	v_add_f64_e64 v[24:25], v[18:19], -v[24:25]
	s_delay_alu instid0(VALU_DEP_2) | instskip(NEXT) | instid1(VALU_DEP_2)
	v_add_f64_e64 v[16:17], v[16:17], -v[26:27]
	v_add_f64_e64 v[14:15], v[24:25], -v[14:15]
	s_delay_alu instid0(VALU_DEP_2) | instskip(NEXT) | instid1(VALU_DEP_1)
	v_add_f64_e64 v[16:17], v[16:17], -v[18:19]
	v_add_f64_e32 v[10:11], v[10:11], v[16:17]
	v_add_f64_e32 v[16:17], v[20:21], v[22:23]
	s_delay_alu instid0(VALU_DEP_2) | instskip(NEXT) | instid1(VALU_DEP_2)
	v_add_f64_e32 v[10:11], v[14:15], v[10:11]
	v_add_f64_e64 v[14:15], v[16:17], -v[20:21]
	s_delay_alu instid0(VALU_DEP_2) | instskip(NEXT) | instid1(VALU_DEP_2)
	v_add_f64_e32 v[10:11], v[26:27], v[10:11]
	v_add_f64_e64 v[14:15], v[22:23], -v[14:15]
	s_delay_alu instid0(VALU_DEP_2) | instskip(NEXT) | instid1(VALU_DEP_1)
	v_mul_f64_e32 v[10:11], v[12:13], v[10:11]
	v_add_f64_e32 v[10:11], v[14:15], v[10:11]
	s_delay_alu instid0(VALU_DEP_1) | instskip(NEXT) | instid1(VALU_DEP_1)
	v_add_f64_e32 v[12:13], v[16:17], v[10:11]
	v_mul_f64_e32 v[14:15], v[12:13], v[12:13]
	s_delay_alu instid0(VALU_DEP_1) | instskip(SKIP_4) | instid1(VALU_DEP_2)
	v_fma_f64 v[18:19], v[14:15], s[14:15], s[12:13]
	s_mov_b32 s12, 0xd7f4df2e
	s_mov_b32 s13, 0x3fc7474d
	v_mul_f64_e32 v[20:21], v[12:13], v[14:15]
	s_wait_alu 0xfffe
	v_fma_f64 v[18:19], v[14:15], v[18:19], s[12:13]
	s_mov_b32 s12, 0x16291751
	s_mov_b32 s13, 0x3fcc71c0
	s_wait_alu 0xfffe
	s_delay_alu instid0(VALU_DEP_1) | instskip(SKIP_3) | instid1(VALU_DEP_1)
	v_fma_f64 v[18:19], v[14:15], v[18:19], s[12:13]
	s_mov_b32 s12, 0x9b27acf1
	s_mov_b32 s13, 0x3fd24924
	s_wait_alu 0xfffe
	v_fma_f64 v[18:19], v[14:15], v[18:19], s[12:13]
	s_mov_b32 s12, 0x998ef7b6
	s_mov_b32 s13, 0x3fd99999
	s_wait_alu 0xfffe
	s_delay_alu instid0(VALU_DEP_1) | instskip(NEXT) | instid1(VALU_DEP_1)
	v_fma_f64 v[18:19], v[14:15], v[18:19], s[12:13]
	v_fma_f64 v[14:15], v[14:15], v[18:19], s[2:3]
	v_ldexp_f64 v[18:19], v[12:13], 1
	v_add_f64_e64 v[12:13], v[12:13], -v[16:17]
	s_mov_b32 s2, 0xfefa39ef
	s_mov_b32 s3, 0x3fe62e42
	s_delay_alu instid0(VALU_DEP_3) | instskip(SKIP_1) | instid1(VALU_DEP_3)
	v_mul_f64_e32 v[14:15], v[20:21], v[14:15]
	v_cvt_f64_i32_e32 v[20:21], v32
	v_add_f64_e64 v[10:11], v[10:11], -v[12:13]
	s_delay_alu instid0(VALU_DEP_3) | instskip(SKIP_1) | instid1(VALU_DEP_3)
	v_add_f64_e32 v[16:17], v[18:19], v[14:15]
	s_wait_alu 0xfffe
	v_mul_f64_e32 v[22:23], s[2:3], v[20:21]
	s_delay_alu instid0(VALU_DEP_3) | instskip(NEXT) | instid1(VALU_DEP_3)
	v_ldexp_f64 v[10:11], v[10:11], 1
	v_add_f64_e64 v[12:13], v[16:17], -v[18:19]
	s_delay_alu instid0(VALU_DEP_3) | instskip(SKIP_2) | instid1(VALU_DEP_2)
	v_fma_f64 v[18:19], v[20:21], s[2:3], -v[22:23]
	s_mov_b32 s2, 0x3b39803f
	s_mov_b32 s3, 0x3c7abc9e
	v_add_f64_e64 v[12:13], v[14:15], -v[12:13]
	s_wait_alu 0xfffe
	s_delay_alu instid0(VALU_DEP_2) | instskip(SKIP_1) | instid1(VALU_DEP_3)
	v_fma_f64 v[14:15], v[20:21], s[2:3], v[18:19]
	v_cmp_ngt_f64_e64 s2, -1.0, v[8:9]
	v_add_f64_e32 v[10:11], v[10:11], v[12:13]
	s_delay_alu instid0(VALU_DEP_3) | instskip(NEXT) | instid1(VALU_DEP_2)
	v_add_f64_e32 v[12:13], v[22:23], v[14:15]
	v_add_f64_e32 v[18:19], v[16:17], v[10:11]
	s_delay_alu instid0(VALU_DEP_2) | instskip(NEXT) | instid1(VALU_DEP_2)
	v_add_f64_e64 v[22:23], v[12:13], -v[22:23]
	v_add_f64_e32 v[20:21], v[12:13], v[18:19]
	v_add_f64_e64 v[16:17], v[18:19], -v[16:17]
	s_delay_alu instid0(VALU_DEP_3) | instskip(NEXT) | instid1(VALU_DEP_3)
	v_add_f64_e64 v[14:15], v[14:15], -v[22:23]
	v_add_f64_e64 v[24:25], v[20:21], -v[12:13]
	s_delay_alu instid0(VALU_DEP_3) | instskip(NEXT) | instid1(VALU_DEP_2)
	v_add_f64_e64 v[10:11], v[10:11], -v[16:17]
	v_add_f64_e64 v[26:27], v[20:21], -v[24:25]
	v_add_f64_e64 v[16:17], v[18:19], -v[24:25]
	s_delay_alu instid0(VALU_DEP_3) | instskip(NEXT) | instid1(VALU_DEP_3)
	v_add_f64_e32 v[18:19], v[14:15], v[10:11]
	v_add_f64_e64 v[12:13], v[12:13], -v[26:27]
	s_delay_alu instid0(VALU_DEP_1) | instskip(NEXT) | instid1(VALU_DEP_3)
	v_add_f64_e32 v[12:13], v[16:17], v[12:13]
	v_add_f64_e64 v[16:17], v[18:19], -v[14:15]
	s_delay_alu instid0(VALU_DEP_2) | instskip(NEXT) | instid1(VALU_DEP_2)
	v_add_f64_e32 v[12:13], v[18:19], v[12:13]
	v_add_f64_e64 v[18:19], v[18:19], -v[16:17]
	v_add_f64_e64 v[10:11], v[10:11], -v[16:17]
	s_delay_alu instid0(VALU_DEP_3) | instskip(NEXT) | instid1(VALU_DEP_3)
	v_add_f64_e32 v[22:23], v[20:21], v[12:13]
	v_add_f64_e64 v[14:15], v[14:15], -v[18:19]
	s_delay_alu instid0(VALU_DEP_2) | instskip(NEXT) | instid1(VALU_DEP_2)
	v_add_f64_e64 v[16:17], v[22:23], -v[20:21]
	v_add_f64_e32 v[10:11], v[10:11], v[14:15]
	s_delay_alu instid0(VALU_DEP_2) | instskip(NEXT) | instid1(VALU_DEP_1)
	v_add_f64_e64 v[12:13], v[12:13], -v[16:17]
	v_add_f64_e32 v[10:11], v[10:11], v[12:13]
	s_delay_alu instid0(VALU_DEP_1) | instskip(NEXT) | instid1(VALU_DEP_1)
	v_add_f64_e32 v[10:11], v[22:23], v[10:11]
	v_mul_f64_e32 v[10:11], 0.5, v[10:11]
	s_delay_alu instid0(VALU_DEP_1) | instskip(SKIP_1) | instid1(VALU_DEP_3)
	v_cndmask_b32_e32 v10, 0, v10, vcc_lo
	v_cmp_neq_f64_e32 vcc_lo, -1.0, v[8:9]
	v_cndmask_b32_e64 v11, 0x7ff00000, v11, s1
	s_wait_alu 0xf1ff
	s_delay_alu instid0(VALU_DEP_1) | instskip(SKIP_1) | instid1(VALU_DEP_1)
	v_cndmask_b32_e64 v11, 0x7ff80000, v11, s2
	s_wait_alu 0xfffd
	v_cndmask_b32_e32 v11, 0xfff00000, v11, vcc_lo
.LBB180_44:
	s_wait_alu 0xfffe
	s_or_b32 exec_lo, exec_lo, s7
.LBB180_45:
	s_wait_alu 0xfffe
	s_or_b32 exec_lo, exec_lo, s6
	v_max_num_f64_e64 v[8:9], |v[2:3]|, |v[2:3]|
	s_mov_b32 s2, 0xbd3237f4
	s_mov_b32 s6, 0xb5e68a13
	;; [unrolled: 1-line block ×4, first 2 shown]
	v_cmp_eq_f64_e64 s1, 0, v[0:1]
	s_delay_alu instid0(VALU_DEP_2) | instskip(NEXT) | instid1(VALU_DEP_1)
	v_min_num_f64_e32 v[4:5], v[8:9], v[4:5]
	v_div_scale_f64 v[8:9], null, v[6:7], v[6:7], v[4:5]
	v_div_scale_f64 v[16:17], vcc_lo, v[4:5], v[6:7], v[4:5]
	s_delay_alu instid0(VALU_DEP_2) | instskip(NEXT) | instid1(TRANS32_DEP_1)
	v_rcp_f64_e32 v[12:13], v[8:9]
	v_fma_f64 v[14:15], -v[8:9], v[12:13], 1.0
	s_delay_alu instid0(VALU_DEP_1) | instskip(NEXT) | instid1(VALU_DEP_1)
	v_fma_f64 v[12:13], v[12:13], v[14:15], v[12:13]
	v_fma_f64 v[14:15], -v[8:9], v[12:13], 1.0
	s_delay_alu instid0(VALU_DEP_1) | instskip(NEXT) | instid1(VALU_DEP_1)
	v_fma_f64 v[12:13], v[12:13], v[14:15], v[12:13]
	v_mul_f64_e32 v[14:15], v[16:17], v[12:13]
	s_delay_alu instid0(VALU_DEP_1) | instskip(SKIP_1) | instid1(VALU_DEP_1)
	v_fma_f64 v[8:9], -v[8:9], v[14:15], v[16:17]
	s_wait_alu 0xfffd
	v_div_fmas_f64 v[8:9], v[8:9], v[12:13], v[14:15]
	v_cmp_lt_f64_e64 vcc_lo, |v[2:3]|, |v[0:1]|
	v_mov_b32_e32 v0, 0x4002d97c
	s_delay_alu instid0(VALU_DEP_3) | instskip(NEXT) | instid1(VALU_DEP_1)
	v_div_fixup_f64 v[4:5], v[8:9], v[6:7], v[4:5]
	v_mul_f64_e32 v[6:7], v[4:5], v[4:5]
	s_wait_alu 0xfffe
	s_delay_alu instid0(VALU_DEP_1) | instskip(SKIP_3) | instid1(VALU_DEP_1)
	v_fma_f64 v[8:9], v[6:7], s[6:7], s[2:3]
	s_mov_b32 s2, 0x69efb384
	s_mov_b32 s3, 0x3f4b2bb0
	s_wait_alu 0xfffe
	v_fma_f64 v[8:9], v[6:7], v[8:9], s[2:3]
	s_mov_b32 s2, 0xaf56de9b
	s_mov_b32 s3, 0xbf67952d
	s_wait_alu 0xfffe
	s_delay_alu instid0(VALU_DEP_1) | instskip(SKIP_3) | instid1(VALU_DEP_1)
	v_fma_f64 v[8:9], v[6:7], v[8:9], s[2:3]
	s_mov_b32 s2, 0xa595c56f
	s_mov_b32 s3, 0x3f7d6d43
	s_wait_alu 0xfffe
	v_fma_f64 v[8:9], v[6:7], v[8:9], s[2:3]
	s_mov_b32 s2, 0xa57d9582
	s_mov_b32 s3, 0xbf8c6ea4
	;; [unrolled: 9-line block ×9, first 2 shown]
	s_wait_alu 0xfffe
	s_delay_alu instid0(VALU_DEP_1) | instskip(SKIP_2) | instid1(VALU_DEP_1)
	v_fma_f64 v[8:9], v[6:7], v[8:9], s[2:3]
	s_mov_b32 s2, 0x54442d18
	s_mov_b32 s3, 0x3ff921fb
	v_mul_f64_e32 v[6:7], v[6:7], v[8:9]
	v_ashrrev_i32_e32 v8, 31, v3
	s_delay_alu instid0(VALU_DEP_2) | instskip(SKIP_1) | instid1(VALU_DEP_1)
	v_fma_f64 v[4:5], v[4:5], v[6:7], v[4:5]
	s_wait_alu 0xfffe
	v_add_f64_e64 v[6:7], -v[4:5], s[2:3]
	s_mov_b32 s3, 0x400921fb
	s_wait_alu 0xfffd
	s_delay_alu instid0(VALU_DEP_1) | instskip(SKIP_3) | instid1(VALU_DEP_3)
	v_dual_cndmask_b32 v5, v5, v7 :: v_dual_cndmask_b32 v4, v4, v6
	v_cmp_gt_i32_e32 vcc_lo, 0, v3
	v_and_b32_e32 v3, 0x54442d18, v8
	s_wait_alu 0xfffe
	v_add_f64_e64 v[6:7], -v[4:5], s[2:3]
	v_mov_b32_e32 v2, 0x7f3321d2
	s_wait_alu 0xfffd
	v_cndmask_b32_e32 v0, 0x3fe921fb, v0, vcc_lo
	s_delay_alu instid0(VALU_DEP_3) | instskip(NEXT) | instid1(VALU_DEP_4)
	v_cndmask_b32_e32 v4, v4, v6, vcc_lo
	v_dual_cndmask_b32 v5, v5, v7 :: v_dual_and_b32 v6, 0x400921fb, v8
	v_cndmask_b32_e32 v2, 0x54442d18, v2, vcc_lo
	s_and_b32 vcc_lo, s4, s9
	s_delay_alu instid0(VALU_DEP_3) | instskip(NEXT) | instid1(VALU_DEP_3)
	v_cndmask_b32_e64 v3, v4, v3, s1
	v_cndmask_b32_e64 v4, v5, v6, s1
	s_wait_alu 0xfffe
	s_delay_alu instid0(VALU_DEP_2) | instskip(NEXT) | instid1(VALU_DEP_2)
	v_cndmask_b32_e32 v2, v3, v2, vcc_lo
	v_cndmask_b32_e32 v0, v4, v0, vcc_lo
	s_delay_alu instid0(VALU_DEP_2) | instskip(NEXT) | instid1(VALU_DEP_2)
	v_cndmask_b32_e64 v8, v2, 0, s0
	v_cndmask_b32_e64 v0, v0, 0x7ff80000, s0
	s_delay_alu instid0(VALU_DEP_1)
	v_bfi_b32 v9, 0x7fffffff, v0, v1
.LBB180_46:
	s_wait_alu 0xfffe
	s_or_b32 exec_lo, exec_lo, s8
.LBB180_47:
	s_wait_alu 0xfffe
	s_or_b32 exec_lo, exec_lo, s5
	v_dual_mov_b32 v0, v10 :: v_dual_mov_b32 v1, v11
	s_delay_alu instid0(VALU_DEP_2)
	v_dual_mov_b32 v2, v8 :: v_dual_mov_b32 v3, v9
.LBB180_48:
	s_wait_alu 0xfffe
	s_or_b32 exec_lo, exec_lo, s10
	s_setpc_b64 s[30:31]
.Lfunc_end180:
	.size	_ZZZZN2at6native31launch_logcumsumexp_cuda_kernelERKNS_10TensorBaseES3_lENKUlvE_clEvENKUlvE1_clEvENKUlN3c107complexIdEES8_E_clES8_S8_, .Lfunc_end180-_ZZZZN2at6native31launch_logcumsumexp_cuda_kernelERKNS_10TensorBaseES3_lENKUlvE_clEvENKUlvE1_clEvENKUlN3c107complexIdEES8_E_clES8_S8_
                                        ; -- End function
	.set .L_ZZZZN2at6native31launch_logcumsumexp_cuda_kernelERKNS_10TensorBaseES3_lENKUlvE_clEvENKUlvE1_clEvENKUlN3c107complexIdEES8_E_clES8_S8_.num_vgpr, 136
	.set .L_ZZZZN2at6native31launch_logcumsumexp_cuda_kernelERKNS_10TensorBaseES3_lENKUlvE_clEvENKUlvE1_clEvENKUlN3c107complexIdEES8_E_clES8_S8_.num_agpr, 0
	.set .L_ZZZZN2at6native31launch_logcumsumexp_cuda_kernelERKNS_10TensorBaseES3_lENKUlvE_clEvENKUlvE1_clEvENKUlN3c107complexIdEES8_E_clES8_S8_.numbered_sgpr, 32
	.set .L_ZZZZN2at6native31launch_logcumsumexp_cuda_kernelERKNS_10TensorBaseES3_lENKUlvE_clEvENKUlvE1_clEvENKUlN3c107complexIdEES8_E_clES8_S8_.num_named_barrier, 0
	.set .L_ZZZZN2at6native31launch_logcumsumexp_cuda_kernelERKNS_10TensorBaseES3_lENKUlvE_clEvENKUlvE1_clEvENKUlN3c107complexIdEES8_E_clES8_S8_.private_seg_size, 0
	.set .L_ZZZZN2at6native31launch_logcumsumexp_cuda_kernelERKNS_10TensorBaseES3_lENKUlvE_clEvENKUlvE1_clEvENKUlN3c107complexIdEES8_E_clES8_S8_.uses_vcc, 1
	.set .L_ZZZZN2at6native31launch_logcumsumexp_cuda_kernelERKNS_10TensorBaseES3_lENKUlvE_clEvENKUlvE1_clEvENKUlN3c107complexIdEES8_E_clES8_S8_.uses_flat_scratch, 0
	.set .L_ZZZZN2at6native31launch_logcumsumexp_cuda_kernelERKNS_10TensorBaseES3_lENKUlvE_clEvENKUlvE1_clEvENKUlN3c107complexIdEES8_E_clES8_S8_.has_dyn_sized_stack, 0
	.set .L_ZZZZN2at6native31launch_logcumsumexp_cuda_kernelERKNS_10TensorBaseES3_lENKUlvE_clEvENKUlvE1_clEvENKUlN3c107complexIdEES8_E_clES8_S8_.has_recursion, 0
	.set .L_ZZZZN2at6native31launch_logcumsumexp_cuda_kernelERKNS_10TensorBaseES3_lENKUlvE_clEvENKUlvE1_clEvENKUlN3c107complexIdEES8_E_clES8_S8_.has_indirect_call, 0
	.section	.AMDGPU.csdata,"",@progbits
; Function info:
; codeLenInByte = 15104
; TotalNumSgprs: 34
; NumVgprs: 136
; ScratchSize: 0
; MemoryBound: 0
	.section	.text._ZN7rocprim17ROCPRIM_400000_NS6detail17trampoline_kernelINS0_14default_configENS1_20scan_config_selectorIN3c107complexIdEEEEZZNS1_9scan_implILNS1_25lookback_scan_determinismE0ELb0ELb0ES3_PKS7_PS7_S7_ZZZN2at6native31launch_logcumsumexp_cuda_kernelERKNSE_10TensorBaseESI_lENKUlvE_clEvENKUlvE1_clEvEUlS7_S7_E_S7_EEDaPvRmT3_T4_T5_mT6_P12ihipStream_tbENKUlT_T0_E_clISt17integral_constantIbLb0EESZ_EEDaSU_SV_EUlSU_E_NS1_11comp_targetILNS1_3genE10ELNS1_11target_archE1201ELNS1_3gpuE5ELNS1_3repE0EEENS1_30default_config_static_selectorELNS0_4arch9wavefront6targetE0EEEvT1_,"axG",@progbits,_ZN7rocprim17ROCPRIM_400000_NS6detail17trampoline_kernelINS0_14default_configENS1_20scan_config_selectorIN3c107complexIdEEEEZZNS1_9scan_implILNS1_25lookback_scan_determinismE0ELb0ELb0ES3_PKS7_PS7_S7_ZZZN2at6native31launch_logcumsumexp_cuda_kernelERKNSE_10TensorBaseESI_lENKUlvE_clEvENKUlvE1_clEvEUlS7_S7_E_S7_EEDaPvRmT3_T4_T5_mT6_P12ihipStream_tbENKUlT_T0_E_clISt17integral_constantIbLb0EESZ_EEDaSU_SV_EUlSU_E_NS1_11comp_targetILNS1_3genE10ELNS1_11target_archE1201ELNS1_3gpuE5ELNS1_3repE0EEENS1_30default_config_static_selectorELNS0_4arch9wavefront6targetE0EEEvT1_,comdat
	.globl	_ZN7rocprim17ROCPRIM_400000_NS6detail17trampoline_kernelINS0_14default_configENS1_20scan_config_selectorIN3c107complexIdEEEEZZNS1_9scan_implILNS1_25lookback_scan_determinismE0ELb0ELb0ES3_PKS7_PS7_S7_ZZZN2at6native31launch_logcumsumexp_cuda_kernelERKNSE_10TensorBaseESI_lENKUlvE_clEvENKUlvE1_clEvEUlS7_S7_E_S7_EEDaPvRmT3_T4_T5_mT6_P12ihipStream_tbENKUlT_T0_E_clISt17integral_constantIbLb0EESZ_EEDaSU_SV_EUlSU_E_NS1_11comp_targetILNS1_3genE10ELNS1_11target_archE1201ELNS1_3gpuE5ELNS1_3repE0EEENS1_30default_config_static_selectorELNS0_4arch9wavefront6targetE0EEEvT1_ ; -- Begin function _ZN7rocprim17ROCPRIM_400000_NS6detail17trampoline_kernelINS0_14default_configENS1_20scan_config_selectorIN3c107complexIdEEEEZZNS1_9scan_implILNS1_25lookback_scan_determinismE0ELb0ELb0ES3_PKS7_PS7_S7_ZZZN2at6native31launch_logcumsumexp_cuda_kernelERKNSE_10TensorBaseESI_lENKUlvE_clEvENKUlvE1_clEvEUlS7_S7_E_S7_EEDaPvRmT3_T4_T5_mT6_P12ihipStream_tbENKUlT_T0_E_clISt17integral_constantIbLb0EESZ_EEDaSU_SV_EUlSU_E_NS1_11comp_targetILNS1_3genE10ELNS1_11target_archE1201ELNS1_3gpuE5ELNS1_3repE0EEENS1_30default_config_static_selectorELNS0_4arch9wavefront6targetE0EEEvT1_
	.p2align	8
	.type	_ZN7rocprim17ROCPRIM_400000_NS6detail17trampoline_kernelINS0_14default_configENS1_20scan_config_selectorIN3c107complexIdEEEEZZNS1_9scan_implILNS1_25lookback_scan_determinismE0ELb0ELb0ES3_PKS7_PS7_S7_ZZZN2at6native31launch_logcumsumexp_cuda_kernelERKNSE_10TensorBaseESI_lENKUlvE_clEvENKUlvE1_clEvEUlS7_S7_E_S7_EEDaPvRmT3_T4_T5_mT6_P12ihipStream_tbENKUlT_T0_E_clISt17integral_constantIbLb0EESZ_EEDaSU_SV_EUlSU_E_NS1_11comp_targetILNS1_3genE10ELNS1_11target_archE1201ELNS1_3gpuE5ELNS1_3repE0EEENS1_30default_config_static_selectorELNS0_4arch9wavefront6targetE0EEEvT1_,@function
_ZN7rocprim17ROCPRIM_400000_NS6detail17trampoline_kernelINS0_14default_configENS1_20scan_config_selectorIN3c107complexIdEEEEZZNS1_9scan_implILNS1_25lookback_scan_determinismE0ELb0ELb0ES3_PKS7_PS7_S7_ZZZN2at6native31launch_logcumsumexp_cuda_kernelERKNSE_10TensorBaseESI_lENKUlvE_clEvENKUlvE1_clEvEUlS7_S7_E_S7_EEDaPvRmT3_T4_T5_mT6_P12ihipStream_tbENKUlT_T0_E_clISt17integral_constantIbLb0EESZ_EEDaSU_SV_EUlSU_E_NS1_11comp_targetILNS1_3genE10ELNS1_11target_archE1201ELNS1_3gpuE5ELNS1_3repE0EEENS1_30default_config_static_selectorELNS0_4arch9wavefront6targetE0EEEvT1_: ; @_ZN7rocprim17ROCPRIM_400000_NS6detail17trampoline_kernelINS0_14default_configENS1_20scan_config_selectorIN3c107complexIdEEEEZZNS1_9scan_implILNS1_25lookback_scan_determinismE0ELb0ELb0ES3_PKS7_PS7_S7_ZZZN2at6native31launch_logcumsumexp_cuda_kernelERKNSE_10TensorBaseESI_lENKUlvE_clEvENKUlvE1_clEvEUlS7_S7_E_S7_EEDaPvRmT3_T4_T5_mT6_P12ihipStream_tbENKUlT_T0_E_clISt17integral_constantIbLb0EESZ_EEDaSU_SV_EUlSU_E_NS1_11comp_targetILNS1_3genE10ELNS1_11target_archE1201ELNS1_3gpuE5ELNS1_3repE0EEENS1_30default_config_static_selectorELNS0_4arch9wavefront6targetE0EEEvT1_
; %bb.0:
	s_clause 0x2
	s_load_b256 s[20:27], s[0:1], 0x0
	s_load_b96 s[28:30], s[0:1], 0x48
	s_load_b128 s[44:47], s[0:1], 0x38
	v_mov_b32_e32 v180, v0
	s_mov_b64 s[18:19], s[0:1]
	s_mov_b32 s1, 0
	s_mul_i32 s2, ttmp9, 0xb00
	s_mov_b32 s3, s1
	v_lshlrev_b32_e32 v182, 4, v180
	s_mov_b32 s4, -1
	s_mov_b32 s32, 0
	s_wait_kmcnt 0x0
	s_lshl_b64 s[34:35], s[22:23], 4
	s_add_co_i32 s0, s30, -1
	s_add_nc_u64 s[6:7], s[20:21], s[34:35]
	s_cmp_lg_u32 ttmp9, s0
	s_mulk_i32 s0, 0xb00
	s_cselect_b32 s33, -1, 0
	s_lshl_b64 s[48:49], s[2:3], 4
	s_and_b32 vcc_lo, exec_lo, s33
	s_add_nc_u64 s[2:3], s[6:7], s[48:49]
	s_cbranch_vccz .LBB181_2
; %bb.1:
	s_clause 0xa
	global_load_b128 v[0:3], v182, s[2:3] offset:4096
	global_load_b128 v[4:7], v182, s[2:3] offset:8192
	;; [unrolled: 1-line block ×9, first 2 shown]
	global_load_b128 v[36:39], v182, s[2:3]
	global_load_b128 v[40:43], v182, s[2:3] offset:40960
	s_mov_b32 s4, s1
	s_wait_loadcnt 0xa
	ds_store_b128 v182, v[0:3] offset:4096
	s_wait_loadcnt 0x9
	ds_store_b128 v182, v[4:7] offset:8192
	;; [unrolled: 2-line block ×9, first 2 shown]
	s_wait_loadcnt 0x1
	ds_store_b128 v182, v[36:39]
	s_wait_loadcnt 0x0
	ds_store_b128 v182, v[40:43] offset:40960
	s_wait_dscnt 0x0
	s_barrier_signal -1
	s_barrier_wait -1
.LBB181_2:
	s_sub_nc_u64 s[22:23], s[26:27], s[0:1]
	s_and_not1_b32 vcc_lo, exec_lo, s4
	v_cmp_gt_u32_e64 s0, s22, v180
	s_cbranch_vccnz .LBB181_26
; %bb.3:
	s_load_b128 s[4:7], s[2:3], 0x0
	s_wait_kmcnt 0x0
	v_dual_mov_b32 v2, s6 :: v_dual_mov_b32 v3, s7
	v_dual_mov_b32 v0, s4 :: v_dual_mov_b32 v1, s5
	s_and_saveexec_b32 s1, s0
	s_cbranch_execz .LBB181_5
; %bb.4:
	global_load_b128 v[0:3], v182, s[2:3]
.LBB181_5:
	s_or_b32 exec_lo, exec_lo, s1
	v_or_b32_e32 v4, 0x100, v180
	v_dual_mov_b32 v6, s6 :: v_dual_mov_b32 v7, s7
	s_delay_alu instid0(VALU_DEP_2)
	v_cmp_gt_u32_e32 vcc_lo, s22, v4
	v_dual_mov_b32 v4, s4 :: v_dual_mov_b32 v5, s5
	s_and_saveexec_b32 s0, vcc_lo
	s_cbranch_execz .LBB181_7
; %bb.6:
	global_load_b128 v[4:7], v182, s[2:3] offset:4096
.LBB181_7:
	s_or_b32 exec_lo, exec_lo, s0
	v_or_b32_e32 v8, 0x200, v180
	v_dual_mov_b32 v11, s7 :: v_dual_mov_b32 v10, s6
	s_delay_alu instid0(VALU_DEP_2)
	v_cmp_gt_u32_e32 vcc_lo, s22, v8
	v_dual_mov_b32 v9, s5 :: v_dual_mov_b32 v8, s4
	s_and_saveexec_b32 s0, vcc_lo
	s_cbranch_execz .LBB181_9
; %bb.8:
	global_load_b128 v[8:11], v182, s[2:3] offset:8192
.LBB181_9:
	;; [unrolled: 11-line block ×10, first 2 shown]
	s_or_b32 exec_lo, exec_lo, s0
	s_wait_loadcnt 0x0
	ds_store_b128 v182, v[4:7] offset:4096
	ds_store_b128 v182, v[8:11] offset:8192
	;; [unrolled: 1-line block ×9, first 2 shown]
	ds_store_b128 v182, v[0:3]
	ds_store_b128 v182, v[40:43] offset:40960
	s_wait_dscnt 0x0
	s_barrier_signal -1
	s_barrier_wait -1
.LBB181_26:
	v_mul_u32_u24_e32 v181, 0xb0, v180
	global_inv scope:SCOPE_SE
	s_cmp_lg_u32 ttmp9, 0
	ds_load_b128 v[40:43], v181
	ds_load_b128 v[120:123], v181 offset:16
	ds_load_b128 v[108:111], v181 offset:32
	;; [unrolled: 1-line block ×10, first 2 shown]
	s_wait_loadcnt_dscnt 0x0
	s_barrier_signal -1
	s_barrier_wait -1
	global_inv scope:SCOPE_SE
	s_cbranch_scc0 .LBB181_84
; %bb.27:
	v_dual_mov_b32 v0, v40 :: v_dual_mov_b32 v1, v41
	v_dual_mov_b32 v2, v42 :: v_dual_mov_b32 v3, v43
	;; [unrolled: 1-line block ×4, first 2 shown]
	s_getpc_b64 s[20:21]
	s_sext_i32_i16 s21, s21
	s_add_co_u32 s20, s20, _ZZZZN2at6native31launch_logcumsumexp_cuda_kernelERKNS_10TensorBaseES3_lENKUlvE_clEvENKUlvE1_clEvENKUlN3c107complexIdEES8_E_clES8_S8_@rel32@lo+8
	s_add_co_ci_u32 s21, s21, _ZZZZN2at6native31launch_logcumsumexp_cuda_kernelERKNS_10TensorBaseES3_lENKUlvE_clEvENKUlvE1_clEvENKUlN3c107complexIdEES8_E_clES8_S8_@rel32@hi+16
	s_delay_alu instid0(SALU_CYCLE_1)
	s_swappc_b64 s[30:31], s[20:21]
	v_dual_mov_b32 v4, v108 :: v_dual_mov_b32 v5, v109
	v_dual_mov_b32 v6, v110 :: v_dual_mov_b32 v7, v111
	s_wait_alu 0xfffe
	s_swappc_b64 s[30:31], s[20:21]
	v_dual_mov_b32 v4, v104 :: v_dual_mov_b32 v5, v105
	v_dual_mov_b32 v6, v106 :: v_dual_mov_b32 v7, v107
	s_wait_alu 0xfffe
	;; [unrolled: 4-line block ×9, first 2 shown]
	s_swappc_b64 s[30:31], s[20:21]
	v_dual_mov_b32 v136, v0 :: v_dual_mov_b32 v137, v1
	v_dual_mov_b32 v138, v2 :: v_dual_mov_b32 v139, v3
	v_mbcnt_lo_u32_b32 v146, -1, 0
	s_delay_alu instid0(VALU_DEP_3) | instskip(NEXT) | instid1(VALU_DEP_4)
	v_mov_b32_dpp v0, v136 row_shr:1 row_mask:0xf bank_mask:0xf
	v_mov_b32_dpp v1, v137 row_shr:1 row_mask:0xf bank_mask:0xf
	s_delay_alu instid0(VALU_DEP_4) | instskip(SKIP_3) | instid1(VALU_DEP_1)
	v_mov_b32_dpp v2, v138 row_shr:1 row_mask:0xf bank_mask:0xf
	v_mov_b32_dpp v3, v139 row_shr:1 row_mask:0xf bank_mask:0xf
	v_and_b32_e32 v124, 15, v146
	s_mov_b32 s26, exec_lo
	v_cmpx_ne_u32_e32 0, v124
	s_cbranch_execz .LBB181_29
; %bb.28:
	v_dual_mov_b32 v4, v136 :: v_dual_mov_b32 v5, v137
	v_dual_mov_b32 v6, v138 :: v_dual_mov_b32 v7, v139
	s_wait_alu 0xfffe
	s_swappc_b64 s[30:31], s[20:21]
	v_dual_mov_b32 v136, v0 :: v_dual_mov_b32 v137, v1
	v_dual_mov_b32 v138, v2 :: v_dual_mov_b32 v139, v3
.LBB181_29:
	s_wait_alu 0xfffe
	s_or_b32 exec_lo, exec_lo, s26
	s_delay_alu instid0(VALU_DEP_2)
	v_mov_b32_dpp v0, v136 row_shr:2 row_mask:0xf bank_mask:0xf
	v_mov_b32_dpp v1, v137 row_shr:2 row_mask:0xf bank_mask:0xf
	v_mov_b32_dpp v2, v138 row_shr:2 row_mask:0xf bank_mask:0xf
	v_mov_b32_dpp v3, v139 row_shr:2 row_mask:0xf bank_mask:0xf
	s_mov_b32 s20, exec_lo
	v_cmpx_lt_u32_e32 1, v124
	s_cbranch_execz .LBB181_31
; %bb.30:
	v_dual_mov_b32 v4, v136 :: v_dual_mov_b32 v5, v137
	v_dual_mov_b32 v6, v138 :: v_dual_mov_b32 v7, v139
	s_getpc_b64 s[0:1]
	s_wait_alu 0xfffe
	s_sext_i32_i16 s1, s1
	s_add_co_u32 s0, s0, _ZZZZN2at6native31launch_logcumsumexp_cuda_kernelERKNS_10TensorBaseES3_lENKUlvE_clEvENKUlvE1_clEvENKUlN3c107complexIdEES8_E_clES8_S8_@rel32@lo+12
	s_wait_alu 0xfffe
	s_add_co_ci_u32 s1, s1, _ZZZZN2at6native31launch_logcumsumexp_cuda_kernelERKNS_10TensorBaseES3_lENKUlvE_clEvENKUlvE1_clEvENKUlN3c107complexIdEES8_E_clES8_S8_@rel32@hi+24
	s_wait_alu 0xfffe
	s_swappc_b64 s[30:31], s[0:1]
	v_dual_mov_b32 v136, v0 :: v_dual_mov_b32 v137, v1
	v_dual_mov_b32 v138, v2 :: v_dual_mov_b32 v139, v3
.LBB181_31:
	s_wait_alu 0xfffe
	s_or_b32 exec_lo, exec_lo, s20
	s_delay_alu instid0(VALU_DEP_2)
	v_mov_b32_dpp v0, v136 row_shr:4 row_mask:0xf bank_mask:0xf
	v_mov_b32_dpp v1, v137 row_shr:4 row_mask:0xf bank_mask:0xf
	v_mov_b32_dpp v2, v138 row_shr:4 row_mask:0xf bank_mask:0xf
	v_mov_b32_dpp v3, v139 row_shr:4 row_mask:0xf bank_mask:0xf
	s_mov_b32 s20, exec_lo
	v_cmpx_lt_u32_e32 3, v124
	s_cbranch_execz .LBB181_33
; %bb.32:
	v_dual_mov_b32 v4, v136 :: v_dual_mov_b32 v5, v137
	v_dual_mov_b32 v6, v138 :: v_dual_mov_b32 v7, v139
	s_getpc_b64 s[0:1]
	s_wait_alu 0xfffe
	s_sext_i32_i16 s1, s1
	s_add_co_u32 s0, s0, _ZZZZN2at6native31launch_logcumsumexp_cuda_kernelERKNS_10TensorBaseES3_lENKUlvE_clEvENKUlvE1_clEvENKUlN3c107complexIdEES8_E_clES8_S8_@rel32@lo+12
	s_wait_alu 0xfffe
	s_add_co_ci_u32 s1, s1, _ZZZZN2at6native31launch_logcumsumexp_cuda_kernelERKNS_10TensorBaseES3_lENKUlvE_clEvENKUlvE1_clEvENKUlN3c107complexIdEES8_E_clES8_S8_@rel32@hi+24
	s_wait_alu 0xfffe
	s_swappc_b64 s[30:31], s[0:1]
	v_dual_mov_b32 v136, v0 :: v_dual_mov_b32 v137, v1
	v_dual_mov_b32 v138, v2 :: v_dual_mov_b32 v139, v3
.LBB181_33:
	s_wait_alu 0xfffe
	s_or_b32 exec_lo, exec_lo, s20
	s_delay_alu instid0(VALU_DEP_2)
	v_mov_b32_dpp v0, v136 row_shr:8 row_mask:0xf bank_mask:0xf
	v_mov_b32_dpp v1, v137 row_shr:8 row_mask:0xf bank_mask:0xf
	v_mov_b32_dpp v2, v138 row_shr:8 row_mask:0xf bank_mask:0xf
	v_mov_b32_dpp v3, v139 row_shr:8 row_mask:0xf bank_mask:0xf
	s_mov_b32 s20, exec_lo
	v_cmpx_lt_u32_e32 7, v124
	s_cbranch_execz .LBB181_35
; %bb.34:
	v_dual_mov_b32 v4, v136 :: v_dual_mov_b32 v5, v137
	v_dual_mov_b32 v6, v138 :: v_dual_mov_b32 v7, v139
	s_getpc_b64 s[0:1]
	s_wait_alu 0xfffe
	s_sext_i32_i16 s1, s1
	s_add_co_u32 s0, s0, _ZZZZN2at6native31launch_logcumsumexp_cuda_kernelERKNS_10TensorBaseES3_lENKUlvE_clEvENKUlvE1_clEvENKUlN3c107complexIdEES8_E_clES8_S8_@rel32@lo+12
	s_wait_alu 0xfffe
	s_add_co_ci_u32 s1, s1, _ZZZZN2at6native31launch_logcumsumexp_cuda_kernelERKNS_10TensorBaseES3_lENKUlvE_clEvENKUlvE1_clEvENKUlN3c107complexIdEES8_E_clES8_S8_@rel32@hi+24
	s_wait_alu 0xfffe
	s_swappc_b64 s[30:31], s[0:1]
	v_dual_mov_b32 v136, v0 :: v_dual_mov_b32 v137, v1
	v_dual_mov_b32 v138, v2 :: v_dual_mov_b32 v139, v3
.LBB181_35:
	s_wait_alu 0xfffe
	s_or_b32 exec_lo, exec_lo, s20
	ds_swizzle_b32 v0, v136 offset:swizzle(BROADCAST,32,15)
	ds_swizzle_b32 v1, v137 offset:swizzle(BROADCAST,32,15)
	ds_swizzle_b32 v2, v138 offset:swizzle(BROADCAST,32,15)
	ds_swizzle_b32 v3, v139 offset:swizzle(BROADCAST,32,15)
	v_and_b32_e32 v4, 16, v146
	s_mov_b32 s20, exec_lo
	s_delay_alu instid0(VALU_DEP_1)
	v_cmpx_ne_u32_e32 0, v4
	s_cbranch_execz .LBB181_37
; %bb.36:
	v_dual_mov_b32 v4, v136 :: v_dual_mov_b32 v5, v137
	v_dual_mov_b32 v6, v138 :: v_dual_mov_b32 v7, v139
	s_getpc_b64 s[0:1]
	s_wait_alu 0xfffe
	s_sext_i32_i16 s1, s1
	s_add_co_u32 s0, s0, _ZZZZN2at6native31launch_logcumsumexp_cuda_kernelERKNS_10TensorBaseES3_lENKUlvE_clEvENKUlvE1_clEvENKUlN3c107complexIdEES8_E_clES8_S8_@rel32@lo+12
	s_wait_alu 0xfffe
	s_add_co_ci_u32 s1, s1, _ZZZZN2at6native31launch_logcumsumexp_cuda_kernelERKNS_10TensorBaseES3_lENKUlvE_clEvENKUlvE1_clEvENKUlN3c107complexIdEES8_E_clES8_S8_@rel32@hi+24
	s_wait_alu 0xfffe
	s_swappc_b64 s[30:31], s[0:1]
	v_dual_mov_b32 v136, v0 :: v_dual_mov_b32 v137, v1
	v_dual_mov_b32 v138, v2 :: v_dual_mov_b32 v139, v3
.LBB181_37:
	s_wait_alu 0xfffe
	s_or_b32 exec_lo, exec_lo, s20
	s_wait_dscnt 0x3
	v_or_b32_e32 v0, 31, v180
	v_lshrrev_b32_e32 v140, 5, v180
	s_mov_b32 s0, exec_lo
	s_delay_alu instid0(VALU_DEP_2)
	v_cmpx_eq_u32_e64 v180, v0
; %bb.38:
	s_delay_alu instid0(VALU_DEP_2)
	v_lshlrev_b32_e32 v0, 4, v140
	ds_store_b128 v0, v[136:139]
; %bb.39:
	s_wait_alu 0xfffe
	s_or_b32 exec_lo, exec_lo, s0
	s_delay_alu instid0(SALU_CYCLE_1)
	s_mov_b32 s20, exec_lo
	s_wait_storecnt_dscnt 0x0
	s_barrier_signal -1
	s_barrier_wait -1
	global_inv scope:SCOPE_SE
	v_cmpx_gt_u32_e32 8, v180
	s_cbranch_execz .LBB181_47
; %bb.40:
	ds_load_b128 v[4:7], v182
	v_and_b32_e32 v124, 7, v146
	s_mov_b32 s21, exec_lo
	s_wait_dscnt 0x0
	v_mov_b32_dpp v0, v4 row_shr:1 row_mask:0xf bank_mask:0xf
	v_mov_b32_dpp v1, v5 row_shr:1 row_mask:0xf bank_mask:0xf
	;; [unrolled: 1-line block ×4, first 2 shown]
	v_cmpx_ne_u32_e32 0, v124
	s_cbranch_execz .LBB181_42
; %bb.41:
	s_getpc_b64 s[0:1]
	s_wait_alu 0xfffe
	s_sext_i32_i16 s1, s1
	s_add_co_u32 s0, s0, _ZZZZN2at6native31launch_logcumsumexp_cuda_kernelERKNS_10TensorBaseES3_lENKUlvE_clEvENKUlvE1_clEvENKUlN3c107complexIdEES8_E_clES8_S8_@rel32@lo+12
	s_wait_alu 0xfffe
	s_add_co_ci_u32 s1, s1, _ZZZZN2at6native31launch_logcumsumexp_cuda_kernelERKNS_10TensorBaseES3_lENKUlvE_clEvENKUlvE1_clEvENKUlN3c107complexIdEES8_E_clES8_S8_@rel32@hi+24
	s_wait_alu 0xfffe
	s_swappc_b64 s[30:31], s[0:1]
	v_dual_mov_b32 v4, v0 :: v_dual_mov_b32 v5, v1
	v_dual_mov_b32 v6, v2 :: v_dual_mov_b32 v7, v3
.LBB181_42:
	s_wait_alu 0xfffe
	s_or_b32 exec_lo, exec_lo, s21
	s_delay_alu instid0(VALU_DEP_2)
	v_mov_b32_dpp v0, v4 row_shr:2 row_mask:0xf bank_mask:0xf
	v_mov_b32_dpp v1, v5 row_shr:2 row_mask:0xf bank_mask:0xf
	;; [unrolled: 1-line block ×4, first 2 shown]
	s_mov_b32 s21, exec_lo
	v_cmpx_lt_u32_e32 1, v124
	s_cbranch_execz .LBB181_44
; %bb.43:
	s_getpc_b64 s[0:1]
	s_wait_alu 0xfffe
	s_sext_i32_i16 s1, s1
	s_add_co_u32 s0, s0, _ZZZZN2at6native31launch_logcumsumexp_cuda_kernelERKNS_10TensorBaseES3_lENKUlvE_clEvENKUlvE1_clEvENKUlN3c107complexIdEES8_E_clES8_S8_@rel32@lo+12
	s_wait_alu 0xfffe
	s_add_co_ci_u32 s1, s1, _ZZZZN2at6native31launch_logcumsumexp_cuda_kernelERKNS_10TensorBaseES3_lENKUlvE_clEvENKUlvE1_clEvENKUlN3c107complexIdEES8_E_clES8_S8_@rel32@hi+24
	s_wait_alu 0xfffe
	s_swappc_b64 s[30:31], s[0:1]
	v_dual_mov_b32 v4, v0 :: v_dual_mov_b32 v5, v1
	v_dual_mov_b32 v6, v2 :: v_dual_mov_b32 v7, v3
.LBB181_44:
	s_wait_alu 0xfffe
	s_or_b32 exec_lo, exec_lo, s21
	s_delay_alu instid0(VALU_DEP_2)
	v_mov_b32_dpp v0, v4 row_shr:4 row_mask:0xf bank_mask:0xf
	v_mov_b32_dpp v1, v5 row_shr:4 row_mask:0xf bank_mask:0xf
	;; [unrolled: 1-line block ×4, first 2 shown]
	s_mov_b32 s21, exec_lo
	v_cmpx_lt_u32_e32 3, v124
	s_cbranch_execz .LBB181_46
; %bb.45:
	s_getpc_b64 s[0:1]
	s_wait_alu 0xfffe
	s_sext_i32_i16 s1, s1
	s_add_co_u32 s0, s0, _ZZZZN2at6native31launch_logcumsumexp_cuda_kernelERKNS_10TensorBaseES3_lENKUlvE_clEvENKUlvE1_clEvENKUlN3c107complexIdEES8_E_clES8_S8_@rel32@lo+12
	s_wait_alu 0xfffe
	s_add_co_ci_u32 s1, s1, _ZZZZN2at6native31launch_logcumsumexp_cuda_kernelERKNS_10TensorBaseES3_lENKUlvE_clEvENKUlvE1_clEvENKUlN3c107complexIdEES8_E_clES8_S8_@rel32@hi+24
	s_wait_alu 0xfffe
	s_swappc_b64 s[30:31], s[0:1]
	v_dual_mov_b32 v4, v0 :: v_dual_mov_b32 v5, v1
	v_dual_mov_b32 v6, v2 :: v_dual_mov_b32 v7, v3
.LBB181_46:
	s_wait_alu 0xfffe
	s_or_b32 exec_lo, exec_lo, s21
	ds_store_b128 v182, v[4:7]
.LBB181_47:
	s_wait_alu 0xfffe
	s_or_b32 exec_lo, exec_lo, s20
	v_mov_b32_e32 v126, 0
	v_dual_mov_b32 v127, 0 :: v_dual_mov_b32 v124, 0
	v_cmp_gt_u32_e64 s21, 32, v180
	v_mov_b32_e32 v125, 0
	s_mov_b32 s20, exec_lo
	s_wait_storecnt 0x0
	s_wait_loadcnt_dscnt 0x0
	s_barrier_signal -1
	s_barrier_wait -1
	global_inv scope:SCOPE_SE
	v_cmpx_lt_u32_e32 31, v180
	s_cbranch_execz .LBB181_49
; %bb.48:
	v_lshl_add_u32 v0, v140, 4, -16
	v_dual_mov_b32 v4, v136 :: v_dual_mov_b32 v5, v137
	s_getpc_b64 s[0:1]
	s_wait_alu 0xfffe
	s_sext_i32_i16 s1, s1
	s_add_co_u32 s0, s0, _ZZZZN2at6native31launch_logcumsumexp_cuda_kernelERKNS_10TensorBaseES3_lENKUlvE_clEvENKUlvE1_clEvENKUlN3c107complexIdEES8_E_clES8_S8_@rel32@lo+12
	s_wait_alu 0xfffe
	s_add_co_ci_u32 s1, s1, _ZZZZN2at6native31launch_logcumsumexp_cuda_kernelERKNS_10TensorBaseES3_lENKUlvE_clEvENKUlvE1_clEvENKUlN3c107complexIdEES8_E_clES8_S8_@rel32@hi+24
	v_mov_b32_e32 v7, v139
	ds_load_b128 v[124:127], v0
	s_wait_dscnt 0x0
	v_dual_mov_b32 v6, v138 :: v_dual_mov_b32 v1, v125
	v_dual_mov_b32 v0, v124 :: v_dual_mov_b32 v3, v127
	v_mov_b32_e32 v2, v126
	s_wait_alu 0xfffe
	s_swappc_b64 s[30:31], s[0:1]
	s_delay_alu instid0(VALU_DEP_2) | instskip(NEXT) | instid1(VALU_DEP_2)
	v_dual_mov_b32 v136, v0 :: v_dual_mov_b32 v137, v1
	v_dual_mov_b32 v138, v2 :: v_dual_mov_b32 v139, v3
.LBB181_49:
	s_wait_alu 0xfffe
	s_or_b32 exec_lo, exec_lo, s20
	v_sub_co_u32 v0, s20, v146, 1
	s_delay_alu instid0(VALU_DEP_1) | instskip(SKIP_2) | instid1(VALU_DEP_1)
	v_cmp_gt_i32_e32 vcc_lo, 0, v0
	s_wait_alu 0xfffd
	v_cndmask_b32_e32 v0, v0, v146, vcc_lo
	v_lshlrev_b32_e32 v0, 2, v0
	ds_bpermute_b32 v147, v0, v136
	ds_bpermute_b32 v148, v0, v137
	;; [unrolled: 1-line block ×4, first 2 shown]
	s_and_saveexec_b32 s26, s21
	s_cbranch_execz .LBB181_89
; %bb.50:
	v_mov_b32_e32 v1, 0
	ds_load_b128 v[136:139], v1 offset:112
	s_and_saveexec_b32 s0, s20
	s_cbranch_execz .LBB181_52
; %bb.51:
	s_wait_alu 0xfffe
	s_add_co_i32 s2, ttmp9, 32
	s_mov_b32 s3, 0
	v_mov_b32_e32 v0, 1
	s_wait_alu 0xfffe
	v_mov_b32_e32 v2, s2
	s_lshl_b64 s[4:5], s[2:3], 4
	s_wait_alu 0xfffe
	s_add_nc_u64 s[2:3], s[44:45], s[4:5]
	s_wait_dscnt 0x0
	global_store_b128 v1, v[136:139], s[2:3]
	s_wait_loadcnt 0x0
	s_wait_storecnt 0x0
	global_inv scope:SCOPE_DEV
	global_store_b8 v2, v0, s[28:29] scope:SCOPE_DEV
.LBB181_52:
	s_wait_alu 0xfffe
	s_or_b32 exec_lo, exec_lo, s0
	v_xad_u32 v144, v146, -1, ttmp9
	s_mov_b32 s1, 0
	s_mov_b32 s0, exec_lo
	s_delay_alu instid0(VALU_DEP_1)
	v_add_nc_u32_e32 v0, 32, v144
	global_load_u8 v151, v0, s[28:29] scope:SCOPE_DEV
	s_wait_loadcnt 0x0
	v_cmpx_eq_u16_e64 0, v151
	s_cbranch_execz .LBB181_56
; %bb.53:
	v_add_co_u32 v2, s2, s28, v0
	s_wait_alu 0xf1ff
	v_add_co_ci_u32_e64 v3, null, s29, 0, s2
.LBB181_54:                             ; =>This Inner Loop Header: Depth=1
	global_load_u8 v151, v[2:3], off scope:SCOPE_DEV
	s_wait_loadcnt 0x0
	v_cmp_ne_u16_e64 vcc_lo, 0, v151
	s_wait_alu 0xfffe
	s_or_b32 s1, vcc_lo, s1
	s_wait_alu 0xfffe
	s_and_not1_b32 exec_lo, exec_lo, s1
	s_cbranch_execnz .LBB181_54
; %bb.55:
	s_or_b32 exec_lo, exec_lo, s1
.LBB181_56:
	s_wait_alu 0xfffe
	s_or_b32 exec_lo, exec_lo, s0
	v_dual_mov_b32 v2, s45 :: v_dual_mov_b32 v3, s44
	v_cmp_eq_u16_e64 vcc_lo, 1, v151
	v_lshlrev_b64_e32 v[0:1], 4, v[0:1]
	s_wait_storecnt_dscnt 0x0
	global_inv scope:SCOPE_DEV
	v_lshlrev_b32_e64 v153, v146, -1
	s_mov_b32 s21, exec_lo
	s_wait_alu 0xfffd
	v_cndmask_b32_e32 v3, s46, v3, vcc_lo
	v_cndmask_b32_e32 v2, s47, v2, vcc_lo
	s_delay_alu instid0(VALU_DEP_2) | instskip(SKIP_1) | instid1(VALU_DEP_2)
	v_add_co_u32 v0, vcc_lo, v3, v0
	s_wait_alu 0xfffd
	v_add_co_ci_u32_e64 v1, null, v2, v1, vcc_lo
	v_cmp_ne_u32_e32 vcc_lo, 31, v146
	global_load_b128 v[4:7], v[0:1], off
	s_wait_alu 0xfffd
	v_add_co_ci_u32_e64 v0, null, 0, v146, vcc_lo
	v_cmp_eq_u16_e64 vcc_lo, 2, v151
	s_delay_alu instid0(VALU_DEP_2) | instskip(SKIP_1) | instid1(VALU_DEP_2)
	v_lshlrev_b32_e32 v152, 2, v0
	s_wait_alu 0xfffd
	v_and_or_b32 v8, vcc_lo, v153, 0x80000000
	s_delay_alu instid0(VALU_DEP_1)
	v_ctz_i32_b32_e32 v140, v8
	s_wait_loadcnt 0x0
	ds_bpermute_b32 v0, v152, v4
	ds_bpermute_b32 v1, v152, v5
	;; [unrolled: 1-line block ×4, first 2 shown]
	v_cmpx_lt_u32_e64 v146, v140
	s_cbranch_execz .LBB181_58
; %bb.57:
	s_getpc_b64 s[0:1]
	s_wait_alu 0xfffe
	s_sext_i32_i16 s1, s1
	s_add_co_u32 s0, s0, _ZZZZN2at6native31launch_logcumsumexp_cuda_kernelERKNS_10TensorBaseES3_lENKUlvE_clEvENKUlvE1_clEvENKUlN3c107complexIdEES8_E_clES8_S8_@rel32@lo+12
	s_wait_alu 0xfffe
	s_add_co_ci_u32 s1, s1, _ZZZZN2at6native31launch_logcumsumexp_cuda_kernelERKNS_10TensorBaseES3_lENKUlvE_clEvENKUlvE1_clEvENKUlN3c107complexIdEES8_E_clES8_S8_@rel32@hi+24
	s_wait_alu 0xfffe
	s_swappc_b64 s[30:31], s[0:1]
	v_dual_mov_b32 v4, v0 :: v_dual_mov_b32 v5, v1
	v_dual_mov_b32 v6, v2 :: v_dual_mov_b32 v7, v3
.LBB181_58:
	s_wait_alu 0xfffe
	s_or_b32 exec_lo, exec_lo, s21
	v_cmp_gt_u32_e32 vcc_lo, 30, v146
	v_add_nc_u32_e32 v155, 2, v146
	s_mov_b32 s21, exec_lo
	s_wait_dscnt 0x3
	s_wait_alu 0xfffd
	v_cndmask_b32_e64 v0, 0, 2, vcc_lo
	s_delay_alu instid0(VALU_DEP_1)
	v_add_lshl_u32 v154, v0, v146, 2
	ds_bpermute_b32 v0, v154, v4
	s_wait_dscnt 0x3
	ds_bpermute_b32 v1, v154, v5
	s_wait_dscnt 0x3
	ds_bpermute_b32 v2, v154, v6
	s_wait_dscnt 0x3
	ds_bpermute_b32 v3, v154, v7
	v_cmpx_le_u32_e64 v155, v140
	s_cbranch_execz .LBB181_60
; %bb.59:
	s_getpc_b64 s[0:1]
	s_wait_alu 0xfffe
	s_sext_i32_i16 s1, s1
	s_add_co_u32 s0, s0, _ZZZZN2at6native31launch_logcumsumexp_cuda_kernelERKNS_10TensorBaseES3_lENKUlvE_clEvENKUlvE1_clEvENKUlN3c107complexIdEES8_E_clES8_S8_@rel32@lo+12
	s_wait_alu 0xfffe
	s_add_co_ci_u32 s1, s1, _ZZZZN2at6native31launch_logcumsumexp_cuda_kernelERKNS_10TensorBaseES3_lENKUlvE_clEvENKUlvE1_clEvENKUlN3c107complexIdEES8_E_clES8_S8_@rel32@hi+24
	s_wait_alu 0xfffe
	s_swappc_b64 s[30:31], s[0:1]
	v_dual_mov_b32 v4, v0 :: v_dual_mov_b32 v5, v1
	v_dual_mov_b32 v6, v2 :: v_dual_mov_b32 v7, v3
.LBB181_60:
	s_wait_alu 0xfffe
	s_or_b32 exec_lo, exec_lo, s21
	v_cmp_gt_u32_e32 vcc_lo, 28, v146
	v_add_nc_u32_e32 v157, 4, v146
	s_mov_b32 s21, exec_lo
	s_wait_dscnt 0x3
	s_wait_alu 0xfffd
	v_cndmask_b32_e64 v0, 0, 4, vcc_lo
	s_delay_alu instid0(VALU_DEP_1)
	v_add_lshl_u32 v156, v0, v146, 2
	ds_bpermute_b32 v0, v156, v4
	s_wait_dscnt 0x3
	ds_bpermute_b32 v1, v156, v5
	s_wait_dscnt 0x3
	ds_bpermute_b32 v2, v156, v6
	s_wait_dscnt 0x3
	ds_bpermute_b32 v3, v156, v7
	v_cmpx_le_u32_e64 v157, v140
	;; [unrolled: 31-line block ×3, first 2 shown]
	s_cbranch_execz .LBB181_64
; %bb.63:
	s_getpc_b64 s[0:1]
	s_wait_alu 0xfffe
	s_sext_i32_i16 s1, s1
	s_add_co_u32 s0, s0, _ZZZZN2at6native31launch_logcumsumexp_cuda_kernelERKNS_10TensorBaseES3_lENKUlvE_clEvENKUlvE1_clEvENKUlN3c107complexIdEES8_E_clES8_S8_@rel32@lo+12
	s_wait_alu 0xfffe
	s_add_co_ci_u32 s1, s1, _ZZZZN2at6native31launch_logcumsumexp_cuda_kernelERKNS_10TensorBaseES3_lENKUlvE_clEvENKUlvE1_clEvENKUlN3c107complexIdEES8_E_clES8_S8_@rel32@hi+24
	s_wait_alu 0xfffe
	s_swappc_b64 s[30:31], s[0:1]
	v_dual_mov_b32 v4, v0 :: v_dual_mov_b32 v5, v1
	v_dual_mov_b32 v6, v2 :: v_dual_mov_b32 v7, v3
.LBB181_64:
	s_wait_alu 0xfffe
	s_or_b32 exec_lo, exec_lo, s21
	v_lshl_or_b32 v160, v146, 2, 64
	v_add_nc_u32_e32 v161, 16, v146
	s_mov_b32 s21, exec_lo
	s_wait_dscnt 0x3
	ds_bpermute_b32 v0, v160, v4
	s_wait_dscnt 0x3
	ds_bpermute_b32 v1, v160, v5
	;; [unrolled: 2-line block ×4, first 2 shown]
	v_cmpx_le_u32_e64 v161, v140
	s_cbranch_execz .LBB181_66
; %bb.65:
	s_getpc_b64 s[0:1]
	s_wait_alu 0xfffe
	s_sext_i32_i16 s1, s1
	s_add_co_u32 s0, s0, _ZZZZN2at6native31launch_logcumsumexp_cuda_kernelERKNS_10TensorBaseES3_lENKUlvE_clEvENKUlvE1_clEvENKUlN3c107complexIdEES8_E_clES8_S8_@rel32@lo+12
	s_wait_alu 0xfffe
	s_add_co_ci_u32 s1, s1, _ZZZZN2at6native31launch_logcumsumexp_cuda_kernelERKNS_10TensorBaseES3_lENKUlvE_clEvENKUlvE1_clEvENKUlN3c107complexIdEES8_E_clES8_S8_@rel32@hi+24
	s_wait_alu 0xfffe
	s_swappc_b64 s[30:31], s[0:1]
	v_dual_mov_b32 v4, v0 :: v_dual_mov_b32 v5, v1
	v_dual_mov_b32 v6, v2 :: v_dual_mov_b32 v7, v3
.LBB181_66:
	s_wait_alu 0xfffe
	s_or_b32 exec_lo, exec_lo, s21
	v_mov_b32_e32 v145, 0
	s_branch .LBB181_69
.LBB181_67:                             ;   in Loop: Header=BB181_69 Depth=1
	s_wait_alu 0xfffe
	s_or_b32 exec_lo, exec_lo, s21
	s_wait_dscnt 0x2
	v_dual_mov_b32 v0, v4 :: v_dual_mov_b32 v1, v5
	s_wait_dscnt 0x0
	v_dual_mov_b32 v2, v6 :: v_dual_mov_b32 v3, v7
	v_dual_mov_b32 v4, v140 :: v_dual_mov_b32 v5, v141
	v_dual_mov_b32 v6, v142 :: v_dual_mov_b32 v7, v143
	s_getpc_b64 s[0:1]
	s_wait_alu 0xfffe
	s_sext_i32_i16 s1, s1
	s_add_co_u32 s0, s0, _ZZZZN2at6native31launch_logcumsumexp_cuda_kernelERKNS_10TensorBaseES3_lENKUlvE_clEvENKUlvE1_clEvENKUlN3c107complexIdEES8_E_clES8_S8_@rel32@lo+12
	s_wait_alu 0xfffe
	s_add_co_ci_u32 s1, s1, _ZZZZN2at6native31launch_logcumsumexp_cuda_kernelERKNS_10TensorBaseES3_lENKUlvE_clEvENKUlvE1_clEvENKUlN3c107complexIdEES8_E_clES8_S8_@rel32@hi+24
	v_subrev_nc_u32_e32 v144, 32, v144
	s_wait_alu 0xfffe
	s_swappc_b64 s[30:31], s[0:1]
	v_dual_mov_b32 v4, v0 :: v_dual_mov_b32 v5, v1
	v_dual_mov_b32 v6, v2 :: v_dual_mov_b32 v7, v3
	s_mov_b32 s0, 0
.LBB181_68:                             ;   in Loop: Header=BB181_69 Depth=1
	s_wait_alu 0xfffe
	s_and_b32 vcc_lo, exec_lo, s0
	s_wait_alu 0xfffe
	s_cbranch_vccnz .LBB181_85
.LBB181_69:                             ; =>This Loop Header: Depth=1
                                        ;     Child Loop BB181_72 Depth 2
	s_wait_dscnt 0x3
	v_dual_mov_b32 v143, v7 :: v_dual_and_b32 v0, 0xff, v151
	v_dual_mov_b32 v142, v6 :: v_dual_mov_b32 v141, v5
	v_mov_b32_e32 v140, v4
	s_delay_alu instid0(VALU_DEP_3)
	v_cmp_ne_u16_e32 vcc_lo, 2, v0
	s_mov_b32 s0, -1
                                        ; implicit-def: $vgpr6_vgpr7
                                        ; implicit-def: $vgpr151
	s_cmp_lg_u32 vcc_lo, exec_lo
	s_cbranch_scc1 .LBB181_68
; %bb.70:                               ;   in Loop: Header=BB181_69 Depth=1
	global_load_u8 v151, v144, s[28:29] scope:SCOPE_DEV
	s_mov_b32 s0, exec_lo
	s_wait_loadcnt 0x0
	v_cmpx_eq_u16_e64 0, v151
	s_cbranch_execz .LBB181_74
; %bb.71:                               ;   in Loop: Header=BB181_69 Depth=1
	v_add_co_u32 v0, s1, s28, v144
	s_wait_dscnt 0x2
	s_wait_alu 0xf1ff
	v_add_co_ci_u32_e64 v1, null, s29, 0, s1
	s_mov_b32 s1, 0
.LBB181_72:                             ;   Parent Loop BB181_69 Depth=1
                                        ; =>  This Inner Loop Header: Depth=2
	global_load_u8 v151, v[0:1], off scope:SCOPE_DEV
	s_wait_loadcnt 0x0
	v_cmp_ne_u16_e64 vcc_lo, 0, v151
	s_wait_alu 0xfffe
	s_or_b32 s1, vcc_lo, s1
	s_wait_alu 0xfffe
	s_and_not1_b32 exec_lo, exec_lo, s1
	s_cbranch_execnz .LBB181_72
; %bb.73:                               ;   in Loop: Header=BB181_69 Depth=1
	s_or_b32 exec_lo, exec_lo, s1
.LBB181_74:                             ;   in Loop: Header=BB181_69 Depth=1
	s_wait_alu 0xfffe
	s_or_b32 exec_lo, exec_lo, s0
	s_wait_dscnt 0x0
	v_dual_mov_b32 v2, s45 :: v_dual_mov_b32 v3, s44
	v_cmp_eq_u16_e64 vcc_lo, 1, v151
	v_lshlrev_b64_e32 v[0:1], 4, v[144:145]
	s_wait_storecnt 0x0
	global_inv scope:SCOPE_DEV
	s_mov_b32 s21, exec_lo
	s_wait_alu 0xfffd
	v_cndmask_b32_e32 v3, s46, v3, vcc_lo
	v_cndmask_b32_e32 v2, s47, v2, vcc_lo
	s_delay_alu instid0(VALU_DEP_2) | instskip(SKIP_1) | instid1(VALU_DEP_2)
	v_add_co_u32 v0, vcc_lo, v3, v0
	s_wait_alu 0xfffd
	v_add_co_ci_u32_e64 v1, null, v2, v1, vcc_lo
	v_cmp_eq_u16_e64 vcc_lo, 2, v151
	global_load_b128 v[4:7], v[0:1], off
	s_wait_alu 0xfffd
	v_and_or_b32 v8, vcc_lo, v153, 0x80000000
	s_delay_alu instid0(VALU_DEP_1)
	v_ctz_i32_b32_e32 v162, v8
	s_wait_loadcnt 0x0
	ds_bpermute_b32 v0, v152, v4
	ds_bpermute_b32 v1, v152, v5
	;; [unrolled: 1-line block ×4, first 2 shown]
	v_cmpx_lt_u32_e64 v146, v162
	s_cbranch_execz .LBB181_76
; %bb.75:                               ;   in Loop: Header=BB181_69 Depth=1
	s_getpc_b64 s[0:1]
	s_wait_alu 0xfffe
	s_sext_i32_i16 s1, s1
	s_add_co_u32 s0, s0, _ZZZZN2at6native31launch_logcumsumexp_cuda_kernelERKNS_10TensorBaseES3_lENKUlvE_clEvENKUlvE1_clEvENKUlN3c107complexIdEES8_E_clES8_S8_@rel32@lo+12
	s_wait_alu 0xfffe
	s_add_co_ci_u32 s1, s1, _ZZZZN2at6native31launch_logcumsumexp_cuda_kernelERKNS_10TensorBaseES3_lENKUlvE_clEvENKUlvE1_clEvENKUlN3c107complexIdEES8_E_clES8_S8_@rel32@hi+24
	s_wait_alu 0xfffe
	s_swappc_b64 s[30:31], s[0:1]
	v_dual_mov_b32 v4, v0 :: v_dual_mov_b32 v5, v1
	v_dual_mov_b32 v6, v2 :: v_dual_mov_b32 v7, v3
.LBB181_76:                             ;   in Loop: Header=BB181_69 Depth=1
	s_wait_alu 0xfffe
	s_or_b32 exec_lo, exec_lo, s21
	s_wait_dscnt 0x3
	ds_bpermute_b32 v0, v154, v4
	s_wait_dscnt 0x3
	ds_bpermute_b32 v1, v154, v5
	s_wait_dscnt 0x3
	ds_bpermute_b32 v2, v154, v6
	s_wait_dscnt 0x3
	ds_bpermute_b32 v3, v154, v7
	s_mov_b32 s21, exec_lo
	v_cmpx_le_u32_e64 v155, v162
	s_cbranch_execz .LBB181_78
; %bb.77:                               ;   in Loop: Header=BB181_69 Depth=1
	s_getpc_b64 s[0:1]
	s_wait_alu 0xfffe
	s_sext_i32_i16 s1, s1
	s_add_co_u32 s0, s0, _ZZZZN2at6native31launch_logcumsumexp_cuda_kernelERKNS_10TensorBaseES3_lENKUlvE_clEvENKUlvE1_clEvENKUlN3c107complexIdEES8_E_clES8_S8_@rel32@lo+12
	s_wait_alu 0xfffe
	s_add_co_ci_u32 s1, s1, _ZZZZN2at6native31launch_logcumsumexp_cuda_kernelERKNS_10TensorBaseES3_lENKUlvE_clEvENKUlvE1_clEvENKUlN3c107complexIdEES8_E_clES8_S8_@rel32@hi+24
	s_wait_alu 0xfffe
	s_swappc_b64 s[30:31], s[0:1]
	v_dual_mov_b32 v4, v0 :: v_dual_mov_b32 v5, v1
	v_dual_mov_b32 v6, v2 :: v_dual_mov_b32 v7, v3
.LBB181_78:                             ;   in Loop: Header=BB181_69 Depth=1
	s_wait_alu 0xfffe
	s_or_b32 exec_lo, exec_lo, s21
	s_wait_dscnt 0x3
	ds_bpermute_b32 v0, v156, v4
	s_wait_dscnt 0x3
	ds_bpermute_b32 v1, v156, v5
	s_wait_dscnt 0x3
	ds_bpermute_b32 v2, v156, v6
	s_wait_dscnt 0x3
	ds_bpermute_b32 v3, v156, v7
	s_mov_b32 s21, exec_lo
	v_cmpx_le_u32_e64 v157, v162
	;; [unrolled: 25-line block ×4, first 2 shown]
	s_cbranch_execz .LBB181_67
; %bb.83:                               ;   in Loop: Header=BB181_69 Depth=1
	s_getpc_b64 s[0:1]
	s_wait_alu 0xfffe
	s_sext_i32_i16 s1, s1
	s_add_co_u32 s0, s0, _ZZZZN2at6native31launch_logcumsumexp_cuda_kernelERKNS_10TensorBaseES3_lENKUlvE_clEvENKUlvE1_clEvENKUlN3c107complexIdEES8_E_clES8_S8_@rel32@lo+12
	s_wait_alu 0xfffe
	s_add_co_ci_u32 s1, s1, _ZZZZN2at6native31launch_logcumsumexp_cuda_kernelERKNS_10TensorBaseES3_lENKUlvE_clEvENKUlvE1_clEvENKUlN3c107complexIdEES8_E_clES8_S8_@rel32@hi+24
	s_wait_alu 0xfffe
	s_swappc_b64 s[30:31], s[0:1]
	v_dual_mov_b32 v4, v0 :: v_dual_mov_b32 v5, v1
	v_dual_mov_b32 v6, v2 :: v_dual_mov_b32 v7, v3
	s_branch .LBB181_67
.LBB181_84:
                                        ; implicit-def: $vgpr172_vgpr173
                                        ; implicit-def: $vgpr124_vgpr125
                                        ; implicit-def: $vgpr136_vgpr137
                                        ; implicit-def: $vgpr140_vgpr141
                                        ; implicit-def: $vgpr144_vgpr145
                                        ; implicit-def: $vgpr148_vgpr149
                                        ; implicit-def: $vgpr152_vgpr153
                                        ; implicit-def: $vgpr156_vgpr157
                                        ; implicit-def: $vgpr160_vgpr161
                                        ; implicit-def: $vgpr164_vgpr165
                                        ; implicit-def: $vgpr168_vgpr169
	s_load_b256 s[36:43], s[18:19], 0x58
	s_cbranch_execnz .LBB181_92
	s_branch .LBB181_121
.LBB181_85:
	s_and_saveexec_b32 s21, s20
	s_cbranch_execz .LBB181_87
; %bb.86:
	s_wait_dscnt 0x2
	v_dual_mov_b32 v0, v140 :: v_dual_mov_b32 v1, v141
	s_wait_dscnt 0x0
	v_dual_mov_b32 v2, v142 :: v_dual_mov_b32 v3, v143
	v_dual_mov_b32 v4, v136 :: v_dual_mov_b32 v5, v137
	;; [unrolled: 1-line block ×3, first 2 shown]
	s_getpc_b64 s[0:1]
	s_wait_alu 0xfffe
	s_sext_i32_i16 s1, s1
	s_add_co_u32 s0, s0, _ZZZZN2at6native31launch_logcumsumexp_cuda_kernelERKNS_10TensorBaseES3_lENKUlvE_clEvENKUlvE1_clEvENKUlN3c107complexIdEES8_E_clES8_S8_@rel32@lo+12
	s_wait_alu 0xfffe
	s_add_co_ci_u32 s1, s1, _ZZZZN2at6native31launch_logcumsumexp_cuda_kernelERKNS_10TensorBaseES3_lENKUlvE_clEvENKUlvE1_clEvENKUlN3c107complexIdEES8_E_clES8_S8_@rel32@hi+24
	s_wait_alu 0xfffe
	s_swappc_b64 s[30:31], s[0:1]
	s_add_co_i32 s0, ttmp9, 32
	s_mov_b32 s1, 0
	v_dual_mov_b32 v4, 0 :: v_dual_mov_b32 v5, 2
	s_wait_alu 0xfffe
	v_mov_b32_e32 v6, s0
	s_lshl_b64 s[2:3], s[0:1], 4
	s_wait_alu 0xfffe
	s_add_nc_u64 s[0:1], s[46:47], s[2:3]
	global_store_b128 v4, v[0:3], s[0:1]
	s_wait_storecnt 0x0
	global_inv scope:SCOPE_DEV
	global_store_b8 v6, v5, s[28:29] scope:SCOPE_DEV
.LBB181_87:
	s_wait_alu 0xfffe
	s_or_b32 exec_lo, exec_lo, s21
	v_cmp_eq_u32_e32 vcc_lo, 0, v180
	s_and_b32 exec_lo, exec_lo, vcc_lo
; %bb.88:
	v_mov_b32_e32 v0, 0
	ds_store_b128 v0, v[140:143] offset:112
.LBB181_89:
	s_wait_alu 0xfffe
	s_or_b32 exec_lo, exec_lo, s26
	v_mov_b32_e32 v0, 0
	v_mov_b32_e32 v6, v42
	s_wait_storecnt 0x0
	s_wait_loadcnt_dscnt 0x0
	s_barrier_signal -1
	s_barrier_wait -1
	global_inv scope:SCOPE_SE
	v_mov_b32_e32 v7, v43
	ds_load_b128 v[8:11], v0 offset:112
	v_dual_mov_b32 v4, v40 :: v_dual_mov_b32 v5, v41
	s_mov_b32 s26, 0
	s_mov_b32 s21, exec_lo
	v_cmpx_ne_u32_e32 0, v180
	s_cbranch_execz .LBB181_91
; %bb.90:
	v_cndmask_b32_e64 v2, v150, v126, s20
	v_cndmask_b32_e64 v0, v147, v124, s20
	;; [unrolled: 1-line block ×4, first 2 shown]
	v_dual_mov_b32 v4, v40 :: v_dual_mov_b32 v5, v41
	v_dual_mov_b32 v6, v42 :: v_dual_mov_b32 v7, v43
	s_getpc_b64 s[0:1]
	s_wait_alu 0xfffe
	s_sext_i32_i16 s1, s1
	s_add_co_u32 s0, s0, _ZZZZN2at6native31launch_logcumsumexp_cuda_kernelERKNS_10TensorBaseES3_lENKUlvE_clEvENKUlvE1_clEvENKUlN3c107complexIdEES8_E_clES8_S8_@rel32@lo+12
	s_wait_alu 0xfffe
	s_add_co_ci_u32 s1, s1, _ZZZZN2at6native31launch_logcumsumexp_cuda_kernelERKNS_10TensorBaseES3_lENKUlvE_clEvENKUlvE1_clEvENKUlN3c107complexIdEES8_E_clES8_S8_@rel32@hi+24
	s_wait_dscnt 0x0
	v_dual_mov_b32 v127, v11 :: v_dual_mov_b32 v126, v10
	v_dual_mov_b32 v125, v9 :: v_dual_mov_b32 v124, v8
	s_wait_alu 0xfffe
	s_swappc_b64 s[30:31], s[0:1]
	s_delay_alu instid0(VALU_DEP_1)
	v_dual_mov_b32 v8, v124 :: v_dual_mov_b32 v9, v125
	v_dual_mov_b32 v4, v0 :: v_dual_mov_b32 v5, v1
	;; [unrolled: 1-line block ×4, first 2 shown]
.LBB181_91:
	s_wait_alu 0xfffe
	s_or_b32 exec_lo, exec_lo, s21
	s_wait_dscnt 0x0
	v_dual_mov_b32 v0, v8 :: v_dual_mov_b32 v1, v9
	v_dual_mov_b32 v2, v10 :: v_dual_mov_b32 v3, v11
	s_getpc_b64 s[20:21]
	s_wait_alu 0xfffe
	s_sext_i32_i16 s21, s21
	s_add_co_u32 s20, s20, _ZZZZN2at6native31launch_logcumsumexp_cuda_kernelERKNS_10TensorBaseES3_lENKUlvE_clEvENKUlvE1_clEvENKUlN3c107complexIdEES8_E_clES8_S8_@rel32@lo+12
	s_wait_alu 0xfffe
	s_add_co_ci_u32 s21, s21, _ZZZZN2at6native31launch_logcumsumexp_cuda_kernelERKNS_10TensorBaseES3_lENKUlvE_clEvENKUlvE1_clEvENKUlN3c107complexIdEES8_E_clES8_S8_@rel32@hi+24
	s_wait_alu 0xfffe
	s_swappc_b64 s[30:31], s[20:21]
	v_dual_mov_b32 v4, v120 :: v_dual_mov_b32 v5, v121
	v_dual_mov_b32 v6, v122 :: v_dual_mov_b32 v7, v123
	v_dual_mov_b32 v172, v0 :: v_dual_mov_b32 v173, v1
	v_dual_mov_b32 v174, v2 :: v_dual_mov_b32 v175, v3
	s_wait_alu 0xfffe
	s_swappc_b64 s[30:31], s[20:21]
	v_dual_mov_b32 v4, v108 :: v_dual_mov_b32 v5, v109
	v_dual_mov_b32 v6, v110 :: v_dual_mov_b32 v7, v111
	v_dual_mov_b32 v124, v0 :: v_dual_mov_b32 v125, v1
	v_dual_mov_b32 v126, v2 :: v_dual_mov_b32 v127, v3
	;; [unrolled: 6-line block ×10, first 2 shown]
	s_wait_alu 0xfffe
	s_swappc_b64 s[30:31], s[20:21]
	v_dual_mov_b32 v168, v0 :: v_dual_mov_b32 v169, v1
	v_dual_mov_b32 v170, v2 :: v_dual_mov_b32 v171, v3
	s_load_b256 s[36:43], s[18:19], 0x58
	s_and_b32 vcc_lo, exec_lo, s26
	s_wait_alu 0xfffe
	s_cbranch_vccz .LBB181_121
.LBB181_92:
	v_cmp_eq_u32_e32 vcc_lo, 0, v180
	s_wait_kmcnt 0x0
	s_cmp_lg_u64 s[40:41], 0
	v_cmp_ne_u32_e64 s18, 0, v180
	s_cselect_b32 s0, -1, 0
	s_wait_alu 0xfffe
	s_and_b32 s0, vcc_lo, s0
	s_wait_alu 0xfffe
	s_and_saveexec_b32 s19, s0
	s_cbranch_execz .LBB181_94
; %bb.93:
	v_dual_mov_b32 v0, 0 :: v_dual_mov_b32 v5, v41
	v_dual_mov_b32 v4, v40 :: v_dual_mov_b32 v7, v43
	v_mov_b32_e32 v6, v42
	global_load_b128 v[0:3], v0, s[36:37]
	s_getpc_b64 s[0:1]
	s_wait_alu 0xfffe
	s_sext_i32_i16 s1, s1
	s_add_co_u32 s0, s0, _ZZZZN2at6native31launch_logcumsumexp_cuda_kernelERKNS_10TensorBaseES3_lENKUlvE_clEvENKUlvE1_clEvENKUlN3c107complexIdEES8_E_clES8_S8_@rel32@lo+12
	s_wait_alu 0xfffe
	s_add_co_ci_u32 s1, s1, _ZZZZN2at6native31launch_logcumsumexp_cuda_kernelERKNS_10TensorBaseES3_lENKUlvE_clEvENKUlvE1_clEvENKUlN3c107complexIdEES8_E_clES8_S8_@rel32@hi+24
	s_wait_alu 0xfffe
	s_swappc_b64 s[30:31], s[0:1]
	v_dual_mov_b32 v40, v0 :: v_dual_mov_b32 v41, v1
	v_dual_mov_b32 v42, v2 :: v_dual_mov_b32 v43, v3
.LBB181_94:
	s_wait_alu 0xfffe
	s_or_b32 exec_lo, exec_lo, s19
	s_delay_alu instid0(VALU_DEP_2) | instskip(NEXT) | instid1(VALU_DEP_2)
	v_dual_mov_b32 v0, v40 :: v_dual_mov_b32 v1, v41
	v_dual_mov_b32 v2, v42 :: v_dual_mov_b32 v3, v43
	;; [unrolled: 1-line block ×4, first 2 shown]
	s_getpc_b64 s[20:21]
	s_wait_alu 0xfffe
	s_sext_i32_i16 s21, s21
	s_add_co_u32 s20, s20, _ZZZZN2at6native31launch_logcumsumexp_cuda_kernelERKNS_10TensorBaseES3_lENKUlvE_clEvENKUlvE1_clEvENKUlN3c107complexIdEES8_E_clES8_S8_@rel32@lo+12
	s_wait_alu 0xfffe
	s_add_co_ci_u32 s21, s21, _ZZZZN2at6native31launch_logcumsumexp_cuda_kernelERKNS_10TensorBaseES3_lENKUlvE_clEvENKUlvE1_clEvENKUlN3c107complexIdEES8_E_clES8_S8_@rel32@hi+24
	s_wait_alu 0xfffe
	s_swappc_b64 s[30:31], s[20:21]
	v_dual_mov_b32 v4, v108 :: v_dual_mov_b32 v5, v109
	v_dual_mov_b32 v6, v110 :: v_dual_mov_b32 v7, v111
	v_dual_mov_b32 v124, v0 :: v_dual_mov_b32 v125, v1
	v_dual_mov_b32 v126, v2 :: v_dual_mov_b32 v127, v3
	s_wait_alu 0xfffe
	s_swappc_b64 s[30:31], s[20:21]
	v_dual_mov_b32 v4, v104 :: v_dual_mov_b32 v5, v105
	v_dual_mov_b32 v6, v106 :: v_dual_mov_b32 v7, v107
	v_dual_mov_b32 v136, v0 :: v_dual_mov_b32 v137, v1
	v_dual_mov_b32 v138, v2 :: v_dual_mov_b32 v139, v3
	;; [unrolled: 6-line block ×9, first 2 shown]
	s_wait_alu 0xfffe
	s_swappc_b64 s[30:31], s[20:21]
	v_dual_mov_b32 v170, v2 :: v_dual_mov_b32 v171, v3
	v_mbcnt_lo_u32_b32 v183, -1, 0
	v_dual_mov_b32 v168, v0 :: v_dual_mov_b32 v169, v1
	s_delay_alu instid0(VALU_DEP_3) | instskip(NEXT) | instid1(VALU_DEP_3)
	v_mov_b32_dpp v6, v170 row_shr:1 row_mask:0xf bank_mask:0xf
	v_dual_mov_b32 v175, v171 :: v_dual_and_b32 v176, 15, v183
	s_delay_alu instid0(VALU_DEP_3) | instskip(NEXT) | instid1(VALU_DEP_4)
	v_dual_mov_b32 v174, v170 :: v_dual_mov_b32 v173, v169
	v_mov_b32_dpp v4, v168 row_shr:1 row_mask:0xf bank_mask:0xf
	v_mov_b32_dpp v5, v169 row_shr:1 row_mask:0xf bank_mask:0xf
	;; [unrolled: 1-line block ×3, first 2 shown]
	v_mov_b32_e32 v172, v168
	s_mov_b32 s19, exec_lo
	v_cmpx_ne_u32_e32 0, v176
	s_cbranch_execz .LBB181_96
; %bb.95:
	v_dual_mov_b32 v0, v4 :: v_dual_mov_b32 v1, v5
	v_dual_mov_b32 v2, v6 :: v_dual_mov_b32 v3, v7
	;; [unrolled: 1-line block ×4, first 2 shown]
	s_wait_alu 0xfffe
	s_swappc_b64 s[30:31], s[20:21]
	v_dual_mov_b32 v172, v0 :: v_dual_mov_b32 v173, v1
	v_dual_mov_b32 v174, v2 :: v_dual_mov_b32 v175, v3
.LBB181_96:
	s_wait_alu 0xfffe
	s_or_b32 exec_lo, exec_lo, s19
	v_mov_b32_dpp v4, v0 row_shr:2 row_mask:0xf bank_mask:0xf
	v_mov_b32_dpp v5, v1 row_shr:2 row_mask:0xf bank_mask:0xf
	v_mov_b32_dpp v6, v2 row_shr:2 row_mask:0xf bank_mask:0xf
	v_mov_b32_dpp v7, v3 row_shr:2 row_mask:0xf bank_mask:0xf
	s_mov_b32 s19, exec_lo
	v_cmpx_lt_u32_e32 1, v176
	s_cbranch_execz .LBB181_98
; %bb.97:
	v_dual_mov_b32 v0, v4 :: v_dual_mov_b32 v1, v5
	v_dual_mov_b32 v2, v6 :: v_dual_mov_b32 v3, v7
	v_dual_mov_b32 v4, v172 :: v_dual_mov_b32 v5, v173
	v_dual_mov_b32 v6, v174 :: v_dual_mov_b32 v7, v175
	s_getpc_b64 s[0:1]
	s_wait_alu 0xfffe
	s_sext_i32_i16 s1, s1
	s_add_co_u32 s0, s0, _ZZZZN2at6native31launch_logcumsumexp_cuda_kernelERKNS_10TensorBaseES3_lENKUlvE_clEvENKUlvE1_clEvENKUlN3c107complexIdEES8_E_clES8_S8_@rel32@lo+12
	s_wait_alu 0xfffe
	s_add_co_ci_u32 s1, s1, _ZZZZN2at6native31launch_logcumsumexp_cuda_kernelERKNS_10TensorBaseES3_lENKUlvE_clEvENKUlvE1_clEvENKUlN3c107complexIdEES8_E_clES8_S8_@rel32@hi+24
	s_wait_alu 0xfffe
	s_swappc_b64 s[30:31], s[0:1]
	v_dual_mov_b32 v175, v3 :: v_dual_mov_b32 v174, v2
	v_dual_mov_b32 v173, v1 :: v_dual_mov_b32 v172, v0
.LBB181_98:
	s_wait_alu 0xfffe
	s_or_b32 exec_lo, exec_lo, s19
	v_mov_b32_dpp v4, v0 row_shr:4 row_mask:0xf bank_mask:0xf
	v_mov_b32_dpp v5, v1 row_shr:4 row_mask:0xf bank_mask:0xf
	v_mov_b32_dpp v6, v2 row_shr:4 row_mask:0xf bank_mask:0xf
	v_mov_b32_dpp v7, v3 row_shr:4 row_mask:0xf bank_mask:0xf
	s_mov_b32 s19, exec_lo
	v_cmpx_lt_u32_e32 3, v176
	s_cbranch_execz .LBB181_100
; %bb.99:
	v_dual_mov_b32 v0, v4 :: v_dual_mov_b32 v1, v5
	v_dual_mov_b32 v2, v6 :: v_dual_mov_b32 v3, v7
	v_dual_mov_b32 v4, v172 :: v_dual_mov_b32 v5, v173
	v_dual_mov_b32 v6, v174 :: v_dual_mov_b32 v7, v175
	s_getpc_b64 s[0:1]
	s_wait_alu 0xfffe
	s_sext_i32_i16 s1, s1
	s_add_co_u32 s0, s0, _ZZZZN2at6native31launch_logcumsumexp_cuda_kernelERKNS_10TensorBaseES3_lENKUlvE_clEvENKUlvE1_clEvENKUlN3c107complexIdEES8_E_clES8_S8_@rel32@lo+12
	s_wait_alu 0xfffe
	s_add_co_ci_u32 s1, s1, _ZZZZN2at6native31launch_logcumsumexp_cuda_kernelERKNS_10TensorBaseES3_lENKUlvE_clEvENKUlvE1_clEvENKUlN3c107complexIdEES8_E_clES8_S8_@rel32@hi+24
	s_wait_alu 0xfffe
	s_swappc_b64 s[30:31], s[0:1]
	v_dual_mov_b32 v175, v3 :: v_dual_mov_b32 v174, v2
	v_dual_mov_b32 v173, v1 :: v_dual_mov_b32 v172, v0
.LBB181_100:
	;; [unrolled: 25-line block ×3, first 2 shown]
	s_wait_alu 0xfffe
	s_or_b32 exec_lo, exec_lo, s19
	ds_swizzle_b32 v0, v0 offset:swizzle(BROADCAST,32,15)
	ds_swizzle_b32 v1, v1 offset:swizzle(BROADCAST,32,15)
	;; [unrolled: 1-line block ×4, first 2 shown]
	v_and_b32_e32 v4, 16, v183
	s_mov_b32 s19, exec_lo
	s_delay_alu instid0(VALU_DEP_1)
	v_cmpx_ne_u32_e32 0, v4
	s_cbranch_execz .LBB181_104
; %bb.103:
	v_dual_mov_b32 v4, v172 :: v_dual_mov_b32 v5, v173
	v_dual_mov_b32 v6, v174 :: v_dual_mov_b32 v7, v175
	s_getpc_b64 s[0:1]
	s_wait_alu 0xfffe
	s_sext_i32_i16 s1, s1
	s_add_co_u32 s0, s0, _ZZZZN2at6native31launch_logcumsumexp_cuda_kernelERKNS_10TensorBaseES3_lENKUlvE_clEvENKUlvE1_clEvENKUlN3c107complexIdEES8_E_clES8_S8_@rel32@lo+12
	s_wait_alu 0xfffe
	s_add_co_ci_u32 s1, s1, _ZZZZN2at6native31launch_logcumsumexp_cuda_kernelERKNS_10TensorBaseES3_lENKUlvE_clEvENKUlvE1_clEvENKUlN3c107complexIdEES8_E_clES8_S8_@rel32@hi+24
	s_wait_alu 0xfffe
	s_swappc_b64 s[30:31], s[0:1]
	v_dual_mov_b32 v172, v0 :: v_dual_mov_b32 v173, v1
	v_dual_mov_b32 v174, v2 :: v_dual_mov_b32 v175, v3
.LBB181_104:
	s_wait_alu 0xfffe
	s_or_b32 exec_lo, exec_lo, s19
	s_wait_dscnt 0x3
	v_or_b32_e32 v0, 31, v180
	v_lshrrev_b32_e32 v184, 5, v180
	s_mov_b32 s0, exec_lo
	s_delay_alu instid0(VALU_DEP_2)
	v_cmpx_eq_u32_e64 v180, v0
; %bb.105:
	s_delay_alu instid0(VALU_DEP_2)
	v_lshlrev_b32_e32 v0, 4, v184
	ds_store_b128 v0, v[172:175]
; %bb.106:
	s_wait_alu 0xfffe
	s_or_b32 exec_lo, exec_lo, s0
	s_delay_alu instid0(SALU_CYCLE_1)
	s_mov_b32 s19, exec_lo
	s_wait_storecnt_dscnt 0x0
	s_barrier_signal -1
	s_barrier_wait -1
	global_inv scope:SCOPE_SE
	v_cmpx_gt_u32_e32 8, v180
	s_cbranch_execz .LBB181_114
; %bb.107:
	v_mad_i32_i24 v0, 0xffffff60, v180, v181
	v_and_b32_e32 v176, 7, v183
	s_mov_b32 s20, exec_lo
	ds_load_b128 v[4:7], v0
	s_wait_dscnt 0x0
	v_mov_b32_dpp v0, v4 row_shr:1 row_mask:0xf bank_mask:0xf
	v_mov_b32_dpp v1, v5 row_shr:1 row_mask:0xf bank_mask:0xf
	;; [unrolled: 1-line block ×4, first 2 shown]
	v_cmpx_ne_u32_e32 0, v176
	s_cbranch_execz .LBB181_109
; %bb.108:
	s_getpc_b64 s[0:1]
	s_wait_alu 0xfffe
	s_sext_i32_i16 s1, s1
	s_add_co_u32 s0, s0, _ZZZZN2at6native31launch_logcumsumexp_cuda_kernelERKNS_10TensorBaseES3_lENKUlvE_clEvENKUlvE1_clEvENKUlN3c107complexIdEES8_E_clES8_S8_@rel32@lo+12
	s_wait_alu 0xfffe
	s_add_co_ci_u32 s1, s1, _ZZZZN2at6native31launch_logcumsumexp_cuda_kernelERKNS_10TensorBaseES3_lENKUlvE_clEvENKUlvE1_clEvENKUlN3c107complexIdEES8_E_clES8_S8_@rel32@hi+24
	s_wait_alu 0xfffe
	s_swappc_b64 s[30:31], s[0:1]
	v_dual_mov_b32 v4, v0 :: v_dual_mov_b32 v5, v1
	v_dual_mov_b32 v6, v2 :: v_dual_mov_b32 v7, v3
.LBB181_109:
	s_wait_alu 0xfffe
	s_or_b32 exec_lo, exec_lo, s20
	s_delay_alu instid0(VALU_DEP_2)
	v_mov_b32_dpp v0, v4 row_shr:2 row_mask:0xf bank_mask:0xf
	v_mov_b32_dpp v1, v5 row_shr:2 row_mask:0xf bank_mask:0xf
	;; [unrolled: 1-line block ×4, first 2 shown]
	s_mov_b32 s20, exec_lo
	v_cmpx_lt_u32_e32 1, v176
	s_cbranch_execz .LBB181_111
; %bb.110:
	s_getpc_b64 s[0:1]
	s_wait_alu 0xfffe
	s_sext_i32_i16 s1, s1
	s_add_co_u32 s0, s0, _ZZZZN2at6native31launch_logcumsumexp_cuda_kernelERKNS_10TensorBaseES3_lENKUlvE_clEvENKUlvE1_clEvENKUlN3c107complexIdEES8_E_clES8_S8_@rel32@lo+12
	s_wait_alu 0xfffe
	s_add_co_ci_u32 s1, s1, _ZZZZN2at6native31launch_logcumsumexp_cuda_kernelERKNS_10TensorBaseES3_lENKUlvE_clEvENKUlvE1_clEvENKUlN3c107complexIdEES8_E_clES8_S8_@rel32@hi+24
	s_wait_alu 0xfffe
	s_swappc_b64 s[30:31], s[0:1]
	v_dual_mov_b32 v4, v0 :: v_dual_mov_b32 v5, v1
	v_dual_mov_b32 v6, v2 :: v_dual_mov_b32 v7, v3
.LBB181_111:
	s_wait_alu 0xfffe
	s_or_b32 exec_lo, exec_lo, s20
	v_mul_i32_i24_e32 v177, 0xffffff60, v180
	v_mov_b32_dpp v0, v4 row_shr:4 row_mask:0xf bank_mask:0xf
	v_mov_b32_dpp v1, v5 row_shr:4 row_mask:0xf bank_mask:0xf
	;; [unrolled: 1-line block ×4, first 2 shown]
	s_mov_b32 s20, exec_lo
	v_cmpx_lt_u32_e32 3, v176
	s_cbranch_execz .LBB181_113
; %bb.112:
	s_getpc_b64 s[0:1]
	s_wait_alu 0xfffe
	s_sext_i32_i16 s1, s1
	s_add_co_u32 s0, s0, _ZZZZN2at6native31launch_logcumsumexp_cuda_kernelERKNS_10TensorBaseES3_lENKUlvE_clEvENKUlvE1_clEvENKUlN3c107complexIdEES8_E_clES8_S8_@rel32@lo+12
	s_wait_alu 0xfffe
	s_add_co_ci_u32 s1, s1, _ZZZZN2at6native31launch_logcumsumexp_cuda_kernelERKNS_10TensorBaseES3_lENKUlvE_clEvENKUlvE1_clEvENKUlN3c107complexIdEES8_E_clES8_S8_@rel32@hi+24
	s_wait_alu 0xfffe
	s_swappc_b64 s[30:31], s[0:1]
	v_dual_mov_b32 v4, v0 :: v_dual_mov_b32 v5, v1
	v_dual_mov_b32 v6, v2 :: v_dual_mov_b32 v7, v3
.LBB181_113:
	s_wait_alu 0xfffe
	s_or_b32 exec_lo, exec_lo, s20
	v_add_nc_u32_e32 v0, v181, v177
	ds_store_b128 v0, v[4:7]
.LBB181_114:
	s_wait_alu 0xfffe
	s_or_b32 exec_lo, exec_lo, s19
	v_mov_b32_e32 v178, 0
	v_dual_mov_b32 v179, 0 :: v_dual_mov_b32 v176, 0
	v_mov_b32_e32 v177, 0
	s_mov_b32 s19, exec_lo
	s_wait_storecnt 0x0
	s_wait_loadcnt_dscnt 0x0
	s_barrier_signal -1
	s_barrier_wait -1
	global_inv scope:SCOPE_SE
	v_cmpx_lt_u32_e32 31, v180
	s_cbranch_execz .LBB181_116
; %bb.115:
	v_lshl_add_u32 v0, v184, 4, -16
	v_dual_mov_b32 v4, v172 :: v_dual_mov_b32 v5, v173
	s_getpc_b64 s[0:1]
	s_wait_alu 0xfffe
	s_sext_i32_i16 s1, s1
	s_add_co_u32 s0, s0, _ZZZZN2at6native31launch_logcumsumexp_cuda_kernelERKNS_10TensorBaseES3_lENKUlvE_clEvENKUlvE1_clEvENKUlN3c107complexIdEES8_E_clES8_S8_@rel32@lo+12
	s_wait_alu 0xfffe
	s_add_co_ci_u32 s1, s1, _ZZZZN2at6native31launch_logcumsumexp_cuda_kernelERKNS_10TensorBaseES3_lENKUlvE_clEvENKUlvE1_clEvENKUlN3c107complexIdEES8_E_clES8_S8_@rel32@hi+24
	v_mov_b32_e32 v7, v175
	ds_load_b128 v[176:179], v0
	s_wait_dscnt 0x0
	v_dual_mov_b32 v6, v174 :: v_dual_mov_b32 v1, v177
	v_dual_mov_b32 v0, v176 :: v_dual_mov_b32 v3, v179
	v_mov_b32_e32 v2, v178
	s_wait_alu 0xfffe
	s_swappc_b64 s[30:31], s[0:1]
	s_delay_alu instid0(VALU_DEP_2) | instskip(NEXT) | instid1(VALU_DEP_2)
	v_dual_mov_b32 v172, v0 :: v_dual_mov_b32 v173, v1
	v_dual_mov_b32 v174, v2 :: v_dual_mov_b32 v175, v3
.LBB181_116:
	s_wait_alu 0xfffe
	s_or_b32 exec_lo, exec_lo, s19
	v_add_nc_u32_e32 v0, -1, v183
	s_delay_alu instid0(VALU_DEP_1) | instskip(SKIP_2) | instid1(VALU_DEP_1)
	v_cmp_gt_i32_e32 vcc_lo, 0, v0
	s_wait_alu 0xfffd
	v_cndmask_b32_e32 v0, v0, v183, vcc_lo
	v_lshlrev_b32_e32 v3, 2, v0
	ds_bpermute_b32 v0, v3, v172
	ds_bpermute_b32 v1, v3, v173
	;; [unrolled: 1-line block ×4, first 2 shown]
	s_and_saveexec_b32 s20, s18
	s_cbranch_execz .LBB181_118
; %bb.117:
	v_cmp_eq_u32_e32 vcc_lo, 0, v183
	v_dual_mov_b32 v4, v40 :: v_dual_mov_b32 v5, v41
	v_dual_mov_b32 v6, v42 :: v_dual_mov_b32 v7, v43
	s_wait_dscnt 0x2
	s_wait_alu 0xfffd
	v_dual_cndmask_b32 v0, v0, v176 :: v_dual_cndmask_b32 v1, v1, v177
	s_wait_dscnt 0x0
	v_dual_cndmask_b32 v2, v2, v178 :: v_dual_cndmask_b32 v3, v3, v179
	s_getpc_b64 s[18:19]
	s_wait_alu 0xfffe
	s_sext_i32_i16 s19, s19
	s_add_co_u32 s18, s18, _ZZZZN2at6native31launch_logcumsumexp_cuda_kernelERKNS_10TensorBaseES3_lENKUlvE_clEvENKUlvE1_clEvENKUlN3c107complexIdEES8_E_clES8_S8_@rel32@lo+12
	s_wait_alu 0xfffe
	s_add_co_ci_u32 s19, s19, _ZZZZN2at6native31launch_logcumsumexp_cuda_kernelERKNS_10TensorBaseES3_lENKUlvE_clEvENKUlvE1_clEvENKUlN3c107complexIdEES8_E_clES8_S8_@rel32@hi+24
	s_wait_alu 0xfffe
	s_swappc_b64 s[30:31], s[18:19]
	v_dual_mov_b32 v4, v120 :: v_dual_mov_b32 v5, v121
	v_dual_mov_b32 v6, v122 :: v_dual_mov_b32 v7, v123
	;; [unrolled: 1-line block ×4, first 2 shown]
	;;#ASMSTART
	;;#ASMEND
	s_wait_alu 0xfffe
	s_swappc_b64 s[30:31], s[18:19]
	v_dual_mov_b32 v4, v108 :: v_dual_mov_b32 v5, v109
	v_dual_mov_b32 v6, v110 :: v_dual_mov_b32 v7, v111
	v_dual_mov_b32 v124, v0 :: v_dual_mov_b32 v125, v1
	v_dual_mov_b32 v126, v2 :: v_dual_mov_b32 v127, v3
	s_wait_alu 0xfffe
	s_swappc_b64 s[30:31], s[18:19]
	v_dual_mov_b32 v4, v104 :: v_dual_mov_b32 v5, v105
	v_dual_mov_b32 v6, v106 :: v_dual_mov_b32 v7, v107
	v_dual_mov_b32 v136, v0 :: v_dual_mov_b32 v137, v1
	v_dual_mov_b32 v138, v2 :: v_dual_mov_b32 v139, v3
	;; [unrolled: 6-line block ×9, first 2 shown]
	s_wait_alu 0xfffe
	s_swappc_b64 s[30:31], s[18:19]
	v_dual_mov_b32 v168, v0 :: v_dual_mov_b32 v169, v1
	v_dual_mov_b32 v170, v2 :: v_dual_mov_b32 v171, v3
.LBB181_118:
	s_wait_alu 0xfffe
	s_or_b32 exec_lo, exec_lo, s20
	s_delay_alu instid0(SALU_CYCLE_1)
	s_mov_b32 s0, exec_lo
	v_cmpx_eq_u32_e32 0xff, v180
	s_cbranch_execz .LBB181_120
; %bb.119:
	s_wait_dscnt 0x2
	v_dual_mov_b32 v0, 0 :: v_dual_mov_b32 v1, 2
	global_store_b128 v0, v[168:171], s[46:47] offset:512
	s_wait_storecnt 0x0
	s_wait_loadcnt_dscnt 0x0
	global_inv scope:SCOPE_DEV
	global_store_b8 v0, v1, s[28:29] offset:32 scope:SCOPE_DEV
.LBB181_120:
	s_wait_alu 0xfffe
	s_or_b32 exec_lo, exec_lo, s0
	v_dual_mov_b32 v173, v41 :: v_dual_mov_b32 v172, v40
	v_dual_mov_b32 v175, v43 :: v_dual_mov_b32 v174, v42
.LBB181_121:
	s_add_nc_u64 s[0:1], s[24:25], s[34:35]
	s_and_b32 vcc_lo, exec_lo, s33
	s_wait_alu 0xfffe
	s_add_nc_u64 s[0:1], s[0:1], s[48:49]
	s_mov_b32 s2, -1
	s_wait_storecnt 0x0
	s_wait_loadcnt_dscnt 0x0
	s_barrier_signal -1
	s_barrier_wait -1
	global_inv scope:SCOPE_SE
	s_cbranch_vccz .LBB181_123
; %bb.122:
	ds_store_b128 v181, v[172:175]
	ds_store_b128 v181, v[124:127] offset:16
	ds_store_b128 v181, v[136:139] offset:32
	;; [unrolled: 1-line block ×10, first 2 shown]
	s_wait_loadcnt_dscnt 0x0
	s_barrier_signal -1
	s_barrier_wait -1
	global_inv scope:SCOPE_SE
	ds_load_b128 v[0:3], v182
	ds_load_b128 v[4:7], v182 offset:4096
	ds_load_b128 v[8:11], v182 offset:8192
	;; [unrolled: 1-line block ×10, first 2 shown]
	s_mov_b32 s2, 0
	s_wait_dscnt 0xa
	global_store_b128 v182, v[0:3], s[0:1]
	s_wait_dscnt 0x9
	global_store_b128 v182, v[4:7], s[0:1] offset:4096
	s_wait_dscnt 0x8
	global_store_b128 v182, v[8:11], s[0:1] offset:8192
	;; [unrolled: 2-line block ×10, first 2 shown]
.LBB181_123:
	s_wait_alu 0xfffe
	s_and_not1_b32 vcc_lo, exec_lo, s2
	s_wait_alu 0xfffe
	s_cbranch_vccnz .LBB181_185
; %bb.124:
	v_mad_i32_i24 v40, 0xffffff60, v180, v181
	ds_store_b128 v181, v[172:175]
	ds_store_b128 v181, v[124:127] offset:16
	ds_store_b128 v181, v[136:139] offset:32
	;; [unrolled: 1-line block ×10, first 2 shown]
	s_wait_storecnt 0x0
	s_wait_loadcnt_dscnt 0x0
	s_barrier_signal -1
	s_barrier_wait -1
	global_inv scope:SCOPE_SE
	ds_load_b128 v[0:3], v40 offset:4096
	ds_load_b128 v[8:11], v40 offset:8192
	;; [unrolled: 1-line block ×9, first 2 shown]
	ds_load_b128 v[4:7], v40
	ds_load_b128 v[40:43], v40 offset:40960
	v_add_co_u32 v44, s0, s0, v182
	v_mov_b32_e32 v181, 0
	s_wait_alu 0xf1ff
	v_add_co_ci_u32_e64 v45, null, s1, 0, s0
	s_mov_b32 s0, exec_lo
	v_cmpx_gt_u32_e64 s22, v180
	s_cbranch_execz .LBB181_126
; %bb.125:
	s_wait_dscnt 0x1
	global_store_b128 v[44:45], v[4:7], off
.LBB181_126:
	s_wait_alu 0xfffe
	s_or_b32 exec_lo, exec_lo, s0
	v_or_b32_e32 v46, 0x100, v180
	s_mov_b32 s0, exec_lo
	s_delay_alu instid0(VALU_DEP_1)
	v_cmpx_gt_u32_e64 s22, v46
	s_cbranch_execz .LBB181_128
; %bb.127:
	s_wait_dscnt 0xa
	global_store_b128 v[44:45], v[0:3], off offset:4096
.LBB181_128:
	s_wait_alu 0xfffe
	s_or_b32 exec_lo, exec_lo, s0
	v_or_b32_e32 v46, 0x200, v180
	s_mov_b32 s0, exec_lo
	s_delay_alu instid0(VALU_DEP_1)
	v_cmpx_gt_u32_e64 s22, v46
	s_cbranch_execz .LBB181_130
; %bb.129:
	s_wait_dscnt 0x9
	global_store_b128 v[44:45], v[8:11], off offset:8192
.LBB181_130:
	;; [unrolled: 11-line block ×10, first 2 shown]
	s_wait_alu 0xfffe
	s_or_b32 exec_lo, exec_lo, s0
	s_wait_kmcnt 0x0
	v_cmp_lt_u64_e64 s0, s[42:43], 2
	s_and_b32 vcc_lo, exec_lo, s0
	s_wait_alu 0xfffe
	s_cbranch_vccnz .LBB181_185
; %bb.147:
	s_add_nc_u64 s[0:1], s[22:23], -1
	s_mov_b32 s3, 0
	s_mov_b64 s[4:5], 0xba2e8ba3
	s_wait_alu 0xfffe
	s_mov_b32 s6, s0
	s_mov_b32 s7, s3
	s_mov_b32 s2, s1
	s_wait_alu 0xfffe
	s_mul_u64 s[8:9], s[6:7], s[4:5]
	s_mul_u64 s[4:5], s[2:3], s[4:5]
	s_wait_alu 0xfffe
	s_mov_b32 s8, s9
	s_mov_b32 s9, s3
	s_mul_u64 s[6:7], s[6:7], 0x2e8ba2e8
	s_wait_alu 0xfffe
	s_add_nc_u64 s[4:5], s[4:5], s[8:9]
	s_wait_alu 0xfffe
	s_mov_b32 s8, s5
	s_mov_b32 s5, s3
	s_wait_alu 0xfffe
	s_add_nc_u64 s[4:5], s[6:7], s[4:5]
	s_mul_u64 s[6:7], s[2:3], 0x2e8ba2e8
	s_wait_alu 0xfffe
	s_mov_b32 s4, s5
	s_mov_b32 s5, s3
	s_wait_alu 0xfffe
	s_add_nc_u64 s[2:3], s[8:9], s[4:5]
	s_wait_alu 0xfffe
	s_add_nc_u64 s[2:3], s[6:7], s[2:3]
	s_wait_alu 0xfffe
	s_lshr_b64 s[2:3], s[2:3], 1
	s_wait_alu 0xfffe
	v_cmp_eq_u64_e32 vcc_lo, s[2:3], v[180:181]
	s_and_saveexec_b32 s2, vcc_lo
	s_cbranch_execz .LBB181_185
; %bb.148:
	v_mul_u32_u24_e32 v44, 11, v180
	v_mul_hi_u32_u24_e32 v45, 11, v180
	s_delay_alu instid0(VALU_DEP_2) | instskip(SKIP_1) | instid1(VALU_DEP_2)
	v_sub_co_u32 v44, vcc_lo, s0, v44
	s_wait_alu 0xfffd
	v_sub_co_ci_u32_e64 v45, null, s1, v45, vcc_lo
	s_mov_b32 s0, exec_lo
	v_cmpx_lt_i64_e32 5, v[44:45]
	s_wait_alu 0xfffe
	s_xor_b32 s0, exec_lo, s0
	s_cbranch_execz .LBB181_166
; %bb.149:
	s_mov_b32 s1, exec_lo
	v_cmpx_lt_i64_e32 7, v[44:45]
	s_wait_alu 0xfffe
	s_xor_b32 s1, exec_lo, s1
	s_cbranch_execz .LBB181_159
; %bb.150:
	;; [unrolled: 6-line block ×4, first 2 shown]
	s_wait_dscnt 0xa
	v_mov_b32_e32 v0, 0
                                        ; implicit-def: $vgpr28_vgpr29_vgpr30_vgpr31
	s_wait_dscnt 0x0
	global_store_b128 v0, v[40:43], s[38:39]
.LBB181_153:
	s_wait_alu 0xfffe
	s_and_not1_saveexec_b32 s3, s3
	s_cbranch_execz .LBB181_155
; %bb.154:
	s_wait_dscnt 0xa
	v_mov_b32_e32 v0, 0
	s_wait_dscnt 0x2
	global_store_b128 v0, v[28:31], s[38:39]
.LBB181_155:
	s_wait_alu 0xfffe
	s_or_b32 exec_lo, exec_lo, s3
                                        ; implicit-def: $vgpr36_vgpr37_vgpr38_vgpr39
.LBB181_156:
	s_wait_alu 0xfffe
	s_and_not1_saveexec_b32 s2, s2
	s_cbranch_execz .LBB181_158
; %bb.157:
	s_wait_dscnt 0xa
	v_mov_b32_e32 v0, 0
	s_wait_dscnt 0x3
	global_store_b128 v0, v[36:39], s[38:39]
.LBB181_158:
	s_wait_alu 0xfffe
	s_or_b32 exec_lo, exec_lo, s2
                                        ; implicit-def: $vgpr24_vgpr25_vgpr26_vgpr27
                                        ; implicit-def: $vgpr44_vgpr45
                                        ; implicit-def: $vgpr32_vgpr33_vgpr34_vgpr35
.LBB181_159:
	s_wait_alu 0xfffe
	s_and_not1_saveexec_b32 s1, s1
	s_cbranch_execz .LBB181_165
; %bb.160:
	s_mov_b32 s2, exec_lo
	v_cmpx_lt_i64_e32 6, v[44:45]
	s_wait_alu 0xfffe
	s_xor_b32 s2, exec_lo, s2
	s_cbranch_execz .LBB181_162
; %bb.161:
	s_wait_dscnt 0xa
	v_mov_b32_e32 v0, 0
                                        ; implicit-def: $vgpr24_vgpr25_vgpr26_vgpr27
	s_wait_dscnt 0x4
	global_store_b128 v0, v[32:35], s[38:39]
.LBB181_162:
	s_wait_alu 0xfffe
	s_and_not1_saveexec_b32 s2, s2
	s_cbranch_execz .LBB181_164
; %bb.163:
	s_wait_dscnt 0xa
	v_mov_b32_e32 v0, 0
	s_wait_dscnt 0x5
	global_store_b128 v0, v[24:27], s[38:39]
.LBB181_164:
	s_wait_alu 0xfffe
	s_or_b32 exec_lo, exec_lo, s2
.LBB181_165:
	s_wait_alu 0xfffe
	s_or_b32 exec_lo, exec_lo, s1
                                        ; implicit-def: $vgpr44_vgpr45
                                        ; implicit-def: $vgpr16_vgpr17_vgpr18_vgpr19
                                        ; implicit-def: $vgpr8_vgpr9_vgpr10_vgpr11
                                        ; implicit-def: $vgpr0_vgpr1_vgpr2_vgpr3
                                        ; implicit-def: $vgpr4_vgpr5_vgpr6_vgpr7
                                        ; implicit-def: $vgpr12_vgpr13_vgpr14_vgpr15
                                        ; implicit-def: $vgpr20_vgpr21_vgpr22_vgpr23
.LBB181_166:
	s_wait_alu 0xfffe
	s_and_not1_saveexec_b32 s0, s0
	s_cbranch_execz .LBB181_185
; %bb.167:
	s_mov_b32 s0, exec_lo
	v_cmpx_lt_i64_e32 2, v[44:45]
	s_wait_alu 0xfffe
	s_xor_b32 s0, exec_lo, s0
	s_cbranch_execz .LBB181_177
; %bb.168:
	s_mov_b32 s1, exec_lo
	v_cmpx_lt_i64_e32 3, v[44:45]
	s_wait_alu 0xfffe
	s_xor_b32 s1, exec_lo, s1
	;; [unrolled: 6-line block ×3, first 2 shown]
	s_cbranch_execz .LBB181_171
; %bb.170:
	s_wait_dscnt 0xa
	v_mov_b32_e32 v0, 0
                                        ; implicit-def: $vgpr12_vgpr13_vgpr14_vgpr15
	s_wait_dscnt 0x6
	global_store_b128 v0, v[20:23], s[38:39]
.LBB181_171:
	s_wait_alu 0xfffe
	s_and_not1_saveexec_b32 s2, s2
	s_cbranch_execz .LBB181_173
; %bb.172:
	s_wait_dscnt 0xa
	v_mov_b32_e32 v0, 0
	s_wait_dscnt 0x7
	global_store_b128 v0, v[12:15], s[38:39]
.LBB181_173:
	s_wait_alu 0xfffe
	s_or_b32 exec_lo, exec_lo, s2
                                        ; implicit-def: $vgpr16_vgpr17_vgpr18_vgpr19
.LBB181_174:
	s_wait_alu 0xfffe
	s_and_not1_saveexec_b32 s1, s1
	s_cbranch_execz .LBB181_176
; %bb.175:
	s_wait_dscnt 0xa
	v_mov_b32_e32 v0, 0
	s_wait_dscnt 0x8
	global_store_b128 v0, v[16:19], s[38:39]
.LBB181_176:
	s_wait_alu 0xfffe
	s_or_b32 exec_lo, exec_lo, s1
                                        ; implicit-def: $vgpr44_vgpr45
                                        ; implicit-def: $vgpr8_vgpr9_vgpr10_vgpr11
                                        ; implicit-def: $vgpr0_vgpr1_vgpr2_vgpr3
                                        ; implicit-def: $vgpr4_vgpr5_vgpr6_vgpr7
.LBB181_177:
	s_wait_alu 0xfffe
	s_and_not1_saveexec_b32 s0, s0
	s_cbranch_execz .LBB181_185
; %bb.178:
	s_mov_b32 s0, exec_lo
	v_cmpx_lt_i64_e32 1, v[44:45]
	s_wait_alu 0xfffe
	s_xor_b32 s0, exec_lo, s0
	s_cbranch_execz .LBB181_180
; %bb.179:
	s_wait_dscnt 0xa
	v_mov_b32_e32 v0, 0
                                        ; implicit-def: $vgpr44_vgpr45
                                        ; implicit-def: $vgpr4_vgpr5_vgpr6_vgpr7
	s_wait_dscnt 0x9
	global_store_b128 v0, v[8:11], s[38:39]
                                        ; implicit-def: $vgpr0_vgpr1_vgpr2_vgpr3
.LBB181_180:
	s_wait_alu 0xfffe
	s_and_not1_saveexec_b32 s0, s0
	s_cbranch_execz .LBB181_185
; %bb.181:
	s_mov_b32 s0, exec_lo
	v_cmpx_ne_u64_e32 1, v[44:45]
	s_wait_alu 0xfffe
	s_xor_b32 s0, exec_lo, s0
	s_cbranch_execz .LBB181_183
; %bb.182:
	s_wait_dscnt 0xa
	v_mov_b32_e32 v0, 0
	s_wait_dscnt 0x1
	global_store_b128 v0, v[4:7], s[38:39]
                                        ; implicit-def: $vgpr0_vgpr1_vgpr2_vgpr3
.LBB181_183:
	s_wait_alu 0xfffe
	s_and_not1_saveexec_b32 s0, s0
	s_cbranch_execz .LBB181_185
; %bb.184:
	s_wait_dscnt 0x1
	v_mov_b32_e32 v4, 0
	global_store_b128 v4, v[0:3], s[38:39]
.LBB181_185:
	s_nop 0
	s_sendmsg sendmsg(MSG_DEALLOC_VGPRS)
	s_endpgm
	.section	.rodata,"a",@progbits
	.p2align	6, 0x0
	.amdhsa_kernel _ZN7rocprim17ROCPRIM_400000_NS6detail17trampoline_kernelINS0_14default_configENS1_20scan_config_selectorIN3c107complexIdEEEEZZNS1_9scan_implILNS1_25lookback_scan_determinismE0ELb0ELb0ES3_PKS7_PS7_S7_ZZZN2at6native31launch_logcumsumexp_cuda_kernelERKNSE_10TensorBaseESI_lENKUlvE_clEvENKUlvE1_clEvEUlS7_S7_E_S7_EEDaPvRmT3_T4_T5_mT6_P12ihipStream_tbENKUlT_T0_E_clISt17integral_constantIbLb0EESZ_EEDaSU_SV_EUlSU_E_NS1_11comp_targetILNS1_3genE10ELNS1_11target_archE1201ELNS1_3gpuE5ELNS1_3repE0EEENS1_30default_config_static_selectorELNS0_4arch9wavefront6targetE0EEEvT1_
		.amdhsa_group_segment_fixed_size 45056
		.amdhsa_private_segment_fixed_size 0
		.amdhsa_kernarg_size 128
		.amdhsa_user_sgpr_count 2
		.amdhsa_user_sgpr_dispatch_ptr 0
		.amdhsa_user_sgpr_queue_ptr 0
		.amdhsa_user_sgpr_kernarg_segment_ptr 1
		.amdhsa_user_sgpr_dispatch_id 0
		.amdhsa_user_sgpr_private_segment_size 0
		.amdhsa_wavefront_size32 1
		.amdhsa_uses_dynamic_stack 0
		.amdhsa_enable_private_segment 0
		.amdhsa_system_sgpr_workgroup_id_x 1
		.amdhsa_system_sgpr_workgroup_id_y 0
		.amdhsa_system_sgpr_workgroup_id_z 0
		.amdhsa_system_sgpr_workgroup_info 0
		.amdhsa_system_vgpr_workitem_id 0
		.amdhsa_next_free_vgpr 241
		.amdhsa_next_free_sgpr 50
		.amdhsa_reserve_vcc 1
		.amdhsa_float_round_mode_32 0
		.amdhsa_float_round_mode_16_64 0
		.amdhsa_float_denorm_mode_32 3
		.amdhsa_float_denorm_mode_16_64 3
		.amdhsa_fp16_overflow 0
		.amdhsa_workgroup_processor_mode 1
		.amdhsa_memory_ordered 1
		.amdhsa_forward_progress 1
		.amdhsa_inst_pref_size 84
		.amdhsa_round_robin_scheduling 0
		.amdhsa_exception_fp_ieee_invalid_op 0
		.amdhsa_exception_fp_denorm_src 0
		.amdhsa_exception_fp_ieee_div_zero 0
		.amdhsa_exception_fp_ieee_overflow 0
		.amdhsa_exception_fp_ieee_underflow 0
		.amdhsa_exception_fp_ieee_inexact 0
		.amdhsa_exception_int_div_zero 0
	.end_amdhsa_kernel
	.section	.text._ZN7rocprim17ROCPRIM_400000_NS6detail17trampoline_kernelINS0_14default_configENS1_20scan_config_selectorIN3c107complexIdEEEEZZNS1_9scan_implILNS1_25lookback_scan_determinismE0ELb0ELb0ES3_PKS7_PS7_S7_ZZZN2at6native31launch_logcumsumexp_cuda_kernelERKNSE_10TensorBaseESI_lENKUlvE_clEvENKUlvE1_clEvEUlS7_S7_E_S7_EEDaPvRmT3_T4_T5_mT6_P12ihipStream_tbENKUlT_T0_E_clISt17integral_constantIbLb0EESZ_EEDaSU_SV_EUlSU_E_NS1_11comp_targetILNS1_3genE10ELNS1_11target_archE1201ELNS1_3gpuE5ELNS1_3repE0EEENS1_30default_config_static_selectorELNS0_4arch9wavefront6targetE0EEEvT1_,"axG",@progbits,_ZN7rocprim17ROCPRIM_400000_NS6detail17trampoline_kernelINS0_14default_configENS1_20scan_config_selectorIN3c107complexIdEEEEZZNS1_9scan_implILNS1_25lookback_scan_determinismE0ELb0ELb0ES3_PKS7_PS7_S7_ZZZN2at6native31launch_logcumsumexp_cuda_kernelERKNSE_10TensorBaseESI_lENKUlvE_clEvENKUlvE1_clEvEUlS7_S7_E_S7_EEDaPvRmT3_T4_T5_mT6_P12ihipStream_tbENKUlT_T0_E_clISt17integral_constantIbLb0EESZ_EEDaSU_SV_EUlSU_E_NS1_11comp_targetILNS1_3genE10ELNS1_11target_archE1201ELNS1_3gpuE5ELNS1_3repE0EEENS1_30default_config_static_selectorELNS0_4arch9wavefront6targetE0EEEvT1_,comdat
.Lfunc_end181:
	.size	_ZN7rocprim17ROCPRIM_400000_NS6detail17trampoline_kernelINS0_14default_configENS1_20scan_config_selectorIN3c107complexIdEEEEZZNS1_9scan_implILNS1_25lookback_scan_determinismE0ELb0ELb0ES3_PKS7_PS7_S7_ZZZN2at6native31launch_logcumsumexp_cuda_kernelERKNSE_10TensorBaseESI_lENKUlvE_clEvENKUlvE1_clEvEUlS7_S7_E_S7_EEDaPvRmT3_T4_T5_mT6_P12ihipStream_tbENKUlT_T0_E_clISt17integral_constantIbLb0EESZ_EEDaSU_SV_EUlSU_E_NS1_11comp_targetILNS1_3genE10ELNS1_11target_archE1201ELNS1_3gpuE5ELNS1_3repE0EEENS1_30default_config_static_selectorELNS0_4arch9wavefront6targetE0EEEvT1_, .Lfunc_end181-_ZN7rocprim17ROCPRIM_400000_NS6detail17trampoline_kernelINS0_14default_configENS1_20scan_config_selectorIN3c107complexIdEEEEZZNS1_9scan_implILNS1_25lookback_scan_determinismE0ELb0ELb0ES3_PKS7_PS7_S7_ZZZN2at6native31launch_logcumsumexp_cuda_kernelERKNSE_10TensorBaseESI_lENKUlvE_clEvENKUlvE1_clEvEUlS7_S7_E_S7_EEDaPvRmT3_T4_T5_mT6_P12ihipStream_tbENKUlT_T0_E_clISt17integral_constantIbLb0EESZ_EEDaSU_SV_EUlSU_E_NS1_11comp_targetILNS1_3genE10ELNS1_11target_archE1201ELNS1_3gpuE5ELNS1_3repE0EEENS1_30default_config_static_selectorELNS0_4arch9wavefront6targetE0EEEvT1_
                                        ; -- End function
	.set _ZN7rocprim17ROCPRIM_400000_NS6detail17trampoline_kernelINS0_14default_configENS1_20scan_config_selectorIN3c107complexIdEEEEZZNS1_9scan_implILNS1_25lookback_scan_determinismE0ELb0ELb0ES3_PKS7_PS7_S7_ZZZN2at6native31launch_logcumsumexp_cuda_kernelERKNSE_10TensorBaseESI_lENKUlvE_clEvENKUlvE1_clEvEUlS7_S7_E_S7_EEDaPvRmT3_T4_T5_mT6_P12ihipStream_tbENKUlT_T0_E_clISt17integral_constantIbLb0EESZ_EEDaSU_SV_EUlSU_E_NS1_11comp_targetILNS1_3genE10ELNS1_11target_archE1201ELNS1_3gpuE5ELNS1_3repE0EEENS1_30default_config_static_selectorELNS0_4arch9wavefront6targetE0EEEvT1_.num_vgpr, max(185, .L_ZZZZN2at6native31launch_logcumsumexp_cuda_kernelERKNS_10TensorBaseES3_lENKUlvE_clEvENKUlvE1_clEvENKUlN3c107complexIdEES8_E_clES8_S8_.num_vgpr)
	.set _ZN7rocprim17ROCPRIM_400000_NS6detail17trampoline_kernelINS0_14default_configENS1_20scan_config_selectorIN3c107complexIdEEEEZZNS1_9scan_implILNS1_25lookback_scan_determinismE0ELb0ELb0ES3_PKS7_PS7_S7_ZZZN2at6native31launch_logcumsumexp_cuda_kernelERKNSE_10TensorBaseESI_lENKUlvE_clEvENKUlvE1_clEvEUlS7_S7_E_S7_EEDaPvRmT3_T4_T5_mT6_P12ihipStream_tbENKUlT_T0_E_clISt17integral_constantIbLb0EESZ_EEDaSU_SV_EUlSU_E_NS1_11comp_targetILNS1_3genE10ELNS1_11target_archE1201ELNS1_3gpuE5ELNS1_3repE0EEENS1_30default_config_static_selectorELNS0_4arch9wavefront6targetE0EEEvT1_.num_agpr, max(0, .L_ZZZZN2at6native31launch_logcumsumexp_cuda_kernelERKNS_10TensorBaseES3_lENKUlvE_clEvENKUlvE1_clEvENKUlN3c107complexIdEES8_E_clES8_S8_.num_agpr)
	.set _ZN7rocprim17ROCPRIM_400000_NS6detail17trampoline_kernelINS0_14default_configENS1_20scan_config_selectorIN3c107complexIdEEEEZZNS1_9scan_implILNS1_25lookback_scan_determinismE0ELb0ELb0ES3_PKS7_PS7_S7_ZZZN2at6native31launch_logcumsumexp_cuda_kernelERKNSE_10TensorBaseESI_lENKUlvE_clEvENKUlvE1_clEvEUlS7_S7_E_S7_EEDaPvRmT3_T4_T5_mT6_P12ihipStream_tbENKUlT_T0_E_clISt17integral_constantIbLb0EESZ_EEDaSU_SV_EUlSU_E_NS1_11comp_targetILNS1_3genE10ELNS1_11target_archE1201ELNS1_3gpuE5ELNS1_3repE0EEENS1_30default_config_static_selectorELNS0_4arch9wavefront6targetE0EEEvT1_.numbered_sgpr, max(50, .L_ZZZZN2at6native31launch_logcumsumexp_cuda_kernelERKNS_10TensorBaseES3_lENKUlvE_clEvENKUlvE1_clEvENKUlN3c107complexIdEES8_E_clES8_S8_.numbered_sgpr)
	.set _ZN7rocprim17ROCPRIM_400000_NS6detail17trampoline_kernelINS0_14default_configENS1_20scan_config_selectorIN3c107complexIdEEEEZZNS1_9scan_implILNS1_25lookback_scan_determinismE0ELb0ELb0ES3_PKS7_PS7_S7_ZZZN2at6native31launch_logcumsumexp_cuda_kernelERKNSE_10TensorBaseESI_lENKUlvE_clEvENKUlvE1_clEvEUlS7_S7_E_S7_EEDaPvRmT3_T4_T5_mT6_P12ihipStream_tbENKUlT_T0_E_clISt17integral_constantIbLb0EESZ_EEDaSU_SV_EUlSU_E_NS1_11comp_targetILNS1_3genE10ELNS1_11target_archE1201ELNS1_3gpuE5ELNS1_3repE0EEENS1_30default_config_static_selectorELNS0_4arch9wavefront6targetE0EEEvT1_.num_named_barrier, max(0, .L_ZZZZN2at6native31launch_logcumsumexp_cuda_kernelERKNS_10TensorBaseES3_lENKUlvE_clEvENKUlvE1_clEvENKUlN3c107complexIdEES8_E_clES8_S8_.num_named_barrier)
	.set _ZN7rocprim17ROCPRIM_400000_NS6detail17trampoline_kernelINS0_14default_configENS1_20scan_config_selectorIN3c107complexIdEEEEZZNS1_9scan_implILNS1_25lookback_scan_determinismE0ELb0ELb0ES3_PKS7_PS7_S7_ZZZN2at6native31launch_logcumsumexp_cuda_kernelERKNSE_10TensorBaseESI_lENKUlvE_clEvENKUlvE1_clEvEUlS7_S7_E_S7_EEDaPvRmT3_T4_T5_mT6_P12ihipStream_tbENKUlT_T0_E_clISt17integral_constantIbLb0EESZ_EEDaSU_SV_EUlSU_E_NS1_11comp_targetILNS1_3genE10ELNS1_11target_archE1201ELNS1_3gpuE5ELNS1_3repE0EEENS1_30default_config_static_selectorELNS0_4arch9wavefront6targetE0EEEvT1_.private_seg_size, 0+max(.L_ZZZZN2at6native31launch_logcumsumexp_cuda_kernelERKNS_10TensorBaseES3_lENKUlvE_clEvENKUlvE1_clEvENKUlN3c107complexIdEES8_E_clES8_S8_.private_seg_size)
	.set _ZN7rocprim17ROCPRIM_400000_NS6detail17trampoline_kernelINS0_14default_configENS1_20scan_config_selectorIN3c107complexIdEEEEZZNS1_9scan_implILNS1_25lookback_scan_determinismE0ELb0ELb0ES3_PKS7_PS7_S7_ZZZN2at6native31launch_logcumsumexp_cuda_kernelERKNSE_10TensorBaseESI_lENKUlvE_clEvENKUlvE1_clEvEUlS7_S7_E_S7_EEDaPvRmT3_T4_T5_mT6_P12ihipStream_tbENKUlT_T0_E_clISt17integral_constantIbLb0EESZ_EEDaSU_SV_EUlSU_E_NS1_11comp_targetILNS1_3genE10ELNS1_11target_archE1201ELNS1_3gpuE5ELNS1_3repE0EEENS1_30default_config_static_selectorELNS0_4arch9wavefront6targetE0EEEvT1_.uses_vcc, or(1, .L_ZZZZN2at6native31launch_logcumsumexp_cuda_kernelERKNS_10TensorBaseES3_lENKUlvE_clEvENKUlvE1_clEvENKUlN3c107complexIdEES8_E_clES8_S8_.uses_vcc)
	.set _ZN7rocprim17ROCPRIM_400000_NS6detail17trampoline_kernelINS0_14default_configENS1_20scan_config_selectorIN3c107complexIdEEEEZZNS1_9scan_implILNS1_25lookback_scan_determinismE0ELb0ELb0ES3_PKS7_PS7_S7_ZZZN2at6native31launch_logcumsumexp_cuda_kernelERKNSE_10TensorBaseESI_lENKUlvE_clEvENKUlvE1_clEvEUlS7_S7_E_S7_EEDaPvRmT3_T4_T5_mT6_P12ihipStream_tbENKUlT_T0_E_clISt17integral_constantIbLb0EESZ_EEDaSU_SV_EUlSU_E_NS1_11comp_targetILNS1_3genE10ELNS1_11target_archE1201ELNS1_3gpuE5ELNS1_3repE0EEENS1_30default_config_static_selectorELNS0_4arch9wavefront6targetE0EEEvT1_.uses_flat_scratch, or(0, .L_ZZZZN2at6native31launch_logcumsumexp_cuda_kernelERKNS_10TensorBaseES3_lENKUlvE_clEvENKUlvE1_clEvENKUlN3c107complexIdEES8_E_clES8_S8_.uses_flat_scratch)
	.set _ZN7rocprim17ROCPRIM_400000_NS6detail17trampoline_kernelINS0_14default_configENS1_20scan_config_selectorIN3c107complexIdEEEEZZNS1_9scan_implILNS1_25lookback_scan_determinismE0ELb0ELb0ES3_PKS7_PS7_S7_ZZZN2at6native31launch_logcumsumexp_cuda_kernelERKNSE_10TensorBaseESI_lENKUlvE_clEvENKUlvE1_clEvEUlS7_S7_E_S7_EEDaPvRmT3_T4_T5_mT6_P12ihipStream_tbENKUlT_T0_E_clISt17integral_constantIbLb0EESZ_EEDaSU_SV_EUlSU_E_NS1_11comp_targetILNS1_3genE10ELNS1_11target_archE1201ELNS1_3gpuE5ELNS1_3repE0EEENS1_30default_config_static_selectorELNS0_4arch9wavefront6targetE0EEEvT1_.has_dyn_sized_stack, or(0, .L_ZZZZN2at6native31launch_logcumsumexp_cuda_kernelERKNS_10TensorBaseES3_lENKUlvE_clEvENKUlvE1_clEvENKUlN3c107complexIdEES8_E_clES8_S8_.has_dyn_sized_stack)
	.set _ZN7rocprim17ROCPRIM_400000_NS6detail17trampoline_kernelINS0_14default_configENS1_20scan_config_selectorIN3c107complexIdEEEEZZNS1_9scan_implILNS1_25lookback_scan_determinismE0ELb0ELb0ES3_PKS7_PS7_S7_ZZZN2at6native31launch_logcumsumexp_cuda_kernelERKNSE_10TensorBaseESI_lENKUlvE_clEvENKUlvE1_clEvEUlS7_S7_E_S7_EEDaPvRmT3_T4_T5_mT6_P12ihipStream_tbENKUlT_T0_E_clISt17integral_constantIbLb0EESZ_EEDaSU_SV_EUlSU_E_NS1_11comp_targetILNS1_3genE10ELNS1_11target_archE1201ELNS1_3gpuE5ELNS1_3repE0EEENS1_30default_config_static_selectorELNS0_4arch9wavefront6targetE0EEEvT1_.has_recursion, or(0, .L_ZZZZN2at6native31launch_logcumsumexp_cuda_kernelERKNS_10TensorBaseES3_lENKUlvE_clEvENKUlvE1_clEvENKUlN3c107complexIdEES8_E_clES8_S8_.has_recursion)
	.set _ZN7rocprim17ROCPRIM_400000_NS6detail17trampoline_kernelINS0_14default_configENS1_20scan_config_selectorIN3c107complexIdEEEEZZNS1_9scan_implILNS1_25lookback_scan_determinismE0ELb0ELb0ES3_PKS7_PS7_S7_ZZZN2at6native31launch_logcumsumexp_cuda_kernelERKNSE_10TensorBaseESI_lENKUlvE_clEvENKUlvE1_clEvEUlS7_S7_E_S7_EEDaPvRmT3_T4_T5_mT6_P12ihipStream_tbENKUlT_T0_E_clISt17integral_constantIbLb0EESZ_EEDaSU_SV_EUlSU_E_NS1_11comp_targetILNS1_3genE10ELNS1_11target_archE1201ELNS1_3gpuE5ELNS1_3repE0EEENS1_30default_config_static_selectorELNS0_4arch9wavefront6targetE0EEEvT1_.has_indirect_call, or(0, .L_ZZZZN2at6native31launch_logcumsumexp_cuda_kernelERKNS_10TensorBaseES3_lENKUlvE_clEvENKUlvE1_clEvENKUlN3c107complexIdEES8_E_clES8_S8_.has_indirect_call)
	.section	.AMDGPU.csdata,"",@progbits
; Kernel info:
; codeLenInByte = 10716
; TotalNumSgprs: 52
; NumVgprs: 185
; ScratchSize: 0
; MemoryBound: 1
; FloatMode: 240
; IeeeMode: 1
; LDSByteSize: 45056 bytes/workgroup (compile time only)
; SGPRBlocks: 0
; VGPRBlocks: 30
; NumSGPRsForWavesPerEU: 52
; NumVGPRsForWavesPerEU: 241
; Occupancy: 4
; WaveLimiterHint : 1
; COMPUTE_PGM_RSRC2:SCRATCH_EN: 0
; COMPUTE_PGM_RSRC2:USER_SGPR: 2
; COMPUTE_PGM_RSRC2:TRAP_HANDLER: 0
; COMPUTE_PGM_RSRC2:TGID_X_EN: 1
; COMPUTE_PGM_RSRC2:TGID_Y_EN: 0
; COMPUTE_PGM_RSRC2:TGID_Z_EN: 0
; COMPUTE_PGM_RSRC2:TIDIG_COMP_CNT: 0
	.section	.text._ZN7rocprim17ROCPRIM_400000_NS6detail17trampoline_kernelINS0_14default_configENS1_20scan_config_selectorIN3c107complexIdEEEEZZNS1_9scan_implILNS1_25lookback_scan_determinismE0ELb0ELb0ES3_PKS7_PS7_S7_ZZZN2at6native31launch_logcumsumexp_cuda_kernelERKNSE_10TensorBaseESI_lENKUlvE_clEvENKUlvE1_clEvEUlS7_S7_E_S7_EEDaPvRmT3_T4_T5_mT6_P12ihipStream_tbENKUlT_T0_E_clISt17integral_constantIbLb0EESZ_EEDaSU_SV_EUlSU_E_NS1_11comp_targetILNS1_3genE10ELNS1_11target_archE1200ELNS1_3gpuE4ELNS1_3repE0EEENS1_30default_config_static_selectorELNS0_4arch9wavefront6targetE0EEEvT1_,"axG",@progbits,_ZN7rocprim17ROCPRIM_400000_NS6detail17trampoline_kernelINS0_14default_configENS1_20scan_config_selectorIN3c107complexIdEEEEZZNS1_9scan_implILNS1_25lookback_scan_determinismE0ELb0ELb0ES3_PKS7_PS7_S7_ZZZN2at6native31launch_logcumsumexp_cuda_kernelERKNSE_10TensorBaseESI_lENKUlvE_clEvENKUlvE1_clEvEUlS7_S7_E_S7_EEDaPvRmT3_T4_T5_mT6_P12ihipStream_tbENKUlT_T0_E_clISt17integral_constantIbLb0EESZ_EEDaSU_SV_EUlSU_E_NS1_11comp_targetILNS1_3genE10ELNS1_11target_archE1200ELNS1_3gpuE4ELNS1_3repE0EEENS1_30default_config_static_selectorELNS0_4arch9wavefront6targetE0EEEvT1_,comdat
	.globl	_ZN7rocprim17ROCPRIM_400000_NS6detail17trampoline_kernelINS0_14default_configENS1_20scan_config_selectorIN3c107complexIdEEEEZZNS1_9scan_implILNS1_25lookback_scan_determinismE0ELb0ELb0ES3_PKS7_PS7_S7_ZZZN2at6native31launch_logcumsumexp_cuda_kernelERKNSE_10TensorBaseESI_lENKUlvE_clEvENKUlvE1_clEvEUlS7_S7_E_S7_EEDaPvRmT3_T4_T5_mT6_P12ihipStream_tbENKUlT_T0_E_clISt17integral_constantIbLb0EESZ_EEDaSU_SV_EUlSU_E_NS1_11comp_targetILNS1_3genE10ELNS1_11target_archE1200ELNS1_3gpuE4ELNS1_3repE0EEENS1_30default_config_static_selectorELNS0_4arch9wavefront6targetE0EEEvT1_ ; -- Begin function _ZN7rocprim17ROCPRIM_400000_NS6detail17trampoline_kernelINS0_14default_configENS1_20scan_config_selectorIN3c107complexIdEEEEZZNS1_9scan_implILNS1_25lookback_scan_determinismE0ELb0ELb0ES3_PKS7_PS7_S7_ZZZN2at6native31launch_logcumsumexp_cuda_kernelERKNSE_10TensorBaseESI_lENKUlvE_clEvENKUlvE1_clEvEUlS7_S7_E_S7_EEDaPvRmT3_T4_T5_mT6_P12ihipStream_tbENKUlT_T0_E_clISt17integral_constantIbLb0EESZ_EEDaSU_SV_EUlSU_E_NS1_11comp_targetILNS1_3genE10ELNS1_11target_archE1200ELNS1_3gpuE4ELNS1_3repE0EEENS1_30default_config_static_selectorELNS0_4arch9wavefront6targetE0EEEvT1_
	.p2align	8
	.type	_ZN7rocprim17ROCPRIM_400000_NS6detail17trampoline_kernelINS0_14default_configENS1_20scan_config_selectorIN3c107complexIdEEEEZZNS1_9scan_implILNS1_25lookback_scan_determinismE0ELb0ELb0ES3_PKS7_PS7_S7_ZZZN2at6native31launch_logcumsumexp_cuda_kernelERKNSE_10TensorBaseESI_lENKUlvE_clEvENKUlvE1_clEvEUlS7_S7_E_S7_EEDaPvRmT3_T4_T5_mT6_P12ihipStream_tbENKUlT_T0_E_clISt17integral_constantIbLb0EESZ_EEDaSU_SV_EUlSU_E_NS1_11comp_targetILNS1_3genE10ELNS1_11target_archE1200ELNS1_3gpuE4ELNS1_3repE0EEENS1_30default_config_static_selectorELNS0_4arch9wavefront6targetE0EEEvT1_,@function
_ZN7rocprim17ROCPRIM_400000_NS6detail17trampoline_kernelINS0_14default_configENS1_20scan_config_selectorIN3c107complexIdEEEEZZNS1_9scan_implILNS1_25lookback_scan_determinismE0ELb0ELb0ES3_PKS7_PS7_S7_ZZZN2at6native31launch_logcumsumexp_cuda_kernelERKNSE_10TensorBaseESI_lENKUlvE_clEvENKUlvE1_clEvEUlS7_S7_E_S7_EEDaPvRmT3_T4_T5_mT6_P12ihipStream_tbENKUlT_T0_E_clISt17integral_constantIbLb0EESZ_EEDaSU_SV_EUlSU_E_NS1_11comp_targetILNS1_3genE10ELNS1_11target_archE1200ELNS1_3gpuE4ELNS1_3repE0EEENS1_30default_config_static_selectorELNS0_4arch9wavefront6targetE0EEEvT1_: ; @_ZN7rocprim17ROCPRIM_400000_NS6detail17trampoline_kernelINS0_14default_configENS1_20scan_config_selectorIN3c107complexIdEEEEZZNS1_9scan_implILNS1_25lookback_scan_determinismE0ELb0ELb0ES3_PKS7_PS7_S7_ZZZN2at6native31launch_logcumsumexp_cuda_kernelERKNSE_10TensorBaseESI_lENKUlvE_clEvENKUlvE1_clEvEUlS7_S7_E_S7_EEDaPvRmT3_T4_T5_mT6_P12ihipStream_tbENKUlT_T0_E_clISt17integral_constantIbLb0EESZ_EEDaSU_SV_EUlSU_E_NS1_11comp_targetILNS1_3genE10ELNS1_11target_archE1200ELNS1_3gpuE4ELNS1_3repE0EEENS1_30default_config_static_selectorELNS0_4arch9wavefront6targetE0EEEvT1_
; %bb.0:
	.section	.rodata,"a",@progbits
	.p2align	6, 0x0
	.amdhsa_kernel _ZN7rocprim17ROCPRIM_400000_NS6detail17trampoline_kernelINS0_14default_configENS1_20scan_config_selectorIN3c107complexIdEEEEZZNS1_9scan_implILNS1_25lookback_scan_determinismE0ELb0ELb0ES3_PKS7_PS7_S7_ZZZN2at6native31launch_logcumsumexp_cuda_kernelERKNSE_10TensorBaseESI_lENKUlvE_clEvENKUlvE1_clEvEUlS7_S7_E_S7_EEDaPvRmT3_T4_T5_mT6_P12ihipStream_tbENKUlT_T0_E_clISt17integral_constantIbLb0EESZ_EEDaSU_SV_EUlSU_E_NS1_11comp_targetILNS1_3genE10ELNS1_11target_archE1200ELNS1_3gpuE4ELNS1_3repE0EEENS1_30default_config_static_selectorELNS0_4arch9wavefront6targetE0EEEvT1_
		.amdhsa_group_segment_fixed_size 0
		.amdhsa_private_segment_fixed_size 0
		.amdhsa_kernarg_size 128
		.amdhsa_user_sgpr_count 2
		.amdhsa_user_sgpr_dispatch_ptr 0
		.amdhsa_user_sgpr_queue_ptr 0
		.amdhsa_user_sgpr_kernarg_segment_ptr 1
		.amdhsa_user_sgpr_dispatch_id 0
		.amdhsa_user_sgpr_private_segment_size 0
		.amdhsa_wavefront_size32 1
		.amdhsa_uses_dynamic_stack 0
		.amdhsa_enable_private_segment 0
		.amdhsa_system_sgpr_workgroup_id_x 1
		.amdhsa_system_sgpr_workgroup_id_y 0
		.amdhsa_system_sgpr_workgroup_id_z 0
		.amdhsa_system_sgpr_workgroup_info 0
		.amdhsa_system_vgpr_workitem_id 0
		.amdhsa_next_free_vgpr 1
		.amdhsa_next_free_sgpr 1
		.amdhsa_reserve_vcc 0
		.amdhsa_float_round_mode_32 0
		.amdhsa_float_round_mode_16_64 0
		.amdhsa_float_denorm_mode_32 3
		.amdhsa_float_denorm_mode_16_64 3
		.amdhsa_fp16_overflow 0
		.amdhsa_workgroup_processor_mode 1
		.amdhsa_memory_ordered 1
		.amdhsa_forward_progress 1
		.amdhsa_inst_pref_size 0
		.amdhsa_round_robin_scheduling 0
		.amdhsa_exception_fp_ieee_invalid_op 0
		.amdhsa_exception_fp_denorm_src 0
		.amdhsa_exception_fp_ieee_div_zero 0
		.amdhsa_exception_fp_ieee_overflow 0
		.amdhsa_exception_fp_ieee_underflow 0
		.amdhsa_exception_fp_ieee_inexact 0
		.amdhsa_exception_int_div_zero 0
	.end_amdhsa_kernel
	.section	.text._ZN7rocprim17ROCPRIM_400000_NS6detail17trampoline_kernelINS0_14default_configENS1_20scan_config_selectorIN3c107complexIdEEEEZZNS1_9scan_implILNS1_25lookback_scan_determinismE0ELb0ELb0ES3_PKS7_PS7_S7_ZZZN2at6native31launch_logcumsumexp_cuda_kernelERKNSE_10TensorBaseESI_lENKUlvE_clEvENKUlvE1_clEvEUlS7_S7_E_S7_EEDaPvRmT3_T4_T5_mT6_P12ihipStream_tbENKUlT_T0_E_clISt17integral_constantIbLb0EESZ_EEDaSU_SV_EUlSU_E_NS1_11comp_targetILNS1_3genE10ELNS1_11target_archE1200ELNS1_3gpuE4ELNS1_3repE0EEENS1_30default_config_static_selectorELNS0_4arch9wavefront6targetE0EEEvT1_,"axG",@progbits,_ZN7rocprim17ROCPRIM_400000_NS6detail17trampoline_kernelINS0_14default_configENS1_20scan_config_selectorIN3c107complexIdEEEEZZNS1_9scan_implILNS1_25lookback_scan_determinismE0ELb0ELb0ES3_PKS7_PS7_S7_ZZZN2at6native31launch_logcumsumexp_cuda_kernelERKNSE_10TensorBaseESI_lENKUlvE_clEvENKUlvE1_clEvEUlS7_S7_E_S7_EEDaPvRmT3_T4_T5_mT6_P12ihipStream_tbENKUlT_T0_E_clISt17integral_constantIbLb0EESZ_EEDaSU_SV_EUlSU_E_NS1_11comp_targetILNS1_3genE10ELNS1_11target_archE1200ELNS1_3gpuE4ELNS1_3repE0EEENS1_30default_config_static_selectorELNS0_4arch9wavefront6targetE0EEEvT1_,comdat
.Lfunc_end182:
	.size	_ZN7rocprim17ROCPRIM_400000_NS6detail17trampoline_kernelINS0_14default_configENS1_20scan_config_selectorIN3c107complexIdEEEEZZNS1_9scan_implILNS1_25lookback_scan_determinismE0ELb0ELb0ES3_PKS7_PS7_S7_ZZZN2at6native31launch_logcumsumexp_cuda_kernelERKNSE_10TensorBaseESI_lENKUlvE_clEvENKUlvE1_clEvEUlS7_S7_E_S7_EEDaPvRmT3_T4_T5_mT6_P12ihipStream_tbENKUlT_T0_E_clISt17integral_constantIbLb0EESZ_EEDaSU_SV_EUlSU_E_NS1_11comp_targetILNS1_3genE10ELNS1_11target_archE1200ELNS1_3gpuE4ELNS1_3repE0EEENS1_30default_config_static_selectorELNS0_4arch9wavefront6targetE0EEEvT1_, .Lfunc_end182-_ZN7rocprim17ROCPRIM_400000_NS6detail17trampoline_kernelINS0_14default_configENS1_20scan_config_selectorIN3c107complexIdEEEEZZNS1_9scan_implILNS1_25lookback_scan_determinismE0ELb0ELb0ES3_PKS7_PS7_S7_ZZZN2at6native31launch_logcumsumexp_cuda_kernelERKNSE_10TensorBaseESI_lENKUlvE_clEvENKUlvE1_clEvEUlS7_S7_E_S7_EEDaPvRmT3_T4_T5_mT6_P12ihipStream_tbENKUlT_T0_E_clISt17integral_constantIbLb0EESZ_EEDaSU_SV_EUlSU_E_NS1_11comp_targetILNS1_3genE10ELNS1_11target_archE1200ELNS1_3gpuE4ELNS1_3repE0EEENS1_30default_config_static_selectorELNS0_4arch9wavefront6targetE0EEEvT1_
                                        ; -- End function
	.set _ZN7rocprim17ROCPRIM_400000_NS6detail17trampoline_kernelINS0_14default_configENS1_20scan_config_selectorIN3c107complexIdEEEEZZNS1_9scan_implILNS1_25lookback_scan_determinismE0ELb0ELb0ES3_PKS7_PS7_S7_ZZZN2at6native31launch_logcumsumexp_cuda_kernelERKNSE_10TensorBaseESI_lENKUlvE_clEvENKUlvE1_clEvEUlS7_S7_E_S7_EEDaPvRmT3_T4_T5_mT6_P12ihipStream_tbENKUlT_T0_E_clISt17integral_constantIbLb0EESZ_EEDaSU_SV_EUlSU_E_NS1_11comp_targetILNS1_3genE10ELNS1_11target_archE1200ELNS1_3gpuE4ELNS1_3repE0EEENS1_30default_config_static_selectorELNS0_4arch9wavefront6targetE0EEEvT1_.num_vgpr, 0
	.set _ZN7rocprim17ROCPRIM_400000_NS6detail17trampoline_kernelINS0_14default_configENS1_20scan_config_selectorIN3c107complexIdEEEEZZNS1_9scan_implILNS1_25lookback_scan_determinismE0ELb0ELb0ES3_PKS7_PS7_S7_ZZZN2at6native31launch_logcumsumexp_cuda_kernelERKNSE_10TensorBaseESI_lENKUlvE_clEvENKUlvE1_clEvEUlS7_S7_E_S7_EEDaPvRmT3_T4_T5_mT6_P12ihipStream_tbENKUlT_T0_E_clISt17integral_constantIbLb0EESZ_EEDaSU_SV_EUlSU_E_NS1_11comp_targetILNS1_3genE10ELNS1_11target_archE1200ELNS1_3gpuE4ELNS1_3repE0EEENS1_30default_config_static_selectorELNS0_4arch9wavefront6targetE0EEEvT1_.num_agpr, 0
	.set _ZN7rocprim17ROCPRIM_400000_NS6detail17trampoline_kernelINS0_14default_configENS1_20scan_config_selectorIN3c107complexIdEEEEZZNS1_9scan_implILNS1_25lookback_scan_determinismE0ELb0ELb0ES3_PKS7_PS7_S7_ZZZN2at6native31launch_logcumsumexp_cuda_kernelERKNSE_10TensorBaseESI_lENKUlvE_clEvENKUlvE1_clEvEUlS7_S7_E_S7_EEDaPvRmT3_T4_T5_mT6_P12ihipStream_tbENKUlT_T0_E_clISt17integral_constantIbLb0EESZ_EEDaSU_SV_EUlSU_E_NS1_11comp_targetILNS1_3genE10ELNS1_11target_archE1200ELNS1_3gpuE4ELNS1_3repE0EEENS1_30default_config_static_selectorELNS0_4arch9wavefront6targetE0EEEvT1_.numbered_sgpr, 0
	.set _ZN7rocprim17ROCPRIM_400000_NS6detail17trampoline_kernelINS0_14default_configENS1_20scan_config_selectorIN3c107complexIdEEEEZZNS1_9scan_implILNS1_25lookback_scan_determinismE0ELb0ELb0ES3_PKS7_PS7_S7_ZZZN2at6native31launch_logcumsumexp_cuda_kernelERKNSE_10TensorBaseESI_lENKUlvE_clEvENKUlvE1_clEvEUlS7_S7_E_S7_EEDaPvRmT3_T4_T5_mT6_P12ihipStream_tbENKUlT_T0_E_clISt17integral_constantIbLb0EESZ_EEDaSU_SV_EUlSU_E_NS1_11comp_targetILNS1_3genE10ELNS1_11target_archE1200ELNS1_3gpuE4ELNS1_3repE0EEENS1_30default_config_static_selectorELNS0_4arch9wavefront6targetE0EEEvT1_.num_named_barrier, 0
	.set _ZN7rocprim17ROCPRIM_400000_NS6detail17trampoline_kernelINS0_14default_configENS1_20scan_config_selectorIN3c107complexIdEEEEZZNS1_9scan_implILNS1_25lookback_scan_determinismE0ELb0ELb0ES3_PKS7_PS7_S7_ZZZN2at6native31launch_logcumsumexp_cuda_kernelERKNSE_10TensorBaseESI_lENKUlvE_clEvENKUlvE1_clEvEUlS7_S7_E_S7_EEDaPvRmT3_T4_T5_mT6_P12ihipStream_tbENKUlT_T0_E_clISt17integral_constantIbLb0EESZ_EEDaSU_SV_EUlSU_E_NS1_11comp_targetILNS1_3genE10ELNS1_11target_archE1200ELNS1_3gpuE4ELNS1_3repE0EEENS1_30default_config_static_selectorELNS0_4arch9wavefront6targetE0EEEvT1_.private_seg_size, 0
	.set _ZN7rocprim17ROCPRIM_400000_NS6detail17trampoline_kernelINS0_14default_configENS1_20scan_config_selectorIN3c107complexIdEEEEZZNS1_9scan_implILNS1_25lookback_scan_determinismE0ELb0ELb0ES3_PKS7_PS7_S7_ZZZN2at6native31launch_logcumsumexp_cuda_kernelERKNSE_10TensorBaseESI_lENKUlvE_clEvENKUlvE1_clEvEUlS7_S7_E_S7_EEDaPvRmT3_T4_T5_mT6_P12ihipStream_tbENKUlT_T0_E_clISt17integral_constantIbLb0EESZ_EEDaSU_SV_EUlSU_E_NS1_11comp_targetILNS1_3genE10ELNS1_11target_archE1200ELNS1_3gpuE4ELNS1_3repE0EEENS1_30default_config_static_selectorELNS0_4arch9wavefront6targetE0EEEvT1_.uses_vcc, 0
	.set _ZN7rocprim17ROCPRIM_400000_NS6detail17trampoline_kernelINS0_14default_configENS1_20scan_config_selectorIN3c107complexIdEEEEZZNS1_9scan_implILNS1_25lookback_scan_determinismE0ELb0ELb0ES3_PKS7_PS7_S7_ZZZN2at6native31launch_logcumsumexp_cuda_kernelERKNSE_10TensorBaseESI_lENKUlvE_clEvENKUlvE1_clEvEUlS7_S7_E_S7_EEDaPvRmT3_T4_T5_mT6_P12ihipStream_tbENKUlT_T0_E_clISt17integral_constantIbLb0EESZ_EEDaSU_SV_EUlSU_E_NS1_11comp_targetILNS1_3genE10ELNS1_11target_archE1200ELNS1_3gpuE4ELNS1_3repE0EEENS1_30default_config_static_selectorELNS0_4arch9wavefront6targetE0EEEvT1_.uses_flat_scratch, 0
	.set _ZN7rocprim17ROCPRIM_400000_NS6detail17trampoline_kernelINS0_14default_configENS1_20scan_config_selectorIN3c107complexIdEEEEZZNS1_9scan_implILNS1_25lookback_scan_determinismE0ELb0ELb0ES3_PKS7_PS7_S7_ZZZN2at6native31launch_logcumsumexp_cuda_kernelERKNSE_10TensorBaseESI_lENKUlvE_clEvENKUlvE1_clEvEUlS7_S7_E_S7_EEDaPvRmT3_T4_T5_mT6_P12ihipStream_tbENKUlT_T0_E_clISt17integral_constantIbLb0EESZ_EEDaSU_SV_EUlSU_E_NS1_11comp_targetILNS1_3genE10ELNS1_11target_archE1200ELNS1_3gpuE4ELNS1_3repE0EEENS1_30default_config_static_selectorELNS0_4arch9wavefront6targetE0EEEvT1_.has_dyn_sized_stack, 0
	.set _ZN7rocprim17ROCPRIM_400000_NS6detail17trampoline_kernelINS0_14default_configENS1_20scan_config_selectorIN3c107complexIdEEEEZZNS1_9scan_implILNS1_25lookback_scan_determinismE0ELb0ELb0ES3_PKS7_PS7_S7_ZZZN2at6native31launch_logcumsumexp_cuda_kernelERKNSE_10TensorBaseESI_lENKUlvE_clEvENKUlvE1_clEvEUlS7_S7_E_S7_EEDaPvRmT3_T4_T5_mT6_P12ihipStream_tbENKUlT_T0_E_clISt17integral_constantIbLb0EESZ_EEDaSU_SV_EUlSU_E_NS1_11comp_targetILNS1_3genE10ELNS1_11target_archE1200ELNS1_3gpuE4ELNS1_3repE0EEENS1_30default_config_static_selectorELNS0_4arch9wavefront6targetE0EEEvT1_.has_recursion, 0
	.set _ZN7rocprim17ROCPRIM_400000_NS6detail17trampoline_kernelINS0_14default_configENS1_20scan_config_selectorIN3c107complexIdEEEEZZNS1_9scan_implILNS1_25lookback_scan_determinismE0ELb0ELb0ES3_PKS7_PS7_S7_ZZZN2at6native31launch_logcumsumexp_cuda_kernelERKNSE_10TensorBaseESI_lENKUlvE_clEvENKUlvE1_clEvEUlS7_S7_E_S7_EEDaPvRmT3_T4_T5_mT6_P12ihipStream_tbENKUlT_T0_E_clISt17integral_constantIbLb0EESZ_EEDaSU_SV_EUlSU_E_NS1_11comp_targetILNS1_3genE10ELNS1_11target_archE1200ELNS1_3gpuE4ELNS1_3repE0EEENS1_30default_config_static_selectorELNS0_4arch9wavefront6targetE0EEEvT1_.has_indirect_call, 0
	.section	.AMDGPU.csdata,"",@progbits
; Kernel info:
; codeLenInByte = 0
; TotalNumSgprs: 0
; NumVgprs: 0
; ScratchSize: 0
; MemoryBound: 0
; FloatMode: 240
; IeeeMode: 1
; LDSByteSize: 0 bytes/workgroup (compile time only)
; SGPRBlocks: 0
; VGPRBlocks: 0
; NumSGPRsForWavesPerEU: 1
; NumVGPRsForWavesPerEU: 1
; Occupancy: 16
; WaveLimiterHint : 0
; COMPUTE_PGM_RSRC2:SCRATCH_EN: 0
; COMPUTE_PGM_RSRC2:USER_SGPR: 2
; COMPUTE_PGM_RSRC2:TRAP_HANDLER: 0
; COMPUTE_PGM_RSRC2:TGID_X_EN: 1
; COMPUTE_PGM_RSRC2:TGID_Y_EN: 0
; COMPUTE_PGM_RSRC2:TGID_Z_EN: 0
; COMPUTE_PGM_RSRC2:TIDIG_COMP_CNT: 0
	.section	.text._ZN7rocprim17ROCPRIM_400000_NS6detail17trampoline_kernelINS0_14default_configENS1_20scan_config_selectorIN3c107complexIdEEEEZZNS1_9scan_implILNS1_25lookback_scan_determinismE0ELb0ELb0ES3_PKS7_PS7_S7_ZZZN2at6native31launch_logcumsumexp_cuda_kernelERKNSE_10TensorBaseESI_lENKUlvE_clEvENKUlvE1_clEvEUlS7_S7_E_S7_EEDaPvRmT3_T4_T5_mT6_P12ihipStream_tbENKUlT_T0_E_clISt17integral_constantIbLb0EESZ_EEDaSU_SV_EUlSU_E_NS1_11comp_targetILNS1_3genE9ELNS1_11target_archE1100ELNS1_3gpuE3ELNS1_3repE0EEENS1_30default_config_static_selectorELNS0_4arch9wavefront6targetE0EEEvT1_,"axG",@progbits,_ZN7rocprim17ROCPRIM_400000_NS6detail17trampoline_kernelINS0_14default_configENS1_20scan_config_selectorIN3c107complexIdEEEEZZNS1_9scan_implILNS1_25lookback_scan_determinismE0ELb0ELb0ES3_PKS7_PS7_S7_ZZZN2at6native31launch_logcumsumexp_cuda_kernelERKNSE_10TensorBaseESI_lENKUlvE_clEvENKUlvE1_clEvEUlS7_S7_E_S7_EEDaPvRmT3_T4_T5_mT6_P12ihipStream_tbENKUlT_T0_E_clISt17integral_constantIbLb0EESZ_EEDaSU_SV_EUlSU_E_NS1_11comp_targetILNS1_3genE9ELNS1_11target_archE1100ELNS1_3gpuE3ELNS1_3repE0EEENS1_30default_config_static_selectorELNS0_4arch9wavefront6targetE0EEEvT1_,comdat
	.globl	_ZN7rocprim17ROCPRIM_400000_NS6detail17trampoline_kernelINS0_14default_configENS1_20scan_config_selectorIN3c107complexIdEEEEZZNS1_9scan_implILNS1_25lookback_scan_determinismE0ELb0ELb0ES3_PKS7_PS7_S7_ZZZN2at6native31launch_logcumsumexp_cuda_kernelERKNSE_10TensorBaseESI_lENKUlvE_clEvENKUlvE1_clEvEUlS7_S7_E_S7_EEDaPvRmT3_T4_T5_mT6_P12ihipStream_tbENKUlT_T0_E_clISt17integral_constantIbLb0EESZ_EEDaSU_SV_EUlSU_E_NS1_11comp_targetILNS1_3genE9ELNS1_11target_archE1100ELNS1_3gpuE3ELNS1_3repE0EEENS1_30default_config_static_selectorELNS0_4arch9wavefront6targetE0EEEvT1_ ; -- Begin function _ZN7rocprim17ROCPRIM_400000_NS6detail17trampoline_kernelINS0_14default_configENS1_20scan_config_selectorIN3c107complexIdEEEEZZNS1_9scan_implILNS1_25lookback_scan_determinismE0ELb0ELb0ES3_PKS7_PS7_S7_ZZZN2at6native31launch_logcumsumexp_cuda_kernelERKNSE_10TensorBaseESI_lENKUlvE_clEvENKUlvE1_clEvEUlS7_S7_E_S7_EEDaPvRmT3_T4_T5_mT6_P12ihipStream_tbENKUlT_T0_E_clISt17integral_constantIbLb0EESZ_EEDaSU_SV_EUlSU_E_NS1_11comp_targetILNS1_3genE9ELNS1_11target_archE1100ELNS1_3gpuE3ELNS1_3repE0EEENS1_30default_config_static_selectorELNS0_4arch9wavefront6targetE0EEEvT1_
	.p2align	8
	.type	_ZN7rocprim17ROCPRIM_400000_NS6detail17trampoline_kernelINS0_14default_configENS1_20scan_config_selectorIN3c107complexIdEEEEZZNS1_9scan_implILNS1_25lookback_scan_determinismE0ELb0ELb0ES3_PKS7_PS7_S7_ZZZN2at6native31launch_logcumsumexp_cuda_kernelERKNSE_10TensorBaseESI_lENKUlvE_clEvENKUlvE1_clEvEUlS7_S7_E_S7_EEDaPvRmT3_T4_T5_mT6_P12ihipStream_tbENKUlT_T0_E_clISt17integral_constantIbLb0EESZ_EEDaSU_SV_EUlSU_E_NS1_11comp_targetILNS1_3genE9ELNS1_11target_archE1100ELNS1_3gpuE3ELNS1_3repE0EEENS1_30default_config_static_selectorELNS0_4arch9wavefront6targetE0EEEvT1_,@function
_ZN7rocprim17ROCPRIM_400000_NS6detail17trampoline_kernelINS0_14default_configENS1_20scan_config_selectorIN3c107complexIdEEEEZZNS1_9scan_implILNS1_25lookback_scan_determinismE0ELb0ELb0ES3_PKS7_PS7_S7_ZZZN2at6native31launch_logcumsumexp_cuda_kernelERKNSE_10TensorBaseESI_lENKUlvE_clEvENKUlvE1_clEvEUlS7_S7_E_S7_EEDaPvRmT3_T4_T5_mT6_P12ihipStream_tbENKUlT_T0_E_clISt17integral_constantIbLb0EESZ_EEDaSU_SV_EUlSU_E_NS1_11comp_targetILNS1_3genE9ELNS1_11target_archE1100ELNS1_3gpuE3ELNS1_3repE0EEENS1_30default_config_static_selectorELNS0_4arch9wavefront6targetE0EEEvT1_: ; @_ZN7rocprim17ROCPRIM_400000_NS6detail17trampoline_kernelINS0_14default_configENS1_20scan_config_selectorIN3c107complexIdEEEEZZNS1_9scan_implILNS1_25lookback_scan_determinismE0ELb0ELb0ES3_PKS7_PS7_S7_ZZZN2at6native31launch_logcumsumexp_cuda_kernelERKNSE_10TensorBaseESI_lENKUlvE_clEvENKUlvE1_clEvEUlS7_S7_E_S7_EEDaPvRmT3_T4_T5_mT6_P12ihipStream_tbENKUlT_T0_E_clISt17integral_constantIbLb0EESZ_EEDaSU_SV_EUlSU_E_NS1_11comp_targetILNS1_3genE9ELNS1_11target_archE1100ELNS1_3gpuE3ELNS1_3repE0EEENS1_30default_config_static_selectorELNS0_4arch9wavefront6targetE0EEEvT1_
; %bb.0:
	.section	.rodata,"a",@progbits
	.p2align	6, 0x0
	.amdhsa_kernel _ZN7rocprim17ROCPRIM_400000_NS6detail17trampoline_kernelINS0_14default_configENS1_20scan_config_selectorIN3c107complexIdEEEEZZNS1_9scan_implILNS1_25lookback_scan_determinismE0ELb0ELb0ES3_PKS7_PS7_S7_ZZZN2at6native31launch_logcumsumexp_cuda_kernelERKNSE_10TensorBaseESI_lENKUlvE_clEvENKUlvE1_clEvEUlS7_S7_E_S7_EEDaPvRmT3_T4_T5_mT6_P12ihipStream_tbENKUlT_T0_E_clISt17integral_constantIbLb0EESZ_EEDaSU_SV_EUlSU_E_NS1_11comp_targetILNS1_3genE9ELNS1_11target_archE1100ELNS1_3gpuE3ELNS1_3repE0EEENS1_30default_config_static_selectorELNS0_4arch9wavefront6targetE0EEEvT1_
		.amdhsa_group_segment_fixed_size 0
		.amdhsa_private_segment_fixed_size 0
		.amdhsa_kernarg_size 128
		.amdhsa_user_sgpr_count 2
		.amdhsa_user_sgpr_dispatch_ptr 0
		.amdhsa_user_sgpr_queue_ptr 0
		.amdhsa_user_sgpr_kernarg_segment_ptr 1
		.amdhsa_user_sgpr_dispatch_id 0
		.amdhsa_user_sgpr_private_segment_size 0
		.amdhsa_wavefront_size32 1
		.amdhsa_uses_dynamic_stack 0
		.amdhsa_enable_private_segment 0
		.amdhsa_system_sgpr_workgroup_id_x 1
		.amdhsa_system_sgpr_workgroup_id_y 0
		.amdhsa_system_sgpr_workgroup_id_z 0
		.amdhsa_system_sgpr_workgroup_info 0
		.amdhsa_system_vgpr_workitem_id 0
		.amdhsa_next_free_vgpr 1
		.amdhsa_next_free_sgpr 1
		.amdhsa_reserve_vcc 0
		.amdhsa_float_round_mode_32 0
		.amdhsa_float_round_mode_16_64 0
		.amdhsa_float_denorm_mode_32 3
		.amdhsa_float_denorm_mode_16_64 3
		.amdhsa_fp16_overflow 0
		.amdhsa_workgroup_processor_mode 1
		.amdhsa_memory_ordered 1
		.amdhsa_forward_progress 1
		.amdhsa_inst_pref_size 0
		.amdhsa_round_robin_scheduling 0
		.amdhsa_exception_fp_ieee_invalid_op 0
		.amdhsa_exception_fp_denorm_src 0
		.amdhsa_exception_fp_ieee_div_zero 0
		.amdhsa_exception_fp_ieee_overflow 0
		.amdhsa_exception_fp_ieee_underflow 0
		.amdhsa_exception_fp_ieee_inexact 0
		.amdhsa_exception_int_div_zero 0
	.end_amdhsa_kernel
	.section	.text._ZN7rocprim17ROCPRIM_400000_NS6detail17trampoline_kernelINS0_14default_configENS1_20scan_config_selectorIN3c107complexIdEEEEZZNS1_9scan_implILNS1_25lookback_scan_determinismE0ELb0ELb0ES3_PKS7_PS7_S7_ZZZN2at6native31launch_logcumsumexp_cuda_kernelERKNSE_10TensorBaseESI_lENKUlvE_clEvENKUlvE1_clEvEUlS7_S7_E_S7_EEDaPvRmT3_T4_T5_mT6_P12ihipStream_tbENKUlT_T0_E_clISt17integral_constantIbLb0EESZ_EEDaSU_SV_EUlSU_E_NS1_11comp_targetILNS1_3genE9ELNS1_11target_archE1100ELNS1_3gpuE3ELNS1_3repE0EEENS1_30default_config_static_selectorELNS0_4arch9wavefront6targetE0EEEvT1_,"axG",@progbits,_ZN7rocprim17ROCPRIM_400000_NS6detail17trampoline_kernelINS0_14default_configENS1_20scan_config_selectorIN3c107complexIdEEEEZZNS1_9scan_implILNS1_25lookback_scan_determinismE0ELb0ELb0ES3_PKS7_PS7_S7_ZZZN2at6native31launch_logcumsumexp_cuda_kernelERKNSE_10TensorBaseESI_lENKUlvE_clEvENKUlvE1_clEvEUlS7_S7_E_S7_EEDaPvRmT3_T4_T5_mT6_P12ihipStream_tbENKUlT_T0_E_clISt17integral_constantIbLb0EESZ_EEDaSU_SV_EUlSU_E_NS1_11comp_targetILNS1_3genE9ELNS1_11target_archE1100ELNS1_3gpuE3ELNS1_3repE0EEENS1_30default_config_static_selectorELNS0_4arch9wavefront6targetE0EEEvT1_,comdat
.Lfunc_end183:
	.size	_ZN7rocprim17ROCPRIM_400000_NS6detail17trampoline_kernelINS0_14default_configENS1_20scan_config_selectorIN3c107complexIdEEEEZZNS1_9scan_implILNS1_25lookback_scan_determinismE0ELb0ELb0ES3_PKS7_PS7_S7_ZZZN2at6native31launch_logcumsumexp_cuda_kernelERKNSE_10TensorBaseESI_lENKUlvE_clEvENKUlvE1_clEvEUlS7_S7_E_S7_EEDaPvRmT3_T4_T5_mT6_P12ihipStream_tbENKUlT_T0_E_clISt17integral_constantIbLb0EESZ_EEDaSU_SV_EUlSU_E_NS1_11comp_targetILNS1_3genE9ELNS1_11target_archE1100ELNS1_3gpuE3ELNS1_3repE0EEENS1_30default_config_static_selectorELNS0_4arch9wavefront6targetE0EEEvT1_, .Lfunc_end183-_ZN7rocprim17ROCPRIM_400000_NS6detail17trampoline_kernelINS0_14default_configENS1_20scan_config_selectorIN3c107complexIdEEEEZZNS1_9scan_implILNS1_25lookback_scan_determinismE0ELb0ELb0ES3_PKS7_PS7_S7_ZZZN2at6native31launch_logcumsumexp_cuda_kernelERKNSE_10TensorBaseESI_lENKUlvE_clEvENKUlvE1_clEvEUlS7_S7_E_S7_EEDaPvRmT3_T4_T5_mT6_P12ihipStream_tbENKUlT_T0_E_clISt17integral_constantIbLb0EESZ_EEDaSU_SV_EUlSU_E_NS1_11comp_targetILNS1_3genE9ELNS1_11target_archE1100ELNS1_3gpuE3ELNS1_3repE0EEENS1_30default_config_static_selectorELNS0_4arch9wavefront6targetE0EEEvT1_
                                        ; -- End function
	.set _ZN7rocprim17ROCPRIM_400000_NS6detail17trampoline_kernelINS0_14default_configENS1_20scan_config_selectorIN3c107complexIdEEEEZZNS1_9scan_implILNS1_25lookback_scan_determinismE0ELb0ELb0ES3_PKS7_PS7_S7_ZZZN2at6native31launch_logcumsumexp_cuda_kernelERKNSE_10TensorBaseESI_lENKUlvE_clEvENKUlvE1_clEvEUlS7_S7_E_S7_EEDaPvRmT3_T4_T5_mT6_P12ihipStream_tbENKUlT_T0_E_clISt17integral_constantIbLb0EESZ_EEDaSU_SV_EUlSU_E_NS1_11comp_targetILNS1_3genE9ELNS1_11target_archE1100ELNS1_3gpuE3ELNS1_3repE0EEENS1_30default_config_static_selectorELNS0_4arch9wavefront6targetE0EEEvT1_.num_vgpr, 0
	.set _ZN7rocprim17ROCPRIM_400000_NS6detail17trampoline_kernelINS0_14default_configENS1_20scan_config_selectorIN3c107complexIdEEEEZZNS1_9scan_implILNS1_25lookback_scan_determinismE0ELb0ELb0ES3_PKS7_PS7_S7_ZZZN2at6native31launch_logcumsumexp_cuda_kernelERKNSE_10TensorBaseESI_lENKUlvE_clEvENKUlvE1_clEvEUlS7_S7_E_S7_EEDaPvRmT3_T4_T5_mT6_P12ihipStream_tbENKUlT_T0_E_clISt17integral_constantIbLb0EESZ_EEDaSU_SV_EUlSU_E_NS1_11comp_targetILNS1_3genE9ELNS1_11target_archE1100ELNS1_3gpuE3ELNS1_3repE0EEENS1_30default_config_static_selectorELNS0_4arch9wavefront6targetE0EEEvT1_.num_agpr, 0
	.set _ZN7rocprim17ROCPRIM_400000_NS6detail17trampoline_kernelINS0_14default_configENS1_20scan_config_selectorIN3c107complexIdEEEEZZNS1_9scan_implILNS1_25lookback_scan_determinismE0ELb0ELb0ES3_PKS7_PS7_S7_ZZZN2at6native31launch_logcumsumexp_cuda_kernelERKNSE_10TensorBaseESI_lENKUlvE_clEvENKUlvE1_clEvEUlS7_S7_E_S7_EEDaPvRmT3_T4_T5_mT6_P12ihipStream_tbENKUlT_T0_E_clISt17integral_constantIbLb0EESZ_EEDaSU_SV_EUlSU_E_NS1_11comp_targetILNS1_3genE9ELNS1_11target_archE1100ELNS1_3gpuE3ELNS1_3repE0EEENS1_30default_config_static_selectorELNS0_4arch9wavefront6targetE0EEEvT1_.numbered_sgpr, 0
	.set _ZN7rocprim17ROCPRIM_400000_NS6detail17trampoline_kernelINS0_14default_configENS1_20scan_config_selectorIN3c107complexIdEEEEZZNS1_9scan_implILNS1_25lookback_scan_determinismE0ELb0ELb0ES3_PKS7_PS7_S7_ZZZN2at6native31launch_logcumsumexp_cuda_kernelERKNSE_10TensorBaseESI_lENKUlvE_clEvENKUlvE1_clEvEUlS7_S7_E_S7_EEDaPvRmT3_T4_T5_mT6_P12ihipStream_tbENKUlT_T0_E_clISt17integral_constantIbLb0EESZ_EEDaSU_SV_EUlSU_E_NS1_11comp_targetILNS1_3genE9ELNS1_11target_archE1100ELNS1_3gpuE3ELNS1_3repE0EEENS1_30default_config_static_selectorELNS0_4arch9wavefront6targetE0EEEvT1_.num_named_barrier, 0
	.set _ZN7rocprim17ROCPRIM_400000_NS6detail17trampoline_kernelINS0_14default_configENS1_20scan_config_selectorIN3c107complexIdEEEEZZNS1_9scan_implILNS1_25lookback_scan_determinismE0ELb0ELb0ES3_PKS7_PS7_S7_ZZZN2at6native31launch_logcumsumexp_cuda_kernelERKNSE_10TensorBaseESI_lENKUlvE_clEvENKUlvE1_clEvEUlS7_S7_E_S7_EEDaPvRmT3_T4_T5_mT6_P12ihipStream_tbENKUlT_T0_E_clISt17integral_constantIbLb0EESZ_EEDaSU_SV_EUlSU_E_NS1_11comp_targetILNS1_3genE9ELNS1_11target_archE1100ELNS1_3gpuE3ELNS1_3repE0EEENS1_30default_config_static_selectorELNS0_4arch9wavefront6targetE0EEEvT1_.private_seg_size, 0
	.set _ZN7rocprim17ROCPRIM_400000_NS6detail17trampoline_kernelINS0_14default_configENS1_20scan_config_selectorIN3c107complexIdEEEEZZNS1_9scan_implILNS1_25lookback_scan_determinismE0ELb0ELb0ES3_PKS7_PS7_S7_ZZZN2at6native31launch_logcumsumexp_cuda_kernelERKNSE_10TensorBaseESI_lENKUlvE_clEvENKUlvE1_clEvEUlS7_S7_E_S7_EEDaPvRmT3_T4_T5_mT6_P12ihipStream_tbENKUlT_T0_E_clISt17integral_constantIbLb0EESZ_EEDaSU_SV_EUlSU_E_NS1_11comp_targetILNS1_3genE9ELNS1_11target_archE1100ELNS1_3gpuE3ELNS1_3repE0EEENS1_30default_config_static_selectorELNS0_4arch9wavefront6targetE0EEEvT1_.uses_vcc, 0
	.set _ZN7rocprim17ROCPRIM_400000_NS6detail17trampoline_kernelINS0_14default_configENS1_20scan_config_selectorIN3c107complexIdEEEEZZNS1_9scan_implILNS1_25lookback_scan_determinismE0ELb0ELb0ES3_PKS7_PS7_S7_ZZZN2at6native31launch_logcumsumexp_cuda_kernelERKNSE_10TensorBaseESI_lENKUlvE_clEvENKUlvE1_clEvEUlS7_S7_E_S7_EEDaPvRmT3_T4_T5_mT6_P12ihipStream_tbENKUlT_T0_E_clISt17integral_constantIbLb0EESZ_EEDaSU_SV_EUlSU_E_NS1_11comp_targetILNS1_3genE9ELNS1_11target_archE1100ELNS1_3gpuE3ELNS1_3repE0EEENS1_30default_config_static_selectorELNS0_4arch9wavefront6targetE0EEEvT1_.uses_flat_scratch, 0
	.set _ZN7rocprim17ROCPRIM_400000_NS6detail17trampoline_kernelINS0_14default_configENS1_20scan_config_selectorIN3c107complexIdEEEEZZNS1_9scan_implILNS1_25lookback_scan_determinismE0ELb0ELb0ES3_PKS7_PS7_S7_ZZZN2at6native31launch_logcumsumexp_cuda_kernelERKNSE_10TensorBaseESI_lENKUlvE_clEvENKUlvE1_clEvEUlS7_S7_E_S7_EEDaPvRmT3_T4_T5_mT6_P12ihipStream_tbENKUlT_T0_E_clISt17integral_constantIbLb0EESZ_EEDaSU_SV_EUlSU_E_NS1_11comp_targetILNS1_3genE9ELNS1_11target_archE1100ELNS1_3gpuE3ELNS1_3repE0EEENS1_30default_config_static_selectorELNS0_4arch9wavefront6targetE0EEEvT1_.has_dyn_sized_stack, 0
	.set _ZN7rocprim17ROCPRIM_400000_NS6detail17trampoline_kernelINS0_14default_configENS1_20scan_config_selectorIN3c107complexIdEEEEZZNS1_9scan_implILNS1_25lookback_scan_determinismE0ELb0ELb0ES3_PKS7_PS7_S7_ZZZN2at6native31launch_logcumsumexp_cuda_kernelERKNSE_10TensorBaseESI_lENKUlvE_clEvENKUlvE1_clEvEUlS7_S7_E_S7_EEDaPvRmT3_T4_T5_mT6_P12ihipStream_tbENKUlT_T0_E_clISt17integral_constantIbLb0EESZ_EEDaSU_SV_EUlSU_E_NS1_11comp_targetILNS1_3genE9ELNS1_11target_archE1100ELNS1_3gpuE3ELNS1_3repE0EEENS1_30default_config_static_selectorELNS0_4arch9wavefront6targetE0EEEvT1_.has_recursion, 0
	.set _ZN7rocprim17ROCPRIM_400000_NS6detail17trampoline_kernelINS0_14default_configENS1_20scan_config_selectorIN3c107complexIdEEEEZZNS1_9scan_implILNS1_25lookback_scan_determinismE0ELb0ELb0ES3_PKS7_PS7_S7_ZZZN2at6native31launch_logcumsumexp_cuda_kernelERKNSE_10TensorBaseESI_lENKUlvE_clEvENKUlvE1_clEvEUlS7_S7_E_S7_EEDaPvRmT3_T4_T5_mT6_P12ihipStream_tbENKUlT_T0_E_clISt17integral_constantIbLb0EESZ_EEDaSU_SV_EUlSU_E_NS1_11comp_targetILNS1_3genE9ELNS1_11target_archE1100ELNS1_3gpuE3ELNS1_3repE0EEENS1_30default_config_static_selectorELNS0_4arch9wavefront6targetE0EEEvT1_.has_indirect_call, 0
	.section	.AMDGPU.csdata,"",@progbits
; Kernel info:
; codeLenInByte = 0
; TotalNumSgprs: 0
; NumVgprs: 0
; ScratchSize: 0
; MemoryBound: 0
; FloatMode: 240
; IeeeMode: 1
; LDSByteSize: 0 bytes/workgroup (compile time only)
; SGPRBlocks: 0
; VGPRBlocks: 0
; NumSGPRsForWavesPerEU: 1
; NumVGPRsForWavesPerEU: 1
; Occupancy: 16
; WaveLimiterHint : 0
; COMPUTE_PGM_RSRC2:SCRATCH_EN: 0
; COMPUTE_PGM_RSRC2:USER_SGPR: 2
; COMPUTE_PGM_RSRC2:TRAP_HANDLER: 0
; COMPUTE_PGM_RSRC2:TGID_X_EN: 1
; COMPUTE_PGM_RSRC2:TGID_Y_EN: 0
; COMPUTE_PGM_RSRC2:TGID_Z_EN: 0
; COMPUTE_PGM_RSRC2:TIDIG_COMP_CNT: 0
	.section	.text._ZN7rocprim17ROCPRIM_400000_NS6detail17trampoline_kernelINS0_14default_configENS1_20scan_config_selectorIN3c107complexIdEEEEZZNS1_9scan_implILNS1_25lookback_scan_determinismE0ELb0ELb0ES3_PKS7_PS7_S7_ZZZN2at6native31launch_logcumsumexp_cuda_kernelERKNSE_10TensorBaseESI_lENKUlvE_clEvENKUlvE1_clEvEUlS7_S7_E_S7_EEDaPvRmT3_T4_T5_mT6_P12ihipStream_tbENKUlT_T0_E_clISt17integral_constantIbLb0EESZ_EEDaSU_SV_EUlSU_E_NS1_11comp_targetILNS1_3genE8ELNS1_11target_archE1030ELNS1_3gpuE2ELNS1_3repE0EEENS1_30default_config_static_selectorELNS0_4arch9wavefront6targetE0EEEvT1_,"axG",@progbits,_ZN7rocprim17ROCPRIM_400000_NS6detail17trampoline_kernelINS0_14default_configENS1_20scan_config_selectorIN3c107complexIdEEEEZZNS1_9scan_implILNS1_25lookback_scan_determinismE0ELb0ELb0ES3_PKS7_PS7_S7_ZZZN2at6native31launch_logcumsumexp_cuda_kernelERKNSE_10TensorBaseESI_lENKUlvE_clEvENKUlvE1_clEvEUlS7_S7_E_S7_EEDaPvRmT3_T4_T5_mT6_P12ihipStream_tbENKUlT_T0_E_clISt17integral_constantIbLb0EESZ_EEDaSU_SV_EUlSU_E_NS1_11comp_targetILNS1_3genE8ELNS1_11target_archE1030ELNS1_3gpuE2ELNS1_3repE0EEENS1_30default_config_static_selectorELNS0_4arch9wavefront6targetE0EEEvT1_,comdat
	.globl	_ZN7rocprim17ROCPRIM_400000_NS6detail17trampoline_kernelINS0_14default_configENS1_20scan_config_selectorIN3c107complexIdEEEEZZNS1_9scan_implILNS1_25lookback_scan_determinismE0ELb0ELb0ES3_PKS7_PS7_S7_ZZZN2at6native31launch_logcumsumexp_cuda_kernelERKNSE_10TensorBaseESI_lENKUlvE_clEvENKUlvE1_clEvEUlS7_S7_E_S7_EEDaPvRmT3_T4_T5_mT6_P12ihipStream_tbENKUlT_T0_E_clISt17integral_constantIbLb0EESZ_EEDaSU_SV_EUlSU_E_NS1_11comp_targetILNS1_3genE8ELNS1_11target_archE1030ELNS1_3gpuE2ELNS1_3repE0EEENS1_30default_config_static_selectorELNS0_4arch9wavefront6targetE0EEEvT1_ ; -- Begin function _ZN7rocprim17ROCPRIM_400000_NS6detail17trampoline_kernelINS0_14default_configENS1_20scan_config_selectorIN3c107complexIdEEEEZZNS1_9scan_implILNS1_25lookback_scan_determinismE0ELb0ELb0ES3_PKS7_PS7_S7_ZZZN2at6native31launch_logcumsumexp_cuda_kernelERKNSE_10TensorBaseESI_lENKUlvE_clEvENKUlvE1_clEvEUlS7_S7_E_S7_EEDaPvRmT3_T4_T5_mT6_P12ihipStream_tbENKUlT_T0_E_clISt17integral_constantIbLb0EESZ_EEDaSU_SV_EUlSU_E_NS1_11comp_targetILNS1_3genE8ELNS1_11target_archE1030ELNS1_3gpuE2ELNS1_3repE0EEENS1_30default_config_static_selectorELNS0_4arch9wavefront6targetE0EEEvT1_
	.p2align	8
	.type	_ZN7rocprim17ROCPRIM_400000_NS6detail17trampoline_kernelINS0_14default_configENS1_20scan_config_selectorIN3c107complexIdEEEEZZNS1_9scan_implILNS1_25lookback_scan_determinismE0ELb0ELb0ES3_PKS7_PS7_S7_ZZZN2at6native31launch_logcumsumexp_cuda_kernelERKNSE_10TensorBaseESI_lENKUlvE_clEvENKUlvE1_clEvEUlS7_S7_E_S7_EEDaPvRmT3_T4_T5_mT6_P12ihipStream_tbENKUlT_T0_E_clISt17integral_constantIbLb0EESZ_EEDaSU_SV_EUlSU_E_NS1_11comp_targetILNS1_3genE8ELNS1_11target_archE1030ELNS1_3gpuE2ELNS1_3repE0EEENS1_30default_config_static_selectorELNS0_4arch9wavefront6targetE0EEEvT1_,@function
_ZN7rocprim17ROCPRIM_400000_NS6detail17trampoline_kernelINS0_14default_configENS1_20scan_config_selectorIN3c107complexIdEEEEZZNS1_9scan_implILNS1_25lookback_scan_determinismE0ELb0ELb0ES3_PKS7_PS7_S7_ZZZN2at6native31launch_logcumsumexp_cuda_kernelERKNSE_10TensorBaseESI_lENKUlvE_clEvENKUlvE1_clEvEUlS7_S7_E_S7_EEDaPvRmT3_T4_T5_mT6_P12ihipStream_tbENKUlT_T0_E_clISt17integral_constantIbLb0EESZ_EEDaSU_SV_EUlSU_E_NS1_11comp_targetILNS1_3genE8ELNS1_11target_archE1030ELNS1_3gpuE2ELNS1_3repE0EEENS1_30default_config_static_selectorELNS0_4arch9wavefront6targetE0EEEvT1_: ; @_ZN7rocprim17ROCPRIM_400000_NS6detail17trampoline_kernelINS0_14default_configENS1_20scan_config_selectorIN3c107complexIdEEEEZZNS1_9scan_implILNS1_25lookback_scan_determinismE0ELb0ELb0ES3_PKS7_PS7_S7_ZZZN2at6native31launch_logcumsumexp_cuda_kernelERKNSE_10TensorBaseESI_lENKUlvE_clEvENKUlvE1_clEvEUlS7_S7_E_S7_EEDaPvRmT3_T4_T5_mT6_P12ihipStream_tbENKUlT_T0_E_clISt17integral_constantIbLb0EESZ_EEDaSU_SV_EUlSU_E_NS1_11comp_targetILNS1_3genE8ELNS1_11target_archE1030ELNS1_3gpuE2ELNS1_3repE0EEENS1_30default_config_static_selectorELNS0_4arch9wavefront6targetE0EEEvT1_
; %bb.0:
	.section	.rodata,"a",@progbits
	.p2align	6, 0x0
	.amdhsa_kernel _ZN7rocprim17ROCPRIM_400000_NS6detail17trampoline_kernelINS0_14default_configENS1_20scan_config_selectorIN3c107complexIdEEEEZZNS1_9scan_implILNS1_25lookback_scan_determinismE0ELb0ELb0ES3_PKS7_PS7_S7_ZZZN2at6native31launch_logcumsumexp_cuda_kernelERKNSE_10TensorBaseESI_lENKUlvE_clEvENKUlvE1_clEvEUlS7_S7_E_S7_EEDaPvRmT3_T4_T5_mT6_P12ihipStream_tbENKUlT_T0_E_clISt17integral_constantIbLb0EESZ_EEDaSU_SV_EUlSU_E_NS1_11comp_targetILNS1_3genE8ELNS1_11target_archE1030ELNS1_3gpuE2ELNS1_3repE0EEENS1_30default_config_static_selectorELNS0_4arch9wavefront6targetE0EEEvT1_
		.amdhsa_group_segment_fixed_size 0
		.amdhsa_private_segment_fixed_size 0
		.amdhsa_kernarg_size 128
		.amdhsa_user_sgpr_count 2
		.amdhsa_user_sgpr_dispatch_ptr 0
		.amdhsa_user_sgpr_queue_ptr 0
		.amdhsa_user_sgpr_kernarg_segment_ptr 1
		.amdhsa_user_sgpr_dispatch_id 0
		.amdhsa_user_sgpr_private_segment_size 0
		.amdhsa_wavefront_size32 1
		.amdhsa_uses_dynamic_stack 0
		.amdhsa_enable_private_segment 0
		.amdhsa_system_sgpr_workgroup_id_x 1
		.amdhsa_system_sgpr_workgroup_id_y 0
		.amdhsa_system_sgpr_workgroup_id_z 0
		.amdhsa_system_sgpr_workgroup_info 0
		.amdhsa_system_vgpr_workitem_id 0
		.amdhsa_next_free_vgpr 1
		.amdhsa_next_free_sgpr 1
		.amdhsa_reserve_vcc 0
		.amdhsa_float_round_mode_32 0
		.amdhsa_float_round_mode_16_64 0
		.amdhsa_float_denorm_mode_32 3
		.amdhsa_float_denorm_mode_16_64 3
		.amdhsa_fp16_overflow 0
		.amdhsa_workgroup_processor_mode 1
		.amdhsa_memory_ordered 1
		.amdhsa_forward_progress 1
		.amdhsa_inst_pref_size 0
		.amdhsa_round_robin_scheduling 0
		.amdhsa_exception_fp_ieee_invalid_op 0
		.amdhsa_exception_fp_denorm_src 0
		.amdhsa_exception_fp_ieee_div_zero 0
		.amdhsa_exception_fp_ieee_overflow 0
		.amdhsa_exception_fp_ieee_underflow 0
		.amdhsa_exception_fp_ieee_inexact 0
		.amdhsa_exception_int_div_zero 0
	.end_amdhsa_kernel
	.section	.text._ZN7rocprim17ROCPRIM_400000_NS6detail17trampoline_kernelINS0_14default_configENS1_20scan_config_selectorIN3c107complexIdEEEEZZNS1_9scan_implILNS1_25lookback_scan_determinismE0ELb0ELb0ES3_PKS7_PS7_S7_ZZZN2at6native31launch_logcumsumexp_cuda_kernelERKNSE_10TensorBaseESI_lENKUlvE_clEvENKUlvE1_clEvEUlS7_S7_E_S7_EEDaPvRmT3_T4_T5_mT6_P12ihipStream_tbENKUlT_T0_E_clISt17integral_constantIbLb0EESZ_EEDaSU_SV_EUlSU_E_NS1_11comp_targetILNS1_3genE8ELNS1_11target_archE1030ELNS1_3gpuE2ELNS1_3repE0EEENS1_30default_config_static_selectorELNS0_4arch9wavefront6targetE0EEEvT1_,"axG",@progbits,_ZN7rocprim17ROCPRIM_400000_NS6detail17trampoline_kernelINS0_14default_configENS1_20scan_config_selectorIN3c107complexIdEEEEZZNS1_9scan_implILNS1_25lookback_scan_determinismE0ELb0ELb0ES3_PKS7_PS7_S7_ZZZN2at6native31launch_logcumsumexp_cuda_kernelERKNSE_10TensorBaseESI_lENKUlvE_clEvENKUlvE1_clEvEUlS7_S7_E_S7_EEDaPvRmT3_T4_T5_mT6_P12ihipStream_tbENKUlT_T0_E_clISt17integral_constantIbLb0EESZ_EEDaSU_SV_EUlSU_E_NS1_11comp_targetILNS1_3genE8ELNS1_11target_archE1030ELNS1_3gpuE2ELNS1_3repE0EEENS1_30default_config_static_selectorELNS0_4arch9wavefront6targetE0EEEvT1_,comdat
.Lfunc_end184:
	.size	_ZN7rocprim17ROCPRIM_400000_NS6detail17trampoline_kernelINS0_14default_configENS1_20scan_config_selectorIN3c107complexIdEEEEZZNS1_9scan_implILNS1_25lookback_scan_determinismE0ELb0ELb0ES3_PKS7_PS7_S7_ZZZN2at6native31launch_logcumsumexp_cuda_kernelERKNSE_10TensorBaseESI_lENKUlvE_clEvENKUlvE1_clEvEUlS7_S7_E_S7_EEDaPvRmT3_T4_T5_mT6_P12ihipStream_tbENKUlT_T0_E_clISt17integral_constantIbLb0EESZ_EEDaSU_SV_EUlSU_E_NS1_11comp_targetILNS1_3genE8ELNS1_11target_archE1030ELNS1_3gpuE2ELNS1_3repE0EEENS1_30default_config_static_selectorELNS0_4arch9wavefront6targetE0EEEvT1_, .Lfunc_end184-_ZN7rocprim17ROCPRIM_400000_NS6detail17trampoline_kernelINS0_14default_configENS1_20scan_config_selectorIN3c107complexIdEEEEZZNS1_9scan_implILNS1_25lookback_scan_determinismE0ELb0ELb0ES3_PKS7_PS7_S7_ZZZN2at6native31launch_logcumsumexp_cuda_kernelERKNSE_10TensorBaseESI_lENKUlvE_clEvENKUlvE1_clEvEUlS7_S7_E_S7_EEDaPvRmT3_T4_T5_mT6_P12ihipStream_tbENKUlT_T0_E_clISt17integral_constantIbLb0EESZ_EEDaSU_SV_EUlSU_E_NS1_11comp_targetILNS1_3genE8ELNS1_11target_archE1030ELNS1_3gpuE2ELNS1_3repE0EEENS1_30default_config_static_selectorELNS0_4arch9wavefront6targetE0EEEvT1_
                                        ; -- End function
	.set _ZN7rocprim17ROCPRIM_400000_NS6detail17trampoline_kernelINS0_14default_configENS1_20scan_config_selectorIN3c107complexIdEEEEZZNS1_9scan_implILNS1_25lookback_scan_determinismE0ELb0ELb0ES3_PKS7_PS7_S7_ZZZN2at6native31launch_logcumsumexp_cuda_kernelERKNSE_10TensorBaseESI_lENKUlvE_clEvENKUlvE1_clEvEUlS7_S7_E_S7_EEDaPvRmT3_T4_T5_mT6_P12ihipStream_tbENKUlT_T0_E_clISt17integral_constantIbLb0EESZ_EEDaSU_SV_EUlSU_E_NS1_11comp_targetILNS1_3genE8ELNS1_11target_archE1030ELNS1_3gpuE2ELNS1_3repE0EEENS1_30default_config_static_selectorELNS0_4arch9wavefront6targetE0EEEvT1_.num_vgpr, 0
	.set _ZN7rocprim17ROCPRIM_400000_NS6detail17trampoline_kernelINS0_14default_configENS1_20scan_config_selectorIN3c107complexIdEEEEZZNS1_9scan_implILNS1_25lookback_scan_determinismE0ELb0ELb0ES3_PKS7_PS7_S7_ZZZN2at6native31launch_logcumsumexp_cuda_kernelERKNSE_10TensorBaseESI_lENKUlvE_clEvENKUlvE1_clEvEUlS7_S7_E_S7_EEDaPvRmT3_T4_T5_mT6_P12ihipStream_tbENKUlT_T0_E_clISt17integral_constantIbLb0EESZ_EEDaSU_SV_EUlSU_E_NS1_11comp_targetILNS1_3genE8ELNS1_11target_archE1030ELNS1_3gpuE2ELNS1_3repE0EEENS1_30default_config_static_selectorELNS0_4arch9wavefront6targetE0EEEvT1_.num_agpr, 0
	.set _ZN7rocprim17ROCPRIM_400000_NS6detail17trampoline_kernelINS0_14default_configENS1_20scan_config_selectorIN3c107complexIdEEEEZZNS1_9scan_implILNS1_25lookback_scan_determinismE0ELb0ELb0ES3_PKS7_PS7_S7_ZZZN2at6native31launch_logcumsumexp_cuda_kernelERKNSE_10TensorBaseESI_lENKUlvE_clEvENKUlvE1_clEvEUlS7_S7_E_S7_EEDaPvRmT3_T4_T5_mT6_P12ihipStream_tbENKUlT_T0_E_clISt17integral_constantIbLb0EESZ_EEDaSU_SV_EUlSU_E_NS1_11comp_targetILNS1_3genE8ELNS1_11target_archE1030ELNS1_3gpuE2ELNS1_3repE0EEENS1_30default_config_static_selectorELNS0_4arch9wavefront6targetE0EEEvT1_.numbered_sgpr, 0
	.set _ZN7rocprim17ROCPRIM_400000_NS6detail17trampoline_kernelINS0_14default_configENS1_20scan_config_selectorIN3c107complexIdEEEEZZNS1_9scan_implILNS1_25lookback_scan_determinismE0ELb0ELb0ES3_PKS7_PS7_S7_ZZZN2at6native31launch_logcumsumexp_cuda_kernelERKNSE_10TensorBaseESI_lENKUlvE_clEvENKUlvE1_clEvEUlS7_S7_E_S7_EEDaPvRmT3_T4_T5_mT6_P12ihipStream_tbENKUlT_T0_E_clISt17integral_constantIbLb0EESZ_EEDaSU_SV_EUlSU_E_NS1_11comp_targetILNS1_3genE8ELNS1_11target_archE1030ELNS1_3gpuE2ELNS1_3repE0EEENS1_30default_config_static_selectorELNS0_4arch9wavefront6targetE0EEEvT1_.num_named_barrier, 0
	.set _ZN7rocprim17ROCPRIM_400000_NS6detail17trampoline_kernelINS0_14default_configENS1_20scan_config_selectorIN3c107complexIdEEEEZZNS1_9scan_implILNS1_25lookback_scan_determinismE0ELb0ELb0ES3_PKS7_PS7_S7_ZZZN2at6native31launch_logcumsumexp_cuda_kernelERKNSE_10TensorBaseESI_lENKUlvE_clEvENKUlvE1_clEvEUlS7_S7_E_S7_EEDaPvRmT3_T4_T5_mT6_P12ihipStream_tbENKUlT_T0_E_clISt17integral_constantIbLb0EESZ_EEDaSU_SV_EUlSU_E_NS1_11comp_targetILNS1_3genE8ELNS1_11target_archE1030ELNS1_3gpuE2ELNS1_3repE0EEENS1_30default_config_static_selectorELNS0_4arch9wavefront6targetE0EEEvT1_.private_seg_size, 0
	.set _ZN7rocprim17ROCPRIM_400000_NS6detail17trampoline_kernelINS0_14default_configENS1_20scan_config_selectorIN3c107complexIdEEEEZZNS1_9scan_implILNS1_25lookback_scan_determinismE0ELb0ELb0ES3_PKS7_PS7_S7_ZZZN2at6native31launch_logcumsumexp_cuda_kernelERKNSE_10TensorBaseESI_lENKUlvE_clEvENKUlvE1_clEvEUlS7_S7_E_S7_EEDaPvRmT3_T4_T5_mT6_P12ihipStream_tbENKUlT_T0_E_clISt17integral_constantIbLb0EESZ_EEDaSU_SV_EUlSU_E_NS1_11comp_targetILNS1_3genE8ELNS1_11target_archE1030ELNS1_3gpuE2ELNS1_3repE0EEENS1_30default_config_static_selectorELNS0_4arch9wavefront6targetE0EEEvT1_.uses_vcc, 0
	.set _ZN7rocprim17ROCPRIM_400000_NS6detail17trampoline_kernelINS0_14default_configENS1_20scan_config_selectorIN3c107complexIdEEEEZZNS1_9scan_implILNS1_25lookback_scan_determinismE0ELb0ELb0ES3_PKS7_PS7_S7_ZZZN2at6native31launch_logcumsumexp_cuda_kernelERKNSE_10TensorBaseESI_lENKUlvE_clEvENKUlvE1_clEvEUlS7_S7_E_S7_EEDaPvRmT3_T4_T5_mT6_P12ihipStream_tbENKUlT_T0_E_clISt17integral_constantIbLb0EESZ_EEDaSU_SV_EUlSU_E_NS1_11comp_targetILNS1_3genE8ELNS1_11target_archE1030ELNS1_3gpuE2ELNS1_3repE0EEENS1_30default_config_static_selectorELNS0_4arch9wavefront6targetE0EEEvT1_.uses_flat_scratch, 0
	.set _ZN7rocprim17ROCPRIM_400000_NS6detail17trampoline_kernelINS0_14default_configENS1_20scan_config_selectorIN3c107complexIdEEEEZZNS1_9scan_implILNS1_25lookback_scan_determinismE0ELb0ELb0ES3_PKS7_PS7_S7_ZZZN2at6native31launch_logcumsumexp_cuda_kernelERKNSE_10TensorBaseESI_lENKUlvE_clEvENKUlvE1_clEvEUlS7_S7_E_S7_EEDaPvRmT3_T4_T5_mT6_P12ihipStream_tbENKUlT_T0_E_clISt17integral_constantIbLb0EESZ_EEDaSU_SV_EUlSU_E_NS1_11comp_targetILNS1_3genE8ELNS1_11target_archE1030ELNS1_3gpuE2ELNS1_3repE0EEENS1_30default_config_static_selectorELNS0_4arch9wavefront6targetE0EEEvT1_.has_dyn_sized_stack, 0
	.set _ZN7rocprim17ROCPRIM_400000_NS6detail17trampoline_kernelINS0_14default_configENS1_20scan_config_selectorIN3c107complexIdEEEEZZNS1_9scan_implILNS1_25lookback_scan_determinismE0ELb0ELb0ES3_PKS7_PS7_S7_ZZZN2at6native31launch_logcumsumexp_cuda_kernelERKNSE_10TensorBaseESI_lENKUlvE_clEvENKUlvE1_clEvEUlS7_S7_E_S7_EEDaPvRmT3_T4_T5_mT6_P12ihipStream_tbENKUlT_T0_E_clISt17integral_constantIbLb0EESZ_EEDaSU_SV_EUlSU_E_NS1_11comp_targetILNS1_3genE8ELNS1_11target_archE1030ELNS1_3gpuE2ELNS1_3repE0EEENS1_30default_config_static_selectorELNS0_4arch9wavefront6targetE0EEEvT1_.has_recursion, 0
	.set _ZN7rocprim17ROCPRIM_400000_NS6detail17trampoline_kernelINS0_14default_configENS1_20scan_config_selectorIN3c107complexIdEEEEZZNS1_9scan_implILNS1_25lookback_scan_determinismE0ELb0ELb0ES3_PKS7_PS7_S7_ZZZN2at6native31launch_logcumsumexp_cuda_kernelERKNSE_10TensorBaseESI_lENKUlvE_clEvENKUlvE1_clEvEUlS7_S7_E_S7_EEDaPvRmT3_T4_T5_mT6_P12ihipStream_tbENKUlT_T0_E_clISt17integral_constantIbLb0EESZ_EEDaSU_SV_EUlSU_E_NS1_11comp_targetILNS1_3genE8ELNS1_11target_archE1030ELNS1_3gpuE2ELNS1_3repE0EEENS1_30default_config_static_selectorELNS0_4arch9wavefront6targetE0EEEvT1_.has_indirect_call, 0
	.section	.AMDGPU.csdata,"",@progbits
; Kernel info:
; codeLenInByte = 0
; TotalNumSgprs: 0
; NumVgprs: 0
; ScratchSize: 0
; MemoryBound: 0
; FloatMode: 240
; IeeeMode: 1
; LDSByteSize: 0 bytes/workgroup (compile time only)
; SGPRBlocks: 0
; VGPRBlocks: 0
; NumSGPRsForWavesPerEU: 1
; NumVGPRsForWavesPerEU: 1
; Occupancy: 16
; WaveLimiterHint : 0
; COMPUTE_PGM_RSRC2:SCRATCH_EN: 0
; COMPUTE_PGM_RSRC2:USER_SGPR: 2
; COMPUTE_PGM_RSRC2:TRAP_HANDLER: 0
; COMPUTE_PGM_RSRC2:TGID_X_EN: 1
; COMPUTE_PGM_RSRC2:TGID_Y_EN: 0
; COMPUTE_PGM_RSRC2:TGID_Z_EN: 0
; COMPUTE_PGM_RSRC2:TIDIG_COMP_CNT: 0
	.section	.text._ZN7rocprim17ROCPRIM_400000_NS6detail17trampoline_kernelINS0_14default_configENS1_25transform_config_selectorIN3c107complexIdEELb1EEEZNS1_14transform_implILb1ES3_S8_PS7_SA_NS0_8identityIS7_EEEE10hipError_tT2_T3_mT4_P12ihipStream_tbEUlT_E_NS1_11comp_targetILNS1_3genE0ELNS1_11target_archE4294967295ELNS1_3gpuE0ELNS1_3repE0EEENS1_30default_config_static_selectorELNS0_4arch9wavefront6targetE0EEEvT1_,"axG",@progbits,_ZN7rocprim17ROCPRIM_400000_NS6detail17trampoline_kernelINS0_14default_configENS1_25transform_config_selectorIN3c107complexIdEELb1EEEZNS1_14transform_implILb1ES3_S8_PS7_SA_NS0_8identityIS7_EEEE10hipError_tT2_T3_mT4_P12ihipStream_tbEUlT_E_NS1_11comp_targetILNS1_3genE0ELNS1_11target_archE4294967295ELNS1_3gpuE0ELNS1_3repE0EEENS1_30default_config_static_selectorELNS0_4arch9wavefront6targetE0EEEvT1_,comdat
	.protected	_ZN7rocprim17ROCPRIM_400000_NS6detail17trampoline_kernelINS0_14default_configENS1_25transform_config_selectorIN3c107complexIdEELb1EEEZNS1_14transform_implILb1ES3_S8_PS7_SA_NS0_8identityIS7_EEEE10hipError_tT2_T3_mT4_P12ihipStream_tbEUlT_E_NS1_11comp_targetILNS1_3genE0ELNS1_11target_archE4294967295ELNS1_3gpuE0ELNS1_3repE0EEENS1_30default_config_static_selectorELNS0_4arch9wavefront6targetE0EEEvT1_ ; -- Begin function _ZN7rocprim17ROCPRIM_400000_NS6detail17trampoline_kernelINS0_14default_configENS1_25transform_config_selectorIN3c107complexIdEELb1EEEZNS1_14transform_implILb1ES3_S8_PS7_SA_NS0_8identityIS7_EEEE10hipError_tT2_T3_mT4_P12ihipStream_tbEUlT_E_NS1_11comp_targetILNS1_3genE0ELNS1_11target_archE4294967295ELNS1_3gpuE0ELNS1_3repE0EEENS1_30default_config_static_selectorELNS0_4arch9wavefront6targetE0EEEvT1_
	.globl	_ZN7rocprim17ROCPRIM_400000_NS6detail17trampoline_kernelINS0_14default_configENS1_25transform_config_selectorIN3c107complexIdEELb1EEEZNS1_14transform_implILb1ES3_S8_PS7_SA_NS0_8identityIS7_EEEE10hipError_tT2_T3_mT4_P12ihipStream_tbEUlT_E_NS1_11comp_targetILNS1_3genE0ELNS1_11target_archE4294967295ELNS1_3gpuE0ELNS1_3repE0EEENS1_30default_config_static_selectorELNS0_4arch9wavefront6targetE0EEEvT1_
	.p2align	8
	.type	_ZN7rocprim17ROCPRIM_400000_NS6detail17trampoline_kernelINS0_14default_configENS1_25transform_config_selectorIN3c107complexIdEELb1EEEZNS1_14transform_implILb1ES3_S8_PS7_SA_NS0_8identityIS7_EEEE10hipError_tT2_T3_mT4_P12ihipStream_tbEUlT_E_NS1_11comp_targetILNS1_3genE0ELNS1_11target_archE4294967295ELNS1_3gpuE0ELNS1_3repE0EEENS1_30default_config_static_selectorELNS0_4arch9wavefront6targetE0EEEvT1_,@function
_ZN7rocprim17ROCPRIM_400000_NS6detail17trampoline_kernelINS0_14default_configENS1_25transform_config_selectorIN3c107complexIdEELb1EEEZNS1_14transform_implILb1ES3_S8_PS7_SA_NS0_8identityIS7_EEEE10hipError_tT2_T3_mT4_P12ihipStream_tbEUlT_E_NS1_11comp_targetILNS1_3genE0ELNS1_11target_archE4294967295ELNS1_3gpuE0ELNS1_3repE0EEENS1_30default_config_static_selectorELNS0_4arch9wavefront6targetE0EEEvT1_: ; @_ZN7rocprim17ROCPRIM_400000_NS6detail17trampoline_kernelINS0_14default_configENS1_25transform_config_selectorIN3c107complexIdEELb1EEEZNS1_14transform_implILb1ES3_S8_PS7_SA_NS0_8identityIS7_EEEE10hipError_tT2_T3_mT4_P12ihipStream_tbEUlT_E_NS1_11comp_targetILNS1_3genE0ELNS1_11target_archE4294967295ELNS1_3gpuE0ELNS1_3repE0EEENS1_30default_config_static_selectorELNS0_4arch9wavefront6targetE0EEEvT1_
; %bb.0:
	.section	.rodata,"a",@progbits
	.p2align	6, 0x0
	.amdhsa_kernel _ZN7rocprim17ROCPRIM_400000_NS6detail17trampoline_kernelINS0_14default_configENS1_25transform_config_selectorIN3c107complexIdEELb1EEEZNS1_14transform_implILb1ES3_S8_PS7_SA_NS0_8identityIS7_EEEE10hipError_tT2_T3_mT4_P12ihipStream_tbEUlT_E_NS1_11comp_targetILNS1_3genE0ELNS1_11target_archE4294967295ELNS1_3gpuE0ELNS1_3repE0EEENS1_30default_config_static_selectorELNS0_4arch9wavefront6targetE0EEEvT1_
		.amdhsa_group_segment_fixed_size 0
		.amdhsa_private_segment_fixed_size 0
		.amdhsa_kernarg_size 40
		.amdhsa_user_sgpr_count 2
		.amdhsa_user_sgpr_dispatch_ptr 0
		.amdhsa_user_sgpr_queue_ptr 0
		.amdhsa_user_sgpr_kernarg_segment_ptr 1
		.amdhsa_user_sgpr_dispatch_id 0
		.amdhsa_user_sgpr_private_segment_size 0
		.amdhsa_wavefront_size32 1
		.amdhsa_uses_dynamic_stack 0
		.amdhsa_enable_private_segment 0
		.amdhsa_system_sgpr_workgroup_id_x 1
		.amdhsa_system_sgpr_workgroup_id_y 0
		.amdhsa_system_sgpr_workgroup_id_z 0
		.amdhsa_system_sgpr_workgroup_info 0
		.amdhsa_system_vgpr_workitem_id 0
		.amdhsa_next_free_vgpr 1
		.amdhsa_next_free_sgpr 1
		.amdhsa_reserve_vcc 0
		.amdhsa_float_round_mode_32 0
		.amdhsa_float_round_mode_16_64 0
		.amdhsa_float_denorm_mode_32 3
		.amdhsa_float_denorm_mode_16_64 3
		.amdhsa_fp16_overflow 0
		.amdhsa_workgroup_processor_mode 1
		.amdhsa_memory_ordered 1
		.amdhsa_forward_progress 1
		.amdhsa_inst_pref_size 0
		.amdhsa_round_robin_scheduling 0
		.amdhsa_exception_fp_ieee_invalid_op 0
		.amdhsa_exception_fp_denorm_src 0
		.amdhsa_exception_fp_ieee_div_zero 0
		.amdhsa_exception_fp_ieee_overflow 0
		.amdhsa_exception_fp_ieee_underflow 0
		.amdhsa_exception_fp_ieee_inexact 0
		.amdhsa_exception_int_div_zero 0
	.end_amdhsa_kernel
	.section	.text._ZN7rocprim17ROCPRIM_400000_NS6detail17trampoline_kernelINS0_14default_configENS1_25transform_config_selectorIN3c107complexIdEELb1EEEZNS1_14transform_implILb1ES3_S8_PS7_SA_NS0_8identityIS7_EEEE10hipError_tT2_T3_mT4_P12ihipStream_tbEUlT_E_NS1_11comp_targetILNS1_3genE0ELNS1_11target_archE4294967295ELNS1_3gpuE0ELNS1_3repE0EEENS1_30default_config_static_selectorELNS0_4arch9wavefront6targetE0EEEvT1_,"axG",@progbits,_ZN7rocprim17ROCPRIM_400000_NS6detail17trampoline_kernelINS0_14default_configENS1_25transform_config_selectorIN3c107complexIdEELb1EEEZNS1_14transform_implILb1ES3_S8_PS7_SA_NS0_8identityIS7_EEEE10hipError_tT2_T3_mT4_P12ihipStream_tbEUlT_E_NS1_11comp_targetILNS1_3genE0ELNS1_11target_archE4294967295ELNS1_3gpuE0ELNS1_3repE0EEENS1_30default_config_static_selectorELNS0_4arch9wavefront6targetE0EEEvT1_,comdat
.Lfunc_end185:
	.size	_ZN7rocprim17ROCPRIM_400000_NS6detail17trampoline_kernelINS0_14default_configENS1_25transform_config_selectorIN3c107complexIdEELb1EEEZNS1_14transform_implILb1ES3_S8_PS7_SA_NS0_8identityIS7_EEEE10hipError_tT2_T3_mT4_P12ihipStream_tbEUlT_E_NS1_11comp_targetILNS1_3genE0ELNS1_11target_archE4294967295ELNS1_3gpuE0ELNS1_3repE0EEENS1_30default_config_static_selectorELNS0_4arch9wavefront6targetE0EEEvT1_, .Lfunc_end185-_ZN7rocprim17ROCPRIM_400000_NS6detail17trampoline_kernelINS0_14default_configENS1_25transform_config_selectorIN3c107complexIdEELb1EEEZNS1_14transform_implILb1ES3_S8_PS7_SA_NS0_8identityIS7_EEEE10hipError_tT2_T3_mT4_P12ihipStream_tbEUlT_E_NS1_11comp_targetILNS1_3genE0ELNS1_11target_archE4294967295ELNS1_3gpuE0ELNS1_3repE0EEENS1_30default_config_static_selectorELNS0_4arch9wavefront6targetE0EEEvT1_
                                        ; -- End function
	.set _ZN7rocprim17ROCPRIM_400000_NS6detail17trampoline_kernelINS0_14default_configENS1_25transform_config_selectorIN3c107complexIdEELb1EEEZNS1_14transform_implILb1ES3_S8_PS7_SA_NS0_8identityIS7_EEEE10hipError_tT2_T3_mT4_P12ihipStream_tbEUlT_E_NS1_11comp_targetILNS1_3genE0ELNS1_11target_archE4294967295ELNS1_3gpuE0ELNS1_3repE0EEENS1_30default_config_static_selectorELNS0_4arch9wavefront6targetE0EEEvT1_.num_vgpr, 0
	.set _ZN7rocprim17ROCPRIM_400000_NS6detail17trampoline_kernelINS0_14default_configENS1_25transform_config_selectorIN3c107complexIdEELb1EEEZNS1_14transform_implILb1ES3_S8_PS7_SA_NS0_8identityIS7_EEEE10hipError_tT2_T3_mT4_P12ihipStream_tbEUlT_E_NS1_11comp_targetILNS1_3genE0ELNS1_11target_archE4294967295ELNS1_3gpuE0ELNS1_3repE0EEENS1_30default_config_static_selectorELNS0_4arch9wavefront6targetE0EEEvT1_.num_agpr, 0
	.set _ZN7rocprim17ROCPRIM_400000_NS6detail17trampoline_kernelINS0_14default_configENS1_25transform_config_selectorIN3c107complexIdEELb1EEEZNS1_14transform_implILb1ES3_S8_PS7_SA_NS0_8identityIS7_EEEE10hipError_tT2_T3_mT4_P12ihipStream_tbEUlT_E_NS1_11comp_targetILNS1_3genE0ELNS1_11target_archE4294967295ELNS1_3gpuE0ELNS1_3repE0EEENS1_30default_config_static_selectorELNS0_4arch9wavefront6targetE0EEEvT1_.numbered_sgpr, 0
	.set _ZN7rocprim17ROCPRIM_400000_NS6detail17trampoline_kernelINS0_14default_configENS1_25transform_config_selectorIN3c107complexIdEELb1EEEZNS1_14transform_implILb1ES3_S8_PS7_SA_NS0_8identityIS7_EEEE10hipError_tT2_T3_mT4_P12ihipStream_tbEUlT_E_NS1_11comp_targetILNS1_3genE0ELNS1_11target_archE4294967295ELNS1_3gpuE0ELNS1_3repE0EEENS1_30default_config_static_selectorELNS0_4arch9wavefront6targetE0EEEvT1_.num_named_barrier, 0
	.set _ZN7rocprim17ROCPRIM_400000_NS6detail17trampoline_kernelINS0_14default_configENS1_25transform_config_selectorIN3c107complexIdEELb1EEEZNS1_14transform_implILb1ES3_S8_PS7_SA_NS0_8identityIS7_EEEE10hipError_tT2_T3_mT4_P12ihipStream_tbEUlT_E_NS1_11comp_targetILNS1_3genE0ELNS1_11target_archE4294967295ELNS1_3gpuE0ELNS1_3repE0EEENS1_30default_config_static_selectorELNS0_4arch9wavefront6targetE0EEEvT1_.private_seg_size, 0
	.set _ZN7rocprim17ROCPRIM_400000_NS6detail17trampoline_kernelINS0_14default_configENS1_25transform_config_selectorIN3c107complexIdEELb1EEEZNS1_14transform_implILb1ES3_S8_PS7_SA_NS0_8identityIS7_EEEE10hipError_tT2_T3_mT4_P12ihipStream_tbEUlT_E_NS1_11comp_targetILNS1_3genE0ELNS1_11target_archE4294967295ELNS1_3gpuE0ELNS1_3repE0EEENS1_30default_config_static_selectorELNS0_4arch9wavefront6targetE0EEEvT1_.uses_vcc, 0
	.set _ZN7rocprim17ROCPRIM_400000_NS6detail17trampoline_kernelINS0_14default_configENS1_25transform_config_selectorIN3c107complexIdEELb1EEEZNS1_14transform_implILb1ES3_S8_PS7_SA_NS0_8identityIS7_EEEE10hipError_tT2_T3_mT4_P12ihipStream_tbEUlT_E_NS1_11comp_targetILNS1_3genE0ELNS1_11target_archE4294967295ELNS1_3gpuE0ELNS1_3repE0EEENS1_30default_config_static_selectorELNS0_4arch9wavefront6targetE0EEEvT1_.uses_flat_scratch, 0
	.set _ZN7rocprim17ROCPRIM_400000_NS6detail17trampoline_kernelINS0_14default_configENS1_25transform_config_selectorIN3c107complexIdEELb1EEEZNS1_14transform_implILb1ES3_S8_PS7_SA_NS0_8identityIS7_EEEE10hipError_tT2_T3_mT4_P12ihipStream_tbEUlT_E_NS1_11comp_targetILNS1_3genE0ELNS1_11target_archE4294967295ELNS1_3gpuE0ELNS1_3repE0EEENS1_30default_config_static_selectorELNS0_4arch9wavefront6targetE0EEEvT1_.has_dyn_sized_stack, 0
	.set _ZN7rocprim17ROCPRIM_400000_NS6detail17trampoline_kernelINS0_14default_configENS1_25transform_config_selectorIN3c107complexIdEELb1EEEZNS1_14transform_implILb1ES3_S8_PS7_SA_NS0_8identityIS7_EEEE10hipError_tT2_T3_mT4_P12ihipStream_tbEUlT_E_NS1_11comp_targetILNS1_3genE0ELNS1_11target_archE4294967295ELNS1_3gpuE0ELNS1_3repE0EEENS1_30default_config_static_selectorELNS0_4arch9wavefront6targetE0EEEvT1_.has_recursion, 0
	.set _ZN7rocprim17ROCPRIM_400000_NS6detail17trampoline_kernelINS0_14default_configENS1_25transform_config_selectorIN3c107complexIdEELb1EEEZNS1_14transform_implILb1ES3_S8_PS7_SA_NS0_8identityIS7_EEEE10hipError_tT2_T3_mT4_P12ihipStream_tbEUlT_E_NS1_11comp_targetILNS1_3genE0ELNS1_11target_archE4294967295ELNS1_3gpuE0ELNS1_3repE0EEENS1_30default_config_static_selectorELNS0_4arch9wavefront6targetE0EEEvT1_.has_indirect_call, 0
	.section	.AMDGPU.csdata,"",@progbits
; Kernel info:
; codeLenInByte = 0
; TotalNumSgprs: 0
; NumVgprs: 0
; ScratchSize: 0
; MemoryBound: 0
; FloatMode: 240
; IeeeMode: 1
; LDSByteSize: 0 bytes/workgroup (compile time only)
; SGPRBlocks: 0
; VGPRBlocks: 0
; NumSGPRsForWavesPerEU: 1
; NumVGPRsForWavesPerEU: 1
; Occupancy: 16
; WaveLimiterHint : 0
; COMPUTE_PGM_RSRC2:SCRATCH_EN: 0
; COMPUTE_PGM_RSRC2:USER_SGPR: 2
; COMPUTE_PGM_RSRC2:TRAP_HANDLER: 0
; COMPUTE_PGM_RSRC2:TGID_X_EN: 1
; COMPUTE_PGM_RSRC2:TGID_Y_EN: 0
; COMPUTE_PGM_RSRC2:TGID_Z_EN: 0
; COMPUTE_PGM_RSRC2:TIDIG_COMP_CNT: 0
	.section	.text._ZN7rocprim17ROCPRIM_400000_NS6detail17trampoline_kernelINS0_14default_configENS1_25transform_config_selectorIN3c107complexIdEELb1EEEZNS1_14transform_implILb1ES3_S8_PS7_SA_NS0_8identityIS7_EEEE10hipError_tT2_T3_mT4_P12ihipStream_tbEUlT_E_NS1_11comp_targetILNS1_3genE10ELNS1_11target_archE1201ELNS1_3gpuE5ELNS1_3repE0EEENS1_30default_config_static_selectorELNS0_4arch9wavefront6targetE0EEEvT1_,"axG",@progbits,_ZN7rocprim17ROCPRIM_400000_NS6detail17trampoline_kernelINS0_14default_configENS1_25transform_config_selectorIN3c107complexIdEELb1EEEZNS1_14transform_implILb1ES3_S8_PS7_SA_NS0_8identityIS7_EEEE10hipError_tT2_T3_mT4_P12ihipStream_tbEUlT_E_NS1_11comp_targetILNS1_3genE10ELNS1_11target_archE1201ELNS1_3gpuE5ELNS1_3repE0EEENS1_30default_config_static_selectorELNS0_4arch9wavefront6targetE0EEEvT1_,comdat
	.protected	_ZN7rocprim17ROCPRIM_400000_NS6detail17trampoline_kernelINS0_14default_configENS1_25transform_config_selectorIN3c107complexIdEELb1EEEZNS1_14transform_implILb1ES3_S8_PS7_SA_NS0_8identityIS7_EEEE10hipError_tT2_T3_mT4_P12ihipStream_tbEUlT_E_NS1_11comp_targetILNS1_3genE10ELNS1_11target_archE1201ELNS1_3gpuE5ELNS1_3repE0EEENS1_30default_config_static_selectorELNS0_4arch9wavefront6targetE0EEEvT1_ ; -- Begin function _ZN7rocprim17ROCPRIM_400000_NS6detail17trampoline_kernelINS0_14default_configENS1_25transform_config_selectorIN3c107complexIdEELb1EEEZNS1_14transform_implILb1ES3_S8_PS7_SA_NS0_8identityIS7_EEEE10hipError_tT2_T3_mT4_P12ihipStream_tbEUlT_E_NS1_11comp_targetILNS1_3genE10ELNS1_11target_archE1201ELNS1_3gpuE5ELNS1_3repE0EEENS1_30default_config_static_selectorELNS0_4arch9wavefront6targetE0EEEvT1_
	.globl	_ZN7rocprim17ROCPRIM_400000_NS6detail17trampoline_kernelINS0_14default_configENS1_25transform_config_selectorIN3c107complexIdEELb1EEEZNS1_14transform_implILb1ES3_S8_PS7_SA_NS0_8identityIS7_EEEE10hipError_tT2_T3_mT4_P12ihipStream_tbEUlT_E_NS1_11comp_targetILNS1_3genE10ELNS1_11target_archE1201ELNS1_3gpuE5ELNS1_3repE0EEENS1_30default_config_static_selectorELNS0_4arch9wavefront6targetE0EEEvT1_
	.p2align	8
	.type	_ZN7rocprim17ROCPRIM_400000_NS6detail17trampoline_kernelINS0_14default_configENS1_25transform_config_selectorIN3c107complexIdEELb1EEEZNS1_14transform_implILb1ES3_S8_PS7_SA_NS0_8identityIS7_EEEE10hipError_tT2_T3_mT4_P12ihipStream_tbEUlT_E_NS1_11comp_targetILNS1_3genE10ELNS1_11target_archE1201ELNS1_3gpuE5ELNS1_3repE0EEENS1_30default_config_static_selectorELNS0_4arch9wavefront6targetE0EEEvT1_,@function
_ZN7rocprim17ROCPRIM_400000_NS6detail17trampoline_kernelINS0_14default_configENS1_25transform_config_selectorIN3c107complexIdEELb1EEEZNS1_14transform_implILb1ES3_S8_PS7_SA_NS0_8identityIS7_EEEE10hipError_tT2_T3_mT4_P12ihipStream_tbEUlT_E_NS1_11comp_targetILNS1_3genE10ELNS1_11target_archE1201ELNS1_3gpuE5ELNS1_3repE0EEENS1_30default_config_static_selectorELNS0_4arch9wavefront6targetE0EEEvT1_: ; @_ZN7rocprim17ROCPRIM_400000_NS6detail17trampoline_kernelINS0_14default_configENS1_25transform_config_selectorIN3c107complexIdEELb1EEEZNS1_14transform_implILb1ES3_S8_PS7_SA_NS0_8identityIS7_EEEE10hipError_tT2_T3_mT4_P12ihipStream_tbEUlT_E_NS1_11comp_targetILNS1_3genE10ELNS1_11target_archE1201ELNS1_3gpuE5ELNS1_3repE0EEENS1_30default_config_static_selectorELNS0_4arch9wavefront6targetE0EEEvT1_
; %bb.0:
	s_clause 0x1
	s_load_b32 s2, s[0:1], 0x28
	s_load_b32 s3, s[0:1], 0x10
	s_wait_kmcnt 0x0
	s_add_co_i32 s4, s2, -1
	s_lshl_b32 s2, ttmp9, 6
	s_cmp_lg_u32 ttmp9, s4
	s_cselect_b32 s4, -1, 0
	s_sub_co_i32 s3, s3, s2
	s_delay_alu instid0(SALU_CYCLE_1)
	v_cmp_gt_u32_e32 vcc_lo, s3, v0
	s_or_b32 s3, vcc_lo, s4
	s_wait_alu 0xfffe
	s_and_saveexec_b32 s4, s3
	s_cbranch_execz .LBB186_2
; %bb.1:
	s_clause 0x1
	s_load_b128 s[4:7], s[0:1], 0x0
	s_load_b64 s[0:1], s[0:1], 0x18
	s_mov_b32 s3, 0
	v_lshlrev_b32_e32 v4, 4, v0
	s_wait_alu 0xfffe
	s_lshl_b64 s[2:3], s[2:3], 4
	s_wait_kmcnt 0x0
	s_lshl_b64 s[6:7], s[6:7], 4
	s_delay_alu instid0(SALU_CYCLE_1)
	s_add_nc_u64 s[4:5], s[4:5], s[6:7]
	s_add_nc_u64 s[0:1], s[0:1], s[6:7]
	s_wait_alu 0xfffe
	s_add_nc_u64 s[4:5], s[4:5], s[2:3]
	s_add_nc_u64 s[0:1], s[0:1], s[2:3]
	global_load_b128 v[0:3], v4, s[4:5]
	s_wait_loadcnt 0x0
	global_store_b128 v4, v[0:3], s[0:1]
.LBB186_2:
	s_endpgm
	.section	.rodata,"a",@progbits
	.p2align	6, 0x0
	.amdhsa_kernel _ZN7rocprim17ROCPRIM_400000_NS6detail17trampoline_kernelINS0_14default_configENS1_25transform_config_selectorIN3c107complexIdEELb1EEEZNS1_14transform_implILb1ES3_S8_PS7_SA_NS0_8identityIS7_EEEE10hipError_tT2_T3_mT4_P12ihipStream_tbEUlT_E_NS1_11comp_targetILNS1_3genE10ELNS1_11target_archE1201ELNS1_3gpuE5ELNS1_3repE0EEENS1_30default_config_static_selectorELNS0_4arch9wavefront6targetE0EEEvT1_
		.amdhsa_group_segment_fixed_size 0
		.amdhsa_private_segment_fixed_size 0
		.amdhsa_kernarg_size 296
		.amdhsa_user_sgpr_count 2
		.amdhsa_user_sgpr_dispatch_ptr 0
		.amdhsa_user_sgpr_queue_ptr 0
		.amdhsa_user_sgpr_kernarg_segment_ptr 1
		.amdhsa_user_sgpr_dispatch_id 0
		.amdhsa_user_sgpr_private_segment_size 0
		.amdhsa_wavefront_size32 1
		.amdhsa_uses_dynamic_stack 0
		.amdhsa_enable_private_segment 0
		.amdhsa_system_sgpr_workgroup_id_x 1
		.amdhsa_system_sgpr_workgroup_id_y 0
		.amdhsa_system_sgpr_workgroup_id_z 0
		.amdhsa_system_sgpr_workgroup_info 0
		.amdhsa_system_vgpr_workitem_id 0
		.amdhsa_next_free_vgpr 5
		.amdhsa_next_free_sgpr 8
		.amdhsa_reserve_vcc 1
		.amdhsa_float_round_mode_32 0
		.amdhsa_float_round_mode_16_64 0
		.amdhsa_float_denorm_mode_32 3
		.amdhsa_float_denorm_mode_16_64 3
		.amdhsa_fp16_overflow 0
		.amdhsa_workgroup_processor_mode 1
		.amdhsa_memory_ordered 1
		.amdhsa_forward_progress 1
		.amdhsa_inst_pref_size 2
		.amdhsa_round_robin_scheduling 0
		.amdhsa_exception_fp_ieee_invalid_op 0
		.amdhsa_exception_fp_denorm_src 0
		.amdhsa_exception_fp_ieee_div_zero 0
		.amdhsa_exception_fp_ieee_overflow 0
		.amdhsa_exception_fp_ieee_underflow 0
		.amdhsa_exception_fp_ieee_inexact 0
		.amdhsa_exception_int_div_zero 0
	.end_amdhsa_kernel
	.section	.text._ZN7rocprim17ROCPRIM_400000_NS6detail17trampoline_kernelINS0_14default_configENS1_25transform_config_selectorIN3c107complexIdEELb1EEEZNS1_14transform_implILb1ES3_S8_PS7_SA_NS0_8identityIS7_EEEE10hipError_tT2_T3_mT4_P12ihipStream_tbEUlT_E_NS1_11comp_targetILNS1_3genE10ELNS1_11target_archE1201ELNS1_3gpuE5ELNS1_3repE0EEENS1_30default_config_static_selectorELNS0_4arch9wavefront6targetE0EEEvT1_,"axG",@progbits,_ZN7rocprim17ROCPRIM_400000_NS6detail17trampoline_kernelINS0_14default_configENS1_25transform_config_selectorIN3c107complexIdEELb1EEEZNS1_14transform_implILb1ES3_S8_PS7_SA_NS0_8identityIS7_EEEE10hipError_tT2_T3_mT4_P12ihipStream_tbEUlT_E_NS1_11comp_targetILNS1_3genE10ELNS1_11target_archE1201ELNS1_3gpuE5ELNS1_3repE0EEENS1_30default_config_static_selectorELNS0_4arch9wavefront6targetE0EEEvT1_,comdat
.Lfunc_end186:
	.size	_ZN7rocprim17ROCPRIM_400000_NS6detail17trampoline_kernelINS0_14default_configENS1_25transform_config_selectorIN3c107complexIdEELb1EEEZNS1_14transform_implILb1ES3_S8_PS7_SA_NS0_8identityIS7_EEEE10hipError_tT2_T3_mT4_P12ihipStream_tbEUlT_E_NS1_11comp_targetILNS1_3genE10ELNS1_11target_archE1201ELNS1_3gpuE5ELNS1_3repE0EEENS1_30default_config_static_selectorELNS0_4arch9wavefront6targetE0EEEvT1_, .Lfunc_end186-_ZN7rocprim17ROCPRIM_400000_NS6detail17trampoline_kernelINS0_14default_configENS1_25transform_config_selectorIN3c107complexIdEELb1EEEZNS1_14transform_implILb1ES3_S8_PS7_SA_NS0_8identityIS7_EEEE10hipError_tT2_T3_mT4_P12ihipStream_tbEUlT_E_NS1_11comp_targetILNS1_3genE10ELNS1_11target_archE1201ELNS1_3gpuE5ELNS1_3repE0EEENS1_30default_config_static_selectorELNS0_4arch9wavefront6targetE0EEEvT1_
                                        ; -- End function
	.set _ZN7rocprim17ROCPRIM_400000_NS6detail17trampoline_kernelINS0_14default_configENS1_25transform_config_selectorIN3c107complexIdEELb1EEEZNS1_14transform_implILb1ES3_S8_PS7_SA_NS0_8identityIS7_EEEE10hipError_tT2_T3_mT4_P12ihipStream_tbEUlT_E_NS1_11comp_targetILNS1_3genE10ELNS1_11target_archE1201ELNS1_3gpuE5ELNS1_3repE0EEENS1_30default_config_static_selectorELNS0_4arch9wavefront6targetE0EEEvT1_.num_vgpr, 5
	.set _ZN7rocprim17ROCPRIM_400000_NS6detail17trampoline_kernelINS0_14default_configENS1_25transform_config_selectorIN3c107complexIdEELb1EEEZNS1_14transform_implILb1ES3_S8_PS7_SA_NS0_8identityIS7_EEEE10hipError_tT2_T3_mT4_P12ihipStream_tbEUlT_E_NS1_11comp_targetILNS1_3genE10ELNS1_11target_archE1201ELNS1_3gpuE5ELNS1_3repE0EEENS1_30default_config_static_selectorELNS0_4arch9wavefront6targetE0EEEvT1_.num_agpr, 0
	.set _ZN7rocprim17ROCPRIM_400000_NS6detail17trampoline_kernelINS0_14default_configENS1_25transform_config_selectorIN3c107complexIdEELb1EEEZNS1_14transform_implILb1ES3_S8_PS7_SA_NS0_8identityIS7_EEEE10hipError_tT2_T3_mT4_P12ihipStream_tbEUlT_E_NS1_11comp_targetILNS1_3genE10ELNS1_11target_archE1201ELNS1_3gpuE5ELNS1_3repE0EEENS1_30default_config_static_selectorELNS0_4arch9wavefront6targetE0EEEvT1_.numbered_sgpr, 8
	.set _ZN7rocprim17ROCPRIM_400000_NS6detail17trampoline_kernelINS0_14default_configENS1_25transform_config_selectorIN3c107complexIdEELb1EEEZNS1_14transform_implILb1ES3_S8_PS7_SA_NS0_8identityIS7_EEEE10hipError_tT2_T3_mT4_P12ihipStream_tbEUlT_E_NS1_11comp_targetILNS1_3genE10ELNS1_11target_archE1201ELNS1_3gpuE5ELNS1_3repE0EEENS1_30default_config_static_selectorELNS0_4arch9wavefront6targetE0EEEvT1_.num_named_barrier, 0
	.set _ZN7rocprim17ROCPRIM_400000_NS6detail17trampoline_kernelINS0_14default_configENS1_25transform_config_selectorIN3c107complexIdEELb1EEEZNS1_14transform_implILb1ES3_S8_PS7_SA_NS0_8identityIS7_EEEE10hipError_tT2_T3_mT4_P12ihipStream_tbEUlT_E_NS1_11comp_targetILNS1_3genE10ELNS1_11target_archE1201ELNS1_3gpuE5ELNS1_3repE0EEENS1_30default_config_static_selectorELNS0_4arch9wavefront6targetE0EEEvT1_.private_seg_size, 0
	.set _ZN7rocprim17ROCPRIM_400000_NS6detail17trampoline_kernelINS0_14default_configENS1_25transform_config_selectorIN3c107complexIdEELb1EEEZNS1_14transform_implILb1ES3_S8_PS7_SA_NS0_8identityIS7_EEEE10hipError_tT2_T3_mT4_P12ihipStream_tbEUlT_E_NS1_11comp_targetILNS1_3genE10ELNS1_11target_archE1201ELNS1_3gpuE5ELNS1_3repE0EEENS1_30default_config_static_selectorELNS0_4arch9wavefront6targetE0EEEvT1_.uses_vcc, 1
	.set _ZN7rocprim17ROCPRIM_400000_NS6detail17trampoline_kernelINS0_14default_configENS1_25transform_config_selectorIN3c107complexIdEELb1EEEZNS1_14transform_implILb1ES3_S8_PS7_SA_NS0_8identityIS7_EEEE10hipError_tT2_T3_mT4_P12ihipStream_tbEUlT_E_NS1_11comp_targetILNS1_3genE10ELNS1_11target_archE1201ELNS1_3gpuE5ELNS1_3repE0EEENS1_30default_config_static_selectorELNS0_4arch9wavefront6targetE0EEEvT1_.uses_flat_scratch, 0
	.set _ZN7rocprim17ROCPRIM_400000_NS6detail17trampoline_kernelINS0_14default_configENS1_25transform_config_selectorIN3c107complexIdEELb1EEEZNS1_14transform_implILb1ES3_S8_PS7_SA_NS0_8identityIS7_EEEE10hipError_tT2_T3_mT4_P12ihipStream_tbEUlT_E_NS1_11comp_targetILNS1_3genE10ELNS1_11target_archE1201ELNS1_3gpuE5ELNS1_3repE0EEENS1_30default_config_static_selectorELNS0_4arch9wavefront6targetE0EEEvT1_.has_dyn_sized_stack, 0
	.set _ZN7rocprim17ROCPRIM_400000_NS6detail17trampoline_kernelINS0_14default_configENS1_25transform_config_selectorIN3c107complexIdEELb1EEEZNS1_14transform_implILb1ES3_S8_PS7_SA_NS0_8identityIS7_EEEE10hipError_tT2_T3_mT4_P12ihipStream_tbEUlT_E_NS1_11comp_targetILNS1_3genE10ELNS1_11target_archE1201ELNS1_3gpuE5ELNS1_3repE0EEENS1_30default_config_static_selectorELNS0_4arch9wavefront6targetE0EEEvT1_.has_recursion, 0
	.set _ZN7rocprim17ROCPRIM_400000_NS6detail17trampoline_kernelINS0_14default_configENS1_25transform_config_selectorIN3c107complexIdEELb1EEEZNS1_14transform_implILb1ES3_S8_PS7_SA_NS0_8identityIS7_EEEE10hipError_tT2_T3_mT4_P12ihipStream_tbEUlT_E_NS1_11comp_targetILNS1_3genE10ELNS1_11target_archE1201ELNS1_3gpuE5ELNS1_3repE0EEENS1_30default_config_static_selectorELNS0_4arch9wavefront6targetE0EEEvT1_.has_indirect_call, 0
	.section	.AMDGPU.csdata,"",@progbits
; Kernel info:
; codeLenInByte = 168
; TotalNumSgprs: 10
; NumVgprs: 5
; ScratchSize: 0
; MemoryBound: 0
; FloatMode: 240
; IeeeMode: 1
; LDSByteSize: 0 bytes/workgroup (compile time only)
; SGPRBlocks: 0
; VGPRBlocks: 0
; NumSGPRsForWavesPerEU: 10
; NumVGPRsForWavesPerEU: 5
; Occupancy: 16
; WaveLimiterHint : 0
; COMPUTE_PGM_RSRC2:SCRATCH_EN: 0
; COMPUTE_PGM_RSRC2:USER_SGPR: 2
; COMPUTE_PGM_RSRC2:TRAP_HANDLER: 0
; COMPUTE_PGM_RSRC2:TGID_X_EN: 1
; COMPUTE_PGM_RSRC2:TGID_Y_EN: 0
; COMPUTE_PGM_RSRC2:TGID_Z_EN: 0
; COMPUTE_PGM_RSRC2:TIDIG_COMP_CNT: 0
	.section	.text._ZN7rocprim17ROCPRIM_400000_NS6detail17trampoline_kernelINS0_14default_configENS1_25transform_config_selectorIN3c107complexIdEELb1EEEZNS1_14transform_implILb1ES3_S8_PS7_SA_NS0_8identityIS7_EEEE10hipError_tT2_T3_mT4_P12ihipStream_tbEUlT_E_NS1_11comp_targetILNS1_3genE5ELNS1_11target_archE942ELNS1_3gpuE9ELNS1_3repE0EEENS1_30default_config_static_selectorELNS0_4arch9wavefront6targetE0EEEvT1_,"axG",@progbits,_ZN7rocprim17ROCPRIM_400000_NS6detail17trampoline_kernelINS0_14default_configENS1_25transform_config_selectorIN3c107complexIdEELb1EEEZNS1_14transform_implILb1ES3_S8_PS7_SA_NS0_8identityIS7_EEEE10hipError_tT2_T3_mT4_P12ihipStream_tbEUlT_E_NS1_11comp_targetILNS1_3genE5ELNS1_11target_archE942ELNS1_3gpuE9ELNS1_3repE0EEENS1_30default_config_static_selectorELNS0_4arch9wavefront6targetE0EEEvT1_,comdat
	.protected	_ZN7rocprim17ROCPRIM_400000_NS6detail17trampoline_kernelINS0_14default_configENS1_25transform_config_selectorIN3c107complexIdEELb1EEEZNS1_14transform_implILb1ES3_S8_PS7_SA_NS0_8identityIS7_EEEE10hipError_tT2_T3_mT4_P12ihipStream_tbEUlT_E_NS1_11comp_targetILNS1_3genE5ELNS1_11target_archE942ELNS1_3gpuE9ELNS1_3repE0EEENS1_30default_config_static_selectorELNS0_4arch9wavefront6targetE0EEEvT1_ ; -- Begin function _ZN7rocprim17ROCPRIM_400000_NS6detail17trampoline_kernelINS0_14default_configENS1_25transform_config_selectorIN3c107complexIdEELb1EEEZNS1_14transform_implILb1ES3_S8_PS7_SA_NS0_8identityIS7_EEEE10hipError_tT2_T3_mT4_P12ihipStream_tbEUlT_E_NS1_11comp_targetILNS1_3genE5ELNS1_11target_archE942ELNS1_3gpuE9ELNS1_3repE0EEENS1_30default_config_static_selectorELNS0_4arch9wavefront6targetE0EEEvT1_
	.globl	_ZN7rocprim17ROCPRIM_400000_NS6detail17trampoline_kernelINS0_14default_configENS1_25transform_config_selectorIN3c107complexIdEELb1EEEZNS1_14transform_implILb1ES3_S8_PS7_SA_NS0_8identityIS7_EEEE10hipError_tT2_T3_mT4_P12ihipStream_tbEUlT_E_NS1_11comp_targetILNS1_3genE5ELNS1_11target_archE942ELNS1_3gpuE9ELNS1_3repE0EEENS1_30default_config_static_selectorELNS0_4arch9wavefront6targetE0EEEvT1_
	.p2align	8
	.type	_ZN7rocprim17ROCPRIM_400000_NS6detail17trampoline_kernelINS0_14default_configENS1_25transform_config_selectorIN3c107complexIdEELb1EEEZNS1_14transform_implILb1ES3_S8_PS7_SA_NS0_8identityIS7_EEEE10hipError_tT2_T3_mT4_P12ihipStream_tbEUlT_E_NS1_11comp_targetILNS1_3genE5ELNS1_11target_archE942ELNS1_3gpuE9ELNS1_3repE0EEENS1_30default_config_static_selectorELNS0_4arch9wavefront6targetE0EEEvT1_,@function
_ZN7rocprim17ROCPRIM_400000_NS6detail17trampoline_kernelINS0_14default_configENS1_25transform_config_selectorIN3c107complexIdEELb1EEEZNS1_14transform_implILb1ES3_S8_PS7_SA_NS0_8identityIS7_EEEE10hipError_tT2_T3_mT4_P12ihipStream_tbEUlT_E_NS1_11comp_targetILNS1_3genE5ELNS1_11target_archE942ELNS1_3gpuE9ELNS1_3repE0EEENS1_30default_config_static_selectorELNS0_4arch9wavefront6targetE0EEEvT1_: ; @_ZN7rocprim17ROCPRIM_400000_NS6detail17trampoline_kernelINS0_14default_configENS1_25transform_config_selectorIN3c107complexIdEELb1EEEZNS1_14transform_implILb1ES3_S8_PS7_SA_NS0_8identityIS7_EEEE10hipError_tT2_T3_mT4_P12ihipStream_tbEUlT_E_NS1_11comp_targetILNS1_3genE5ELNS1_11target_archE942ELNS1_3gpuE9ELNS1_3repE0EEENS1_30default_config_static_selectorELNS0_4arch9wavefront6targetE0EEEvT1_
; %bb.0:
	.section	.rodata,"a",@progbits
	.p2align	6, 0x0
	.amdhsa_kernel _ZN7rocprim17ROCPRIM_400000_NS6detail17trampoline_kernelINS0_14default_configENS1_25transform_config_selectorIN3c107complexIdEELb1EEEZNS1_14transform_implILb1ES3_S8_PS7_SA_NS0_8identityIS7_EEEE10hipError_tT2_T3_mT4_P12ihipStream_tbEUlT_E_NS1_11comp_targetILNS1_3genE5ELNS1_11target_archE942ELNS1_3gpuE9ELNS1_3repE0EEENS1_30default_config_static_selectorELNS0_4arch9wavefront6targetE0EEEvT1_
		.amdhsa_group_segment_fixed_size 0
		.amdhsa_private_segment_fixed_size 0
		.amdhsa_kernarg_size 40
		.amdhsa_user_sgpr_count 2
		.amdhsa_user_sgpr_dispatch_ptr 0
		.amdhsa_user_sgpr_queue_ptr 0
		.amdhsa_user_sgpr_kernarg_segment_ptr 1
		.amdhsa_user_sgpr_dispatch_id 0
		.amdhsa_user_sgpr_private_segment_size 0
		.amdhsa_wavefront_size32 1
		.amdhsa_uses_dynamic_stack 0
		.amdhsa_enable_private_segment 0
		.amdhsa_system_sgpr_workgroup_id_x 1
		.amdhsa_system_sgpr_workgroup_id_y 0
		.amdhsa_system_sgpr_workgroup_id_z 0
		.amdhsa_system_sgpr_workgroup_info 0
		.amdhsa_system_vgpr_workitem_id 0
		.amdhsa_next_free_vgpr 1
		.amdhsa_next_free_sgpr 1
		.amdhsa_reserve_vcc 0
		.amdhsa_float_round_mode_32 0
		.amdhsa_float_round_mode_16_64 0
		.amdhsa_float_denorm_mode_32 3
		.amdhsa_float_denorm_mode_16_64 3
		.amdhsa_fp16_overflow 0
		.amdhsa_workgroup_processor_mode 1
		.amdhsa_memory_ordered 1
		.amdhsa_forward_progress 1
		.amdhsa_inst_pref_size 0
		.amdhsa_round_robin_scheduling 0
		.amdhsa_exception_fp_ieee_invalid_op 0
		.amdhsa_exception_fp_denorm_src 0
		.amdhsa_exception_fp_ieee_div_zero 0
		.amdhsa_exception_fp_ieee_overflow 0
		.amdhsa_exception_fp_ieee_underflow 0
		.amdhsa_exception_fp_ieee_inexact 0
		.amdhsa_exception_int_div_zero 0
	.end_amdhsa_kernel
	.section	.text._ZN7rocprim17ROCPRIM_400000_NS6detail17trampoline_kernelINS0_14default_configENS1_25transform_config_selectorIN3c107complexIdEELb1EEEZNS1_14transform_implILb1ES3_S8_PS7_SA_NS0_8identityIS7_EEEE10hipError_tT2_T3_mT4_P12ihipStream_tbEUlT_E_NS1_11comp_targetILNS1_3genE5ELNS1_11target_archE942ELNS1_3gpuE9ELNS1_3repE0EEENS1_30default_config_static_selectorELNS0_4arch9wavefront6targetE0EEEvT1_,"axG",@progbits,_ZN7rocprim17ROCPRIM_400000_NS6detail17trampoline_kernelINS0_14default_configENS1_25transform_config_selectorIN3c107complexIdEELb1EEEZNS1_14transform_implILb1ES3_S8_PS7_SA_NS0_8identityIS7_EEEE10hipError_tT2_T3_mT4_P12ihipStream_tbEUlT_E_NS1_11comp_targetILNS1_3genE5ELNS1_11target_archE942ELNS1_3gpuE9ELNS1_3repE0EEENS1_30default_config_static_selectorELNS0_4arch9wavefront6targetE0EEEvT1_,comdat
.Lfunc_end187:
	.size	_ZN7rocprim17ROCPRIM_400000_NS6detail17trampoline_kernelINS0_14default_configENS1_25transform_config_selectorIN3c107complexIdEELb1EEEZNS1_14transform_implILb1ES3_S8_PS7_SA_NS0_8identityIS7_EEEE10hipError_tT2_T3_mT4_P12ihipStream_tbEUlT_E_NS1_11comp_targetILNS1_3genE5ELNS1_11target_archE942ELNS1_3gpuE9ELNS1_3repE0EEENS1_30default_config_static_selectorELNS0_4arch9wavefront6targetE0EEEvT1_, .Lfunc_end187-_ZN7rocprim17ROCPRIM_400000_NS6detail17trampoline_kernelINS0_14default_configENS1_25transform_config_selectorIN3c107complexIdEELb1EEEZNS1_14transform_implILb1ES3_S8_PS7_SA_NS0_8identityIS7_EEEE10hipError_tT2_T3_mT4_P12ihipStream_tbEUlT_E_NS1_11comp_targetILNS1_3genE5ELNS1_11target_archE942ELNS1_3gpuE9ELNS1_3repE0EEENS1_30default_config_static_selectorELNS0_4arch9wavefront6targetE0EEEvT1_
                                        ; -- End function
	.set _ZN7rocprim17ROCPRIM_400000_NS6detail17trampoline_kernelINS0_14default_configENS1_25transform_config_selectorIN3c107complexIdEELb1EEEZNS1_14transform_implILb1ES3_S8_PS7_SA_NS0_8identityIS7_EEEE10hipError_tT2_T3_mT4_P12ihipStream_tbEUlT_E_NS1_11comp_targetILNS1_3genE5ELNS1_11target_archE942ELNS1_3gpuE9ELNS1_3repE0EEENS1_30default_config_static_selectorELNS0_4arch9wavefront6targetE0EEEvT1_.num_vgpr, 0
	.set _ZN7rocprim17ROCPRIM_400000_NS6detail17trampoline_kernelINS0_14default_configENS1_25transform_config_selectorIN3c107complexIdEELb1EEEZNS1_14transform_implILb1ES3_S8_PS7_SA_NS0_8identityIS7_EEEE10hipError_tT2_T3_mT4_P12ihipStream_tbEUlT_E_NS1_11comp_targetILNS1_3genE5ELNS1_11target_archE942ELNS1_3gpuE9ELNS1_3repE0EEENS1_30default_config_static_selectorELNS0_4arch9wavefront6targetE0EEEvT1_.num_agpr, 0
	.set _ZN7rocprim17ROCPRIM_400000_NS6detail17trampoline_kernelINS0_14default_configENS1_25transform_config_selectorIN3c107complexIdEELb1EEEZNS1_14transform_implILb1ES3_S8_PS7_SA_NS0_8identityIS7_EEEE10hipError_tT2_T3_mT4_P12ihipStream_tbEUlT_E_NS1_11comp_targetILNS1_3genE5ELNS1_11target_archE942ELNS1_3gpuE9ELNS1_3repE0EEENS1_30default_config_static_selectorELNS0_4arch9wavefront6targetE0EEEvT1_.numbered_sgpr, 0
	.set _ZN7rocprim17ROCPRIM_400000_NS6detail17trampoline_kernelINS0_14default_configENS1_25transform_config_selectorIN3c107complexIdEELb1EEEZNS1_14transform_implILb1ES3_S8_PS7_SA_NS0_8identityIS7_EEEE10hipError_tT2_T3_mT4_P12ihipStream_tbEUlT_E_NS1_11comp_targetILNS1_3genE5ELNS1_11target_archE942ELNS1_3gpuE9ELNS1_3repE0EEENS1_30default_config_static_selectorELNS0_4arch9wavefront6targetE0EEEvT1_.num_named_barrier, 0
	.set _ZN7rocprim17ROCPRIM_400000_NS6detail17trampoline_kernelINS0_14default_configENS1_25transform_config_selectorIN3c107complexIdEELb1EEEZNS1_14transform_implILb1ES3_S8_PS7_SA_NS0_8identityIS7_EEEE10hipError_tT2_T3_mT4_P12ihipStream_tbEUlT_E_NS1_11comp_targetILNS1_3genE5ELNS1_11target_archE942ELNS1_3gpuE9ELNS1_3repE0EEENS1_30default_config_static_selectorELNS0_4arch9wavefront6targetE0EEEvT1_.private_seg_size, 0
	.set _ZN7rocprim17ROCPRIM_400000_NS6detail17trampoline_kernelINS0_14default_configENS1_25transform_config_selectorIN3c107complexIdEELb1EEEZNS1_14transform_implILb1ES3_S8_PS7_SA_NS0_8identityIS7_EEEE10hipError_tT2_T3_mT4_P12ihipStream_tbEUlT_E_NS1_11comp_targetILNS1_3genE5ELNS1_11target_archE942ELNS1_3gpuE9ELNS1_3repE0EEENS1_30default_config_static_selectorELNS0_4arch9wavefront6targetE0EEEvT1_.uses_vcc, 0
	.set _ZN7rocprim17ROCPRIM_400000_NS6detail17trampoline_kernelINS0_14default_configENS1_25transform_config_selectorIN3c107complexIdEELb1EEEZNS1_14transform_implILb1ES3_S8_PS7_SA_NS0_8identityIS7_EEEE10hipError_tT2_T3_mT4_P12ihipStream_tbEUlT_E_NS1_11comp_targetILNS1_3genE5ELNS1_11target_archE942ELNS1_3gpuE9ELNS1_3repE0EEENS1_30default_config_static_selectorELNS0_4arch9wavefront6targetE0EEEvT1_.uses_flat_scratch, 0
	.set _ZN7rocprim17ROCPRIM_400000_NS6detail17trampoline_kernelINS0_14default_configENS1_25transform_config_selectorIN3c107complexIdEELb1EEEZNS1_14transform_implILb1ES3_S8_PS7_SA_NS0_8identityIS7_EEEE10hipError_tT2_T3_mT4_P12ihipStream_tbEUlT_E_NS1_11comp_targetILNS1_3genE5ELNS1_11target_archE942ELNS1_3gpuE9ELNS1_3repE0EEENS1_30default_config_static_selectorELNS0_4arch9wavefront6targetE0EEEvT1_.has_dyn_sized_stack, 0
	.set _ZN7rocprim17ROCPRIM_400000_NS6detail17trampoline_kernelINS0_14default_configENS1_25transform_config_selectorIN3c107complexIdEELb1EEEZNS1_14transform_implILb1ES3_S8_PS7_SA_NS0_8identityIS7_EEEE10hipError_tT2_T3_mT4_P12ihipStream_tbEUlT_E_NS1_11comp_targetILNS1_3genE5ELNS1_11target_archE942ELNS1_3gpuE9ELNS1_3repE0EEENS1_30default_config_static_selectorELNS0_4arch9wavefront6targetE0EEEvT1_.has_recursion, 0
	.set _ZN7rocprim17ROCPRIM_400000_NS6detail17trampoline_kernelINS0_14default_configENS1_25transform_config_selectorIN3c107complexIdEELb1EEEZNS1_14transform_implILb1ES3_S8_PS7_SA_NS0_8identityIS7_EEEE10hipError_tT2_T3_mT4_P12ihipStream_tbEUlT_E_NS1_11comp_targetILNS1_3genE5ELNS1_11target_archE942ELNS1_3gpuE9ELNS1_3repE0EEENS1_30default_config_static_selectorELNS0_4arch9wavefront6targetE0EEEvT1_.has_indirect_call, 0
	.section	.AMDGPU.csdata,"",@progbits
; Kernel info:
; codeLenInByte = 0
; TotalNumSgprs: 0
; NumVgprs: 0
; ScratchSize: 0
; MemoryBound: 0
; FloatMode: 240
; IeeeMode: 1
; LDSByteSize: 0 bytes/workgroup (compile time only)
; SGPRBlocks: 0
; VGPRBlocks: 0
; NumSGPRsForWavesPerEU: 1
; NumVGPRsForWavesPerEU: 1
; Occupancy: 16
; WaveLimiterHint : 0
; COMPUTE_PGM_RSRC2:SCRATCH_EN: 0
; COMPUTE_PGM_RSRC2:USER_SGPR: 2
; COMPUTE_PGM_RSRC2:TRAP_HANDLER: 0
; COMPUTE_PGM_RSRC2:TGID_X_EN: 1
; COMPUTE_PGM_RSRC2:TGID_Y_EN: 0
; COMPUTE_PGM_RSRC2:TGID_Z_EN: 0
; COMPUTE_PGM_RSRC2:TIDIG_COMP_CNT: 0
	.section	.text._ZN7rocprim17ROCPRIM_400000_NS6detail17trampoline_kernelINS0_14default_configENS1_25transform_config_selectorIN3c107complexIdEELb1EEEZNS1_14transform_implILb1ES3_S8_PS7_SA_NS0_8identityIS7_EEEE10hipError_tT2_T3_mT4_P12ihipStream_tbEUlT_E_NS1_11comp_targetILNS1_3genE4ELNS1_11target_archE910ELNS1_3gpuE8ELNS1_3repE0EEENS1_30default_config_static_selectorELNS0_4arch9wavefront6targetE0EEEvT1_,"axG",@progbits,_ZN7rocprim17ROCPRIM_400000_NS6detail17trampoline_kernelINS0_14default_configENS1_25transform_config_selectorIN3c107complexIdEELb1EEEZNS1_14transform_implILb1ES3_S8_PS7_SA_NS0_8identityIS7_EEEE10hipError_tT2_T3_mT4_P12ihipStream_tbEUlT_E_NS1_11comp_targetILNS1_3genE4ELNS1_11target_archE910ELNS1_3gpuE8ELNS1_3repE0EEENS1_30default_config_static_selectorELNS0_4arch9wavefront6targetE0EEEvT1_,comdat
	.protected	_ZN7rocprim17ROCPRIM_400000_NS6detail17trampoline_kernelINS0_14default_configENS1_25transform_config_selectorIN3c107complexIdEELb1EEEZNS1_14transform_implILb1ES3_S8_PS7_SA_NS0_8identityIS7_EEEE10hipError_tT2_T3_mT4_P12ihipStream_tbEUlT_E_NS1_11comp_targetILNS1_3genE4ELNS1_11target_archE910ELNS1_3gpuE8ELNS1_3repE0EEENS1_30default_config_static_selectorELNS0_4arch9wavefront6targetE0EEEvT1_ ; -- Begin function _ZN7rocprim17ROCPRIM_400000_NS6detail17trampoline_kernelINS0_14default_configENS1_25transform_config_selectorIN3c107complexIdEELb1EEEZNS1_14transform_implILb1ES3_S8_PS7_SA_NS0_8identityIS7_EEEE10hipError_tT2_T3_mT4_P12ihipStream_tbEUlT_E_NS1_11comp_targetILNS1_3genE4ELNS1_11target_archE910ELNS1_3gpuE8ELNS1_3repE0EEENS1_30default_config_static_selectorELNS0_4arch9wavefront6targetE0EEEvT1_
	.globl	_ZN7rocprim17ROCPRIM_400000_NS6detail17trampoline_kernelINS0_14default_configENS1_25transform_config_selectorIN3c107complexIdEELb1EEEZNS1_14transform_implILb1ES3_S8_PS7_SA_NS0_8identityIS7_EEEE10hipError_tT2_T3_mT4_P12ihipStream_tbEUlT_E_NS1_11comp_targetILNS1_3genE4ELNS1_11target_archE910ELNS1_3gpuE8ELNS1_3repE0EEENS1_30default_config_static_selectorELNS0_4arch9wavefront6targetE0EEEvT1_
	.p2align	8
	.type	_ZN7rocprim17ROCPRIM_400000_NS6detail17trampoline_kernelINS0_14default_configENS1_25transform_config_selectorIN3c107complexIdEELb1EEEZNS1_14transform_implILb1ES3_S8_PS7_SA_NS0_8identityIS7_EEEE10hipError_tT2_T3_mT4_P12ihipStream_tbEUlT_E_NS1_11comp_targetILNS1_3genE4ELNS1_11target_archE910ELNS1_3gpuE8ELNS1_3repE0EEENS1_30default_config_static_selectorELNS0_4arch9wavefront6targetE0EEEvT1_,@function
_ZN7rocprim17ROCPRIM_400000_NS6detail17trampoline_kernelINS0_14default_configENS1_25transform_config_selectorIN3c107complexIdEELb1EEEZNS1_14transform_implILb1ES3_S8_PS7_SA_NS0_8identityIS7_EEEE10hipError_tT2_T3_mT4_P12ihipStream_tbEUlT_E_NS1_11comp_targetILNS1_3genE4ELNS1_11target_archE910ELNS1_3gpuE8ELNS1_3repE0EEENS1_30default_config_static_selectorELNS0_4arch9wavefront6targetE0EEEvT1_: ; @_ZN7rocprim17ROCPRIM_400000_NS6detail17trampoline_kernelINS0_14default_configENS1_25transform_config_selectorIN3c107complexIdEELb1EEEZNS1_14transform_implILb1ES3_S8_PS7_SA_NS0_8identityIS7_EEEE10hipError_tT2_T3_mT4_P12ihipStream_tbEUlT_E_NS1_11comp_targetILNS1_3genE4ELNS1_11target_archE910ELNS1_3gpuE8ELNS1_3repE0EEENS1_30default_config_static_selectorELNS0_4arch9wavefront6targetE0EEEvT1_
; %bb.0:
	.section	.rodata,"a",@progbits
	.p2align	6, 0x0
	.amdhsa_kernel _ZN7rocprim17ROCPRIM_400000_NS6detail17trampoline_kernelINS0_14default_configENS1_25transform_config_selectorIN3c107complexIdEELb1EEEZNS1_14transform_implILb1ES3_S8_PS7_SA_NS0_8identityIS7_EEEE10hipError_tT2_T3_mT4_P12ihipStream_tbEUlT_E_NS1_11comp_targetILNS1_3genE4ELNS1_11target_archE910ELNS1_3gpuE8ELNS1_3repE0EEENS1_30default_config_static_selectorELNS0_4arch9wavefront6targetE0EEEvT1_
		.amdhsa_group_segment_fixed_size 0
		.amdhsa_private_segment_fixed_size 0
		.amdhsa_kernarg_size 40
		.amdhsa_user_sgpr_count 2
		.amdhsa_user_sgpr_dispatch_ptr 0
		.amdhsa_user_sgpr_queue_ptr 0
		.amdhsa_user_sgpr_kernarg_segment_ptr 1
		.amdhsa_user_sgpr_dispatch_id 0
		.amdhsa_user_sgpr_private_segment_size 0
		.amdhsa_wavefront_size32 1
		.amdhsa_uses_dynamic_stack 0
		.amdhsa_enable_private_segment 0
		.amdhsa_system_sgpr_workgroup_id_x 1
		.amdhsa_system_sgpr_workgroup_id_y 0
		.amdhsa_system_sgpr_workgroup_id_z 0
		.amdhsa_system_sgpr_workgroup_info 0
		.amdhsa_system_vgpr_workitem_id 0
		.amdhsa_next_free_vgpr 1
		.amdhsa_next_free_sgpr 1
		.amdhsa_reserve_vcc 0
		.amdhsa_float_round_mode_32 0
		.amdhsa_float_round_mode_16_64 0
		.amdhsa_float_denorm_mode_32 3
		.amdhsa_float_denorm_mode_16_64 3
		.amdhsa_fp16_overflow 0
		.amdhsa_workgroup_processor_mode 1
		.amdhsa_memory_ordered 1
		.amdhsa_forward_progress 1
		.amdhsa_inst_pref_size 0
		.amdhsa_round_robin_scheduling 0
		.amdhsa_exception_fp_ieee_invalid_op 0
		.amdhsa_exception_fp_denorm_src 0
		.amdhsa_exception_fp_ieee_div_zero 0
		.amdhsa_exception_fp_ieee_overflow 0
		.amdhsa_exception_fp_ieee_underflow 0
		.amdhsa_exception_fp_ieee_inexact 0
		.amdhsa_exception_int_div_zero 0
	.end_amdhsa_kernel
	.section	.text._ZN7rocprim17ROCPRIM_400000_NS6detail17trampoline_kernelINS0_14default_configENS1_25transform_config_selectorIN3c107complexIdEELb1EEEZNS1_14transform_implILb1ES3_S8_PS7_SA_NS0_8identityIS7_EEEE10hipError_tT2_T3_mT4_P12ihipStream_tbEUlT_E_NS1_11comp_targetILNS1_3genE4ELNS1_11target_archE910ELNS1_3gpuE8ELNS1_3repE0EEENS1_30default_config_static_selectorELNS0_4arch9wavefront6targetE0EEEvT1_,"axG",@progbits,_ZN7rocprim17ROCPRIM_400000_NS6detail17trampoline_kernelINS0_14default_configENS1_25transform_config_selectorIN3c107complexIdEELb1EEEZNS1_14transform_implILb1ES3_S8_PS7_SA_NS0_8identityIS7_EEEE10hipError_tT2_T3_mT4_P12ihipStream_tbEUlT_E_NS1_11comp_targetILNS1_3genE4ELNS1_11target_archE910ELNS1_3gpuE8ELNS1_3repE0EEENS1_30default_config_static_selectorELNS0_4arch9wavefront6targetE0EEEvT1_,comdat
.Lfunc_end188:
	.size	_ZN7rocprim17ROCPRIM_400000_NS6detail17trampoline_kernelINS0_14default_configENS1_25transform_config_selectorIN3c107complexIdEELb1EEEZNS1_14transform_implILb1ES3_S8_PS7_SA_NS0_8identityIS7_EEEE10hipError_tT2_T3_mT4_P12ihipStream_tbEUlT_E_NS1_11comp_targetILNS1_3genE4ELNS1_11target_archE910ELNS1_3gpuE8ELNS1_3repE0EEENS1_30default_config_static_selectorELNS0_4arch9wavefront6targetE0EEEvT1_, .Lfunc_end188-_ZN7rocprim17ROCPRIM_400000_NS6detail17trampoline_kernelINS0_14default_configENS1_25transform_config_selectorIN3c107complexIdEELb1EEEZNS1_14transform_implILb1ES3_S8_PS7_SA_NS0_8identityIS7_EEEE10hipError_tT2_T3_mT4_P12ihipStream_tbEUlT_E_NS1_11comp_targetILNS1_3genE4ELNS1_11target_archE910ELNS1_3gpuE8ELNS1_3repE0EEENS1_30default_config_static_selectorELNS0_4arch9wavefront6targetE0EEEvT1_
                                        ; -- End function
	.set _ZN7rocprim17ROCPRIM_400000_NS6detail17trampoline_kernelINS0_14default_configENS1_25transform_config_selectorIN3c107complexIdEELb1EEEZNS1_14transform_implILb1ES3_S8_PS7_SA_NS0_8identityIS7_EEEE10hipError_tT2_T3_mT4_P12ihipStream_tbEUlT_E_NS1_11comp_targetILNS1_3genE4ELNS1_11target_archE910ELNS1_3gpuE8ELNS1_3repE0EEENS1_30default_config_static_selectorELNS0_4arch9wavefront6targetE0EEEvT1_.num_vgpr, 0
	.set _ZN7rocprim17ROCPRIM_400000_NS6detail17trampoline_kernelINS0_14default_configENS1_25transform_config_selectorIN3c107complexIdEELb1EEEZNS1_14transform_implILb1ES3_S8_PS7_SA_NS0_8identityIS7_EEEE10hipError_tT2_T3_mT4_P12ihipStream_tbEUlT_E_NS1_11comp_targetILNS1_3genE4ELNS1_11target_archE910ELNS1_3gpuE8ELNS1_3repE0EEENS1_30default_config_static_selectorELNS0_4arch9wavefront6targetE0EEEvT1_.num_agpr, 0
	.set _ZN7rocprim17ROCPRIM_400000_NS6detail17trampoline_kernelINS0_14default_configENS1_25transform_config_selectorIN3c107complexIdEELb1EEEZNS1_14transform_implILb1ES3_S8_PS7_SA_NS0_8identityIS7_EEEE10hipError_tT2_T3_mT4_P12ihipStream_tbEUlT_E_NS1_11comp_targetILNS1_3genE4ELNS1_11target_archE910ELNS1_3gpuE8ELNS1_3repE0EEENS1_30default_config_static_selectorELNS0_4arch9wavefront6targetE0EEEvT1_.numbered_sgpr, 0
	.set _ZN7rocprim17ROCPRIM_400000_NS6detail17trampoline_kernelINS0_14default_configENS1_25transform_config_selectorIN3c107complexIdEELb1EEEZNS1_14transform_implILb1ES3_S8_PS7_SA_NS0_8identityIS7_EEEE10hipError_tT2_T3_mT4_P12ihipStream_tbEUlT_E_NS1_11comp_targetILNS1_3genE4ELNS1_11target_archE910ELNS1_3gpuE8ELNS1_3repE0EEENS1_30default_config_static_selectorELNS0_4arch9wavefront6targetE0EEEvT1_.num_named_barrier, 0
	.set _ZN7rocprim17ROCPRIM_400000_NS6detail17trampoline_kernelINS0_14default_configENS1_25transform_config_selectorIN3c107complexIdEELb1EEEZNS1_14transform_implILb1ES3_S8_PS7_SA_NS0_8identityIS7_EEEE10hipError_tT2_T3_mT4_P12ihipStream_tbEUlT_E_NS1_11comp_targetILNS1_3genE4ELNS1_11target_archE910ELNS1_3gpuE8ELNS1_3repE0EEENS1_30default_config_static_selectorELNS0_4arch9wavefront6targetE0EEEvT1_.private_seg_size, 0
	.set _ZN7rocprim17ROCPRIM_400000_NS6detail17trampoline_kernelINS0_14default_configENS1_25transform_config_selectorIN3c107complexIdEELb1EEEZNS1_14transform_implILb1ES3_S8_PS7_SA_NS0_8identityIS7_EEEE10hipError_tT2_T3_mT4_P12ihipStream_tbEUlT_E_NS1_11comp_targetILNS1_3genE4ELNS1_11target_archE910ELNS1_3gpuE8ELNS1_3repE0EEENS1_30default_config_static_selectorELNS0_4arch9wavefront6targetE0EEEvT1_.uses_vcc, 0
	.set _ZN7rocprim17ROCPRIM_400000_NS6detail17trampoline_kernelINS0_14default_configENS1_25transform_config_selectorIN3c107complexIdEELb1EEEZNS1_14transform_implILb1ES3_S8_PS7_SA_NS0_8identityIS7_EEEE10hipError_tT2_T3_mT4_P12ihipStream_tbEUlT_E_NS1_11comp_targetILNS1_3genE4ELNS1_11target_archE910ELNS1_3gpuE8ELNS1_3repE0EEENS1_30default_config_static_selectorELNS0_4arch9wavefront6targetE0EEEvT1_.uses_flat_scratch, 0
	.set _ZN7rocprim17ROCPRIM_400000_NS6detail17trampoline_kernelINS0_14default_configENS1_25transform_config_selectorIN3c107complexIdEELb1EEEZNS1_14transform_implILb1ES3_S8_PS7_SA_NS0_8identityIS7_EEEE10hipError_tT2_T3_mT4_P12ihipStream_tbEUlT_E_NS1_11comp_targetILNS1_3genE4ELNS1_11target_archE910ELNS1_3gpuE8ELNS1_3repE0EEENS1_30default_config_static_selectorELNS0_4arch9wavefront6targetE0EEEvT1_.has_dyn_sized_stack, 0
	.set _ZN7rocprim17ROCPRIM_400000_NS6detail17trampoline_kernelINS0_14default_configENS1_25transform_config_selectorIN3c107complexIdEELb1EEEZNS1_14transform_implILb1ES3_S8_PS7_SA_NS0_8identityIS7_EEEE10hipError_tT2_T3_mT4_P12ihipStream_tbEUlT_E_NS1_11comp_targetILNS1_3genE4ELNS1_11target_archE910ELNS1_3gpuE8ELNS1_3repE0EEENS1_30default_config_static_selectorELNS0_4arch9wavefront6targetE0EEEvT1_.has_recursion, 0
	.set _ZN7rocprim17ROCPRIM_400000_NS6detail17trampoline_kernelINS0_14default_configENS1_25transform_config_selectorIN3c107complexIdEELb1EEEZNS1_14transform_implILb1ES3_S8_PS7_SA_NS0_8identityIS7_EEEE10hipError_tT2_T3_mT4_P12ihipStream_tbEUlT_E_NS1_11comp_targetILNS1_3genE4ELNS1_11target_archE910ELNS1_3gpuE8ELNS1_3repE0EEENS1_30default_config_static_selectorELNS0_4arch9wavefront6targetE0EEEvT1_.has_indirect_call, 0
	.section	.AMDGPU.csdata,"",@progbits
; Kernel info:
; codeLenInByte = 0
; TotalNumSgprs: 0
; NumVgprs: 0
; ScratchSize: 0
; MemoryBound: 0
; FloatMode: 240
; IeeeMode: 1
; LDSByteSize: 0 bytes/workgroup (compile time only)
; SGPRBlocks: 0
; VGPRBlocks: 0
; NumSGPRsForWavesPerEU: 1
; NumVGPRsForWavesPerEU: 1
; Occupancy: 16
; WaveLimiterHint : 0
; COMPUTE_PGM_RSRC2:SCRATCH_EN: 0
; COMPUTE_PGM_RSRC2:USER_SGPR: 2
; COMPUTE_PGM_RSRC2:TRAP_HANDLER: 0
; COMPUTE_PGM_RSRC2:TGID_X_EN: 1
; COMPUTE_PGM_RSRC2:TGID_Y_EN: 0
; COMPUTE_PGM_RSRC2:TGID_Z_EN: 0
; COMPUTE_PGM_RSRC2:TIDIG_COMP_CNT: 0
	.section	.text._ZN7rocprim17ROCPRIM_400000_NS6detail17trampoline_kernelINS0_14default_configENS1_25transform_config_selectorIN3c107complexIdEELb1EEEZNS1_14transform_implILb1ES3_S8_PS7_SA_NS0_8identityIS7_EEEE10hipError_tT2_T3_mT4_P12ihipStream_tbEUlT_E_NS1_11comp_targetILNS1_3genE3ELNS1_11target_archE908ELNS1_3gpuE7ELNS1_3repE0EEENS1_30default_config_static_selectorELNS0_4arch9wavefront6targetE0EEEvT1_,"axG",@progbits,_ZN7rocprim17ROCPRIM_400000_NS6detail17trampoline_kernelINS0_14default_configENS1_25transform_config_selectorIN3c107complexIdEELb1EEEZNS1_14transform_implILb1ES3_S8_PS7_SA_NS0_8identityIS7_EEEE10hipError_tT2_T3_mT4_P12ihipStream_tbEUlT_E_NS1_11comp_targetILNS1_3genE3ELNS1_11target_archE908ELNS1_3gpuE7ELNS1_3repE0EEENS1_30default_config_static_selectorELNS0_4arch9wavefront6targetE0EEEvT1_,comdat
	.protected	_ZN7rocprim17ROCPRIM_400000_NS6detail17trampoline_kernelINS0_14default_configENS1_25transform_config_selectorIN3c107complexIdEELb1EEEZNS1_14transform_implILb1ES3_S8_PS7_SA_NS0_8identityIS7_EEEE10hipError_tT2_T3_mT4_P12ihipStream_tbEUlT_E_NS1_11comp_targetILNS1_3genE3ELNS1_11target_archE908ELNS1_3gpuE7ELNS1_3repE0EEENS1_30default_config_static_selectorELNS0_4arch9wavefront6targetE0EEEvT1_ ; -- Begin function _ZN7rocprim17ROCPRIM_400000_NS6detail17trampoline_kernelINS0_14default_configENS1_25transform_config_selectorIN3c107complexIdEELb1EEEZNS1_14transform_implILb1ES3_S8_PS7_SA_NS0_8identityIS7_EEEE10hipError_tT2_T3_mT4_P12ihipStream_tbEUlT_E_NS1_11comp_targetILNS1_3genE3ELNS1_11target_archE908ELNS1_3gpuE7ELNS1_3repE0EEENS1_30default_config_static_selectorELNS0_4arch9wavefront6targetE0EEEvT1_
	.globl	_ZN7rocprim17ROCPRIM_400000_NS6detail17trampoline_kernelINS0_14default_configENS1_25transform_config_selectorIN3c107complexIdEELb1EEEZNS1_14transform_implILb1ES3_S8_PS7_SA_NS0_8identityIS7_EEEE10hipError_tT2_T3_mT4_P12ihipStream_tbEUlT_E_NS1_11comp_targetILNS1_3genE3ELNS1_11target_archE908ELNS1_3gpuE7ELNS1_3repE0EEENS1_30default_config_static_selectorELNS0_4arch9wavefront6targetE0EEEvT1_
	.p2align	8
	.type	_ZN7rocprim17ROCPRIM_400000_NS6detail17trampoline_kernelINS0_14default_configENS1_25transform_config_selectorIN3c107complexIdEELb1EEEZNS1_14transform_implILb1ES3_S8_PS7_SA_NS0_8identityIS7_EEEE10hipError_tT2_T3_mT4_P12ihipStream_tbEUlT_E_NS1_11comp_targetILNS1_3genE3ELNS1_11target_archE908ELNS1_3gpuE7ELNS1_3repE0EEENS1_30default_config_static_selectorELNS0_4arch9wavefront6targetE0EEEvT1_,@function
_ZN7rocprim17ROCPRIM_400000_NS6detail17trampoline_kernelINS0_14default_configENS1_25transform_config_selectorIN3c107complexIdEELb1EEEZNS1_14transform_implILb1ES3_S8_PS7_SA_NS0_8identityIS7_EEEE10hipError_tT2_T3_mT4_P12ihipStream_tbEUlT_E_NS1_11comp_targetILNS1_3genE3ELNS1_11target_archE908ELNS1_3gpuE7ELNS1_3repE0EEENS1_30default_config_static_selectorELNS0_4arch9wavefront6targetE0EEEvT1_: ; @_ZN7rocprim17ROCPRIM_400000_NS6detail17trampoline_kernelINS0_14default_configENS1_25transform_config_selectorIN3c107complexIdEELb1EEEZNS1_14transform_implILb1ES3_S8_PS7_SA_NS0_8identityIS7_EEEE10hipError_tT2_T3_mT4_P12ihipStream_tbEUlT_E_NS1_11comp_targetILNS1_3genE3ELNS1_11target_archE908ELNS1_3gpuE7ELNS1_3repE0EEENS1_30default_config_static_selectorELNS0_4arch9wavefront6targetE0EEEvT1_
; %bb.0:
	.section	.rodata,"a",@progbits
	.p2align	6, 0x0
	.amdhsa_kernel _ZN7rocprim17ROCPRIM_400000_NS6detail17trampoline_kernelINS0_14default_configENS1_25transform_config_selectorIN3c107complexIdEELb1EEEZNS1_14transform_implILb1ES3_S8_PS7_SA_NS0_8identityIS7_EEEE10hipError_tT2_T3_mT4_P12ihipStream_tbEUlT_E_NS1_11comp_targetILNS1_3genE3ELNS1_11target_archE908ELNS1_3gpuE7ELNS1_3repE0EEENS1_30default_config_static_selectorELNS0_4arch9wavefront6targetE0EEEvT1_
		.amdhsa_group_segment_fixed_size 0
		.amdhsa_private_segment_fixed_size 0
		.amdhsa_kernarg_size 40
		.amdhsa_user_sgpr_count 2
		.amdhsa_user_sgpr_dispatch_ptr 0
		.amdhsa_user_sgpr_queue_ptr 0
		.amdhsa_user_sgpr_kernarg_segment_ptr 1
		.amdhsa_user_sgpr_dispatch_id 0
		.amdhsa_user_sgpr_private_segment_size 0
		.amdhsa_wavefront_size32 1
		.amdhsa_uses_dynamic_stack 0
		.amdhsa_enable_private_segment 0
		.amdhsa_system_sgpr_workgroup_id_x 1
		.amdhsa_system_sgpr_workgroup_id_y 0
		.amdhsa_system_sgpr_workgroup_id_z 0
		.amdhsa_system_sgpr_workgroup_info 0
		.amdhsa_system_vgpr_workitem_id 0
		.amdhsa_next_free_vgpr 1
		.amdhsa_next_free_sgpr 1
		.amdhsa_reserve_vcc 0
		.amdhsa_float_round_mode_32 0
		.amdhsa_float_round_mode_16_64 0
		.amdhsa_float_denorm_mode_32 3
		.amdhsa_float_denorm_mode_16_64 3
		.amdhsa_fp16_overflow 0
		.amdhsa_workgroup_processor_mode 1
		.amdhsa_memory_ordered 1
		.amdhsa_forward_progress 1
		.amdhsa_inst_pref_size 0
		.amdhsa_round_robin_scheduling 0
		.amdhsa_exception_fp_ieee_invalid_op 0
		.amdhsa_exception_fp_denorm_src 0
		.amdhsa_exception_fp_ieee_div_zero 0
		.amdhsa_exception_fp_ieee_overflow 0
		.amdhsa_exception_fp_ieee_underflow 0
		.amdhsa_exception_fp_ieee_inexact 0
		.amdhsa_exception_int_div_zero 0
	.end_amdhsa_kernel
	.section	.text._ZN7rocprim17ROCPRIM_400000_NS6detail17trampoline_kernelINS0_14default_configENS1_25transform_config_selectorIN3c107complexIdEELb1EEEZNS1_14transform_implILb1ES3_S8_PS7_SA_NS0_8identityIS7_EEEE10hipError_tT2_T3_mT4_P12ihipStream_tbEUlT_E_NS1_11comp_targetILNS1_3genE3ELNS1_11target_archE908ELNS1_3gpuE7ELNS1_3repE0EEENS1_30default_config_static_selectorELNS0_4arch9wavefront6targetE0EEEvT1_,"axG",@progbits,_ZN7rocprim17ROCPRIM_400000_NS6detail17trampoline_kernelINS0_14default_configENS1_25transform_config_selectorIN3c107complexIdEELb1EEEZNS1_14transform_implILb1ES3_S8_PS7_SA_NS0_8identityIS7_EEEE10hipError_tT2_T3_mT4_P12ihipStream_tbEUlT_E_NS1_11comp_targetILNS1_3genE3ELNS1_11target_archE908ELNS1_3gpuE7ELNS1_3repE0EEENS1_30default_config_static_selectorELNS0_4arch9wavefront6targetE0EEEvT1_,comdat
.Lfunc_end189:
	.size	_ZN7rocprim17ROCPRIM_400000_NS6detail17trampoline_kernelINS0_14default_configENS1_25transform_config_selectorIN3c107complexIdEELb1EEEZNS1_14transform_implILb1ES3_S8_PS7_SA_NS0_8identityIS7_EEEE10hipError_tT2_T3_mT4_P12ihipStream_tbEUlT_E_NS1_11comp_targetILNS1_3genE3ELNS1_11target_archE908ELNS1_3gpuE7ELNS1_3repE0EEENS1_30default_config_static_selectorELNS0_4arch9wavefront6targetE0EEEvT1_, .Lfunc_end189-_ZN7rocprim17ROCPRIM_400000_NS6detail17trampoline_kernelINS0_14default_configENS1_25transform_config_selectorIN3c107complexIdEELb1EEEZNS1_14transform_implILb1ES3_S8_PS7_SA_NS0_8identityIS7_EEEE10hipError_tT2_T3_mT4_P12ihipStream_tbEUlT_E_NS1_11comp_targetILNS1_3genE3ELNS1_11target_archE908ELNS1_3gpuE7ELNS1_3repE0EEENS1_30default_config_static_selectorELNS0_4arch9wavefront6targetE0EEEvT1_
                                        ; -- End function
	.set _ZN7rocprim17ROCPRIM_400000_NS6detail17trampoline_kernelINS0_14default_configENS1_25transform_config_selectorIN3c107complexIdEELb1EEEZNS1_14transform_implILb1ES3_S8_PS7_SA_NS0_8identityIS7_EEEE10hipError_tT2_T3_mT4_P12ihipStream_tbEUlT_E_NS1_11comp_targetILNS1_3genE3ELNS1_11target_archE908ELNS1_3gpuE7ELNS1_3repE0EEENS1_30default_config_static_selectorELNS0_4arch9wavefront6targetE0EEEvT1_.num_vgpr, 0
	.set _ZN7rocprim17ROCPRIM_400000_NS6detail17trampoline_kernelINS0_14default_configENS1_25transform_config_selectorIN3c107complexIdEELb1EEEZNS1_14transform_implILb1ES3_S8_PS7_SA_NS0_8identityIS7_EEEE10hipError_tT2_T3_mT4_P12ihipStream_tbEUlT_E_NS1_11comp_targetILNS1_3genE3ELNS1_11target_archE908ELNS1_3gpuE7ELNS1_3repE0EEENS1_30default_config_static_selectorELNS0_4arch9wavefront6targetE0EEEvT1_.num_agpr, 0
	.set _ZN7rocprim17ROCPRIM_400000_NS6detail17trampoline_kernelINS0_14default_configENS1_25transform_config_selectorIN3c107complexIdEELb1EEEZNS1_14transform_implILb1ES3_S8_PS7_SA_NS0_8identityIS7_EEEE10hipError_tT2_T3_mT4_P12ihipStream_tbEUlT_E_NS1_11comp_targetILNS1_3genE3ELNS1_11target_archE908ELNS1_3gpuE7ELNS1_3repE0EEENS1_30default_config_static_selectorELNS0_4arch9wavefront6targetE0EEEvT1_.numbered_sgpr, 0
	.set _ZN7rocprim17ROCPRIM_400000_NS6detail17trampoline_kernelINS0_14default_configENS1_25transform_config_selectorIN3c107complexIdEELb1EEEZNS1_14transform_implILb1ES3_S8_PS7_SA_NS0_8identityIS7_EEEE10hipError_tT2_T3_mT4_P12ihipStream_tbEUlT_E_NS1_11comp_targetILNS1_3genE3ELNS1_11target_archE908ELNS1_3gpuE7ELNS1_3repE0EEENS1_30default_config_static_selectorELNS0_4arch9wavefront6targetE0EEEvT1_.num_named_barrier, 0
	.set _ZN7rocprim17ROCPRIM_400000_NS6detail17trampoline_kernelINS0_14default_configENS1_25transform_config_selectorIN3c107complexIdEELb1EEEZNS1_14transform_implILb1ES3_S8_PS7_SA_NS0_8identityIS7_EEEE10hipError_tT2_T3_mT4_P12ihipStream_tbEUlT_E_NS1_11comp_targetILNS1_3genE3ELNS1_11target_archE908ELNS1_3gpuE7ELNS1_3repE0EEENS1_30default_config_static_selectorELNS0_4arch9wavefront6targetE0EEEvT1_.private_seg_size, 0
	.set _ZN7rocprim17ROCPRIM_400000_NS6detail17trampoline_kernelINS0_14default_configENS1_25transform_config_selectorIN3c107complexIdEELb1EEEZNS1_14transform_implILb1ES3_S8_PS7_SA_NS0_8identityIS7_EEEE10hipError_tT2_T3_mT4_P12ihipStream_tbEUlT_E_NS1_11comp_targetILNS1_3genE3ELNS1_11target_archE908ELNS1_3gpuE7ELNS1_3repE0EEENS1_30default_config_static_selectorELNS0_4arch9wavefront6targetE0EEEvT1_.uses_vcc, 0
	.set _ZN7rocprim17ROCPRIM_400000_NS6detail17trampoline_kernelINS0_14default_configENS1_25transform_config_selectorIN3c107complexIdEELb1EEEZNS1_14transform_implILb1ES3_S8_PS7_SA_NS0_8identityIS7_EEEE10hipError_tT2_T3_mT4_P12ihipStream_tbEUlT_E_NS1_11comp_targetILNS1_3genE3ELNS1_11target_archE908ELNS1_3gpuE7ELNS1_3repE0EEENS1_30default_config_static_selectorELNS0_4arch9wavefront6targetE0EEEvT1_.uses_flat_scratch, 0
	.set _ZN7rocprim17ROCPRIM_400000_NS6detail17trampoline_kernelINS0_14default_configENS1_25transform_config_selectorIN3c107complexIdEELb1EEEZNS1_14transform_implILb1ES3_S8_PS7_SA_NS0_8identityIS7_EEEE10hipError_tT2_T3_mT4_P12ihipStream_tbEUlT_E_NS1_11comp_targetILNS1_3genE3ELNS1_11target_archE908ELNS1_3gpuE7ELNS1_3repE0EEENS1_30default_config_static_selectorELNS0_4arch9wavefront6targetE0EEEvT1_.has_dyn_sized_stack, 0
	.set _ZN7rocprim17ROCPRIM_400000_NS6detail17trampoline_kernelINS0_14default_configENS1_25transform_config_selectorIN3c107complexIdEELb1EEEZNS1_14transform_implILb1ES3_S8_PS7_SA_NS0_8identityIS7_EEEE10hipError_tT2_T3_mT4_P12ihipStream_tbEUlT_E_NS1_11comp_targetILNS1_3genE3ELNS1_11target_archE908ELNS1_3gpuE7ELNS1_3repE0EEENS1_30default_config_static_selectorELNS0_4arch9wavefront6targetE0EEEvT1_.has_recursion, 0
	.set _ZN7rocprim17ROCPRIM_400000_NS6detail17trampoline_kernelINS0_14default_configENS1_25transform_config_selectorIN3c107complexIdEELb1EEEZNS1_14transform_implILb1ES3_S8_PS7_SA_NS0_8identityIS7_EEEE10hipError_tT2_T3_mT4_P12ihipStream_tbEUlT_E_NS1_11comp_targetILNS1_3genE3ELNS1_11target_archE908ELNS1_3gpuE7ELNS1_3repE0EEENS1_30default_config_static_selectorELNS0_4arch9wavefront6targetE0EEEvT1_.has_indirect_call, 0
	.section	.AMDGPU.csdata,"",@progbits
; Kernel info:
; codeLenInByte = 0
; TotalNumSgprs: 0
; NumVgprs: 0
; ScratchSize: 0
; MemoryBound: 0
; FloatMode: 240
; IeeeMode: 1
; LDSByteSize: 0 bytes/workgroup (compile time only)
; SGPRBlocks: 0
; VGPRBlocks: 0
; NumSGPRsForWavesPerEU: 1
; NumVGPRsForWavesPerEU: 1
; Occupancy: 16
; WaveLimiterHint : 0
; COMPUTE_PGM_RSRC2:SCRATCH_EN: 0
; COMPUTE_PGM_RSRC2:USER_SGPR: 2
; COMPUTE_PGM_RSRC2:TRAP_HANDLER: 0
; COMPUTE_PGM_RSRC2:TGID_X_EN: 1
; COMPUTE_PGM_RSRC2:TGID_Y_EN: 0
; COMPUTE_PGM_RSRC2:TGID_Z_EN: 0
; COMPUTE_PGM_RSRC2:TIDIG_COMP_CNT: 0
	.section	.text._ZN7rocprim17ROCPRIM_400000_NS6detail17trampoline_kernelINS0_14default_configENS1_25transform_config_selectorIN3c107complexIdEELb1EEEZNS1_14transform_implILb1ES3_S8_PS7_SA_NS0_8identityIS7_EEEE10hipError_tT2_T3_mT4_P12ihipStream_tbEUlT_E_NS1_11comp_targetILNS1_3genE2ELNS1_11target_archE906ELNS1_3gpuE6ELNS1_3repE0EEENS1_30default_config_static_selectorELNS0_4arch9wavefront6targetE0EEEvT1_,"axG",@progbits,_ZN7rocprim17ROCPRIM_400000_NS6detail17trampoline_kernelINS0_14default_configENS1_25transform_config_selectorIN3c107complexIdEELb1EEEZNS1_14transform_implILb1ES3_S8_PS7_SA_NS0_8identityIS7_EEEE10hipError_tT2_T3_mT4_P12ihipStream_tbEUlT_E_NS1_11comp_targetILNS1_3genE2ELNS1_11target_archE906ELNS1_3gpuE6ELNS1_3repE0EEENS1_30default_config_static_selectorELNS0_4arch9wavefront6targetE0EEEvT1_,comdat
	.protected	_ZN7rocprim17ROCPRIM_400000_NS6detail17trampoline_kernelINS0_14default_configENS1_25transform_config_selectorIN3c107complexIdEELb1EEEZNS1_14transform_implILb1ES3_S8_PS7_SA_NS0_8identityIS7_EEEE10hipError_tT2_T3_mT4_P12ihipStream_tbEUlT_E_NS1_11comp_targetILNS1_3genE2ELNS1_11target_archE906ELNS1_3gpuE6ELNS1_3repE0EEENS1_30default_config_static_selectorELNS0_4arch9wavefront6targetE0EEEvT1_ ; -- Begin function _ZN7rocprim17ROCPRIM_400000_NS6detail17trampoline_kernelINS0_14default_configENS1_25transform_config_selectorIN3c107complexIdEELb1EEEZNS1_14transform_implILb1ES3_S8_PS7_SA_NS0_8identityIS7_EEEE10hipError_tT2_T3_mT4_P12ihipStream_tbEUlT_E_NS1_11comp_targetILNS1_3genE2ELNS1_11target_archE906ELNS1_3gpuE6ELNS1_3repE0EEENS1_30default_config_static_selectorELNS0_4arch9wavefront6targetE0EEEvT1_
	.globl	_ZN7rocprim17ROCPRIM_400000_NS6detail17trampoline_kernelINS0_14default_configENS1_25transform_config_selectorIN3c107complexIdEELb1EEEZNS1_14transform_implILb1ES3_S8_PS7_SA_NS0_8identityIS7_EEEE10hipError_tT2_T3_mT4_P12ihipStream_tbEUlT_E_NS1_11comp_targetILNS1_3genE2ELNS1_11target_archE906ELNS1_3gpuE6ELNS1_3repE0EEENS1_30default_config_static_selectorELNS0_4arch9wavefront6targetE0EEEvT1_
	.p2align	8
	.type	_ZN7rocprim17ROCPRIM_400000_NS6detail17trampoline_kernelINS0_14default_configENS1_25transform_config_selectorIN3c107complexIdEELb1EEEZNS1_14transform_implILb1ES3_S8_PS7_SA_NS0_8identityIS7_EEEE10hipError_tT2_T3_mT4_P12ihipStream_tbEUlT_E_NS1_11comp_targetILNS1_3genE2ELNS1_11target_archE906ELNS1_3gpuE6ELNS1_3repE0EEENS1_30default_config_static_selectorELNS0_4arch9wavefront6targetE0EEEvT1_,@function
_ZN7rocprim17ROCPRIM_400000_NS6detail17trampoline_kernelINS0_14default_configENS1_25transform_config_selectorIN3c107complexIdEELb1EEEZNS1_14transform_implILb1ES3_S8_PS7_SA_NS0_8identityIS7_EEEE10hipError_tT2_T3_mT4_P12ihipStream_tbEUlT_E_NS1_11comp_targetILNS1_3genE2ELNS1_11target_archE906ELNS1_3gpuE6ELNS1_3repE0EEENS1_30default_config_static_selectorELNS0_4arch9wavefront6targetE0EEEvT1_: ; @_ZN7rocprim17ROCPRIM_400000_NS6detail17trampoline_kernelINS0_14default_configENS1_25transform_config_selectorIN3c107complexIdEELb1EEEZNS1_14transform_implILb1ES3_S8_PS7_SA_NS0_8identityIS7_EEEE10hipError_tT2_T3_mT4_P12ihipStream_tbEUlT_E_NS1_11comp_targetILNS1_3genE2ELNS1_11target_archE906ELNS1_3gpuE6ELNS1_3repE0EEENS1_30default_config_static_selectorELNS0_4arch9wavefront6targetE0EEEvT1_
; %bb.0:
	.section	.rodata,"a",@progbits
	.p2align	6, 0x0
	.amdhsa_kernel _ZN7rocprim17ROCPRIM_400000_NS6detail17trampoline_kernelINS0_14default_configENS1_25transform_config_selectorIN3c107complexIdEELb1EEEZNS1_14transform_implILb1ES3_S8_PS7_SA_NS0_8identityIS7_EEEE10hipError_tT2_T3_mT4_P12ihipStream_tbEUlT_E_NS1_11comp_targetILNS1_3genE2ELNS1_11target_archE906ELNS1_3gpuE6ELNS1_3repE0EEENS1_30default_config_static_selectorELNS0_4arch9wavefront6targetE0EEEvT1_
		.amdhsa_group_segment_fixed_size 0
		.amdhsa_private_segment_fixed_size 0
		.amdhsa_kernarg_size 40
		.amdhsa_user_sgpr_count 2
		.amdhsa_user_sgpr_dispatch_ptr 0
		.amdhsa_user_sgpr_queue_ptr 0
		.amdhsa_user_sgpr_kernarg_segment_ptr 1
		.amdhsa_user_sgpr_dispatch_id 0
		.amdhsa_user_sgpr_private_segment_size 0
		.amdhsa_wavefront_size32 1
		.amdhsa_uses_dynamic_stack 0
		.amdhsa_enable_private_segment 0
		.amdhsa_system_sgpr_workgroup_id_x 1
		.amdhsa_system_sgpr_workgroup_id_y 0
		.amdhsa_system_sgpr_workgroup_id_z 0
		.amdhsa_system_sgpr_workgroup_info 0
		.amdhsa_system_vgpr_workitem_id 0
		.amdhsa_next_free_vgpr 1
		.amdhsa_next_free_sgpr 1
		.amdhsa_reserve_vcc 0
		.amdhsa_float_round_mode_32 0
		.amdhsa_float_round_mode_16_64 0
		.amdhsa_float_denorm_mode_32 3
		.amdhsa_float_denorm_mode_16_64 3
		.amdhsa_fp16_overflow 0
		.amdhsa_workgroup_processor_mode 1
		.amdhsa_memory_ordered 1
		.amdhsa_forward_progress 1
		.amdhsa_inst_pref_size 0
		.amdhsa_round_robin_scheduling 0
		.amdhsa_exception_fp_ieee_invalid_op 0
		.amdhsa_exception_fp_denorm_src 0
		.amdhsa_exception_fp_ieee_div_zero 0
		.amdhsa_exception_fp_ieee_overflow 0
		.amdhsa_exception_fp_ieee_underflow 0
		.amdhsa_exception_fp_ieee_inexact 0
		.amdhsa_exception_int_div_zero 0
	.end_amdhsa_kernel
	.section	.text._ZN7rocprim17ROCPRIM_400000_NS6detail17trampoline_kernelINS0_14default_configENS1_25transform_config_selectorIN3c107complexIdEELb1EEEZNS1_14transform_implILb1ES3_S8_PS7_SA_NS0_8identityIS7_EEEE10hipError_tT2_T3_mT4_P12ihipStream_tbEUlT_E_NS1_11comp_targetILNS1_3genE2ELNS1_11target_archE906ELNS1_3gpuE6ELNS1_3repE0EEENS1_30default_config_static_selectorELNS0_4arch9wavefront6targetE0EEEvT1_,"axG",@progbits,_ZN7rocprim17ROCPRIM_400000_NS6detail17trampoline_kernelINS0_14default_configENS1_25transform_config_selectorIN3c107complexIdEELb1EEEZNS1_14transform_implILb1ES3_S8_PS7_SA_NS0_8identityIS7_EEEE10hipError_tT2_T3_mT4_P12ihipStream_tbEUlT_E_NS1_11comp_targetILNS1_3genE2ELNS1_11target_archE906ELNS1_3gpuE6ELNS1_3repE0EEENS1_30default_config_static_selectorELNS0_4arch9wavefront6targetE0EEEvT1_,comdat
.Lfunc_end190:
	.size	_ZN7rocprim17ROCPRIM_400000_NS6detail17trampoline_kernelINS0_14default_configENS1_25transform_config_selectorIN3c107complexIdEELb1EEEZNS1_14transform_implILb1ES3_S8_PS7_SA_NS0_8identityIS7_EEEE10hipError_tT2_T3_mT4_P12ihipStream_tbEUlT_E_NS1_11comp_targetILNS1_3genE2ELNS1_11target_archE906ELNS1_3gpuE6ELNS1_3repE0EEENS1_30default_config_static_selectorELNS0_4arch9wavefront6targetE0EEEvT1_, .Lfunc_end190-_ZN7rocprim17ROCPRIM_400000_NS6detail17trampoline_kernelINS0_14default_configENS1_25transform_config_selectorIN3c107complexIdEELb1EEEZNS1_14transform_implILb1ES3_S8_PS7_SA_NS0_8identityIS7_EEEE10hipError_tT2_T3_mT4_P12ihipStream_tbEUlT_E_NS1_11comp_targetILNS1_3genE2ELNS1_11target_archE906ELNS1_3gpuE6ELNS1_3repE0EEENS1_30default_config_static_selectorELNS0_4arch9wavefront6targetE0EEEvT1_
                                        ; -- End function
	.set _ZN7rocprim17ROCPRIM_400000_NS6detail17trampoline_kernelINS0_14default_configENS1_25transform_config_selectorIN3c107complexIdEELb1EEEZNS1_14transform_implILb1ES3_S8_PS7_SA_NS0_8identityIS7_EEEE10hipError_tT2_T3_mT4_P12ihipStream_tbEUlT_E_NS1_11comp_targetILNS1_3genE2ELNS1_11target_archE906ELNS1_3gpuE6ELNS1_3repE0EEENS1_30default_config_static_selectorELNS0_4arch9wavefront6targetE0EEEvT1_.num_vgpr, 0
	.set _ZN7rocprim17ROCPRIM_400000_NS6detail17trampoline_kernelINS0_14default_configENS1_25transform_config_selectorIN3c107complexIdEELb1EEEZNS1_14transform_implILb1ES3_S8_PS7_SA_NS0_8identityIS7_EEEE10hipError_tT2_T3_mT4_P12ihipStream_tbEUlT_E_NS1_11comp_targetILNS1_3genE2ELNS1_11target_archE906ELNS1_3gpuE6ELNS1_3repE0EEENS1_30default_config_static_selectorELNS0_4arch9wavefront6targetE0EEEvT1_.num_agpr, 0
	.set _ZN7rocprim17ROCPRIM_400000_NS6detail17trampoline_kernelINS0_14default_configENS1_25transform_config_selectorIN3c107complexIdEELb1EEEZNS1_14transform_implILb1ES3_S8_PS7_SA_NS0_8identityIS7_EEEE10hipError_tT2_T3_mT4_P12ihipStream_tbEUlT_E_NS1_11comp_targetILNS1_3genE2ELNS1_11target_archE906ELNS1_3gpuE6ELNS1_3repE0EEENS1_30default_config_static_selectorELNS0_4arch9wavefront6targetE0EEEvT1_.numbered_sgpr, 0
	.set _ZN7rocprim17ROCPRIM_400000_NS6detail17trampoline_kernelINS0_14default_configENS1_25transform_config_selectorIN3c107complexIdEELb1EEEZNS1_14transform_implILb1ES3_S8_PS7_SA_NS0_8identityIS7_EEEE10hipError_tT2_T3_mT4_P12ihipStream_tbEUlT_E_NS1_11comp_targetILNS1_3genE2ELNS1_11target_archE906ELNS1_3gpuE6ELNS1_3repE0EEENS1_30default_config_static_selectorELNS0_4arch9wavefront6targetE0EEEvT1_.num_named_barrier, 0
	.set _ZN7rocprim17ROCPRIM_400000_NS6detail17trampoline_kernelINS0_14default_configENS1_25transform_config_selectorIN3c107complexIdEELb1EEEZNS1_14transform_implILb1ES3_S8_PS7_SA_NS0_8identityIS7_EEEE10hipError_tT2_T3_mT4_P12ihipStream_tbEUlT_E_NS1_11comp_targetILNS1_3genE2ELNS1_11target_archE906ELNS1_3gpuE6ELNS1_3repE0EEENS1_30default_config_static_selectorELNS0_4arch9wavefront6targetE0EEEvT1_.private_seg_size, 0
	.set _ZN7rocprim17ROCPRIM_400000_NS6detail17trampoline_kernelINS0_14default_configENS1_25transform_config_selectorIN3c107complexIdEELb1EEEZNS1_14transform_implILb1ES3_S8_PS7_SA_NS0_8identityIS7_EEEE10hipError_tT2_T3_mT4_P12ihipStream_tbEUlT_E_NS1_11comp_targetILNS1_3genE2ELNS1_11target_archE906ELNS1_3gpuE6ELNS1_3repE0EEENS1_30default_config_static_selectorELNS0_4arch9wavefront6targetE0EEEvT1_.uses_vcc, 0
	.set _ZN7rocprim17ROCPRIM_400000_NS6detail17trampoline_kernelINS0_14default_configENS1_25transform_config_selectorIN3c107complexIdEELb1EEEZNS1_14transform_implILb1ES3_S8_PS7_SA_NS0_8identityIS7_EEEE10hipError_tT2_T3_mT4_P12ihipStream_tbEUlT_E_NS1_11comp_targetILNS1_3genE2ELNS1_11target_archE906ELNS1_3gpuE6ELNS1_3repE0EEENS1_30default_config_static_selectorELNS0_4arch9wavefront6targetE0EEEvT1_.uses_flat_scratch, 0
	.set _ZN7rocprim17ROCPRIM_400000_NS6detail17trampoline_kernelINS0_14default_configENS1_25transform_config_selectorIN3c107complexIdEELb1EEEZNS1_14transform_implILb1ES3_S8_PS7_SA_NS0_8identityIS7_EEEE10hipError_tT2_T3_mT4_P12ihipStream_tbEUlT_E_NS1_11comp_targetILNS1_3genE2ELNS1_11target_archE906ELNS1_3gpuE6ELNS1_3repE0EEENS1_30default_config_static_selectorELNS0_4arch9wavefront6targetE0EEEvT1_.has_dyn_sized_stack, 0
	.set _ZN7rocprim17ROCPRIM_400000_NS6detail17trampoline_kernelINS0_14default_configENS1_25transform_config_selectorIN3c107complexIdEELb1EEEZNS1_14transform_implILb1ES3_S8_PS7_SA_NS0_8identityIS7_EEEE10hipError_tT2_T3_mT4_P12ihipStream_tbEUlT_E_NS1_11comp_targetILNS1_3genE2ELNS1_11target_archE906ELNS1_3gpuE6ELNS1_3repE0EEENS1_30default_config_static_selectorELNS0_4arch9wavefront6targetE0EEEvT1_.has_recursion, 0
	.set _ZN7rocprim17ROCPRIM_400000_NS6detail17trampoline_kernelINS0_14default_configENS1_25transform_config_selectorIN3c107complexIdEELb1EEEZNS1_14transform_implILb1ES3_S8_PS7_SA_NS0_8identityIS7_EEEE10hipError_tT2_T3_mT4_P12ihipStream_tbEUlT_E_NS1_11comp_targetILNS1_3genE2ELNS1_11target_archE906ELNS1_3gpuE6ELNS1_3repE0EEENS1_30default_config_static_selectorELNS0_4arch9wavefront6targetE0EEEvT1_.has_indirect_call, 0
	.section	.AMDGPU.csdata,"",@progbits
; Kernel info:
; codeLenInByte = 0
; TotalNumSgprs: 0
; NumVgprs: 0
; ScratchSize: 0
; MemoryBound: 0
; FloatMode: 240
; IeeeMode: 1
; LDSByteSize: 0 bytes/workgroup (compile time only)
; SGPRBlocks: 0
; VGPRBlocks: 0
; NumSGPRsForWavesPerEU: 1
; NumVGPRsForWavesPerEU: 1
; Occupancy: 16
; WaveLimiterHint : 0
; COMPUTE_PGM_RSRC2:SCRATCH_EN: 0
; COMPUTE_PGM_RSRC2:USER_SGPR: 2
; COMPUTE_PGM_RSRC2:TRAP_HANDLER: 0
; COMPUTE_PGM_RSRC2:TGID_X_EN: 1
; COMPUTE_PGM_RSRC2:TGID_Y_EN: 0
; COMPUTE_PGM_RSRC2:TGID_Z_EN: 0
; COMPUTE_PGM_RSRC2:TIDIG_COMP_CNT: 0
	.section	.text._ZN7rocprim17ROCPRIM_400000_NS6detail17trampoline_kernelINS0_14default_configENS1_25transform_config_selectorIN3c107complexIdEELb1EEEZNS1_14transform_implILb1ES3_S8_PS7_SA_NS0_8identityIS7_EEEE10hipError_tT2_T3_mT4_P12ihipStream_tbEUlT_E_NS1_11comp_targetILNS1_3genE9ELNS1_11target_archE1100ELNS1_3gpuE3ELNS1_3repE0EEENS1_30default_config_static_selectorELNS0_4arch9wavefront6targetE0EEEvT1_,"axG",@progbits,_ZN7rocprim17ROCPRIM_400000_NS6detail17trampoline_kernelINS0_14default_configENS1_25transform_config_selectorIN3c107complexIdEELb1EEEZNS1_14transform_implILb1ES3_S8_PS7_SA_NS0_8identityIS7_EEEE10hipError_tT2_T3_mT4_P12ihipStream_tbEUlT_E_NS1_11comp_targetILNS1_3genE9ELNS1_11target_archE1100ELNS1_3gpuE3ELNS1_3repE0EEENS1_30default_config_static_selectorELNS0_4arch9wavefront6targetE0EEEvT1_,comdat
	.protected	_ZN7rocprim17ROCPRIM_400000_NS6detail17trampoline_kernelINS0_14default_configENS1_25transform_config_selectorIN3c107complexIdEELb1EEEZNS1_14transform_implILb1ES3_S8_PS7_SA_NS0_8identityIS7_EEEE10hipError_tT2_T3_mT4_P12ihipStream_tbEUlT_E_NS1_11comp_targetILNS1_3genE9ELNS1_11target_archE1100ELNS1_3gpuE3ELNS1_3repE0EEENS1_30default_config_static_selectorELNS0_4arch9wavefront6targetE0EEEvT1_ ; -- Begin function _ZN7rocprim17ROCPRIM_400000_NS6detail17trampoline_kernelINS0_14default_configENS1_25transform_config_selectorIN3c107complexIdEELb1EEEZNS1_14transform_implILb1ES3_S8_PS7_SA_NS0_8identityIS7_EEEE10hipError_tT2_T3_mT4_P12ihipStream_tbEUlT_E_NS1_11comp_targetILNS1_3genE9ELNS1_11target_archE1100ELNS1_3gpuE3ELNS1_3repE0EEENS1_30default_config_static_selectorELNS0_4arch9wavefront6targetE0EEEvT1_
	.globl	_ZN7rocprim17ROCPRIM_400000_NS6detail17trampoline_kernelINS0_14default_configENS1_25transform_config_selectorIN3c107complexIdEELb1EEEZNS1_14transform_implILb1ES3_S8_PS7_SA_NS0_8identityIS7_EEEE10hipError_tT2_T3_mT4_P12ihipStream_tbEUlT_E_NS1_11comp_targetILNS1_3genE9ELNS1_11target_archE1100ELNS1_3gpuE3ELNS1_3repE0EEENS1_30default_config_static_selectorELNS0_4arch9wavefront6targetE0EEEvT1_
	.p2align	8
	.type	_ZN7rocprim17ROCPRIM_400000_NS6detail17trampoline_kernelINS0_14default_configENS1_25transform_config_selectorIN3c107complexIdEELb1EEEZNS1_14transform_implILb1ES3_S8_PS7_SA_NS0_8identityIS7_EEEE10hipError_tT2_T3_mT4_P12ihipStream_tbEUlT_E_NS1_11comp_targetILNS1_3genE9ELNS1_11target_archE1100ELNS1_3gpuE3ELNS1_3repE0EEENS1_30default_config_static_selectorELNS0_4arch9wavefront6targetE0EEEvT1_,@function
_ZN7rocprim17ROCPRIM_400000_NS6detail17trampoline_kernelINS0_14default_configENS1_25transform_config_selectorIN3c107complexIdEELb1EEEZNS1_14transform_implILb1ES3_S8_PS7_SA_NS0_8identityIS7_EEEE10hipError_tT2_T3_mT4_P12ihipStream_tbEUlT_E_NS1_11comp_targetILNS1_3genE9ELNS1_11target_archE1100ELNS1_3gpuE3ELNS1_3repE0EEENS1_30default_config_static_selectorELNS0_4arch9wavefront6targetE0EEEvT1_: ; @_ZN7rocprim17ROCPRIM_400000_NS6detail17trampoline_kernelINS0_14default_configENS1_25transform_config_selectorIN3c107complexIdEELb1EEEZNS1_14transform_implILb1ES3_S8_PS7_SA_NS0_8identityIS7_EEEE10hipError_tT2_T3_mT4_P12ihipStream_tbEUlT_E_NS1_11comp_targetILNS1_3genE9ELNS1_11target_archE1100ELNS1_3gpuE3ELNS1_3repE0EEENS1_30default_config_static_selectorELNS0_4arch9wavefront6targetE0EEEvT1_
; %bb.0:
	.section	.rodata,"a",@progbits
	.p2align	6, 0x0
	.amdhsa_kernel _ZN7rocprim17ROCPRIM_400000_NS6detail17trampoline_kernelINS0_14default_configENS1_25transform_config_selectorIN3c107complexIdEELb1EEEZNS1_14transform_implILb1ES3_S8_PS7_SA_NS0_8identityIS7_EEEE10hipError_tT2_T3_mT4_P12ihipStream_tbEUlT_E_NS1_11comp_targetILNS1_3genE9ELNS1_11target_archE1100ELNS1_3gpuE3ELNS1_3repE0EEENS1_30default_config_static_selectorELNS0_4arch9wavefront6targetE0EEEvT1_
		.amdhsa_group_segment_fixed_size 0
		.amdhsa_private_segment_fixed_size 0
		.amdhsa_kernarg_size 40
		.amdhsa_user_sgpr_count 2
		.amdhsa_user_sgpr_dispatch_ptr 0
		.amdhsa_user_sgpr_queue_ptr 0
		.amdhsa_user_sgpr_kernarg_segment_ptr 1
		.amdhsa_user_sgpr_dispatch_id 0
		.amdhsa_user_sgpr_private_segment_size 0
		.amdhsa_wavefront_size32 1
		.amdhsa_uses_dynamic_stack 0
		.amdhsa_enable_private_segment 0
		.amdhsa_system_sgpr_workgroup_id_x 1
		.amdhsa_system_sgpr_workgroup_id_y 0
		.amdhsa_system_sgpr_workgroup_id_z 0
		.amdhsa_system_sgpr_workgroup_info 0
		.amdhsa_system_vgpr_workitem_id 0
		.amdhsa_next_free_vgpr 1
		.amdhsa_next_free_sgpr 1
		.amdhsa_reserve_vcc 0
		.amdhsa_float_round_mode_32 0
		.amdhsa_float_round_mode_16_64 0
		.amdhsa_float_denorm_mode_32 3
		.amdhsa_float_denorm_mode_16_64 3
		.amdhsa_fp16_overflow 0
		.amdhsa_workgroup_processor_mode 1
		.amdhsa_memory_ordered 1
		.amdhsa_forward_progress 1
		.amdhsa_inst_pref_size 0
		.amdhsa_round_robin_scheduling 0
		.amdhsa_exception_fp_ieee_invalid_op 0
		.amdhsa_exception_fp_denorm_src 0
		.amdhsa_exception_fp_ieee_div_zero 0
		.amdhsa_exception_fp_ieee_overflow 0
		.amdhsa_exception_fp_ieee_underflow 0
		.amdhsa_exception_fp_ieee_inexact 0
		.amdhsa_exception_int_div_zero 0
	.end_amdhsa_kernel
	.section	.text._ZN7rocprim17ROCPRIM_400000_NS6detail17trampoline_kernelINS0_14default_configENS1_25transform_config_selectorIN3c107complexIdEELb1EEEZNS1_14transform_implILb1ES3_S8_PS7_SA_NS0_8identityIS7_EEEE10hipError_tT2_T3_mT4_P12ihipStream_tbEUlT_E_NS1_11comp_targetILNS1_3genE9ELNS1_11target_archE1100ELNS1_3gpuE3ELNS1_3repE0EEENS1_30default_config_static_selectorELNS0_4arch9wavefront6targetE0EEEvT1_,"axG",@progbits,_ZN7rocprim17ROCPRIM_400000_NS6detail17trampoline_kernelINS0_14default_configENS1_25transform_config_selectorIN3c107complexIdEELb1EEEZNS1_14transform_implILb1ES3_S8_PS7_SA_NS0_8identityIS7_EEEE10hipError_tT2_T3_mT4_P12ihipStream_tbEUlT_E_NS1_11comp_targetILNS1_3genE9ELNS1_11target_archE1100ELNS1_3gpuE3ELNS1_3repE0EEENS1_30default_config_static_selectorELNS0_4arch9wavefront6targetE0EEEvT1_,comdat
.Lfunc_end191:
	.size	_ZN7rocprim17ROCPRIM_400000_NS6detail17trampoline_kernelINS0_14default_configENS1_25transform_config_selectorIN3c107complexIdEELb1EEEZNS1_14transform_implILb1ES3_S8_PS7_SA_NS0_8identityIS7_EEEE10hipError_tT2_T3_mT4_P12ihipStream_tbEUlT_E_NS1_11comp_targetILNS1_3genE9ELNS1_11target_archE1100ELNS1_3gpuE3ELNS1_3repE0EEENS1_30default_config_static_selectorELNS0_4arch9wavefront6targetE0EEEvT1_, .Lfunc_end191-_ZN7rocprim17ROCPRIM_400000_NS6detail17trampoline_kernelINS0_14default_configENS1_25transform_config_selectorIN3c107complexIdEELb1EEEZNS1_14transform_implILb1ES3_S8_PS7_SA_NS0_8identityIS7_EEEE10hipError_tT2_T3_mT4_P12ihipStream_tbEUlT_E_NS1_11comp_targetILNS1_3genE9ELNS1_11target_archE1100ELNS1_3gpuE3ELNS1_3repE0EEENS1_30default_config_static_selectorELNS0_4arch9wavefront6targetE0EEEvT1_
                                        ; -- End function
	.set _ZN7rocprim17ROCPRIM_400000_NS6detail17trampoline_kernelINS0_14default_configENS1_25transform_config_selectorIN3c107complexIdEELb1EEEZNS1_14transform_implILb1ES3_S8_PS7_SA_NS0_8identityIS7_EEEE10hipError_tT2_T3_mT4_P12ihipStream_tbEUlT_E_NS1_11comp_targetILNS1_3genE9ELNS1_11target_archE1100ELNS1_3gpuE3ELNS1_3repE0EEENS1_30default_config_static_selectorELNS0_4arch9wavefront6targetE0EEEvT1_.num_vgpr, 0
	.set _ZN7rocprim17ROCPRIM_400000_NS6detail17trampoline_kernelINS0_14default_configENS1_25transform_config_selectorIN3c107complexIdEELb1EEEZNS1_14transform_implILb1ES3_S8_PS7_SA_NS0_8identityIS7_EEEE10hipError_tT2_T3_mT4_P12ihipStream_tbEUlT_E_NS1_11comp_targetILNS1_3genE9ELNS1_11target_archE1100ELNS1_3gpuE3ELNS1_3repE0EEENS1_30default_config_static_selectorELNS0_4arch9wavefront6targetE0EEEvT1_.num_agpr, 0
	.set _ZN7rocprim17ROCPRIM_400000_NS6detail17trampoline_kernelINS0_14default_configENS1_25transform_config_selectorIN3c107complexIdEELb1EEEZNS1_14transform_implILb1ES3_S8_PS7_SA_NS0_8identityIS7_EEEE10hipError_tT2_T3_mT4_P12ihipStream_tbEUlT_E_NS1_11comp_targetILNS1_3genE9ELNS1_11target_archE1100ELNS1_3gpuE3ELNS1_3repE0EEENS1_30default_config_static_selectorELNS0_4arch9wavefront6targetE0EEEvT1_.numbered_sgpr, 0
	.set _ZN7rocprim17ROCPRIM_400000_NS6detail17trampoline_kernelINS0_14default_configENS1_25transform_config_selectorIN3c107complexIdEELb1EEEZNS1_14transform_implILb1ES3_S8_PS7_SA_NS0_8identityIS7_EEEE10hipError_tT2_T3_mT4_P12ihipStream_tbEUlT_E_NS1_11comp_targetILNS1_3genE9ELNS1_11target_archE1100ELNS1_3gpuE3ELNS1_3repE0EEENS1_30default_config_static_selectorELNS0_4arch9wavefront6targetE0EEEvT1_.num_named_barrier, 0
	.set _ZN7rocprim17ROCPRIM_400000_NS6detail17trampoline_kernelINS0_14default_configENS1_25transform_config_selectorIN3c107complexIdEELb1EEEZNS1_14transform_implILb1ES3_S8_PS7_SA_NS0_8identityIS7_EEEE10hipError_tT2_T3_mT4_P12ihipStream_tbEUlT_E_NS1_11comp_targetILNS1_3genE9ELNS1_11target_archE1100ELNS1_3gpuE3ELNS1_3repE0EEENS1_30default_config_static_selectorELNS0_4arch9wavefront6targetE0EEEvT1_.private_seg_size, 0
	.set _ZN7rocprim17ROCPRIM_400000_NS6detail17trampoline_kernelINS0_14default_configENS1_25transform_config_selectorIN3c107complexIdEELb1EEEZNS1_14transform_implILb1ES3_S8_PS7_SA_NS0_8identityIS7_EEEE10hipError_tT2_T3_mT4_P12ihipStream_tbEUlT_E_NS1_11comp_targetILNS1_3genE9ELNS1_11target_archE1100ELNS1_3gpuE3ELNS1_3repE0EEENS1_30default_config_static_selectorELNS0_4arch9wavefront6targetE0EEEvT1_.uses_vcc, 0
	.set _ZN7rocprim17ROCPRIM_400000_NS6detail17trampoline_kernelINS0_14default_configENS1_25transform_config_selectorIN3c107complexIdEELb1EEEZNS1_14transform_implILb1ES3_S8_PS7_SA_NS0_8identityIS7_EEEE10hipError_tT2_T3_mT4_P12ihipStream_tbEUlT_E_NS1_11comp_targetILNS1_3genE9ELNS1_11target_archE1100ELNS1_3gpuE3ELNS1_3repE0EEENS1_30default_config_static_selectorELNS0_4arch9wavefront6targetE0EEEvT1_.uses_flat_scratch, 0
	.set _ZN7rocprim17ROCPRIM_400000_NS6detail17trampoline_kernelINS0_14default_configENS1_25transform_config_selectorIN3c107complexIdEELb1EEEZNS1_14transform_implILb1ES3_S8_PS7_SA_NS0_8identityIS7_EEEE10hipError_tT2_T3_mT4_P12ihipStream_tbEUlT_E_NS1_11comp_targetILNS1_3genE9ELNS1_11target_archE1100ELNS1_3gpuE3ELNS1_3repE0EEENS1_30default_config_static_selectorELNS0_4arch9wavefront6targetE0EEEvT1_.has_dyn_sized_stack, 0
	.set _ZN7rocprim17ROCPRIM_400000_NS6detail17trampoline_kernelINS0_14default_configENS1_25transform_config_selectorIN3c107complexIdEELb1EEEZNS1_14transform_implILb1ES3_S8_PS7_SA_NS0_8identityIS7_EEEE10hipError_tT2_T3_mT4_P12ihipStream_tbEUlT_E_NS1_11comp_targetILNS1_3genE9ELNS1_11target_archE1100ELNS1_3gpuE3ELNS1_3repE0EEENS1_30default_config_static_selectorELNS0_4arch9wavefront6targetE0EEEvT1_.has_recursion, 0
	.set _ZN7rocprim17ROCPRIM_400000_NS6detail17trampoline_kernelINS0_14default_configENS1_25transform_config_selectorIN3c107complexIdEELb1EEEZNS1_14transform_implILb1ES3_S8_PS7_SA_NS0_8identityIS7_EEEE10hipError_tT2_T3_mT4_P12ihipStream_tbEUlT_E_NS1_11comp_targetILNS1_3genE9ELNS1_11target_archE1100ELNS1_3gpuE3ELNS1_3repE0EEENS1_30default_config_static_selectorELNS0_4arch9wavefront6targetE0EEEvT1_.has_indirect_call, 0
	.section	.AMDGPU.csdata,"",@progbits
; Kernel info:
; codeLenInByte = 0
; TotalNumSgprs: 0
; NumVgprs: 0
; ScratchSize: 0
; MemoryBound: 0
; FloatMode: 240
; IeeeMode: 1
; LDSByteSize: 0 bytes/workgroup (compile time only)
; SGPRBlocks: 0
; VGPRBlocks: 0
; NumSGPRsForWavesPerEU: 1
; NumVGPRsForWavesPerEU: 1
; Occupancy: 16
; WaveLimiterHint : 0
; COMPUTE_PGM_RSRC2:SCRATCH_EN: 0
; COMPUTE_PGM_RSRC2:USER_SGPR: 2
; COMPUTE_PGM_RSRC2:TRAP_HANDLER: 0
; COMPUTE_PGM_RSRC2:TGID_X_EN: 1
; COMPUTE_PGM_RSRC2:TGID_Y_EN: 0
; COMPUTE_PGM_RSRC2:TGID_Z_EN: 0
; COMPUTE_PGM_RSRC2:TIDIG_COMP_CNT: 0
	.section	.text._ZN7rocprim17ROCPRIM_400000_NS6detail17trampoline_kernelINS0_14default_configENS1_25transform_config_selectorIN3c107complexIdEELb1EEEZNS1_14transform_implILb1ES3_S8_PS7_SA_NS0_8identityIS7_EEEE10hipError_tT2_T3_mT4_P12ihipStream_tbEUlT_E_NS1_11comp_targetILNS1_3genE8ELNS1_11target_archE1030ELNS1_3gpuE2ELNS1_3repE0EEENS1_30default_config_static_selectorELNS0_4arch9wavefront6targetE0EEEvT1_,"axG",@progbits,_ZN7rocprim17ROCPRIM_400000_NS6detail17trampoline_kernelINS0_14default_configENS1_25transform_config_selectorIN3c107complexIdEELb1EEEZNS1_14transform_implILb1ES3_S8_PS7_SA_NS0_8identityIS7_EEEE10hipError_tT2_T3_mT4_P12ihipStream_tbEUlT_E_NS1_11comp_targetILNS1_3genE8ELNS1_11target_archE1030ELNS1_3gpuE2ELNS1_3repE0EEENS1_30default_config_static_selectorELNS0_4arch9wavefront6targetE0EEEvT1_,comdat
	.protected	_ZN7rocprim17ROCPRIM_400000_NS6detail17trampoline_kernelINS0_14default_configENS1_25transform_config_selectorIN3c107complexIdEELb1EEEZNS1_14transform_implILb1ES3_S8_PS7_SA_NS0_8identityIS7_EEEE10hipError_tT2_T3_mT4_P12ihipStream_tbEUlT_E_NS1_11comp_targetILNS1_3genE8ELNS1_11target_archE1030ELNS1_3gpuE2ELNS1_3repE0EEENS1_30default_config_static_selectorELNS0_4arch9wavefront6targetE0EEEvT1_ ; -- Begin function _ZN7rocprim17ROCPRIM_400000_NS6detail17trampoline_kernelINS0_14default_configENS1_25transform_config_selectorIN3c107complexIdEELb1EEEZNS1_14transform_implILb1ES3_S8_PS7_SA_NS0_8identityIS7_EEEE10hipError_tT2_T3_mT4_P12ihipStream_tbEUlT_E_NS1_11comp_targetILNS1_3genE8ELNS1_11target_archE1030ELNS1_3gpuE2ELNS1_3repE0EEENS1_30default_config_static_selectorELNS0_4arch9wavefront6targetE0EEEvT1_
	.globl	_ZN7rocprim17ROCPRIM_400000_NS6detail17trampoline_kernelINS0_14default_configENS1_25transform_config_selectorIN3c107complexIdEELb1EEEZNS1_14transform_implILb1ES3_S8_PS7_SA_NS0_8identityIS7_EEEE10hipError_tT2_T3_mT4_P12ihipStream_tbEUlT_E_NS1_11comp_targetILNS1_3genE8ELNS1_11target_archE1030ELNS1_3gpuE2ELNS1_3repE0EEENS1_30default_config_static_selectorELNS0_4arch9wavefront6targetE0EEEvT1_
	.p2align	8
	.type	_ZN7rocprim17ROCPRIM_400000_NS6detail17trampoline_kernelINS0_14default_configENS1_25transform_config_selectorIN3c107complexIdEELb1EEEZNS1_14transform_implILb1ES3_S8_PS7_SA_NS0_8identityIS7_EEEE10hipError_tT2_T3_mT4_P12ihipStream_tbEUlT_E_NS1_11comp_targetILNS1_3genE8ELNS1_11target_archE1030ELNS1_3gpuE2ELNS1_3repE0EEENS1_30default_config_static_selectorELNS0_4arch9wavefront6targetE0EEEvT1_,@function
_ZN7rocprim17ROCPRIM_400000_NS6detail17trampoline_kernelINS0_14default_configENS1_25transform_config_selectorIN3c107complexIdEELb1EEEZNS1_14transform_implILb1ES3_S8_PS7_SA_NS0_8identityIS7_EEEE10hipError_tT2_T3_mT4_P12ihipStream_tbEUlT_E_NS1_11comp_targetILNS1_3genE8ELNS1_11target_archE1030ELNS1_3gpuE2ELNS1_3repE0EEENS1_30default_config_static_selectorELNS0_4arch9wavefront6targetE0EEEvT1_: ; @_ZN7rocprim17ROCPRIM_400000_NS6detail17trampoline_kernelINS0_14default_configENS1_25transform_config_selectorIN3c107complexIdEELb1EEEZNS1_14transform_implILb1ES3_S8_PS7_SA_NS0_8identityIS7_EEEE10hipError_tT2_T3_mT4_P12ihipStream_tbEUlT_E_NS1_11comp_targetILNS1_3genE8ELNS1_11target_archE1030ELNS1_3gpuE2ELNS1_3repE0EEENS1_30default_config_static_selectorELNS0_4arch9wavefront6targetE0EEEvT1_
; %bb.0:
	.section	.rodata,"a",@progbits
	.p2align	6, 0x0
	.amdhsa_kernel _ZN7rocprim17ROCPRIM_400000_NS6detail17trampoline_kernelINS0_14default_configENS1_25transform_config_selectorIN3c107complexIdEELb1EEEZNS1_14transform_implILb1ES3_S8_PS7_SA_NS0_8identityIS7_EEEE10hipError_tT2_T3_mT4_P12ihipStream_tbEUlT_E_NS1_11comp_targetILNS1_3genE8ELNS1_11target_archE1030ELNS1_3gpuE2ELNS1_3repE0EEENS1_30default_config_static_selectorELNS0_4arch9wavefront6targetE0EEEvT1_
		.amdhsa_group_segment_fixed_size 0
		.amdhsa_private_segment_fixed_size 0
		.amdhsa_kernarg_size 40
		.amdhsa_user_sgpr_count 2
		.amdhsa_user_sgpr_dispatch_ptr 0
		.amdhsa_user_sgpr_queue_ptr 0
		.amdhsa_user_sgpr_kernarg_segment_ptr 1
		.amdhsa_user_sgpr_dispatch_id 0
		.amdhsa_user_sgpr_private_segment_size 0
		.amdhsa_wavefront_size32 1
		.amdhsa_uses_dynamic_stack 0
		.amdhsa_enable_private_segment 0
		.amdhsa_system_sgpr_workgroup_id_x 1
		.amdhsa_system_sgpr_workgroup_id_y 0
		.amdhsa_system_sgpr_workgroup_id_z 0
		.amdhsa_system_sgpr_workgroup_info 0
		.amdhsa_system_vgpr_workitem_id 0
		.amdhsa_next_free_vgpr 1
		.amdhsa_next_free_sgpr 1
		.amdhsa_reserve_vcc 0
		.amdhsa_float_round_mode_32 0
		.amdhsa_float_round_mode_16_64 0
		.amdhsa_float_denorm_mode_32 3
		.amdhsa_float_denorm_mode_16_64 3
		.amdhsa_fp16_overflow 0
		.amdhsa_workgroup_processor_mode 1
		.amdhsa_memory_ordered 1
		.amdhsa_forward_progress 1
		.amdhsa_inst_pref_size 0
		.amdhsa_round_robin_scheduling 0
		.amdhsa_exception_fp_ieee_invalid_op 0
		.amdhsa_exception_fp_denorm_src 0
		.amdhsa_exception_fp_ieee_div_zero 0
		.amdhsa_exception_fp_ieee_overflow 0
		.amdhsa_exception_fp_ieee_underflow 0
		.amdhsa_exception_fp_ieee_inexact 0
		.amdhsa_exception_int_div_zero 0
	.end_amdhsa_kernel
	.section	.text._ZN7rocprim17ROCPRIM_400000_NS6detail17trampoline_kernelINS0_14default_configENS1_25transform_config_selectorIN3c107complexIdEELb1EEEZNS1_14transform_implILb1ES3_S8_PS7_SA_NS0_8identityIS7_EEEE10hipError_tT2_T3_mT4_P12ihipStream_tbEUlT_E_NS1_11comp_targetILNS1_3genE8ELNS1_11target_archE1030ELNS1_3gpuE2ELNS1_3repE0EEENS1_30default_config_static_selectorELNS0_4arch9wavefront6targetE0EEEvT1_,"axG",@progbits,_ZN7rocprim17ROCPRIM_400000_NS6detail17trampoline_kernelINS0_14default_configENS1_25transform_config_selectorIN3c107complexIdEELb1EEEZNS1_14transform_implILb1ES3_S8_PS7_SA_NS0_8identityIS7_EEEE10hipError_tT2_T3_mT4_P12ihipStream_tbEUlT_E_NS1_11comp_targetILNS1_3genE8ELNS1_11target_archE1030ELNS1_3gpuE2ELNS1_3repE0EEENS1_30default_config_static_selectorELNS0_4arch9wavefront6targetE0EEEvT1_,comdat
.Lfunc_end192:
	.size	_ZN7rocprim17ROCPRIM_400000_NS6detail17trampoline_kernelINS0_14default_configENS1_25transform_config_selectorIN3c107complexIdEELb1EEEZNS1_14transform_implILb1ES3_S8_PS7_SA_NS0_8identityIS7_EEEE10hipError_tT2_T3_mT4_P12ihipStream_tbEUlT_E_NS1_11comp_targetILNS1_3genE8ELNS1_11target_archE1030ELNS1_3gpuE2ELNS1_3repE0EEENS1_30default_config_static_selectorELNS0_4arch9wavefront6targetE0EEEvT1_, .Lfunc_end192-_ZN7rocprim17ROCPRIM_400000_NS6detail17trampoline_kernelINS0_14default_configENS1_25transform_config_selectorIN3c107complexIdEELb1EEEZNS1_14transform_implILb1ES3_S8_PS7_SA_NS0_8identityIS7_EEEE10hipError_tT2_T3_mT4_P12ihipStream_tbEUlT_E_NS1_11comp_targetILNS1_3genE8ELNS1_11target_archE1030ELNS1_3gpuE2ELNS1_3repE0EEENS1_30default_config_static_selectorELNS0_4arch9wavefront6targetE0EEEvT1_
                                        ; -- End function
	.set _ZN7rocprim17ROCPRIM_400000_NS6detail17trampoline_kernelINS0_14default_configENS1_25transform_config_selectorIN3c107complexIdEELb1EEEZNS1_14transform_implILb1ES3_S8_PS7_SA_NS0_8identityIS7_EEEE10hipError_tT2_T3_mT4_P12ihipStream_tbEUlT_E_NS1_11comp_targetILNS1_3genE8ELNS1_11target_archE1030ELNS1_3gpuE2ELNS1_3repE0EEENS1_30default_config_static_selectorELNS0_4arch9wavefront6targetE0EEEvT1_.num_vgpr, 0
	.set _ZN7rocprim17ROCPRIM_400000_NS6detail17trampoline_kernelINS0_14default_configENS1_25transform_config_selectorIN3c107complexIdEELb1EEEZNS1_14transform_implILb1ES3_S8_PS7_SA_NS0_8identityIS7_EEEE10hipError_tT2_T3_mT4_P12ihipStream_tbEUlT_E_NS1_11comp_targetILNS1_3genE8ELNS1_11target_archE1030ELNS1_3gpuE2ELNS1_3repE0EEENS1_30default_config_static_selectorELNS0_4arch9wavefront6targetE0EEEvT1_.num_agpr, 0
	.set _ZN7rocprim17ROCPRIM_400000_NS6detail17trampoline_kernelINS0_14default_configENS1_25transform_config_selectorIN3c107complexIdEELb1EEEZNS1_14transform_implILb1ES3_S8_PS7_SA_NS0_8identityIS7_EEEE10hipError_tT2_T3_mT4_P12ihipStream_tbEUlT_E_NS1_11comp_targetILNS1_3genE8ELNS1_11target_archE1030ELNS1_3gpuE2ELNS1_3repE0EEENS1_30default_config_static_selectorELNS0_4arch9wavefront6targetE0EEEvT1_.numbered_sgpr, 0
	.set _ZN7rocprim17ROCPRIM_400000_NS6detail17trampoline_kernelINS0_14default_configENS1_25transform_config_selectorIN3c107complexIdEELb1EEEZNS1_14transform_implILb1ES3_S8_PS7_SA_NS0_8identityIS7_EEEE10hipError_tT2_T3_mT4_P12ihipStream_tbEUlT_E_NS1_11comp_targetILNS1_3genE8ELNS1_11target_archE1030ELNS1_3gpuE2ELNS1_3repE0EEENS1_30default_config_static_selectorELNS0_4arch9wavefront6targetE0EEEvT1_.num_named_barrier, 0
	.set _ZN7rocprim17ROCPRIM_400000_NS6detail17trampoline_kernelINS0_14default_configENS1_25transform_config_selectorIN3c107complexIdEELb1EEEZNS1_14transform_implILb1ES3_S8_PS7_SA_NS0_8identityIS7_EEEE10hipError_tT2_T3_mT4_P12ihipStream_tbEUlT_E_NS1_11comp_targetILNS1_3genE8ELNS1_11target_archE1030ELNS1_3gpuE2ELNS1_3repE0EEENS1_30default_config_static_selectorELNS0_4arch9wavefront6targetE0EEEvT1_.private_seg_size, 0
	.set _ZN7rocprim17ROCPRIM_400000_NS6detail17trampoline_kernelINS0_14default_configENS1_25transform_config_selectorIN3c107complexIdEELb1EEEZNS1_14transform_implILb1ES3_S8_PS7_SA_NS0_8identityIS7_EEEE10hipError_tT2_T3_mT4_P12ihipStream_tbEUlT_E_NS1_11comp_targetILNS1_3genE8ELNS1_11target_archE1030ELNS1_3gpuE2ELNS1_3repE0EEENS1_30default_config_static_selectorELNS0_4arch9wavefront6targetE0EEEvT1_.uses_vcc, 0
	.set _ZN7rocprim17ROCPRIM_400000_NS6detail17trampoline_kernelINS0_14default_configENS1_25transform_config_selectorIN3c107complexIdEELb1EEEZNS1_14transform_implILb1ES3_S8_PS7_SA_NS0_8identityIS7_EEEE10hipError_tT2_T3_mT4_P12ihipStream_tbEUlT_E_NS1_11comp_targetILNS1_3genE8ELNS1_11target_archE1030ELNS1_3gpuE2ELNS1_3repE0EEENS1_30default_config_static_selectorELNS0_4arch9wavefront6targetE0EEEvT1_.uses_flat_scratch, 0
	.set _ZN7rocprim17ROCPRIM_400000_NS6detail17trampoline_kernelINS0_14default_configENS1_25transform_config_selectorIN3c107complexIdEELb1EEEZNS1_14transform_implILb1ES3_S8_PS7_SA_NS0_8identityIS7_EEEE10hipError_tT2_T3_mT4_P12ihipStream_tbEUlT_E_NS1_11comp_targetILNS1_3genE8ELNS1_11target_archE1030ELNS1_3gpuE2ELNS1_3repE0EEENS1_30default_config_static_selectorELNS0_4arch9wavefront6targetE0EEEvT1_.has_dyn_sized_stack, 0
	.set _ZN7rocprim17ROCPRIM_400000_NS6detail17trampoline_kernelINS0_14default_configENS1_25transform_config_selectorIN3c107complexIdEELb1EEEZNS1_14transform_implILb1ES3_S8_PS7_SA_NS0_8identityIS7_EEEE10hipError_tT2_T3_mT4_P12ihipStream_tbEUlT_E_NS1_11comp_targetILNS1_3genE8ELNS1_11target_archE1030ELNS1_3gpuE2ELNS1_3repE0EEENS1_30default_config_static_selectorELNS0_4arch9wavefront6targetE0EEEvT1_.has_recursion, 0
	.set _ZN7rocprim17ROCPRIM_400000_NS6detail17trampoline_kernelINS0_14default_configENS1_25transform_config_selectorIN3c107complexIdEELb1EEEZNS1_14transform_implILb1ES3_S8_PS7_SA_NS0_8identityIS7_EEEE10hipError_tT2_T3_mT4_P12ihipStream_tbEUlT_E_NS1_11comp_targetILNS1_3genE8ELNS1_11target_archE1030ELNS1_3gpuE2ELNS1_3repE0EEENS1_30default_config_static_selectorELNS0_4arch9wavefront6targetE0EEEvT1_.has_indirect_call, 0
	.section	.AMDGPU.csdata,"",@progbits
; Kernel info:
; codeLenInByte = 0
; TotalNumSgprs: 0
; NumVgprs: 0
; ScratchSize: 0
; MemoryBound: 0
; FloatMode: 240
; IeeeMode: 1
; LDSByteSize: 0 bytes/workgroup (compile time only)
; SGPRBlocks: 0
; VGPRBlocks: 0
; NumSGPRsForWavesPerEU: 1
; NumVGPRsForWavesPerEU: 1
; Occupancy: 16
; WaveLimiterHint : 0
; COMPUTE_PGM_RSRC2:SCRATCH_EN: 0
; COMPUTE_PGM_RSRC2:USER_SGPR: 2
; COMPUTE_PGM_RSRC2:TRAP_HANDLER: 0
; COMPUTE_PGM_RSRC2:TGID_X_EN: 1
; COMPUTE_PGM_RSRC2:TGID_Y_EN: 0
; COMPUTE_PGM_RSRC2:TGID_Z_EN: 0
; COMPUTE_PGM_RSRC2:TIDIG_COMP_CNT: 0
	.section	.text._ZN7rocprim17ROCPRIM_400000_NS6detail17trampoline_kernelINS0_14default_configENS1_20scan_config_selectorIN3c107complexIdEEEEZZNS1_9scan_implILNS1_25lookback_scan_determinismE0ELb0ELb0ES3_PKS7_PS7_S7_ZZZN2at6native31launch_logcumsumexp_cuda_kernelERKNSE_10TensorBaseESI_lENKUlvE_clEvENKUlvE1_clEvEUlS7_S7_E_S7_EEDaPvRmT3_T4_T5_mT6_P12ihipStream_tbENKUlT_T0_E_clISt17integral_constantIbLb0EESZ_EEDaSU_SV_EUlSU_E0_NS1_11comp_targetILNS1_3genE0ELNS1_11target_archE4294967295ELNS1_3gpuE0ELNS1_3repE0EEENS1_30default_config_static_selectorELNS0_4arch9wavefront6targetE0EEEvT1_,"axG",@progbits,_ZN7rocprim17ROCPRIM_400000_NS6detail17trampoline_kernelINS0_14default_configENS1_20scan_config_selectorIN3c107complexIdEEEEZZNS1_9scan_implILNS1_25lookback_scan_determinismE0ELb0ELb0ES3_PKS7_PS7_S7_ZZZN2at6native31launch_logcumsumexp_cuda_kernelERKNSE_10TensorBaseESI_lENKUlvE_clEvENKUlvE1_clEvEUlS7_S7_E_S7_EEDaPvRmT3_T4_T5_mT6_P12ihipStream_tbENKUlT_T0_E_clISt17integral_constantIbLb0EESZ_EEDaSU_SV_EUlSU_E0_NS1_11comp_targetILNS1_3genE0ELNS1_11target_archE4294967295ELNS1_3gpuE0ELNS1_3repE0EEENS1_30default_config_static_selectorELNS0_4arch9wavefront6targetE0EEEvT1_,comdat
	.globl	_ZN7rocprim17ROCPRIM_400000_NS6detail17trampoline_kernelINS0_14default_configENS1_20scan_config_selectorIN3c107complexIdEEEEZZNS1_9scan_implILNS1_25lookback_scan_determinismE0ELb0ELb0ES3_PKS7_PS7_S7_ZZZN2at6native31launch_logcumsumexp_cuda_kernelERKNSE_10TensorBaseESI_lENKUlvE_clEvENKUlvE1_clEvEUlS7_S7_E_S7_EEDaPvRmT3_T4_T5_mT6_P12ihipStream_tbENKUlT_T0_E_clISt17integral_constantIbLb0EESZ_EEDaSU_SV_EUlSU_E0_NS1_11comp_targetILNS1_3genE0ELNS1_11target_archE4294967295ELNS1_3gpuE0ELNS1_3repE0EEENS1_30default_config_static_selectorELNS0_4arch9wavefront6targetE0EEEvT1_ ; -- Begin function _ZN7rocprim17ROCPRIM_400000_NS6detail17trampoline_kernelINS0_14default_configENS1_20scan_config_selectorIN3c107complexIdEEEEZZNS1_9scan_implILNS1_25lookback_scan_determinismE0ELb0ELb0ES3_PKS7_PS7_S7_ZZZN2at6native31launch_logcumsumexp_cuda_kernelERKNSE_10TensorBaseESI_lENKUlvE_clEvENKUlvE1_clEvEUlS7_S7_E_S7_EEDaPvRmT3_T4_T5_mT6_P12ihipStream_tbENKUlT_T0_E_clISt17integral_constantIbLb0EESZ_EEDaSU_SV_EUlSU_E0_NS1_11comp_targetILNS1_3genE0ELNS1_11target_archE4294967295ELNS1_3gpuE0ELNS1_3repE0EEENS1_30default_config_static_selectorELNS0_4arch9wavefront6targetE0EEEvT1_
	.p2align	8
	.type	_ZN7rocprim17ROCPRIM_400000_NS6detail17trampoline_kernelINS0_14default_configENS1_20scan_config_selectorIN3c107complexIdEEEEZZNS1_9scan_implILNS1_25lookback_scan_determinismE0ELb0ELb0ES3_PKS7_PS7_S7_ZZZN2at6native31launch_logcumsumexp_cuda_kernelERKNSE_10TensorBaseESI_lENKUlvE_clEvENKUlvE1_clEvEUlS7_S7_E_S7_EEDaPvRmT3_T4_T5_mT6_P12ihipStream_tbENKUlT_T0_E_clISt17integral_constantIbLb0EESZ_EEDaSU_SV_EUlSU_E0_NS1_11comp_targetILNS1_3genE0ELNS1_11target_archE4294967295ELNS1_3gpuE0ELNS1_3repE0EEENS1_30default_config_static_selectorELNS0_4arch9wavefront6targetE0EEEvT1_,@function
_ZN7rocprim17ROCPRIM_400000_NS6detail17trampoline_kernelINS0_14default_configENS1_20scan_config_selectorIN3c107complexIdEEEEZZNS1_9scan_implILNS1_25lookback_scan_determinismE0ELb0ELb0ES3_PKS7_PS7_S7_ZZZN2at6native31launch_logcumsumexp_cuda_kernelERKNSE_10TensorBaseESI_lENKUlvE_clEvENKUlvE1_clEvEUlS7_S7_E_S7_EEDaPvRmT3_T4_T5_mT6_P12ihipStream_tbENKUlT_T0_E_clISt17integral_constantIbLb0EESZ_EEDaSU_SV_EUlSU_E0_NS1_11comp_targetILNS1_3genE0ELNS1_11target_archE4294967295ELNS1_3gpuE0ELNS1_3repE0EEENS1_30default_config_static_selectorELNS0_4arch9wavefront6targetE0EEEvT1_: ; @_ZN7rocprim17ROCPRIM_400000_NS6detail17trampoline_kernelINS0_14default_configENS1_20scan_config_selectorIN3c107complexIdEEEEZZNS1_9scan_implILNS1_25lookback_scan_determinismE0ELb0ELb0ES3_PKS7_PS7_S7_ZZZN2at6native31launch_logcumsumexp_cuda_kernelERKNSE_10TensorBaseESI_lENKUlvE_clEvENKUlvE1_clEvEUlS7_S7_E_S7_EEDaPvRmT3_T4_T5_mT6_P12ihipStream_tbENKUlT_T0_E_clISt17integral_constantIbLb0EESZ_EEDaSU_SV_EUlSU_E0_NS1_11comp_targetILNS1_3genE0ELNS1_11target_archE4294967295ELNS1_3gpuE0ELNS1_3repE0EEENS1_30default_config_static_selectorELNS0_4arch9wavefront6targetE0EEEvT1_
; %bb.0:
	.section	.rodata,"a",@progbits
	.p2align	6, 0x0
	.amdhsa_kernel _ZN7rocprim17ROCPRIM_400000_NS6detail17trampoline_kernelINS0_14default_configENS1_20scan_config_selectorIN3c107complexIdEEEEZZNS1_9scan_implILNS1_25lookback_scan_determinismE0ELb0ELb0ES3_PKS7_PS7_S7_ZZZN2at6native31launch_logcumsumexp_cuda_kernelERKNSE_10TensorBaseESI_lENKUlvE_clEvENKUlvE1_clEvEUlS7_S7_E_S7_EEDaPvRmT3_T4_T5_mT6_P12ihipStream_tbENKUlT_T0_E_clISt17integral_constantIbLb0EESZ_EEDaSU_SV_EUlSU_E0_NS1_11comp_targetILNS1_3genE0ELNS1_11target_archE4294967295ELNS1_3gpuE0ELNS1_3repE0EEENS1_30default_config_static_selectorELNS0_4arch9wavefront6targetE0EEEvT1_
		.amdhsa_group_segment_fixed_size 0
		.amdhsa_private_segment_fixed_size 0
		.amdhsa_kernarg_size 48
		.amdhsa_user_sgpr_count 2
		.amdhsa_user_sgpr_dispatch_ptr 0
		.amdhsa_user_sgpr_queue_ptr 0
		.amdhsa_user_sgpr_kernarg_segment_ptr 1
		.amdhsa_user_sgpr_dispatch_id 0
		.amdhsa_user_sgpr_private_segment_size 0
		.amdhsa_wavefront_size32 1
		.amdhsa_uses_dynamic_stack 0
		.amdhsa_enable_private_segment 0
		.amdhsa_system_sgpr_workgroup_id_x 1
		.amdhsa_system_sgpr_workgroup_id_y 0
		.amdhsa_system_sgpr_workgroup_id_z 0
		.amdhsa_system_sgpr_workgroup_info 0
		.amdhsa_system_vgpr_workitem_id 0
		.amdhsa_next_free_vgpr 1
		.amdhsa_next_free_sgpr 1
		.amdhsa_reserve_vcc 0
		.amdhsa_float_round_mode_32 0
		.amdhsa_float_round_mode_16_64 0
		.amdhsa_float_denorm_mode_32 3
		.amdhsa_float_denorm_mode_16_64 3
		.amdhsa_fp16_overflow 0
		.amdhsa_workgroup_processor_mode 1
		.amdhsa_memory_ordered 1
		.amdhsa_forward_progress 1
		.amdhsa_inst_pref_size 0
		.amdhsa_round_robin_scheduling 0
		.amdhsa_exception_fp_ieee_invalid_op 0
		.amdhsa_exception_fp_denorm_src 0
		.amdhsa_exception_fp_ieee_div_zero 0
		.amdhsa_exception_fp_ieee_overflow 0
		.amdhsa_exception_fp_ieee_underflow 0
		.amdhsa_exception_fp_ieee_inexact 0
		.amdhsa_exception_int_div_zero 0
	.end_amdhsa_kernel
	.section	.text._ZN7rocprim17ROCPRIM_400000_NS6detail17trampoline_kernelINS0_14default_configENS1_20scan_config_selectorIN3c107complexIdEEEEZZNS1_9scan_implILNS1_25lookback_scan_determinismE0ELb0ELb0ES3_PKS7_PS7_S7_ZZZN2at6native31launch_logcumsumexp_cuda_kernelERKNSE_10TensorBaseESI_lENKUlvE_clEvENKUlvE1_clEvEUlS7_S7_E_S7_EEDaPvRmT3_T4_T5_mT6_P12ihipStream_tbENKUlT_T0_E_clISt17integral_constantIbLb0EESZ_EEDaSU_SV_EUlSU_E0_NS1_11comp_targetILNS1_3genE0ELNS1_11target_archE4294967295ELNS1_3gpuE0ELNS1_3repE0EEENS1_30default_config_static_selectorELNS0_4arch9wavefront6targetE0EEEvT1_,"axG",@progbits,_ZN7rocprim17ROCPRIM_400000_NS6detail17trampoline_kernelINS0_14default_configENS1_20scan_config_selectorIN3c107complexIdEEEEZZNS1_9scan_implILNS1_25lookback_scan_determinismE0ELb0ELb0ES3_PKS7_PS7_S7_ZZZN2at6native31launch_logcumsumexp_cuda_kernelERKNSE_10TensorBaseESI_lENKUlvE_clEvENKUlvE1_clEvEUlS7_S7_E_S7_EEDaPvRmT3_T4_T5_mT6_P12ihipStream_tbENKUlT_T0_E_clISt17integral_constantIbLb0EESZ_EEDaSU_SV_EUlSU_E0_NS1_11comp_targetILNS1_3genE0ELNS1_11target_archE4294967295ELNS1_3gpuE0ELNS1_3repE0EEENS1_30default_config_static_selectorELNS0_4arch9wavefront6targetE0EEEvT1_,comdat
.Lfunc_end193:
	.size	_ZN7rocprim17ROCPRIM_400000_NS6detail17trampoline_kernelINS0_14default_configENS1_20scan_config_selectorIN3c107complexIdEEEEZZNS1_9scan_implILNS1_25lookback_scan_determinismE0ELb0ELb0ES3_PKS7_PS7_S7_ZZZN2at6native31launch_logcumsumexp_cuda_kernelERKNSE_10TensorBaseESI_lENKUlvE_clEvENKUlvE1_clEvEUlS7_S7_E_S7_EEDaPvRmT3_T4_T5_mT6_P12ihipStream_tbENKUlT_T0_E_clISt17integral_constantIbLb0EESZ_EEDaSU_SV_EUlSU_E0_NS1_11comp_targetILNS1_3genE0ELNS1_11target_archE4294967295ELNS1_3gpuE0ELNS1_3repE0EEENS1_30default_config_static_selectorELNS0_4arch9wavefront6targetE0EEEvT1_, .Lfunc_end193-_ZN7rocprim17ROCPRIM_400000_NS6detail17trampoline_kernelINS0_14default_configENS1_20scan_config_selectorIN3c107complexIdEEEEZZNS1_9scan_implILNS1_25lookback_scan_determinismE0ELb0ELb0ES3_PKS7_PS7_S7_ZZZN2at6native31launch_logcumsumexp_cuda_kernelERKNSE_10TensorBaseESI_lENKUlvE_clEvENKUlvE1_clEvEUlS7_S7_E_S7_EEDaPvRmT3_T4_T5_mT6_P12ihipStream_tbENKUlT_T0_E_clISt17integral_constantIbLb0EESZ_EEDaSU_SV_EUlSU_E0_NS1_11comp_targetILNS1_3genE0ELNS1_11target_archE4294967295ELNS1_3gpuE0ELNS1_3repE0EEENS1_30default_config_static_selectorELNS0_4arch9wavefront6targetE0EEEvT1_
                                        ; -- End function
	.set _ZN7rocprim17ROCPRIM_400000_NS6detail17trampoline_kernelINS0_14default_configENS1_20scan_config_selectorIN3c107complexIdEEEEZZNS1_9scan_implILNS1_25lookback_scan_determinismE0ELb0ELb0ES3_PKS7_PS7_S7_ZZZN2at6native31launch_logcumsumexp_cuda_kernelERKNSE_10TensorBaseESI_lENKUlvE_clEvENKUlvE1_clEvEUlS7_S7_E_S7_EEDaPvRmT3_T4_T5_mT6_P12ihipStream_tbENKUlT_T0_E_clISt17integral_constantIbLb0EESZ_EEDaSU_SV_EUlSU_E0_NS1_11comp_targetILNS1_3genE0ELNS1_11target_archE4294967295ELNS1_3gpuE0ELNS1_3repE0EEENS1_30default_config_static_selectorELNS0_4arch9wavefront6targetE0EEEvT1_.num_vgpr, 0
	.set _ZN7rocprim17ROCPRIM_400000_NS6detail17trampoline_kernelINS0_14default_configENS1_20scan_config_selectorIN3c107complexIdEEEEZZNS1_9scan_implILNS1_25lookback_scan_determinismE0ELb0ELb0ES3_PKS7_PS7_S7_ZZZN2at6native31launch_logcumsumexp_cuda_kernelERKNSE_10TensorBaseESI_lENKUlvE_clEvENKUlvE1_clEvEUlS7_S7_E_S7_EEDaPvRmT3_T4_T5_mT6_P12ihipStream_tbENKUlT_T0_E_clISt17integral_constantIbLb0EESZ_EEDaSU_SV_EUlSU_E0_NS1_11comp_targetILNS1_3genE0ELNS1_11target_archE4294967295ELNS1_3gpuE0ELNS1_3repE0EEENS1_30default_config_static_selectorELNS0_4arch9wavefront6targetE0EEEvT1_.num_agpr, 0
	.set _ZN7rocprim17ROCPRIM_400000_NS6detail17trampoline_kernelINS0_14default_configENS1_20scan_config_selectorIN3c107complexIdEEEEZZNS1_9scan_implILNS1_25lookback_scan_determinismE0ELb0ELb0ES3_PKS7_PS7_S7_ZZZN2at6native31launch_logcumsumexp_cuda_kernelERKNSE_10TensorBaseESI_lENKUlvE_clEvENKUlvE1_clEvEUlS7_S7_E_S7_EEDaPvRmT3_T4_T5_mT6_P12ihipStream_tbENKUlT_T0_E_clISt17integral_constantIbLb0EESZ_EEDaSU_SV_EUlSU_E0_NS1_11comp_targetILNS1_3genE0ELNS1_11target_archE4294967295ELNS1_3gpuE0ELNS1_3repE0EEENS1_30default_config_static_selectorELNS0_4arch9wavefront6targetE0EEEvT1_.numbered_sgpr, 0
	.set _ZN7rocprim17ROCPRIM_400000_NS6detail17trampoline_kernelINS0_14default_configENS1_20scan_config_selectorIN3c107complexIdEEEEZZNS1_9scan_implILNS1_25lookback_scan_determinismE0ELb0ELb0ES3_PKS7_PS7_S7_ZZZN2at6native31launch_logcumsumexp_cuda_kernelERKNSE_10TensorBaseESI_lENKUlvE_clEvENKUlvE1_clEvEUlS7_S7_E_S7_EEDaPvRmT3_T4_T5_mT6_P12ihipStream_tbENKUlT_T0_E_clISt17integral_constantIbLb0EESZ_EEDaSU_SV_EUlSU_E0_NS1_11comp_targetILNS1_3genE0ELNS1_11target_archE4294967295ELNS1_3gpuE0ELNS1_3repE0EEENS1_30default_config_static_selectorELNS0_4arch9wavefront6targetE0EEEvT1_.num_named_barrier, 0
	.set _ZN7rocprim17ROCPRIM_400000_NS6detail17trampoline_kernelINS0_14default_configENS1_20scan_config_selectorIN3c107complexIdEEEEZZNS1_9scan_implILNS1_25lookback_scan_determinismE0ELb0ELb0ES3_PKS7_PS7_S7_ZZZN2at6native31launch_logcumsumexp_cuda_kernelERKNSE_10TensorBaseESI_lENKUlvE_clEvENKUlvE1_clEvEUlS7_S7_E_S7_EEDaPvRmT3_T4_T5_mT6_P12ihipStream_tbENKUlT_T0_E_clISt17integral_constantIbLb0EESZ_EEDaSU_SV_EUlSU_E0_NS1_11comp_targetILNS1_3genE0ELNS1_11target_archE4294967295ELNS1_3gpuE0ELNS1_3repE0EEENS1_30default_config_static_selectorELNS0_4arch9wavefront6targetE0EEEvT1_.private_seg_size, 0
	.set _ZN7rocprim17ROCPRIM_400000_NS6detail17trampoline_kernelINS0_14default_configENS1_20scan_config_selectorIN3c107complexIdEEEEZZNS1_9scan_implILNS1_25lookback_scan_determinismE0ELb0ELb0ES3_PKS7_PS7_S7_ZZZN2at6native31launch_logcumsumexp_cuda_kernelERKNSE_10TensorBaseESI_lENKUlvE_clEvENKUlvE1_clEvEUlS7_S7_E_S7_EEDaPvRmT3_T4_T5_mT6_P12ihipStream_tbENKUlT_T0_E_clISt17integral_constantIbLb0EESZ_EEDaSU_SV_EUlSU_E0_NS1_11comp_targetILNS1_3genE0ELNS1_11target_archE4294967295ELNS1_3gpuE0ELNS1_3repE0EEENS1_30default_config_static_selectorELNS0_4arch9wavefront6targetE0EEEvT1_.uses_vcc, 0
	.set _ZN7rocprim17ROCPRIM_400000_NS6detail17trampoline_kernelINS0_14default_configENS1_20scan_config_selectorIN3c107complexIdEEEEZZNS1_9scan_implILNS1_25lookback_scan_determinismE0ELb0ELb0ES3_PKS7_PS7_S7_ZZZN2at6native31launch_logcumsumexp_cuda_kernelERKNSE_10TensorBaseESI_lENKUlvE_clEvENKUlvE1_clEvEUlS7_S7_E_S7_EEDaPvRmT3_T4_T5_mT6_P12ihipStream_tbENKUlT_T0_E_clISt17integral_constantIbLb0EESZ_EEDaSU_SV_EUlSU_E0_NS1_11comp_targetILNS1_3genE0ELNS1_11target_archE4294967295ELNS1_3gpuE0ELNS1_3repE0EEENS1_30default_config_static_selectorELNS0_4arch9wavefront6targetE0EEEvT1_.uses_flat_scratch, 0
	.set _ZN7rocprim17ROCPRIM_400000_NS6detail17trampoline_kernelINS0_14default_configENS1_20scan_config_selectorIN3c107complexIdEEEEZZNS1_9scan_implILNS1_25lookback_scan_determinismE0ELb0ELb0ES3_PKS7_PS7_S7_ZZZN2at6native31launch_logcumsumexp_cuda_kernelERKNSE_10TensorBaseESI_lENKUlvE_clEvENKUlvE1_clEvEUlS7_S7_E_S7_EEDaPvRmT3_T4_T5_mT6_P12ihipStream_tbENKUlT_T0_E_clISt17integral_constantIbLb0EESZ_EEDaSU_SV_EUlSU_E0_NS1_11comp_targetILNS1_3genE0ELNS1_11target_archE4294967295ELNS1_3gpuE0ELNS1_3repE0EEENS1_30default_config_static_selectorELNS0_4arch9wavefront6targetE0EEEvT1_.has_dyn_sized_stack, 0
	.set _ZN7rocprim17ROCPRIM_400000_NS6detail17trampoline_kernelINS0_14default_configENS1_20scan_config_selectorIN3c107complexIdEEEEZZNS1_9scan_implILNS1_25lookback_scan_determinismE0ELb0ELb0ES3_PKS7_PS7_S7_ZZZN2at6native31launch_logcumsumexp_cuda_kernelERKNSE_10TensorBaseESI_lENKUlvE_clEvENKUlvE1_clEvEUlS7_S7_E_S7_EEDaPvRmT3_T4_T5_mT6_P12ihipStream_tbENKUlT_T0_E_clISt17integral_constantIbLb0EESZ_EEDaSU_SV_EUlSU_E0_NS1_11comp_targetILNS1_3genE0ELNS1_11target_archE4294967295ELNS1_3gpuE0ELNS1_3repE0EEENS1_30default_config_static_selectorELNS0_4arch9wavefront6targetE0EEEvT1_.has_recursion, 0
	.set _ZN7rocprim17ROCPRIM_400000_NS6detail17trampoline_kernelINS0_14default_configENS1_20scan_config_selectorIN3c107complexIdEEEEZZNS1_9scan_implILNS1_25lookback_scan_determinismE0ELb0ELb0ES3_PKS7_PS7_S7_ZZZN2at6native31launch_logcumsumexp_cuda_kernelERKNSE_10TensorBaseESI_lENKUlvE_clEvENKUlvE1_clEvEUlS7_S7_E_S7_EEDaPvRmT3_T4_T5_mT6_P12ihipStream_tbENKUlT_T0_E_clISt17integral_constantIbLb0EESZ_EEDaSU_SV_EUlSU_E0_NS1_11comp_targetILNS1_3genE0ELNS1_11target_archE4294967295ELNS1_3gpuE0ELNS1_3repE0EEENS1_30default_config_static_selectorELNS0_4arch9wavefront6targetE0EEEvT1_.has_indirect_call, 0
	.section	.AMDGPU.csdata,"",@progbits
; Kernel info:
; codeLenInByte = 0
; TotalNumSgprs: 0
; NumVgprs: 0
; ScratchSize: 0
; MemoryBound: 0
; FloatMode: 240
; IeeeMode: 1
; LDSByteSize: 0 bytes/workgroup (compile time only)
; SGPRBlocks: 0
; VGPRBlocks: 0
; NumSGPRsForWavesPerEU: 1
; NumVGPRsForWavesPerEU: 1
; Occupancy: 16
; WaveLimiterHint : 0
; COMPUTE_PGM_RSRC2:SCRATCH_EN: 0
; COMPUTE_PGM_RSRC2:USER_SGPR: 2
; COMPUTE_PGM_RSRC2:TRAP_HANDLER: 0
; COMPUTE_PGM_RSRC2:TGID_X_EN: 1
; COMPUTE_PGM_RSRC2:TGID_Y_EN: 0
; COMPUTE_PGM_RSRC2:TGID_Z_EN: 0
; COMPUTE_PGM_RSRC2:TIDIG_COMP_CNT: 0
	.section	.text._ZN7rocprim17ROCPRIM_400000_NS6detail17trampoline_kernelINS0_14default_configENS1_20scan_config_selectorIN3c107complexIdEEEEZZNS1_9scan_implILNS1_25lookback_scan_determinismE0ELb0ELb0ES3_PKS7_PS7_S7_ZZZN2at6native31launch_logcumsumexp_cuda_kernelERKNSE_10TensorBaseESI_lENKUlvE_clEvENKUlvE1_clEvEUlS7_S7_E_S7_EEDaPvRmT3_T4_T5_mT6_P12ihipStream_tbENKUlT_T0_E_clISt17integral_constantIbLb0EESZ_EEDaSU_SV_EUlSU_E0_NS1_11comp_targetILNS1_3genE5ELNS1_11target_archE942ELNS1_3gpuE9ELNS1_3repE0EEENS1_30default_config_static_selectorELNS0_4arch9wavefront6targetE0EEEvT1_,"axG",@progbits,_ZN7rocprim17ROCPRIM_400000_NS6detail17trampoline_kernelINS0_14default_configENS1_20scan_config_selectorIN3c107complexIdEEEEZZNS1_9scan_implILNS1_25lookback_scan_determinismE0ELb0ELb0ES3_PKS7_PS7_S7_ZZZN2at6native31launch_logcumsumexp_cuda_kernelERKNSE_10TensorBaseESI_lENKUlvE_clEvENKUlvE1_clEvEUlS7_S7_E_S7_EEDaPvRmT3_T4_T5_mT6_P12ihipStream_tbENKUlT_T0_E_clISt17integral_constantIbLb0EESZ_EEDaSU_SV_EUlSU_E0_NS1_11comp_targetILNS1_3genE5ELNS1_11target_archE942ELNS1_3gpuE9ELNS1_3repE0EEENS1_30default_config_static_selectorELNS0_4arch9wavefront6targetE0EEEvT1_,comdat
	.globl	_ZN7rocprim17ROCPRIM_400000_NS6detail17trampoline_kernelINS0_14default_configENS1_20scan_config_selectorIN3c107complexIdEEEEZZNS1_9scan_implILNS1_25lookback_scan_determinismE0ELb0ELb0ES3_PKS7_PS7_S7_ZZZN2at6native31launch_logcumsumexp_cuda_kernelERKNSE_10TensorBaseESI_lENKUlvE_clEvENKUlvE1_clEvEUlS7_S7_E_S7_EEDaPvRmT3_T4_T5_mT6_P12ihipStream_tbENKUlT_T0_E_clISt17integral_constantIbLb0EESZ_EEDaSU_SV_EUlSU_E0_NS1_11comp_targetILNS1_3genE5ELNS1_11target_archE942ELNS1_3gpuE9ELNS1_3repE0EEENS1_30default_config_static_selectorELNS0_4arch9wavefront6targetE0EEEvT1_ ; -- Begin function _ZN7rocprim17ROCPRIM_400000_NS6detail17trampoline_kernelINS0_14default_configENS1_20scan_config_selectorIN3c107complexIdEEEEZZNS1_9scan_implILNS1_25lookback_scan_determinismE0ELb0ELb0ES3_PKS7_PS7_S7_ZZZN2at6native31launch_logcumsumexp_cuda_kernelERKNSE_10TensorBaseESI_lENKUlvE_clEvENKUlvE1_clEvEUlS7_S7_E_S7_EEDaPvRmT3_T4_T5_mT6_P12ihipStream_tbENKUlT_T0_E_clISt17integral_constantIbLb0EESZ_EEDaSU_SV_EUlSU_E0_NS1_11comp_targetILNS1_3genE5ELNS1_11target_archE942ELNS1_3gpuE9ELNS1_3repE0EEENS1_30default_config_static_selectorELNS0_4arch9wavefront6targetE0EEEvT1_
	.p2align	8
	.type	_ZN7rocprim17ROCPRIM_400000_NS6detail17trampoline_kernelINS0_14default_configENS1_20scan_config_selectorIN3c107complexIdEEEEZZNS1_9scan_implILNS1_25lookback_scan_determinismE0ELb0ELb0ES3_PKS7_PS7_S7_ZZZN2at6native31launch_logcumsumexp_cuda_kernelERKNSE_10TensorBaseESI_lENKUlvE_clEvENKUlvE1_clEvEUlS7_S7_E_S7_EEDaPvRmT3_T4_T5_mT6_P12ihipStream_tbENKUlT_T0_E_clISt17integral_constantIbLb0EESZ_EEDaSU_SV_EUlSU_E0_NS1_11comp_targetILNS1_3genE5ELNS1_11target_archE942ELNS1_3gpuE9ELNS1_3repE0EEENS1_30default_config_static_selectorELNS0_4arch9wavefront6targetE0EEEvT1_,@function
_ZN7rocprim17ROCPRIM_400000_NS6detail17trampoline_kernelINS0_14default_configENS1_20scan_config_selectorIN3c107complexIdEEEEZZNS1_9scan_implILNS1_25lookback_scan_determinismE0ELb0ELb0ES3_PKS7_PS7_S7_ZZZN2at6native31launch_logcumsumexp_cuda_kernelERKNSE_10TensorBaseESI_lENKUlvE_clEvENKUlvE1_clEvEUlS7_S7_E_S7_EEDaPvRmT3_T4_T5_mT6_P12ihipStream_tbENKUlT_T0_E_clISt17integral_constantIbLb0EESZ_EEDaSU_SV_EUlSU_E0_NS1_11comp_targetILNS1_3genE5ELNS1_11target_archE942ELNS1_3gpuE9ELNS1_3repE0EEENS1_30default_config_static_selectorELNS0_4arch9wavefront6targetE0EEEvT1_: ; @_ZN7rocprim17ROCPRIM_400000_NS6detail17trampoline_kernelINS0_14default_configENS1_20scan_config_selectorIN3c107complexIdEEEEZZNS1_9scan_implILNS1_25lookback_scan_determinismE0ELb0ELb0ES3_PKS7_PS7_S7_ZZZN2at6native31launch_logcumsumexp_cuda_kernelERKNSE_10TensorBaseESI_lENKUlvE_clEvENKUlvE1_clEvEUlS7_S7_E_S7_EEDaPvRmT3_T4_T5_mT6_P12ihipStream_tbENKUlT_T0_E_clISt17integral_constantIbLb0EESZ_EEDaSU_SV_EUlSU_E0_NS1_11comp_targetILNS1_3genE5ELNS1_11target_archE942ELNS1_3gpuE9ELNS1_3repE0EEENS1_30default_config_static_selectorELNS0_4arch9wavefront6targetE0EEEvT1_
; %bb.0:
	.section	.rodata,"a",@progbits
	.p2align	6, 0x0
	.amdhsa_kernel _ZN7rocprim17ROCPRIM_400000_NS6detail17trampoline_kernelINS0_14default_configENS1_20scan_config_selectorIN3c107complexIdEEEEZZNS1_9scan_implILNS1_25lookback_scan_determinismE0ELb0ELb0ES3_PKS7_PS7_S7_ZZZN2at6native31launch_logcumsumexp_cuda_kernelERKNSE_10TensorBaseESI_lENKUlvE_clEvENKUlvE1_clEvEUlS7_S7_E_S7_EEDaPvRmT3_T4_T5_mT6_P12ihipStream_tbENKUlT_T0_E_clISt17integral_constantIbLb0EESZ_EEDaSU_SV_EUlSU_E0_NS1_11comp_targetILNS1_3genE5ELNS1_11target_archE942ELNS1_3gpuE9ELNS1_3repE0EEENS1_30default_config_static_selectorELNS0_4arch9wavefront6targetE0EEEvT1_
		.amdhsa_group_segment_fixed_size 0
		.amdhsa_private_segment_fixed_size 0
		.amdhsa_kernarg_size 48
		.amdhsa_user_sgpr_count 2
		.amdhsa_user_sgpr_dispatch_ptr 0
		.amdhsa_user_sgpr_queue_ptr 0
		.amdhsa_user_sgpr_kernarg_segment_ptr 1
		.amdhsa_user_sgpr_dispatch_id 0
		.amdhsa_user_sgpr_private_segment_size 0
		.amdhsa_wavefront_size32 1
		.amdhsa_uses_dynamic_stack 0
		.amdhsa_enable_private_segment 0
		.amdhsa_system_sgpr_workgroup_id_x 1
		.amdhsa_system_sgpr_workgroup_id_y 0
		.amdhsa_system_sgpr_workgroup_id_z 0
		.amdhsa_system_sgpr_workgroup_info 0
		.amdhsa_system_vgpr_workitem_id 0
		.amdhsa_next_free_vgpr 1
		.amdhsa_next_free_sgpr 1
		.amdhsa_reserve_vcc 0
		.amdhsa_float_round_mode_32 0
		.amdhsa_float_round_mode_16_64 0
		.amdhsa_float_denorm_mode_32 3
		.amdhsa_float_denorm_mode_16_64 3
		.amdhsa_fp16_overflow 0
		.amdhsa_workgroup_processor_mode 1
		.amdhsa_memory_ordered 1
		.amdhsa_forward_progress 1
		.amdhsa_inst_pref_size 0
		.amdhsa_round_robin_scheduling 0
		.amdhsa_exception_fp_ieee_invalid_op 0
		.amdhsa_exception_fp_denorm_src 0
		.amdhsa_exception_fp_ieee_div_zero 0
		.amdhsa_exception_fp_ieee_overflow 0
		.amdhsa_exception_fp_ieee_underflow 0
		.amdhsa_exception_fp_ieee_inexact 0
		.amdhsa_exception_int_div_zero 0
	.end_amdhsa_kernel
	.section	.text._ZN7rocprim17ROCPRIM_400000_NS6detail17trampoline_kernelINS0_14default_configENS1_20scan_config_selectorIN3c107complexIdEEEEZZNS1_9scan_implILNS1_25lookback_scan_determinismE0ELb0ELb0ES3_PKS7_PS7_S7_ZZZN2at6native31launch_logcumsumexp_cuda_kernelERKNSE_10TensorBaseESI_lENKUlvE_clEvENKUlvE1_clEvEUlS7_S7_E_S7_EEDaPvRmT3_T4_T5_mT6_P12ihipStream_tbENKUlT_T0_E_clISt17integral_constantIbLb0EESZ_EEDaSU_SV_EUlSU_E0_NS1_11comp_targetILNS1_3genE5ELNS1_11target_archE942ELNS1_3gpuE9ELNS1_3repE0EEENS1_30default_config_static_selectorELNS0_4arch9wavefront6targetE0EEEvT1_,"axG",@progbits,_ZN7rocprim17ROCPRIM_400000_NS6detail17trampoline_kernelINS0_14default_configENS1_20scan_config_selectorIN3c107complexIdEEEEZZNS1_9scan_implILNS1_25lookback_scan_determinismE0ELb0ELb0ES3_PKS7_PS7_S7_ZZZN2at6native31launch_logcumsumexp_cuda_kernelERKNSE_10TensorBaseESI_lENKUlvE_clEvENKUlvE1_clEvEUlS7_S7_E_S7_EEDaPvRmT3_T4_T5_mT6_P12ihipStream_tbENKUlT_T0_E_clISt17integral_constantIbLb0EESZ_EEDaSU_SV_EUlSU_E0_NS1_11comp_targetILNS1_3genE5ELNS1_11target_archE942ELNS1_3gpuE9ELNS1_3repE0EEENS1_30default_config_static_selectorELNS0_4arch9wavefront6targetE0EEEvT1_,comdat
.Lfunc_end194:
	.size	_ZN7rocprim17ROCPRIM_400000_NS6detail17trampoline_kernelINS0_14default_configENS1_20scan_config_selectorIN3c107complexIdEEEEZZNS1_9scan_implILNS1_25lookback_scan_determinismE0ELb0ELb0ES3_PKS7_PS7_S7_ZZZN2at6native31launch_logcumsumexp_cuda_kernelERKNSE_10TensorBaseESI_lENKUlvE_clEvENKUlvE1_clEvEUlS7_S7_E_S7_EEDaPvRmT3_T4_T5_mT6_P12ihipStream_tbENKUlT_T0_E_clISt17integral_constantIbLb0EESZ_EEDaSU_SV_EUlSU_E0_NS1_11comp_targetILNS1_3genE5ELNS1_11target_archE942ELNS1_3gpuE9ELNS1_3repE0EEENS1_30default_config_static_selectorELNS0_4arch9wavefront6targetE0EEEvT1_, .Lfunc_end194-_ZN7rocprim17ROCPRIM_400000_NS6detail17trampoline_kernelINS0_14default_configENS1_20scan_config_selectorIN3c107complexIdEEEEZZNS1_9scan_implILNS1_25lookback_scan_determinismE0ELb0ELb0ES3_PKS7_PS7_S7_ZZZN2at6native31launch_logcumsumexp_cuda_kernelERKNSE_10TensorBaseESI_lENKUlvE_clEvENKUlvE1_clEvEUlS7_S7_E_S7_EEDaPvRmT3_T4_T5_mT6_P12ihipStream_tbENKUlT_T0_E_clISt17integral_constantIbLb0EESZ_EEDaSU_SV_EUlSU_E0_NS1_11comp_targetILNS1_3genE5ELNS1_11target_archE942ELNS1_3gpuE9ELNS1_3repE0EEENS1_30default_config_static_selectorELNS0_4arch9wavefront6targetE0EEEvT1_
                                        ; -- End function
	.set _ZN7rocprim17ROCPRIM_400000_NS6detail17trampoline_kernelINS0_14default_configENS1_20scan_config_selectorIN3c107complexIdEEEEZZNS1_9scan_implILNS1_25lookback_scan_determinismE0ELb0ELb0ES3_PKS7_PS7_S7_ZZZN2at6native31launch_logcumsumexp_cuda_kernelERKNSE_10TensorBaseESI_lENKUlvE_clEvENKUlvE1_clEvEUlS7_S7_E_S7_EEDaPvRmT3_T4_T5_mT6_P12ihipStream_tbENKUlT_T0_E_clISt17integral_constantIbLb0EESZ_EEDaSU_SV_EUlSU_E0_NS1_11comp_targetILNS1_3genE5ELNS1_11target_archE942ELNS1_3gpuE9ELNS1_3repE0EEENS1_30default_config_static_selectorELNS0_4arch9wavefront6targetE0EEEvT1_.num_vgpr, 0
	.set _ZN7rocprim17ROCPRIM_400000_NS6detail17trampoline_kernelINS0_14default_configENS1_20scan_config_selectorIN3c107complexIdEEEEZZNS1_9scan_implILNS1_25lookback_scan_determinismE0ELb0ELb0ES3_PKS7_PS7_S7_ZZZN2at6native31launch_logcumsumexp_cuda_kernelERKNSE_10TensorBaseESI_lENKUlvE_clEvENKUlvE1_clEvEUlS7_S7_E_S7_EEDaPvRmT3_T4_T5_mT6_P12ihipStream_tbENKUlT_T0_E_clISt17integral_constantIbLb0EESZ_EEDaSU_SV_EUlSU_E0_NS1_11comp_targetILNS1_3genE5ELNS1_11target_archE942ELNS1_3gpuE9ELNS1_3repE0EEENS1_30default_config_static_selectorELNS0_4arch9wavefront6targetE0EEEvT1_.num_agpr, 0
	.set _ZN7rocprim17ROCPRIM_400000_NS6detail17trampoline_kernelINS0_14default_configENS1_20scan_config_selectorIN3c107complexIdEEEEZZNS1_9scan_implILNS1_25lookback_scan_determinismE0ELb0ELb0ES3_PKS7_PS7_S7_ZZZN2at6native31launch_logcumsumexp_cuda_kernelERKNSE_10TensorBaseESI_lENKUlvE_clEvENKUlvE1_clEvEUlS7_S7_E_S7_EEDaPvRmT3_T4_T5_mT6_P12ihipStream_tbENKUlT_T0_E_clISt17integral_constantIbLb0EESZ_EEDaSU_SV_EUlSU_E0_NS1_11comp_targetILNS1_3genE5ELNS1_11target_archE942ELNS1_3gpuE9ELNS1_3repE0EEENS1_30default_config_static_selectorELNS0_4arch9wavefront6targetE0EEEvT1_.numbered_sgpr, 0
	.set _ZN7rocprim17ROCPRIM_400000_NS6detail17trampoline_kernelINS0_14default_configENS1_20scan_config_selectorIN3c107complexIdEEEEZZNS1_9scan_implILNS1_25lookback_scan_determinismE0ELb0ELb0ES3_PKS7_PS7_S7_ZZZN2at6native31launch_logcumsumexp_cuda_kernelERKNSE_10TensorBaseESI_lENKUlvE_clEvENKUlvE1_clEvEUlS7_S7_E_S7_EEDaPvRmT3_T4_T5_mT6_P12ihipStream_tbENKUlT_T0_E_clISt17integral_constantIbLb0EESZ_EEDaSU_SV_EUlSU_E0_NS1_11comp_targetILNS1_3genE5ELNS1_11target_archE942ELNS1_3gpuE9ELNS1_3repE0EEENS1_30default_config_static_selectorELNS0_4arch9wavefront6targetE0EEEvT1_.num_named_barrier, 0
	.set _ZN7rocprim17ROCPRIM_400000_NS6detail17trampoline_kernelINS0_14default_configENS1_20scan_config_selectorIN3c107complexIdEEEEZZNS1_9scan_implILNS1_25lookback_scan_determinismE0ELb0ELb0ES3_PKS7_PS7_S7_ZZZN2at6native31launch_logcumsumexp_cuda_kernelERKNSE_10TensorBaseESI_lENKUlvE_clEvENKUlvE1_clEvEUlS7_S7_E_S7_EEDaPvRmT3_T4_T5_mT6_P12ihipStream_tbENKUlT_T0_E_clISt17integral_constantIbLb0EESZ_EEDaSU_SV_EUlSU_E0_NS1_11comp_targetILNS1_3genE5ELNS1_11target_archE942ELNS1_3gpuE9ELNS1_3repE0EEENS1_30default_config_static_selectorELNS0_4arch9wavefront6targetE0EEEvT1_.private_seg_size, 0
	.set _ZN7rocprim17ROCPRIM_400000_NS6detail17trampoline_kernelINS0_14default_configENS1_20scan_config_selectorIN3c107complexIdEEEEZZNS1_9scan_implILNS1_25lookback_scan_determinismE0ELb0ELb0ES3_PKS7_PS7_S7_ZZZN2at6native31launch_logcumsumexp_cuda_kernelERKNSE_10TensorBaseESI_lENKUlvE_clEvENKUlvE1_clEvEUlS7_S7_E_S7_EEDaPvRmT3_T4_T5_mT6_P12ihipStream_tbENKUlT_T0_E_clISt17integral_constantIbLb0EESZ_EEDaSU_SV_EUlSU_E0_NS1_11comp_targetILNS1_3genE5ELNS1_11target_archE942ELNS1_3gpuE9ELNS1_3repE0EEENS1_30default_config_static_selectorELNS0_4arch9wavefront6targetE0EEEvT1_.uses_vcc, 0
	.set _ZN7rocprim17ROCPRIM_400000_NS6detail17trampoline_kernelINS0_14default_configENS1_20scan_config_selectorIN3c107complexIdEEEEZZNS1_9scan_implILNS1_25lookback_scan_determinismE0ELb0ELb0ES3_PKS7_PS7_S7_ZZZN2at6native31launch_logcumsumexp_cuda_kernelERKNSE_10TensorBaseESI_lENKUlvE_clEvENKUlvE1_clEvEUlS7_S7_E_S7_EEDaPvRmT3_T4_T5_mT6_P12ihipStream_tbENKUlT_T0_E_clISt17integral_constantIbLb0EESZ_EEDaSU_SV_EUlSU_E0_NS1_11comp_targetILNS1_3genE5ELNS1_11target_archE942ELNS1_3gpuE9ELNS1_3repE0EEENS1_30default_config_static_selectorELNS0_4arch9wavefront6targetE0EEEvT1_.uses_flat_scratch, 0
	.set _ZN7rocprim17ROCPRIM_400000_NS6detail17trampoline_kernelINS0_14default_configENS1_20scan_config_selectorIN3c107complexIdEEEEZZNS1_9scan_implILNS1_25lookback_scan_determinismE0ELb0ELb0ES3_PKS7_PS7_S7_ZZZN2at6native31launch_logcumsumexp_cuda_kernelERKNSE_10TensorBaseESI_lENKUlvE_clEvENKUlvE1_clEvEUlS7_S7_E_S7_EEDaPvRmT3_T4_T5_mT6_P12ihipStream_tbENKUlT_T0_E_clISt17integral_constantIbLb0EESZ_EEDaSU_SV_EUlSU_E0_NS1_11comp_targetILNS1_3genE5ELNS1_11target_archE942ELNS1_3gpuE9ELNS1_3repE0EEENS1_30default_config_static_selectorELNS0_4arch9wavefront6targetE0EEEvT1_.has_dyn_sized_stack, 0
	.set _ZN7rocprim17ROCPRIM_400000_NS6detail17trampoline_kernelINS0_14default_configENS1_20scan_config_selectorIN3c107complexIdEEEEZZNS1_9scan_implILNS1_25lookback_scan_determinismE0ELb0ELb0ES3_PKS7_PS7_S7_ZZZN2at6native31launch_logcumsumexp_cuda_kernelERKNSE_10TensorBaseESI_lENKUlvE_clEvENKUlvE1_clEvEUlS7_S7_E_S7_EEDaPvRmT3_T4_T5_mT6_P12ihipStream_tbENKUlT_T0_E_clISt17integral_constantIbLb0EESZ_EEDaSU_SV_EUlSU_E0_NS1_11comp_targetILNS1_3genE5ELNS1_11target_archE942ELNS1_3gpuE9ELNS1_3repE0EEENS1_30default_config_static_selectorELNS0_4arch9wavefront6targetE0EEEvT1_.has_recursion, 0
	.set _ZN7rocprim17ROCPRIM_400000_NS6detail17trampoline_kernelINS0_14default_configENS1_20scan_config_selectorIN3c107complexIdEEEEZZNS1_9scan_implILNS1_25lookback_scan_determinismE0ELb0ELb0ES3_PKS7_PS7_S7_ZZZN2at6native31launch_logcumsumexp_cuda_kernelERKNSE_10TensorBaseESI_lENKUlvE_clEvENKUlvE1_clEvEUlS7_S7_E_S7_EEDaPvRmT3_T4_T5_mT6_P12ihipStream_tbENKUlT_T0_E_clISt17integral_constantIbLb0EESZ_EEDaSU_SV_EUlSU_E0_NS1_11comp_targetILNS1_3genE5ELNS1_11target_archE942ELNS1_3gpuE9ELNS1_3repE0EEENS1_30default_config_static_selectorELNS0_4arch9wavefront6targetE0EEEvT1_.has_indirect_call, 0
	.section	.AMDGPU.csdata,"",@progbits
; Kernel info:
; codeLenInByte = 0
; TotalNumSgprs: 0
; NumVgprs: 0
; ScratchSize: 0
; MemoryBound: 0
; FloatMode: 240
; IeeeMode: 1
; LDSByteSize: 0 bytes/workgroup (compile time only)
; SGPRBlocks: 0
; VGPRBlocks: 0
; NumSGPRsForWavesPerEU: 1
; NumVGPRsForWavesPerEU: 1
; Occupancy: 16
; WaveLimiterHint : 0
; COMPUTE_PGM_RSRC2:SCRATCH_EN: 0
; COMPUTE_PGM_RSRC2:USER_SGPR: 2
; COMPUTE_PGM_RSRC2:TRAP_HANDLER: 0
; COMPUTE_PGM_RSRC2:TGID_X_EN: 1
; COMPUTE_PGM_RSRC2:TGID_Y_EN: 0
; COMPUTE_PGM_RSRC2:TGID_Z_EN: 0
; COMPUTE_PGM_RSRC2:TIDIG_COMP_CNT: 0
	.section	.text._ZN7rocprim17ROCPRIM_400000_NS6detail17trampoline_kernelINS0_14default_configENS1_20scan_config_selectorIN3c107complexIdEEEEZZNS1_9scan_implILNS1_25lookback_scan_determinismE0ELb0ELb0ES3_PKS7_PS7_S7_ZZZN2at6native31launch_logcumsumexp_cuda_kernelERKNSE_10TensorBaseESI_lENKUlvE_clEvENKUlvE1_clEvEUlS7_S7_E_S7_EEDaPvRmT3_T4_T5_mT6_P12ihipStream_tbENKUlT_T0_E_clISt17integral_constantIbLb0EESZ_EEDaSU_SV_EUlSU_E0_NS1_11comp_targetILNS1_3genE4ELNS1_11target_archE910ELNS1_3gpuE8ELNS1_3repE0EEENS1_30default_config_static_selectorELNS0_4arch9wavefront6targetE0EEEvT1_,"axG",@progbits,_ZN7rocprim17ROCPRIM_400000_NS6detail17trampoline_kernelINS0_14default_configENS1_20scan_config_selectorIN3c107complexIdEEEEZZNS1_9scan_implILNS1_25lookback_scan_determinismE0ELb0ELb0ES3_PKS7_PS7_S7_ZZZN2at6native31launch_logcumsumexp_cuda_kernelERKNSE_10TensorBaseESI_lENKUlvE_clEvENKUlvE1_clEvEUlS7_S7_E_S7_EEDaPvRmT3_T4_T5_mT6_P12ihipStream_tbENKUlT_T0_E_clISt17integral_constantIbLb0EESZ_EEDaSU_SV_EUlSU_E0_NS1_11comp_targetILNS1_3genE4ELNS1_11target_archE910ELNS1_3gpuE8ELNS1_3repE0EEENS1_30default_config_static_selectorELNS0_4arch9wavefront6targetE0EEEvT1_,comdat
	.globl	_ZN7rocprim17ROCPRIM_400000_NS6detail17trampoline_kernelINS0_14default_configENS1_20scan_config_selectorIN3c107complexIdEEEEZZNS1_9scan_implILNS1_25lookback_scan_determinismE0ELb0ELb0ES3_PKS7_PS7_S7_ZZZN2at6native31launch_logcumsumexp_cuda_kernelERKNSE_10TensorBaseESI_lENKUlvE_clEvENKUlvE1_clEvEUlS7_S7_E_S7_EEDaPvRmT3_T4_T5_mT6_P12ihipStream_tbENKUlT_T0_E_clISt17integral_constantIbLb0EESZ_EEDaSU_SV_EUlSU_E0_NS1_11comp_targetILNS1_3genE4ELNS1_11target_archE910ELNS1_3gpuE8ELNS1_3repE0EEENS1_30default_config_static_selectorELNS0_4arch9wavefront6targetE0EEEvT1_ ; -- Begin function _ZN7rocprim17ROCPRIM_400000_NS6detail17trampoline_kernelINS0_14default_configENS1_20scan_config_selectorIN3c107complexIdEEEEZZNS1_9scan_implILNS1_25lookback_scan_determinismE0ELb0ELb0ES3_PKS7_PS7_S7_ZZZN2at6native31launch_logcumsumexp_cuda_kernelERKNSE_10TensorBaseESI_lENKUlvE_clEvENKUlvE1_clEvEUlS7_S7_E_S7_EEDaPvRmT3_T4_T5_mT6_P12ihipStream_tbENKUlT_T0_E_clISt17integral_constantIbLb0EESZ_EEDaSU_SV_EUlSU_E0_NS1_11comp_targetILNS1_3genE4ELNS1_11target_archE910ELNS1_3gpuE8ELNS1_3repE0EEENS1_30default_config_static_selectorELNS0_4arch9wavefront6targetE0EEEvT1_
	.p2align	8
	.type	_ZN7rocprim17ROCPRIM_400000_NS6detail17trampoline_kernelINS0_14default_configENS1_20scan_config_selectorIN3c107complexIdEEEEZZNS1_9scan_implILNS1_25lookback_scan_determinismE0ELb0ELb0ES3_PKS7_PS7_S7_ZZZN2at6native31launch_logcumsumexp_cuda_kernelERKNSE_10TensorBaseESI_lENKUlvE_clEvENKUlvE1_clEvEUlS7_S7_E_S7_EEDaPvRmT3_T4_T5_mT6_P12ihipStream_tbENKUlT_T0_E_clISt17integral_constantIbLb0EESZ_EEDaSU_SV_EUlSU_E0_NS1_11comp_targetILNS1_3genE4ELNS1_11target_archE910ELNS1_3gpuE8ELNS1_3repE0EEENS1_30default_config_static_selectorELNS0_4arch9wavefront6targetE0EEEvT1_,@function
_ZN7rocprim17ROCPRIM_400000_NS6detail17trampoline_kernelINS0_14default_configENS1_20scan_config_selectorIN3c107complexIdEEEEZZNS1_9scan_implILNS1_25lookback_scan_determinismE0ELb0ELb0ES3_PKS7_PS7_S7_ZZZN2at6native31launch_logcumsumexp_cuda_kernelERKNSE_10TensorBaseESI_lENKUlvE_clEvENKUlvE1_clEvEUlS7_S7_E_S7_EEDaPvRmT3_T4_T5_mT6_P12ihipStream_tbENKUlT_T0_E_clISt17integral_constantIbLb0EESZ_EEDaSU_SV_EUlSU_E0_NS1_11comp_targetILNS1_3genE4ELNS1_11target_archE910ELNS1_3gpuE8ELNS1_3repE0EEENS1_30default_config_static_selectorELNS0_4arch9wavefront6targetE0EEEvT1_: ; @_ZN7rocprim17ROCPRIM_400000_NS6detail17trampoline_kernelINS0_14default_configENS1_20scan_config_selectorIN3c107complexIdEEEEZZNS1_9scan_implILNS1_25lookback_scan_determinismE0ELb0ELb0ES3_PKS7_PS7_S7_ZZZN2at6native31launch_logcumsumexp_cuda_kernelERKNSE_10TensorBaseESI_lENKUlvE_clEvENKUlvE1_clEvEUlS7_S7_E_S7_EEDaPvRmT3_T4_T5_mT6_P12ihipStream_tbENKUlT_T0_E_clISt17integral_constantIbLb0EESZ_EEDaSU_SV_EUlSU_E0_NS1_11comp_targetILNS1_3genE4ELNS1_11target_archE910ELNS1_3gpuE8ELNS1_3repE0EEENS1_30default_config_static_selectorELNS0_4arch9wavefront6targetE0EEEvT1_
; %bb.0:
	.section	.rodata,"a",@progbits
	.p2align	6, 0x0
	.amdhsa_kernel _ZN7rocprim17ROCPRIM_400000_NS6detail17trampoline_kernelINS0_14default_configENS1_20scan_config_selectorIN3c107complexIdEEEEZZNS1_9scan_implILNS1_25lookback_scan_determinismE0ELb0ELb0ES3_PKS7_PS7_S7_ZZZN2at6native31launch_logcumsumexp_cuda_kernelERKNSE_10TensorBaseESI_lENKUlvE_clEvENKUlvE1_clEvEUlS7_S7_E_S7_EEDaPvRmT3_T4_T5_mT6_P12ihipStream_tbENKUlT_T0_E_clISt17integral_constantIbLb0EESZ_EEDaSU_SV_EUlSU_E0_NS1_11comp_targetILNS1_3genE4ELNS1_11target_archE910ELNS1_3gpuE8ELNS1_3repE0EEENS1_30default_config_static_selectorELNS0_4arch9wavefront6targetE0EEEvT1_
		.amdhsa_group_segment_fixed_size 0
		.amdhsa_private_segment_fixed_size 0
		.amdhsa_kernarg_size 48
		.amdhsa_user_sgpr_count 2
		.amdhsa_user_sgpr_dispatch_ptr 0
		.amdhsa_user_sgpr_queue_ptr 0
		.amdhsa_user_sgpr_kernarg_segment_ptr 1
		.amdhsa_user_sgpr_dispatch_id 0
		.amdhsa_user_sgpr_private_segment_size 0
		.amdhsa_wavefront_size32 1
		.amdhsa_uses_dynamic_stack 0
		.amdhsa_enable_private_segment 0
		.amdhsa_system_sgpr_workgroup_id_x 1
		.amdhsa_system_sgpr_workgroup_id_y 0
		.amdhsa_system_sgpr_workgroup_id_z 0
		.amdhsa_system_sgpr_workgroup_info 0
		.amdhsa_system_vgpr_workitem_id 0
		.amdhsa_next_free_vgpr 1
		.amdhsa_next_free_sgpr 1
		.amdhsa_reserve_vcc 0
		.amdhsa_float_round_mode_32 0
		.amdhsa_float_round_mode_16_64 0
		.amdhsa_float_denorm_mode_32 3
		.amdhsa_float_denorm_mode_16_64 3
		.amdhsa_fp16_overflow 0
		.amdhsa_workgroup_processor_mode 1
		.amdhsa_memory_ordered 1
		.amdhsa_forward_progress 1
		.amdhsa_inst_pref_size 0
		.amdhsa_round_robin_scheduling 0
		.amdhsa_exception_fp_ieee_invalid_op 0
		.amdhsa_exception_fp_denorm_src 0
		.amdhsa_exception_fp_ieee_div_zero 0
		.amdhsa_exception_fp_ieee_overflow 0
		.amdhsa_exception_fp_ieee_underflow 0
		.amdhsa_exception_fp_ieee_inexact 0
		.amdhsa_exception_int_div_zero 0
	.end_amdhsa_kernel
	.section	.text._ZN7rocprim17ROCPRIM_400000_NS6detail17trampoline_kernelINS0_14default_configENS1_20scan_config_selectorIN3c107complexIdEEEEZZNS1_9scan_implILNS1_25lookback_scan_determinismE0ELb0ELb0ES3_PKS7_PS7_S7_ZZZN2at6native31launch_logcumsumexp_cuda_kernelERKNSE_10TensorBaseESI_lENKUlvE_clEvENKUlvE1_clEvEUlS7_S7_E_S7_EEDaPvRmT3_T4_T5_mT6_P12ihipStream_tbENKUlT_T0_E_clISt17integral_constantIbLb0EESZ_EEDaSU_SV_EUlSU_E0_NS1_11comp_targetILNS1_3genE4ELNS1_11target_archE910ELNS1_3gpuE8ELNS1_3repE0EEENS1_30default_config_static_selectorELNS0_4arch9wavefront6targetE0EEEvT1_,"axG",@progbits,_ZN7rocprim17ROCPRIM_400000_NS6detail17trampoline_kernelINS0_14default_configENS1_20scan_config_selectorIN3c107complexIdEEEEZZNS1_9scan_implILNS1_25lookback_scan_determinismE0ELb0ELb0ES3_PKS7_PS7_S7_ZZZN2at6native31launch_logcumsumexp_cuda_kernelERKNSE_10TensorBaseESI_lENKUlvE_clEvENKUlvE1_clEvEUlS7_S7_E_S7_EEDaPvRmT3_T4_T5_mT6_P12ihipStream_tbENKUlT_T0_E_clISt17integral_constantIbLb0EESZ_EEDaSU_SV_EUlSU_E0_NS1_11comp_targetILNS1_3genE4ELNS1_11target_archE910ELNS1_3gpuE8ELNS1_3repE0EEENS1_30default_config_static_selectorELNS0_4arch9wavefront6targetE0EEEvT1_,comdat
.Lfunc_end195:
	.size	_ZN7rocprim17ROCPRIM_400000_NS6detail17trampoline_kernelINS0_14default_configENS1_20scan_config_selectorIN3c107complexIdEEEEZZNS1_9scan_implILNS1_25lookback_scan_determinismE0ELb0ELb0ES3_PKS7_PS7_S7_ZZZN2at6native31launch_logcumsumexp_cuda_kernelERKNSE_10TensorBaseESI_lENKUlvE_clEvENKUlvE1_clEvEUlS7_S7_E_S7_EEDaPvRmT3_T4_T5_mT6_P12ihipStream_tbENKUlT_T0_E_clISt17integral_constantIbLb0EESZ_EEDaSU_SV_EUlSU_E0_NS1_11comp_targetILNS1_3genE4ELNS1_11target_archE910ELNS1_3gpuE8ELNS1_3repE0EEENS1_30default_config_static_selectorELNS0_4arch9wavefront6targetE0EEEvT1_, .Lfunc_end195-_ZN7rocprim17ROCPRIM_400000_NS6detail17trampoline_kernelINS0_14default_configENS1_20scan_config_selectorIN3c107complexIdEEEEZZNS1_9scan_implILNS1_25lookback_scan_determinismE0ELb0ELb0ES3_PKS7_PS7_S7_ZZZN2at6native31launch_logcumsumexp_cuda_kernelERKNSE_10TensorBaseESI_lENKUlvE_clEvENKUlvE1_clEvEUlS7_S7_E_S7_EEDaPvRmT3_T4_T5_mT6_P12ihipStream_tbENKUlT_T0_E_clISt17integral_constantIbLb0EESZ_EEDaSU_SV_EUlSU_E0_NS1_11comp_targetILNS1_3genE4ELNS1_11target_archE910ELNS1_3gpuE8ELNS1_3repE0EEENS1_30default_config_static_selectorELNS0_4arch9wavefront6targetE0EEEvT1_
                                        ; -- End function
	.set _ZN7rocprim17ROCPRIM_400000_NS6detail17trampoline_kernelINS0_14default_configENS1_20scan_config_selectorIN3c107complexIdEEEEZZNS1_9scan_implILNS1_25lookback_scan_determinismE0ELb0ELb0ES3_PKS7_PS7_S7_ZZZN2at6native31launch_logcumsumexp_cuda_kernelERKNSE_10TensorBaseESI_lENKUlvE_clEvENKUlvE1_clEvEUlS7_S7_E_S7_EEDaPvRmT3_T4_T5_mT6_P12ihipStream_tbENKUlT_T0_E_clISt17integral_constantIbLb0EESZ_EEDaSU_SV_EUlSU_E0_NS1_11comp_targetILNS1_3genE4ELNS1_11target_archE910ELNS1_3gpuE8ELNS1_3repE0EEENS1_30default_config_static_selectorELNS0_4arch9wavefront6targetE0EEEvT1_.num_vgpr, 0
	.set _ZN7rocprim17ROCPRIM_400000_NS6detail17trampoline_kernelINS0_14default_configENS1_20scan_config_selectorIN3c107complexIdEEEEZZNS1_9scan_implILNS1_25lookback_scan_determinismE0ELb0ELb0ES3_PKS7_PS7_S7_ZZZN2at6native31launch_logcumsumexp_cuda_kernelERKNSE_10TensorBaseESI_lENKUlvE_clEvENKUlvE1_clEvEUlS7_S7_E_S7_EEDaPvRmT3_T4_T5_mT6_P12ihipStream_tbENKUlT_T0_E_clISt17integral_constantIbLb0EESZ_EEDaSU_SV_EUlSU_E0_NS1_11comp_targetILNS1_3genE4ELNS1_11target_archE910ELNS1_3gpuE8ELNS1_3repE0EEENS1_30default_config_static_selectorELNS0_4arch9wavefront6targetE0EEEvT1_.num_agpr, 0
	.set _ZN7rocprim17ROCPRIM_400000_NS6detail17trampoline_kernelINS0_14default_configENS1_20scan_config_selectorIN3c107complexIdEEEEZZNS1_9scan_implILNS1_25lookback_scan_determinismE0ELb0ELb0ES3_PKS7_PS7_S7_ZZZN2at6native31launch_logcumsumexp_cuda_kernelERKNSE_10TensorBaseESI_lENKUlvE_clEvENKUlvE1_clEvEUlS7_S7_E_S7_EEDaPvRmT3_T4_T5_mT6_P12ihipStream_tbENKUlT_T0_E_clISt17integral_constantIbLb0EESZ_EEDaSU_SV_EUlSU_E0_NS1_11comp_targetILNS1_3genE4ELNS1_11target_archE910ELNS1_3gpuE8ELNS1_3repE0EEENS1_30default_config_static_selectorELNS0_4arch9wavefront6targetE0EEEvT1_.numbered_sgpr, 0
	.set _ZN7rocprim17ROCPRIM_400000_NS6detail17trampoline_kernelINS0_14default_configENS1_20scan_config_selectorIN3c107complexIdEEEEZZNS1_9scan_implILNS1_25lookback_scan_determinismE0ELb0ELb0ES3_PKS7_PS7_S7_ZZZN2at6native31launch_logcumsumexp_cuda_kernelERKNSE_10TensorBaseESI_lENKUlvE_clEvENKUlvE1_clEvEUlS7_S7_E_S7_EEDaPvRmT3_T4_T5_mT6_P12ihipStream_tbENKUlT_T0_E_clISt17integral_constantIbLb0EESZ_EEDaSU_SV_EUlSU_E0_NS1_11comp_targetILNS1_3genE4ELNS1_11target_archE910ELNS1_3gpuE8ELNS1_3repE0EEENS1_30default_config_static_selectorELNS0_4arch9wavefront6targetE0EEEvT1_.num_named_barrier, 0
	.set _ZN7rocprim17ROCPRIM_400000_NS6detail17trampoline_kernelINS0_14default_configENS1_20scan_config_selectorIN3c107complexIdEEEEZZNS1_9scan_implILNS1_25lookback_scan_determinismE0ELb0ELb0ES3_PKS7_PS7_S7_ZZZN2at6native31launch_logcumsumexp_cuda_kernelERKNSE_10TensorBaseESI_lENKUlvE_clEvENKUlvE1_clEvEUlS7_S7_E_S7_EEDaPvRmT3_T4_T5_mT6_P12ihipStream_tbENKUlT_T0_E_clISt17integral_constantIbLb0EESZ_EEDaSU_SV_EUlSU_E0_NS1_11comp_targetILNS1_3genE4ELNS1_11target_archE910ELNS1_3gpuE8ELNS1_3repE0EEENS1_30default_config_static_selectorELNS0_4arch9wavefront6targetE0EEEvT1_.private_seg_size, 0
	.set _ZN7rocprim17ROCPRIM_400000_NS6detail17trampoline_kernelINS0_14default_configENS1_20scan_config_selectorIN3c107complexIdEEEEZZNS1_9scan_implILNS1_25lookback_scan_determinismE0ELb0ELb0ES3_PKS7_PS7_S7_ZZZN2at6native31launch_logcumsumexp_cuda_kernelERKNSE_10TensorBaseESI_lENKUlvE_clEvENKUlvE1_clEvEUlS7_S7_E_S7_EEDaPvRmT3_T4_T5_mT6_P12ihipStream_tbENKUlT_T0_E_clISt17integral_constantIbLb0EESZ_EEDaSU_SV_EUlSU_E0_NS1_11comp_targetILNS1_3genE4ELNS1_11target_archE910ELNS1_3gpuE8ELNS1_3repE0EEENS1_30default_config_static_selectorELNS0_4arch9wavefront6targetE0EEEvT1_.uses_vcc, 0
	.set _ZN7rocprim17ROCPRIM_400000_NS6detail17trampoline_kernelINS0_14default_configENS1_20scan_config_selectorIN3c107complexIdEEEEZZNS1_9scan_implILNS1_25lookback_scan_determinismE0ELb0ELb0ES3_PKS7_PS7_S7_ZZZN2at6native31launch_logcumsumexp_cuda_kernelERKNSE_10TensorBaseESI_lENKUlvE_clEvENKUlvE1_clEvEUlS7_S7_E_S7_EEDaPvRmT3_T4_T5_mT6_P12ihipStream_tbENKUlT_T0_E_clISt17integral_constantIbLb0EESZ_EEDaSU_SV_EUlSU_E0_NS1_11comp_targetILNS1_3genE4ELNS1_11target_archE910ELNS1_3gpuE8ELNS1_3repE0EEENS1_30default_config_static_selectorELNS0_4arch9wavefront6targetE0EEEvT1_.uses_flat_scratch, 0
	.set _ZN7rocprim17ROCPRIM_400000_NS6detail17trampoline_kernelINS0_14default_configENS1_20scan_config_selectorIN3c107complexIdEEEEZZNS1_9scan_implILNS1_25lookback_scan_determinismE0ELb0ELb0ES3_PKS7_PS7_S7_ZZZN2at6native31launch_logcumsumexp_cuda_kernelERKNSE_10TensorBaseESI_lENKUlvE_clEvENKUlvE1_clEvEUlS7_S7_E_S7_EEDaPvRmT3_T4_T5_mT6_P12ihipStream_tbENKUlT_T0_E_clISt17integral_constantIbLb0EESZ_EEDaSU_SV_EUlSU_E0_NS1_11comp_targetILNS1_3genE4ELNS1_11target_archE910ELNS1_3gpuE8ELNS1_3repE0EEENS1_30default_config_static_selectorELNS0_4arch9wavefront6targetE0EEEvT1_.has_dyn_sized_stack, 0
	.set _ZN7rocprim17ROCPRIM_400000_NS6detail17trampoline_kernelINS0_14default_configENS1_20scan_config_selectorIN3c107complexIdEEEEZZNS1_9scan_implILNS1_25lookback_scan_determinismE0ELb0ELb0ES3_PKS7_PS7_S7_ZZZN2at6native31launch_logcumsumexp_cuda_kernelERKNSE_10TensorBaseESI_lENKUlvE_clEvENKUlvE1_clEvEUlS7_S7_E_S7_EEDaPvRmT3_T4_T5_mT6_P12ihipStream_tbENKUlT_T0_E_clISt17integral_constantIbLb0EESZ_EEDaSU_SV_EUlSU_E0_NS1_11comp_targetILNS1_3genE4ELNS1_11target_archE910ELNS1_3gpuE8ELNS1_3repE0EEENS1_30default_config_static_selectorELNS0_4arch9wavefront6targetE0EEEvT1_.has_recursion, 0
	.set _ZN7rocprim17ROCPRIM_400000_NS6detail17trampoline_kernelINS0_14default_configENS1_20scan_config_selectorIN3c107complexIdEEEEZZNS1_9scan_implILNS1_25lookback_scan_determinismE0ELb0ELb0ES3_PKS7_PS7_S7_ZZZN2at6native31launch_logcumsumexp_cuda_kernelERKNSE_10TensorBaseESI_lENKUlvE_clEvENKUlvE1_clEvEUlS7_S7_E_S7_EEDaPvRmT3_T4_T5_mT6_P12ihipStream_tbENKUlT_T0_E_clISt17integral_constantIbLb0EESZ_EEDaSU_SV_EUlSU_E0_NS1_11comp_targetILNS1_3genE4ELNS1_11target_archE910ELNS1_3gpuE8ELNS1_3repE0EEENS1_30default_config_static_selectorELNS0_4arch9wavefront6targetE0EEEvT1_.has_indirect_call, 0
	.section	.AMDGPU.csdata,"",@progbits
; Kernel info:
; codeLenInByte = 0
; TotalNumSgprs: 0
; NumVgprs: 0
; ScratchSize: 0
; MemoryBound: 0
; FloatMode: 240
; IeeeMode: 1
; LDSByteSize: 0 bytes/workgroup (compile time only)
; SGPRBlocks: 0
; VGPRBlocks: 0
; NumSGPRsForWavesPerEU: 1
; NumVGPRsForWavesPerEU: 1
; Occupancy: 16
; WaveLimiterHint : 0
; COMPUTE_PGM_RSRC2:SCRATCH_EN: 0
; COMPUTE_PGM_RSRC2:USER_SGPR: 2
; COMPUTE_PGM_RSRC2:TRAP_HANDLER: 0
; COMPUTE_PGM_RSRC2:TGID_X_EN: 1
; COMPUTE_PGM_RSRC2:TGID_Y_EN: 0
; COMPUTE_PGM_RSRC2:TGID_Z_EN: 0
; COMPUTE_PGM_RSRC2:TIDIG_COMP_CNT: 0
	.section	.text._ZN7rocprim17ROCPRIM_400000_NS6detail17trampoline_kernelINS0_14default_configENS1_20scan_config_selectorIN3c107complexIdEEEEZZNS1_9scan_implILNS1_25lookback_scan_determinismE0ELb0ELb0ES3_PKS7_PS7_S7_ZZZN2at6native31launch_logcumsumexp_cuda_kernelERKNSE_10TensorBaseESI_lENKUlvE_clEvENKUlvE1_clEvEUlS7_S7_E_S7_EEDaPvRmT3_T4_T5_mT6_P12ihipStream_tbENKUlT_T0_E_clISt17integral_constantIbLb0EESZ_EEDaSU_SV_EUlSU_E0_NS1_11comp_targetILNS1_3genE3ELNS1_11target_archE908ELNS1_3gpuE7ELNS1_3repE0EEENS1_30default_config_static_selectorELNS0_4arch9wavefront6targetE0EEEvT1_,"axG",@progbits,_ZN7rocprim17ROCPRIM_400000_NS6detail17trampoline_kernelINS0_14default_configENS1_20scan_config_selectorIN3c107complexIdEEEEZZNS1_9scan_implILNS1_25lookback_scan_determinismE0ELb0ELb0ES3_PKS7_PS7_S7_ZZZN2at6native31launch_logcumsumexp_cuda_kernelERKNSE_10TensorBaseESI_lENKUlvE_clEvENKUlvE1_clEvEUlS7_S7_E_S7_EEDaPvRmT3_T4_T5_mT6_P12ihipStream_tbENKUlT_T0_E_clISt17integral_constantIbLb0EESZ_EEDaSU_SV_EUlSU_E0_NS1_11comp_targetILNS1_3genE3ELNS1_11target_archE908ELNS1_3gpuE7ELNS1_3repE0EEENS1_30default_config_static_selectorELNS0_4arch9wavefront6targetE0EEEvT1_,comdat
	.globl	_ZN7rocprim17ROCPRIM_400000_NS6detail17trampoline_kernelINS0_14default_configENS1_20scan_config_selectorIN3c107complexIdEEEEZZNS1_9scan_implILNS1_25lookback_scan_determinismE0ELb0ELb0ES3_PKS7_PS7_S7_ZZZN2at6native31launch_logcumsumexp_cuda_kernelERKNSE_10TensorBaseESI_lENKUlvE_clEvENKUlvE1_clEvEUlS7_S7_E_S7_EEDaPvRmT3_T4_T5_mT6_P12ihipStream_tbENKUlT_T0_E_clISt17integral_constantIbLb0EESZ_EEDaSU_SV_EUlSU_E0_NS1_11comp_targetILNS1_3genE3ELNS1_11target_archE908ELNS1_3gpuE7ELNS1_3repE0EEENS1_30default_config_static_selectorELNS0_4arch9wavefront6targetE0EEEvT1_ ; -- Begin function _ZN7rocprim17ROCPRIM_400000_NS6detail17trampoline_kernelINS0_14default_configENS1_20scan_config_selectorIN3c107complexIdEEEEZZNS1_9scan_implILNS1_25lookback_scan_determinismE0ELb0ELb0ES3_PKS7_PS7_S7_ZZZN2at6native31launch_logcumsumexp_cuda_kernelERKNSE_10TensorBaseESI_lENKUlvE_clEvENKUlvE1_clEvEUlS7_S7_E_S7_EEDaPvRmT3_T4_T5_mT6_P12ihipStream_tbENKUlT_T0_E_clISt17integral_constantIbLb0EESZ_EEDaSU_SV_EUlSU_E0_NS1_11comp_targetILNS1_3genE3ELNS1_11target_archE908ELNS1_3gpuE7ELNS1_3repE0EEENS1_30default_config_static_selectorELNS0_4arch9wavefront6targetE0EEEvT1_
	.p2align	8
	.type	_ZN7rocprim17ROCPRIM_400000_NS6detail17trampoline_kernelINS0_14default_configENS1_20scan_config_selectorIN3c107complexIdEEEEZZNS1_9scan_implILNS1_25lookback_scan_determinismE0ELb0ELb0ES3_PKS7_PS7_S7_ZZZN2at6native31launch_logcumsumexp_cuda_kernelERKNSE_10TensorBaseESI_lENKUlvE_clEvENKUlvE1_clEvEUlS7_S7_E_S7_EEDaPvRmT3_T4_T5_mT6_P12ihipStream_tbENKUlT_T0_E_clISt17integral_constantIbLb0EESZ_EEDaSU_SV_EUlSU_E0_NS1_11comp_targetILNS1_3genE3ELNS1_11target_archE908ELNS1_3gpuE7ELNS1_3repE0EEENS1_30default_config_static_selectorELNS0_4arch9wavefront6targetE0EEEvT1_,@function
_ZN7rocprim17ROCPRIM_400000_NS6detail17trampoline_kernelINS0_14default_configENS1_20scan_config_selectorIN3c107complexIdEEEEZZNS1_9scan_implILNS1_25lookback_scan_determinismE0ELb0ELb0ES3_PKS7_PS7_S7_ZZZN2at6native31launch_logcumsumexp_cuda_kernelERKNSE_10TensorBaseESI_lENKUlvE_clEvENKUlvE1_clEvEUlS7_S7_E_S7_EEDaPvRmT3_T4_T5_mT6_P12ihipStream_tbENKUlT_T0_E_clISt17integral_constantIbLb0EESZ_EEDaSU_SV_EUlSU_E0_NS1_11comp_targetILNS1_3genE3ELNS1_11target_archE908ELNS1_3gpuE7ELNS1_3repE0EEENS1_30default_config_static_selectorELNS0_4arch9wavefront6targetE0EEEvT1_: ; @_ZN7rocprim17ROCPRIM_400000_NS6detail17trampoline_kernelINS0_14default_configENS1_20scan_config_selectorIN3c107complexIdEEEEZZNS1_9scan_implILNS1_25lookback_scan_determinismE0ELb0ELb0ES3_PKS7_PS7_S7_ZZZN2at6native31launch_logcumsumexp_cuda_kernelERKNSE_10TensorBaseESI_lENKUlvE_clEvENKUlvE1_clEvEUlS7_S7_E_S7_EEDaPvRmT3_T4_T5_mT6_P12ihipStream_tbENKUlT_T0_E_clISt17integral_constantIbLb0EESZ_EEDaSU_SV_EUlSU_E0_NS1_11comp_targetILNS1_3genE3ELNS1_11target_archE908ELNS1_3gpuE7ELNS1_3repE0EEENS1_30default_config_static_selectorELNS0_4arch9wavefront6targetE0EEEvT1_
; %bb.0:
	.section	.rodata,"a",@progbits
	.p2align	6, 0x0
	.amdhsa_kernel _ZN7rocprim17ROCPRIM_400000_NS6detail17trampoline_kernelINS0_14default_configENS1_20scan_config_selectorIN3c107complexIdEEEEZZNS1_9scan_implILNS1_25lookback_scan_determinismE0ELb0ELb0ES3_PKS7_PS7_S7_ZZZN2at6native31launch_logcumsumexp_cuda_kernelERKNSE_10TensorBaseESI_lENKUlvE_clEvENKUlvE1_clEvEUlS7_S7_E_S7_EEDaPvRmT3_T4_T5_mT6_P12ihipStream_tbENKUlT_T0_E_clISt17integral_constantIbLb0EESZ_EEDaSU_SV_EUlSU_E0_NS1_11comp_targetILNS1_3genE3ELNS1_11target_archE908ELNS1_3gpuE7ELNS1_3repE0EEENS1_30default_config_static_selectorELNS0_4arch9wavefront6targetE0EEEvT1_
		.amdhsa_group_segment_fixed_size 0
		.amdhsa_private_segment_fixed_size 0
		.amdhsa_kernarg_size 48
		.amdhsa_user_sgpr_count 2
		.amdhsa_user_sgpr_dispatch_ptr 0
		.amdhsa_user_sgpr_queue_ptr 0
		.amdhsa_user_sgpr_kernarg_segment_ptr 1
		.amdhsa_user_sgpr_dispatch_id 0
		.amdhsa_user_sgpr_private_segment_size 0
		.amdhsa_wavefront_size32 1
		.amdhsa_uses_dynamic_stack 0
		.amdhsa_enable_private_segment 0
		.amdhsa_system_sgpr_workgroup_id_x 1
		.amdhsa_system_sgpr_workgroup_id_y 0
		.amdhsa_system_sgpr_workgroup_id_z 0
		.amdhsa_system_sgpr_workgroup_info 0
		.amdhsa_system_vgpr_workitem_id 0
		.amdhsa_next_free_vgpr 1
		.amdhsa_next_free_sgpr 1
		.amdhsa_reserve_vcc 0
		.amdhsa_float_round_mode_32 0
		.amdhsa_float_round_mode_16_64 0
		.amdhsa_float_denorm_mode_32 3
		.amdhsa_float_denorm_mode_16_64 3
		.amdhsa_fp16_overflow 0
		.amdhsa_workgroup_processor_mode 1
		.amdhsa_memory_ordered 1
		.amdhsa_forward_progress 1
		.amdhsa_inst_pref_size 0
		.amdhsa_round_robin_scheduling 0
		.amdhsa_exception_fp_ieee_invalid_op 0
		.amdhsa_exception_fp_denorm_src 0
		.amdhsa_exception_fp_ieee_div_zero 0
		.amdhsa_exception_fp_ieee_overflow 0
		.amdhsa_exception_fp_ieee_underflow 0
		.amdhsa_exception_fp_ieee_inexact 0
		.amdhsa_exception_int_div_zero 0
	.end_amdhsa_kernel
	.section	.text._ZN7rocprim17ROCPRIM_400000_NS6detail17trampoline_kernelINS0_14default_configENS1_20scan_config_selectorIN3c107complexIdEEEEZZNS1_9scan_implILNS1_25lookback_scan_determinismE0ELb0ELb0ES3_PKS7_PS7_S7_ZZZN2at6native31launch_logcumsumexp_cuda_kernelERKNSE_10TensorBaseESI_lENKUlvE_clEvENKUlvE1_clEvEUlS7_S7_E_S7_EEDaPvRmT3_T4_T5_mT6_P12ihipStream_tbENKUlT_T0_E_clISt17integral_constantIbLb0EESZ_EEDaSU_SV_EUlSU_E0_NS1_11comp_targetILNS1_3genE3ELNS1_11target_archE908ELNS1_3gpuE7ELNS1_3repE0EEENS1_30default_config_static_selectorELNS0_4arch9wavefront6targetE0EEEvT1_,"axG",@progbits,_ZN7rocprim17ROCPRIM_400000_NS6detail17trampoline_kernelINS0_14default_configENS1_20scan_config_selectorIN3c107complexIdEEEEZZNS1_9scan_implILNS1_25lookback_scan_determinismE0ELb0ELb0ES3_PKS7_PS7_S7_ZZZN2at6native31launch_logcumsumexp_cuda_kernelERKNSE_10TensorBaseESI_lENKUlvE_clEvENKUlvE1_clEvEUlS7_S7_E_S7_EEDaPvRmT3_T4_T5_mT6_P12ihipStream_tbENKUlT_T0_E_clISt17integral_constantIbLb0EESZ_EEDaSU_SV_EUlSU_E0_NS1_11comp_targetILNS1_3genE3ELNS1_11target_archE908ELNS1_3gpuE7ELNS1_3repE0EEENS1_30default_config_static_selectorELNS0_4arch9wavefront6targetE0EEEvT1_,comdat
.Lfunc_end196:
	.size	_ZN7rocprim17ROCPRIM_400000_NS6detail17trampoline_kernelINS0_14default_configENS1_20scan_config_selectorIN3c107complexIdEEEEZZNS1_9scan_implILNS1_25lookback_scan_determinismE0ELb0ELb0ES3_PKS7_PS7_S7_ZZZN2at6native31launch_logcumsumexp_cuda_kernelERKNSE_10TensorBaseESI_lENKUlvE_clEvENKUlvE1_clEvEUlS7_S7_E_S7_EEDaPvRmT3_T4_T5_mT6_P12ihipStream_tbENKUlT_T0_E_clISt17integral_constantIbLb0EESZ_EEDaSU_SV_EUlSU_E0_NS1_11comp_targetILNS1_3genE3ELNS1_11target_archE908ELNS1_3gpuE7ELNS1_3repE0EEENS1_30default_config_static_selectorELNS0_4arch9wavefront6targetE0EEEvT1_, .Lfunc_end196-_ZN7rocprim17ROCPRIM_400000_NS6detail17trampoline_kernelINS0_14default_configENS1_20scan_config_selectorIN3c107complexIdEEEEZZNS1_9scan_implILNS1_25lookback_scan_determinismE0ELb0ELb0ES3_PKS7_PS7_S7_ZZZN2at6native31launch_logcumsumexp_cuda_kernelERKNSE_10TensorBaseESI_lENKUlvE_clEvENKUlvE1_clEvEUlS7_S7_E_S7_EEDaPvRmT3_T4_T5_mT6_P12ihipStream_tbENKUlT_T0_E_clISt17integral_constantIbLb0EESZ_EEDaSU_SV_EUlSU_E0_NS1_11comp_targetILNS1_3genE3ELNS1_11target_archE908ELNS1_3gpuE7ELNS1_3repE0EEENS1_30default_config_static_selectorELNS0_4arch9wavefront6targetE0EEEvT1_
                                        ; -- End function
	.set _ZN7rocprim17ROCPRIM_400000_NS6detail17trampoline_kernelINS0_14default_configENS1_20scan_config_selectorIN3c107complexIdEEEEZZNS1_9scan_implILNS1_25lookback_scan_determinismE0ELb0ELb0ES3_PKS7_PS7_S7_ZZZN2at6native31launch_logcumsumexp_cuda_kernelERKNSE_10TensorBaseESI_lENKUlvE_clEvENKUlvE1_clEvEUlS7_S7_E_S7_EEDaPvRmT3_T4_T5_mT6_P12ihipStream_tbENKUlT_T0_E_clISt17integral_constantIbLb0EESZ_EEDaSU_SV_EUlSU_E0_NS1_11comp_targetILNS1_3genE3ELNS1_11target_archE908ELNS1_3gpuE7ELNS1_3repE0EEENS1_30default_config_static_selectorELNS0_4arch9wavefront6targetE0EEEvT1_.num_vgpr, 0
	.set _ZN7rocprim17ROCPRIM_400000_NS6detail17trampoline_kernelINS0_14default_configENS1_20scan_config_selectorIN3c107complexIdEEEEZZNS1_9scan_implILNS1_25lookback_scan_determinismE0ELb0ELb0ES3_PKS7_PS7_S7_ZZZN2at6native31launch_logcumsumexp_cuda_kernelERKNSE_10TensorBaseESI_lENKUlvE_clEvENKUlvE1_clEvEUlS7_S7_E_S7_EEDaPvRmT3_T4_T5_mT6_P12ihipStream_tbENKUlT_T0_E_clISt17integral_constantIbLb0EESZ_EEDaSU_SV_EUlSU_E0_NS1_11comp_targetILNS1_3genE3ELNS1_11target_archE908ELNS1_3gpuE7ELNS1_3repE0EEENS1_30default_config_static_selectorELNS0_4arch9wavefront6targetE0EEEvT1_.num_agpr, 0
	.set _ZN7rocprim17ROCPRIM_400000_NS6detail17trampoline_kernelINS0_14default_configENS1_20scan_config_selectorIN3c107complexIdEEEEZZNS1_9scan_implILNS1_25lookback_scan_determinismE0ELb0ELb0ES3_PKS7_PS7_S7_ZZZN2at6native31launch_logcumsumexp_cuda_kernelERKNSE_10TensorBaseESI_lENKUlvE_clEvENKUlvE1_clEvEUlS7_S7_E_S7_EEDaPvRmT3_T4_T5_mT6_P12ihipStream_tbENKUlT_T0_E_clISt17integral_constantIbLb0EESZ_EEDaSU_SV_EUlSU_E0_NS1_11comp_targetILNS1_3genE3ELNS1_11target_archE908ELNS1_3gpuE7ELNS1_3repE0EEENS1_30default_config_static_selectorELNS0_4arch9wavefront6targetE0EEEvT1_.numbered_sgpr, 0
	.set _ZN7rocprim17ROCPRIM_400000_NS6detail17trampoline_kernelINS0_14default_configENS1_20scan_config_selectorIN3c107complexIdEEEEZZNS1_9scan_implILNS1_25lookback_scan_determinismE0ELb0ELb0ES3_PKS7_PS7_S7_ZZZN2at6native31launch_logcumsumexp_cuda_kernelERKNSE_10TensorBaseESI_lENKUlvE_clEvENKUlvE1_clEvEUlS7_S7_E_S7_EEDaPvRmT3_T4_T5_mT6_P12ihipStream_tbENKUlT_T0_E_clISt17integral_constantIbLb0EESZ_EEDaSU_SV_EUlSU_E0_NS1_11comp_targetILNS1_3genE3ELNS1_11target_archE908ELNS1_3gpuE7ELNS1_3repE0EEENS1_30default_config_static_selectorELNS0_4arch9wavefront6targetE0EEEvT1_.num_named_barrier, 0
	.set _ZN7rocprim17ROCPRIM_400000_NS6detail17trampoline_kernelINS0_14default_configENS1_20scan_config_selectorIN3c107complexIdEEEEZZNS1_9scan_implILNS1_25lookback_scan_determinismE0ELb0ELb0ES3_PKS7_PS7_S7_ZZZN2at6native31launch_logcumsumexp_cuda_kernelERKNSE_10TensorBaseESI_lENKUlvE_clEvENKUlvE1_clEvEUlS7_S7_E_S7_EEDaPvRmT3_T4_T5_mT6_P12ihipStream_tbENKUlT_T0_E_clISt17integral_constantIbLb0EESZ_EEDaSU_SV_EUlSU_E0_NS1_11comp_targetILNS1_3genE3ELNS1_11target_archE908ELNS1_3gpuE7ELNS1_3repE0EEENS1_30default_config_static_selectorELNS0_4arch9wavefront6targetE0EEEvT1_.private_seg_size, 0
	.set _ZN7rocprim17ROCPRIM_400000_NS6detail17trampoline_kernelINS0_14default_configENS1_20scan_config_selectorIN3c107complexIdEEEEZZNS1_9scan_implILNS1_25lookback_scan_determinismE0ELb0ELb0ES3_PKS7_PS7_S7_ZZZN2at6native31launch_logcumsumexp_cuda_kernelERKNSE_10TensorBaseESI_lENKUlvE_clEvENKUlvE1_clEvEUlS7_S7_E_S7_EEDaPvRmT3_T4_T5_mT6_P12ihipStream_tbENKUlT_T0_E_clISt17integral_constantIbLb0EESZ_EEDaSU_SV_EUlSU_E0_NS1_11comp_targetILNS1_3genE3ELNS1_11target_archE908ELNS1_3gpuE7ELNS1_3repE0EEENS1_30default_config_static_selectorELNS0_4arch9wavefront6targetE0EEEvT1_.uses_vcc, 0
	.set _ZN7rocprim17ROCPRIM_400000_NS6detail17trampoline_kernelINS0_14default_configENS1_20scan_config_selectorIN3c107complexIdEEEEZZNS1_9scan_implILNS1_25lookback_scan_determinismE0ELb0ELb0ES3_PKS7_PS7_S7_ZZZN2at6native31launch_logcumsumexp_cuda_kernelERKNSE_10TensorBaseESI_lENKUlvE_clEvENKUlvE1_clEvEUlS7_S7_E_S7_EEDaPvRmT3_T4_T5_mT6_P12ihipStream_tbENKUlT_T0_E_clISt17integral_constantIbLb0EESZ_EEDaSU_SV_EUlSU_E0_NS1_11comp_targetILNS1_3genE3ELNS1_11target_archE908ELNS1_3gpuE7ELNS1_3repE0EEENS1_30default_config_static_selectorELNS0_4arch9wavefront6targetE0EEEvT1_.uses_flat_scratch, 0
	.set _ZN7rocprim17ROCPRIM_400000_NS6detail17trampoline_kernelINS0_14default_configENS1_20scan_config_selectorIN3c107complexIdEEEEZZNS1_9scan_implILNS1_25lookback_scan_determinismE0ELb0ELb0ES3_PKS7_PS7_S7_ZZZN2at6native31launch_logcumsumexp_cuda_kernelERKNSE_10TensorBaseESI_lENKUlvE_clEvENKUlvE1_clEvEUlS7_S7_E_S7_EEDaPvRmT3_T4_T5_mT6_P12ihipStream_tbENKUlT_T0_E_clISt17integral_constantIbLb0EESZ_EEDaSU_SV_EUlSU_E0_NS1_11comp_targetILNS1_3genE3ELNS1_11target_archE908ELNS1_3gpuE7ELNS1_3repE0EEENS1_30default_config_static_selectorELNS0_4arch9wavefront6targetE0EEEvT1_.has_dyn_sized_stack, 0
	.set _ZN7rocprim17ROCPRIM_400000_NS6detail17trampoline_kernelINS0_14default_configENS1_20scan_config_selectorIN3c107complexIdEEEEZZNS1_9scan_implILNS1_25lookback_scan_determinismE0ELb0ELb0ES3_PKS7_PS7_S7_ZZZN2at6native31launch_logcumsumexp_cuda_kernelERKNSE_10TensorBaseESI_lENKUlvE_clEvENKUlvE1_clEvEUlS7_S7_E_S7_EEDaPvRmT3_T4_T5_mT6_P12ihipStream_tbENKUlT_T0_E_clISt17integral_constantIbLb0EESZ_EEDaSU_SV_EUlSU_E0_NS1_11comp_targetILNS1_3genE3ELNS1_11target_archE908ELNS1_3gpuE7ELNS1_3repE0EEENS1_30default_config_static_selectorELNS0_4arch9wavefront6targetE0EEEvT1_.has_recursion, 0
	.set _ZN7rocprim17ROCPRIM_400000_NS6detail17trampoline_kernelINS0_14default_configENS1_20scan_config_selectorIN3c107complexIdEEEEZZNS1_9scan_implILNS1_25lookback_scan_determinismE0ELb0ELb0ES3_PKS7_PS7_S7_ZZZN2at6native31launch_logcumsumexp_cuda_kernelERKNSE_10TensorBaseESI_lENKUlvE_clEvENKUlvE1_clEvEUlS7_S7_E_S7_EEDaPvRmT3_T4_T5_mT6_P12ihipStream_tbENKUlT_T0_E_clISt17integral_constantIbLb0EESZ_EEDaSU_SV_EUlSU_E0_NS1_11comp_targetILNS1_3genE3ELNS1_11target_archE908ELNS1_3gpuE7ELNS1_3repE0EEENS1_30default_config_static_selectorELNS0_4arch9wavefront6targetE0EEEvT1_.has_indirect_call, 0
	.section	.AMDGPU.csdata,"",@progbits
; Kernel info:
; codeLenInByte = 0
; TotalNumSgprs: 0
; NumVgprs: 0
; ScratchSize: 0
; MemoryBound: 0
; FloatMode: 240
; IeeeMode: 1
; LDSByteSize: 0 bytes/workgroup (compile time only)
; SGPRBlocks: 0
; VGPRBlocks: 0
; NumSGPRsForWavesPerEU: 1
; NumVGPRsForWavesPerEU: 1
; Occupancy: 16
; WaveLimiterHint : 0
; COMPUTE_PGM_RSRC2:SCRATCH_EN: 0
; COMPUTE_PGM_RSRC2:USER_SGPR: 2
; COMPUTE_PGM_RSRC2:TRAP_HANDLER: 0
; COMPUTE_PGM_RSRC2:TGID_X_EN: 1
; COMPUTE_PGM_RSRC2:TGID_Y_EN: 0
; COMPUTE_PGM_RSRC2:TGID_Z_EN: 0
; COMPUTE_PGM_RSRC2:TIDIG_COMP_CNT: 0
	.section	.text._ZN7rocprim17ROCPRIM_400000_NS6detail17trampoline_kernelINS0_14default_configENS1_20scan_config_selectorIN3c107complexIdEEEEZZNS1_9scan_implILNS1_25lookback_scan_determinismE0ELb0ELb0ES3_PKS7_PS7_S7_ZZZN2at6native31launch_logcumsumexp_cuda_kernelERKNSE_10TensorBaseESI_lENKUlvE_clEvENKUlvE1_clEvEUlS7_S7_E_S7_EEDaPvRmT3_T4_T5_mT6_P12ihipStream_tbENKUlT_T0_E_clISt17integral_constantIbLb0EESZ_EEDaSU_SV_EUlSU_E0_NS1_11comp_targetILNS1_3genE2ELNS1_11target_archE906ELNS1_3gpuE6ELNS1_3repE0EEENS1_30default_config_static_selectorELNS0_4arch9wavefront6targetE0EEEvT1_,"axG",@progbits,_ZN7rocprim17ROCPRIM_400000_NS6detail17trampoline_kernelINS0_14default_configENS1_20scan_config_selectorIN3c107complexIdEEEEZZNS1_9scan_implILNS1_25lookback_scan_determinismE0ELb0ELb0ES3_PKS7_PS7_S7_ZZZN2at6native31launch_logcumsumexp_cuda_kernelERKNSE_10TensorBaseESI_lENKUlvE_clEvENKUlvE1_clEvEUlS7_S7_E_S7_EEDaPvRmT3_T4_T5_mT6_P12ihipStream_tbENKUlT_T0_E_clISt17integral_constantIbLb0EESZ_EEDaSU_SV_EUlSU_E0_NS1_11comp_targetILNS1_3genE2ELNS1_11target_archE906ELNS1_3gpuE6ELNS1_3repE0EEENS1_30default_config_static_selectorELNS0_4arch9wavefront6targetE0EEEvT1_,comdat
	.globl	_ZN7rocprim17ROCPRIM_400000_NS6detail17trampoline_kernelINS0_14default_configENS1_20scan_config_selectorIN3c107complexIdEEEEZZNS1_9scan_implILNS1_25lookback_scan_determinismE0ELb0ELb0ES3_PKS7_PS7_S7_ZZZN2at6native31launch_logcumsumexp_cuda_kernelERKNSE_10TensorBaseESI_lENKUlvE_clEvENKUlvE1_clEvEUlS7_S7_E_S7_EEDaPvRmT3_T4_T5_mT6_P12ihipStream_tbENKUlT_T0_E_clISt17integral_constantIbLb0EESZ_EEDaSU_SV_EUlSU_E0_NS1_11comp_targetILNS1_3genE2ELNS1_11target_archE906ELNS1_3gpuE6ELNS1_3repE0EEENS1_30default_config_static_selectorELNS0_4arch9wavefront6targetE0EEEvT1_ ; -- Begin function _ZN7rocprim17ROCPRIM_400000_NS6detail17trampoline_kernelINS0_14default_configENS1_20scan_config_selectorIN3c107complexIdEEEEZZNS1_9scan_implILNS1_25lookback_scan_determinismE0ELb0ELb0ES3_PKS7_PS7_S7_ZZZN2at6native31launch_logcumsumexp_cuda_kernelERKNSE_10TensorBaseESI_lENKUlvE_clEvENKUlvE1_clEvEUlS7_S7_E_S7_EEDaPvRmT3_T4_T5_mT6_P12ihipStream_tbENKUlT_T0_E_clISt17integral_constantIbLb0EESZ_EEDaSU_SV_EUlSU_E0_NS1_11comp_targetILNS1_3genE2ELNS1_11target_archE906ELNS1_3gpuE6ELNS1_3repE0EEENS1_30default_config_static_selectorELNS0_4arch9wavefront6targetE0EEEvT1_
	.p2align	8
	.type	_ZN7rocprim17ROCPRIM_400000_NS6detail17trampoline_kernelINS0_14default_configENS1_20scan_config_selectorIN3c107complexIdEEEEZZNS1_9scan_implILNS1_25lookback_scan_determinismE0ELb0ELb0ES3_PKS7_PS7_S7_ZZZN2at6native31launch_logcumsumexp_cuda_kernelERKNSE_10TensorBaseESI_lENKUlvE_clEvENKUlvE1_clEvEUlS7_S7_E_S7_EEDaPvRmT3_T4_T5_mT6_P12ihipStream_tbENKUlT_T0_E_clISt17integral_constantIbLb0EESZ_EEDaSU_SV_EUlSU_E0_NS1_11comp_targetILNS1_3genE2ELNS1_11target_archE906ELNS1_3gpuE6ELNS1_3repE0EEENS1_30default_config_static_selectorELNS0_4arch9wavefront6targetE0EEEvT1_,@function
_ZN7rocprim17ROCPRIM_400000_NS6detail17trampoline_kernelINS0_14default_configENS1_20scan_config_selectorIN3c107complexIdEEEEZZNS1_9scan_implILNS1_25lookback_scan_determinismE0ELb0ELb0ES3_PKS7_PS7_S7_ZZZN2at6native31launch_logcumsumexp_cuda_kernelERKNSE_10TensorBaseESI_lENKUlvE_clEvENKUlvE1_clEvEUlS7_S7_E_S7_EEDaPvRmT3_T4_T5_mT6_P12ihipStream_tbENKUlT_T0_E_clISt17integral_constantIbLb0EESZ_EEDaSU_SV_EUlSU_E0_NS1_11comp_targetILNS1_3genE2ELNS1_11target_archE906ELNS1_3gpuE6ELNS1_3repE0EEENS1_30default_config_static_selectorELNS0_4arch9wavefront6targetE0EEEvT1_: ; @_ZN7rocprim17ROCPRIM_400000_NS6detail17trampoline_kernelINS0_14default_configENS1_20scan_config_selectorIN3c107complexIdEEEEZZNS1_9scan_implILNS1_25lookback_scan_determinismE0ELb0ELb0ES3_PKS7_PS7_S7_ZZZN2at6native31launch_logcumsumexp_cuda_kernelERKNSE_10TensorBaseESI_lENKUlvE_clEvENKUlvE1_clEvEUlS7_S7_E_S7_EEDaPvRmT3_T4_T5_mT6_P12ihipStream_tbENKUlT_T0_E_clISt17integral_constantIbLb0EESZ_EEDaSU_SV_EUlSU_E0_NS1_11comp_targetILNS1_3genE2ELNS1_11target_archE906ELNS1_3gpuE6ELNS1_3repE0EEENS1_30default_config_static_selectorELNS0_4arch9wavefront6targetE0EEEvT1_
; %bb.0:
	.section	.rodata,"a",@progbits
	.p2align	6, 0x0
	.amdhsa_kernel _ZN7rocprim17ROCPRIM_400000_NS6detail17trampoline_kernelINS0_14default_configENS1_20scan_config_selectorIN3c107complexIdEEEEZZNS1_9scan_implILNS1_25lookback_scan_determinismE0ELb0ELb0ES3_PKS7_PS7_S7_ZZZN2at6native31launch_logcumsumexp_cuda_kernelERKNSE_10TensorBaseESI_lENKUlvE_clEvENKUlvE1_clEvEUlS7_S7_E_S7_EEDaPvRmT3_T4_T5_mT6_P12ihipStream_tbENKUlT_T0_E_clISt17integral_constantIbLb0EESZ_EEDaSU_SV_EUlSU_E0_NS1_11comp_targetILNS1_3genE2ELNS1_11target_archE906ELNS1_3gpuE6ELNS1_3repE0EEENS1_30default_config_static_selectorELNS0_4arch9wavefront6targetE0EEEvT1_
		.amdhsa_group_segment_fixed_size 0
		.amdhsa_private_segment_fixed_size 0
		.amdhsa_kernarg_size 48
		.amdhsa_user_sgpr_count 2
		.amdhsa_user_sgpr_dispatch_ptr 0
		.amdhsa_user_sgpr_queue_ptr 0
		.amdhsa_user_sgpr_kernarg_segment_ptr 1
		.amdhsa_user_sgpr_dispatch_id 0
		.amdhsa_user_sgpr_private_segment_size 0
		.amdhsa_wavefront_size32 1
		.amdhsa_uses_dynamic_stack 0
		.amdhsa_enable_private_segment 0
		.amdhsa_system_sgpr_workgroup_id_x 1
		.amdhsa_system_sgpr_workgroup_id_y 0
		.amdhsa_system_sgpr_workgroup_id_z 0
		.amdhsa_system_sgpr_workgroup_info 0
		.amdhsa_system_vgpr_workitem_id 0
		.amdhsa_next_free_vgpr 1
		.amdhsa_next_free_sgpr 1
		.amdhsa_reserve_vcc 0
		.amdhsa_float_round_mode_32 0
		.amdhsa_float_round_mode_16_64 0
		.amdhsa_float_denorm_mode_32 3
		.amdhsa_float_denorm_mode_16_64 3
		.amdhsa_fp16_overflow 0
		.amdhsa_workgroup_processor_mode 1
		.amdhsa_memory_ordered 1
		.amdhsa_forward_progress 1
		.amdhsa_inst_pref_size 0
		.amdhsa_round_robin_scheduling 0
		.amdhsa_exception_fp_ieee_invalid_op 0
		.amdhsa_exception_fp_denorm_src 0
		.amdhsa_exception_fp_ieee_div_zero 0
		.amdhsa_exception_fp_ieee_overflow 0
		.amdhsa_exception_fp_ieee_underflow 0
		.amdhsa_exception_fp_ieee_inexact 0
		.amdhsa_exception_int_div_zero 0
	.end_amdhsa_kernel
	.section	.text._ZN7rocprim17ROCPRIM_400000_NS6detail17trampoline_kernelINS0_14default_configENS1_20scan_config_selectorIN3c107complexIdEEEEZZNS1_9scan_implILNS1_25lookback_scan_determinismE0ELb0ELb0ES3_PKS7_PS7_S7_ZZZN2at6native31launch_logcumsumexp_cuda_kernelERKNSE_10TensorBaseESI_lENKUlvE_clEvENKUlvE1_clEvEUlS7_S7_E_S7_EEDaPvRmT3_T4_T5_mT6_P12ihipStream_tbENKUlT_T0_E_clISt17integral_constantIbLb0EESZ_EEDaSU_SV_EUlSU_E0_NS1_11comp_targetILNS1_3genE2ELNS1_11target_archE906ELNS1_3gpuE6ELNS1_3repE0EEENS1_30default_config_static_selectorELNS0_4arch9wavefront6targetE0EEEvT1_,"axG",@progbits,_ZN7rocprim17ROCPRIM_400000_NS6detail17trampoline_kernelINS0_14default_configENS1_20scan_config_selectorIN3c107complexIdEEEEZZNS1_9scan_implILNS1_25lookback_scan_determinismE0ELb0ELb0ES3_PKS7_PS7_S7_ZZZN2at6native31launch_logcumsumexp_cuda_kernelERKNSE_10TensorBaseESI_lENKUlvE_clEvENKUlvE1_clEvEUlS7_S7_E_S7_EEDaPvRmT3_T4_T5_mT6_P12ihipStream_tbENKUlT_T0_E_clISt17integral_constantIbLb0EESZ_EEDaSU_SV_EUlSU_E0_NS1_11comp_targetILNS1_3genE2ELNS1_11target_archE906ELNS1_3gpuE6ELNS1_3repE0EEENS1_30default_config_static_selectorELNS0_4arch9wavefront6targetE0EEEvT1_,comdat
.Lfunc_end197:
	.size	_ZN7rocprim17ROCPRIM_400000_NS6detail17trampoline_kernelINS0_14default_configENS1_20scan_config_selectorIN3c107complexIdEEEEZZNS1_9scan_implILNS1_25lookback_scan_determinismE0ELb0ELb0ES3_PKS7_PS7_S7_ZZZN2at6native31launch_logcumsumexp_cuda_kernelERKNSE_10TensorBaseESI_lENKUlvE_clEvENKUlvE1_clEvEUlS7_S7_E_S7_EEDaPvRmT3_T4_T5_mT6_P12ihipStream_tbENKUlT_T0_E_clISt17integral_constantIbLb0EESZ_EEDaSU_SV_EUlSU_E0_NS1_11comp_targetILNS1_3genE2ELNS1_11target_archE906ELNS1_3gpuE6ELNS1_3repE0EEENS1_30default_config_static_selectorELNS0_4arch9wavefront6targetE0EEEvT1_, .Lfunc_end197-_ZN7rocprim17ROCPRIM_400000_NS6detail17trampoline_kernelINS0_14default_configENS1_20scan_config_selectorIN3c107complexIdEEEEZZNS1_9scan_implILNS1_25lookback_scan_determinismE0ELb0ELb0ES3_PKS7_PS7_S7_ZZZN2at6native31launch_logcumsumexp_cuda_kernelERKNSE_10TensorBaseESI_lENKUlvE_clEvENKUlvE1_clEvEUlS7_S7_E_S7_EEDaPvRmT3_T4_T5_mT6_P12ihipStream_tbENKUlT_T0_E_clISt17integral_constantIbLb0EESZ_EEDaSU_SV_EUlSU_E0_NS1_11comp_targetILNS1_3genE2ELNS1_11target_archE906ELNS1_3gpuE6ELNS1_3repE0EEENS1_30default_config_static_selectorELNS0_4arch9wavefront6targetE0EEEvT1_
                                        ; -- End function
	.set _ZN7rocprim17ROCPRIM_400000_NS6detail17trampoline_kernelINS0_14default_configENS1_20scan_config_selectorIN3c107complexIdEEEEZZNS1_9scan_implILNS1_25lookback_scan_determinismE0ELb0ELb0ES3_PKS7_PS7_S7_ZZZN2at6native31launch_logcumsumexp_cuda_kernelERKNSE_10TensorBaseESI_lENKUlvE_clEvENKUlvE1_clEvEUlS7_S7_E_S7_EEDaPvRmT3_T4_T5_mT6_P12ihipStream_tbENKUlT_T0_E_clISt17integral_constantIbLb0EESZ_EEDaSU_SV_EUlSU_E0_NS1_11comp_targetILNS1_3genE2ELNS1_11target_archE906ELNS1_3gpuE6ELNS1_3repE0EEENS1_30default_config_static_selectorELNS0_4arch9wavefront6targetE0EEEvT1_.num_vgpr, 0
	.set _ZN7rocprim17ROCPRIM_400000_NS6detail17trampoline_kernelINS0_14default_configENS1_20scan_config_selectorIN3c107complexIdEEEEZZNS1_9scan_implILNS1_25lookback_scan_determinismE0ELb0ELb0ES3_PKS7_PS7_S7_ZZZN2at6native31launch_logcumsumexp_cuda_kernelERKNSE_10TensorBaseESI_lENKUlvE_clEvENKUlvE1_clEvEUlS7_S7_E_S7_EEDaPvRmT3_T4_T5_mT6_P12ihipStream_tbENKUlT_T0_E_clISt17integral_constantIbLb0EESZ_EEDaSU_SV_EUlSU_E0_NS1_11comp_targetILNS1_3genE2ELNS1_11target_archE906ELNS1_3gpuE6ELNS1_3repE0EEENS1_30default_config_static_selectorELNS0_4arch9wavefront6targetE0EEEvT1_.num_agpr, 0
	.set _ZN7rocprim17ROCPRIM_400000_NS6detail17trampoline_kernelINS0_14default_configENS1_20scan_config_selectorIN3c107complexIdEEEEZZNS1_9scan_implILNS1_25lookback_scan_determinismE0ELb0ELb0ES3_PKS7_PS7_S7_ZZZN2at6native31launch_logcumsumexp_cuda_kernelERKNSE_10TensorBaseESI_lENKUlvE_clEvENKUlvE1_clEvEUlS7_S7_E_S7_EEDaPvRmT3_T4_T5_mT6_P12ihipStream_tbENKUlT_T0_E_clISt17integral_constantIbLb0EESZ_EEDaSU_SV_EUlSU_E0_NS1_11comp_targetILNS1_3genE2ELNS1_11target_archE906ELNS1_3gpuE6ELNS1_3repE0EEENS1_30default_config_static_selectorELNS0_4arch9wavefront6targetE0EEEvT1_.numbered_sgpr, 0
	.set _ZN7rocprim17ROCPRIM_400000_NS6detail17trampoline_kernelINS0_14default_configENS1_20scan_config_selectorIN3c107complexIdEEEEZZNS1_9scan_implILNS1_25lookback_scan_determinismE0ELb0ELb0ES3_PKS7_PS7_S7_ZZZN2at6native31launch_logcumsumexp_cuda_kernelERKNSE_10TensorBaseESI_lENKUlvE_clEvENKUlvE1_clEvEUlS7_S7_E_S7_EEDaPvRmT3_T4_T5_mT6_P12ihipStream_tbENKUlT_T0_E_clISt17integral_constantIbLb0EESZ_EEDaSU_SV_EUlSU_E0_NS1_11comp_targetILNS1_3genE2ELNS1_11target_archE906ELNS1_3gpuE6ELNS1_3repE0EEENS1_30default_config_static_selectorELNS0_4arch9wavefront6targetE0EEEvT1_.num_named_barrier, 0
	.set _ZN7rocprim17ROCPRIM_400000_NS6detail17trampoline_kernelINS0_14default_configENS1_20scan_config_selectorIN3c107complexIdEEEEZZNS1_9scan_implILNS1_25lookback_scan_determinismE0ELb0ELb0ES3_PKS7_PS7_S7_ZZZN2at6native31launch_logcumsumexp_cuda_kernelERKNSE_10TensorBaseESI_lENKUlvE_clEvENKUlvE1_clEvEUlS7_S7_E_S7_EEDaPvRmT3_T4_T5_mT6_P12ihipStream_tbENKUlT_T0_E_clISt17integral_constantIbLb0EESZ_EEDaSU_SV_EUlSU_E0_NS1_11comp_targetILNS1_3genE2ELNS1_11target_archE906ELNS1_3gpuE6ELNS1_3repE0EEENS1_30default_config_static_selectorELNS0_4arch9wavefront6targetE0EEEvT1_.private_seg_size, 0
	.set _ZN7rocprim17ROCPRIM_400000_NS6detail17trampoline_kernelINS0_14default_configENS1_20scan_config_selectorIN3c107complexIdEEEEZZNS1_9scan_implILNS1_25lookback_scan_determinismE0ELb0ELb0ES3_PKS7_PS7_S7_ZZZN2at6native31launch_logcumsumexp_cuda_kernelERKNSE_10TensorBaseESI_lENKUlvE_clEvENKUlvE1_clEvEUlS7_S7_E_S7_EEDaPvRmT3_T4_T5_mT6_P12ihipStream_tbENKUlT_T0_E_clISt17integral_constantIbLb0EESZ_EEDaSU_SV_EUlSU_E0_NS1_11comp_targetILNS1_3genE2ELNS1_11target_archE906ELNS1_3gpuE6ELNS1_3repE0EEENS1_30default_config_static_selectorELNS0_4arch9wavefront6targetE0EEEvT1_.uses_vcc, 0
	.set _ZN7rocprim17ROCPRIM_400000_NS6detail17trampoline_kernelINS0_14default_configENS1_20scan_config_selectorIN3c107complexIdEEEEZZNS1_9scan_implILNS1_25lookback_scan_determinismE0ELb0ELb0ES3_PKS7_PS7_S7_ZZZN2at6native31launch_logcumsumexp_cuda_kernelERKNSE_10TensorBaseESI_lENKUlvE_clEvENKUlvE1_clEvEUlS7_S7_E_S7_EEDaPvRmT3_T4_T5_mT6_P12ihipStream_tbENKUlT_T0_E_clISt17integral_constantIbLb0EESZ_EEDaSU_SV_EUlSU_E0_NS1_11comp_targetILNS1_3genE2ELNS1_11target_archE906ELNS1_3gpuE6ELNS1_3repE0EEENS1_30default_config_static_selectorELNS0_4arch9wavefront6targetE0EEEvT1_.uses_flat_scratch, 0
	.set _ZN7rocprim17ROCPRIM_400000_NS6detail17trampoline_kernelINS0_14default_configENS1_20scan_config_selectorIN3c107complexIdEEEEZZNS1_9scan_implILNS1_25lookback_scan_determinismE0ELb0ELb0ES3_PKS7_PS7_S7_ZZZN2at6native31launch_logcumsumexp_cuda_kernelERKNSE_10TensorBaseESI_lENKUlvE_clEvENKUlvE1_clEvEUlS7_S7_E_S7_EEDaPvRmT3_T4_T5_mT6_P12ihipStream_tbENKUlT_T0_E_clISt17integral_constantIbLb0EESZ_EEDaSU_SV_EUlSU_E0_NS1_11comp_targetILNS1_3genE2ELNS1_11target_archE906ELNS1_3gpuE6ELNS1_3repE0EEENS1_30default_config_static_selectorELNS0_4arch9wavefront6targetE0EEEvT1_.has_dyn_sized_stack, 0
	.set _ZN7rocprim17ROCPRIM_400000_NS6detail17trampoline_kernelINS0_14default_configENS1_20scan_config_selectorIN3c107complexIdEEEEZZNS1_9scan_implILNS1_25lookback_scan_determinismE0ELb0ELb0ES3_PKS7_PS7_S7_ZZZN2at6native31launch_logcumsumexp_cuda_kernelERKNSE_10TensorBaseESI_lENKUlvE_clEvENKUlvE1_clEvEUlS7_S7_E_S7_EEDaPvRmT3_T4_T5_mT6_P12ihipStream_tbENKUlT_T0_E_clISt17integral_constantIbLb0EESZ_EEDaSU_SV_EUlSU_E0_NS1_11comp_targetILNS1_3genE2ELNS1_11target_archE906ELNS1_3gpuE6ELNS1_3repE0EEENS1_30default_config_static_selectorELNS0_4arch9wavefront6targetE0EEEvT1_.has_recursion, 0
	.set _ZN7rocprim17ROCPRIM_400000_NS6detail17trampoline_kernelINS0_14default_configENS1_20scan_config_selectorIN3c107complexIdEEEEZZNS1_9scan_implILNS1_25lookback_scan_determinismE0ELb0ELb0ES3_PKS7_PS7_S7_ZZZN2at6native31launch_logcumsumexp_cuda_kernelERKNSE_10TensorBaseESI_lENKUlvE_clEvENKUlvE1_clEvEUlS7_S7_E_S7_EEDaPvRmT3_T4_T5_mT6_P12ihipStream_tbENKUlT_T0_E_clISt17integral_constantIbLb0EESZ_EEDaSU_SV_EUlSU_E0_NS1_11comp_targetILNS1_3genE2ELNS1_11target_archE906ELNS1_3gpuE6ELNS1_3repE0EEENS1_30default_config_static_selectorELNS0_4arch9wavefront6targetE0EEEvT1_.has_indirect_call, 0
	.section	.AMDGPU.csdata,"",@progbits
; Kernel info:
; codeLenInByte = 0
; TotalNumSgprs: 0
; NumVgprs: 0
; ScratchSize: 0
; MemoryBound: 0
; FloatMode: 240
; IeeeMode: 1
; LDSByteSize: 0 bytes/workgroup (compile time only)
; SGPRBlocks: 0
; VGPRBlocks: 0
; NumSGPRsForWavesPerEU: 1
; NumVGPRsForWavesPerEU: 1
; Occupancy: 16
; WaveLimiterHint : 0
; COMPUTE_PGM_RSRC2:SCRATCH_EN: 0
; COMPUTE_PGM_RSRC2:USER_SGPR: 2
; COMPUTE_PGM_RSRC2:TRAP_HANDLER: 0
; COMPUTE_PGM_RSRC2:TGID_X_EN: 1
; COMPUTE_PGM_RSRC2:TGID_Y_EN: 0
; COMPUTE_PGM_RSRC2:TGID_Z_EN: 0
; COMPUTE_PGM_RSRC2:TIDIG_COMP_CNT: 0
	.section	.text._ZN7rocprim17ROCPRIM_400000_NS6detail17trampoline_kernelINS0_14default_configENS1_20scan_config_selectorIN3c107complexIdEEEEZZNS1_9scan_implILNS1_25lookback_scan_determinismE0ELb0ELb0ES3_PKS7_PS7_S7_ZZZN2at6native31launch_logcumsumexp_cuda_kernelERKNSE_10TensorBaseESI_lENKUlvE_clEvENKUlvE1_clEvEUlS7_S7_E_S7_EEDaPvRmT3_T4_T5_mT6_P12ihipStream_tbENKUlT_T0_E_clISt17integral_constantIbLb0EESZ_EEDaSU_SV_EUlSU_E0_NS1_11comp_targetILNS1_3genE10ELNS1_11target_archE1201ELNS1_3gpuE5ELNS1_3repE0EEENS1_30default_config_static_selectorELNS0_4arch9wavefront6targetE0EEEvT1_,"axG",@progbits,_ZN7rocprim17ROCPRIM_400000_NS6detail17trampoline_kernelINS0_14default_configENS1_20scan_config_selectorIN3c107complexIdEEEEZZNS1_9scan_implILNS1_25lookback_scan_determinismE0ELb0ELb0ES3_PKS7_PS7_S7_ZZZN2at6native31launch_logcumsumexp_cuda_kernelERKNSE_10TensorBaseESI_lENKUlvE_clEvENKUlvE1_clEvEUlS7_S7_E_S7_EEDaPvRmT3_T4_T5_mT6_P12ihipStream_tbENKUlT_T0_E_clISt17integral_constantIbLb0EESZ_EEDaSU_SV_EUlSU_E0_NS1_11comp_targetILNS1_3genE10ELNS1_11target_archE1201ELNS1_3gpuE5ELNS1_3repE0EEENS1_30default_config_static_selectorELNS0_4arch9wavefront6targetE0EEEvT1_,comdat
	.globl	_ZN7rocprim17ROCPRIM_400000_NS6detail17trampoline_kernelINS0_14default_configENS1_20scan_config_selectorIN3c107complexIdEEEEZZNS1_9scan_implILNS1_25lookback_scan_determinismE0ELb0ELb0ES3_PKS7_PS7_S7_ZZZN2at6native31launch_logcumsumexp_cuda_kernelERKNSE_10TensorBaseESI_lENKUlvE_clEvENKUlvE1_clEvEUlS7_S7_E_S7_EEDaPvRmT3_T4_T5_mT6_P12ihipStream_tbENKUlT_T0_E_clISt17integral_constantIbLb0EESZ_EEDaSU_SV_EUlSU_E0_NS1_11comp_targetILNS1_3genE10ELNS1_11target_archE1201ELNS1_3gpuE5ELNS1_3repE0EEENS1_30default_config_static_selectorELNS0_4arch9wavefront6targetE0EEEvT1_ ; -- Begin function _ZN7rocprim17ROCPRIM_400000_NS6detail17trampoline_kernelINS0_14default_configENS1_20scan_config_selectorIN3c107complexIdEEEEZZNS1_9scan_implILNS1_25lookback_scan_determinismE0ELb0ELb0ES3_PKS7_PS7_S7_ZZZN2at6native31launch_logcumsumexp_cuda_kernelERKNSE_10TensorBaseESI_lENKUlvE_clEvENKUlvE1_clEvEUlS7_S7_E_S7_EEDaPvRmT3_T4_T5_mT6_P12ihipStream_tbENKUlT_T0_E_clISt17integral_constantIbLb0EESZ_EEDaSU_SV_EUlSU_E0_NS1_11comp_targetILNS1_3genE10ELNS1_11target_archE1201ELNS1_3gpuE5ELNS1_3repE0EEENS1_30default_config_static_selectorELNS0_4arch9wavefront6targetE0EEEvT1_
	.p2align	8
	.type	_ZN7rocprim17ROCPRIM_400000_NS6detail17trampoline_kernelINS0_14default_configENS1_20scan_config_selectorIN3c107complexIdEEEEZZNS1_9scan_implILNS1_25lookback_scan_determinismE0ELb0ELb0ES3_PKS7_PS7_S7_ZZZN2at6native31launch_logcumsumexp_cuda_kernelERKNSE_10TensorBaseESI_lENKUlvE_clEvENKUlvE1_clEvEUlS7_S7_E_S7_EEDaPvRmT3_T4_T5_mT6_P12ihipStream_tbENKUlT_T0_E_clISt17integral_constantIbLb0EESZ_EEDaSU_SV_EUlSU_E0_NS1_11comp_targetILNS1_3genE10ELNS1_11target_archE1201ELNS1_3gpuE5ELNS1_3repE0EEENS1_30default_config_static_selectorELNS0_4arch9wavefront6targetE0EEEvT1_,@function
_ZN7rocprim17ROCPRIM_400000_NS6detail17trampoline_kernelINS0_14default_configENS1_20scan_config_selectorIN3c107complexIdEEEEZZNS1_9scan_implILNS1_25lookback_scan_determinismE0ELb0ELb0ES3_PKS7_PS7_S7_ZZZN2at6native31launch_logcumsumexp_cuda_kernelERKNSE_10TensorBaseESI_lENKUlvE_clEvENKUlvE1_clEvEUlS7_S7_E_S7_EEDaPvRmT3_T4_T5_mT6_P12ihipStream_tbENKUlT_T0_E_clISt17integral_constantIbLb0EESZ_EEDaSU_SV_EUlSU_E0_NS1_11comp_targetILNS1_3genE10ELNS1_11target_archE1201ELNS1_3gpuE5ELNS1_3repE0EEENS1_30default_config_static_selectorELNS0_4arch9wavefront6targetE0EEEvT1_: ; @_ZN7rocprim17ROCPRIM_400000_NS6detail17trampoline_kernelINS0_14default_configENS1_20scan_config_selectorIN3c107complexIdEEEEZZNS1_9scan_implILNS1_25lookback_scan_determinismE0ELb0ELb0ES3_PKS7_PS7_S7_ZZZN2at6native31launch_logcumsumexp_cuda_kernelERKNSE_10TensorBaseESI_lENKUlvE_clEvENKUlvE1_clEvEUlS7_S7_E_S7_EEDaPvRmT3_T4_T5_mT6_P12ihipStream_tbENKUlT_T0_E_clISt17integral_constantIbLb0EESZ_EEDaSU_SV_EUlSU_E0_NS1_11comp_targetILNS1_3genE10ELNS1_11target_archE1201ELNS1_3gpuE5ELNS1_3repE0EEENS1_30default_config_static_selectorELNS0_4arch9wavefront6targetE0EEEvT1_
; %bb.0:
	s_mov_b64 s[18:19], s[0:1]
	s_load_b128 s[0:3], s[0:1], 0x0
	s_mov_b32 s32, 0
	s_wait_kmcnt 0x0
	s_load_b128 s[4:7], s[0:1], 0x0
	v_mov_b32_e32 v180, v0
	s_wait_kmcnt 0x0
	v_dual_mov_b32 v2, s6 :: v_dual_mov_b32 v3, s7
	s_delay_alu instid0(VALU_DEP_2)
	v_dual_mov_b32 v0, s4 :: v_dual_lshlrev_b32 v181, 4, v180
	v_cmp_gt_u32_e64 s20, s2, v180
	v_mov_b32_e32 v1, s5
	s_and_saveexec_b32 s3, s20
	s_cbranch_execz .LBB198_2
; %bb.1:
	global_load_b128 v[0:3], v181, s[0:1]
.LBB198_2:
	s_wait_alu 0xfffe
	s_or_b32 exec_lo, exec_lo, s3
	v_or_b32_e32 v4, 0x100, v180
	v_dual_mov_b32 v6, s6 :: v_dual_mov_b32 v7, s7
	s_delay_alu instid0(VALU_DEP_2)
	v_cmp_gt_u32_e64 s21, s2, v4
	v_dual_mov_b32 v4, s4 :: v_dual_mov_b32 v5, s5
	s_and_saveexec_b32 s3, s21
	s_cbranch_execz .LBB198_4
; %bb.3:
	global_load_b128 v[4:7], v181, s[0:1] offset:4096
.LBB198_4:
	s_wait_alu 0xfffe
	s_or_b32 exec_lo, exec_lo, s3
	v_or_b32_e32 v8, 0x200, v180
	v_dual_mov_b32 v11, s7 :: v_dual_mov_b32 v10, s6
	s_delay_alu instid0(VALU_DEP_2)
	v_cmp_gt_u32_e64 s22, s2, v8
	v_dual_mov_b32 v9, s5 :: v_dual_mov_b32 v8, s4
	s_and_saveexec_b32 s3, s22
	s_cbranch_execz .LBB198_6
; %bb.5:
	global_load_b128 v[8:11], v181, s[0:1] offset:8192
.LBB198_6:
	;; [unrolled: 12-line block ×9, first 2 shown]
	s_wait_alu 0xfffe
	s_or_b32 exec_lo, exec_lo, s3
	v_or_b32_e32 v40, 0xa00, v180
	s_delay_alu instid0(VALU_DEP_1)
	v_cmp_gt_u32_e64 s33, s2, v40
	v_cmp_le_u32_e32 vcc_lo, s2, v40
	s_and_saveexec_b32 s2, vcc_lo
	s_wait_alu 0xfffe
	s_xor_b32 s2, exec_lo, s2
	s_wait_alu 0xfffe
	s_or_saveexec_b32 s2, s2
	v_dual_mov_b32 v43, s7 :: v_dual_mov_b32 v42, s6
	v_dual_mov_b32 v41, s5 :: v_dual_mov_b32 v40, s4
	s_wait_alu 0xfffe
	s_xor_b32 exec_lo, exec_lo, s2
	s_cbranch_execz .LBB198_22
; %bb.21:
	v_lshlrev_b32_e32 v40, 4, v180
	global_load_b128 v[40:43], v40, s[0:1] offset:40960
.LBB198_22:
	s_or_b32 exec_lo, exec_lo, s2
	s_wait_loadcnt 0x0
	ds_store_b128 v181, v[4:7] offset:4096
	ds_store_b128 v181, v[8:11] offset:8192
	;; [unrolled: 1-line block ×9, first 2 shown]
	ds_store_b128 v181, v[0:3]
	ds_store_b128 v181, v[40:43] offset:40960
	v_mad_u32_u24 v0, 0xa0, v180, v181
	s_wait_dscnt 0x0
	s_barrier_signal -1
	s_barrier_wait -1
	global_inv scope:SCOPE_SE
	ds_load_b128 v[40:43], v0
	ds_load_b128 v[148:151], v0 offset:16
	ds_load_b128 v[140:143], v0 offset:32
	;; [unrolled: 1-line block ×10, first 2 shown]
	s_getpc_b64 s[34:35]
	s_sext_i32_i16 s35, s35
	s_add_co_u32 s34, s34, _ZZZZN2at6native31launch_logcumsumexp_cuda_kernelERKNS_10TensorBaseES3_lENKUlvE_clEvENKUlvE1_clEvENKUlN3c107complexIdEES8_E_clES8_S8_@rel32@lo+8
	s_add_co_ci_u32 s35, s35, _ZZZZN2at6native31launch_logcumsumexp_cuda_kernelERKNS_10TensorBaseES3_lENKUlvE_clEvENKUlvE1_clEvENKUlN3c107complexIdEES8_E_clES8_S8_@rel32@hi+16
	s_wait_loadcnt_dscnt 0x0
	s_barrier_signal -1
	s_barrier_wait -1
	global_inv scope:SCOPE_SE
	v_dual_mov_b32 v0, v40 :: v_dual_mov_b32 v1, v41
	v_dual_mov_b32 v2, v42 :: v_dual_mov_b32 v3, v43
	;; [unrolled: 1-line block ×4, first 2 shown]
	s_swappc_b64 s[30:31], s[34:35]
	v_dual_mov_b32 v4, v140 :: v_dual_mov_b32 v5, v141
	v_dual_mov_b32 v6, v142 :: v_dual_mov_b32 v7, v143
	v_dual_mov_b32 v44, v0 :: v_dual_mov_b32 v45, v1
	v_dual_mov_b32 v46, v2 :: v_dual_mov_b32 v47, v3
	s_wait_alu 0xfffe
	s_swappc_b64 s[30:31], s[34:35]
	v_dual_mov_b32 v4, v136 :: v_dual_mov_b32 v5, v137
	v_dual_mov_b32 v6, v138 :: v_dual_mov_b32 v7, v139
	v_dual_mov_b32 v72, v0 :: v_dual_mov_b32 v73, v1
	v_dual_mov_b32 v74, v2 :: v_dual_mov_b32 v75, v3
	s_wait_alu 0xfffe
	;; [unrolled: 6-line block ×9, first 2 shown]
	s_swappc_b64 s[30:31], s[34:35]
	v_dual_mov_b32 v170, v2 :: v_dual_mov_b32 v171, v3
	v_mbcnt_lo_u32_b32 v182, -1, 0
	v_dual_mov_b32 v168, v0 :: v_dual_mov_b32 v169, v1
	s_delay_alu instid0(VALU_DEP_3) | instskip(NEXT) | instid1(VALU_DEP_3)
	v_mov_b32_dpp v6, v170 row_shr:1 row_mask:0xf bank_mask:0xf
	v_dual_mov_b32 v175, v171 :: v_dual_and_b32 v176, 15, v182
	s_delay_alu instid0(VALU_DEP_3) | instskip(NEXT) | instid1(VALU_DEP_4)
	v_dual_mov_b32 v174, v170 :: v_dual_mov_b32 v173, v169
	v_mov_b32_dpp v4, v168 row_shr:1 row_mask:0xf bank_mask:0xf
	v_mov_b32_dpp v5, v169 row_shr:1 row_mask:0xf bank_mask:0xf
	;; [unrolled: 1-line block ×3, first 2 shown]
	v_mov_b32_e32 v172, v168
	s_mov_b32 s36, exec_lo
	v_cmpx_ne_u32_e32 0, v176
	s_cbranch_execz .LBB198_24
; %bb.23:
	v_dual_mov_b32 v0, v4 :: v_dual_mov_b32 v1, v5
	v_dual_mov_b32 v2, v6 :: v_dual_mov_b32 v3, v7
	v_dual_mov_b32 v4, v168 :: v_dual_mov_b32 v5, v169
	v_dual_mov_b32 v6, v170 :: v_dual_mov_b32 v7, v171
	s_wait_alu 0xfffe
	s_swappc_b64 s[30:31], s[34:35]
	v_dual_mov_b32 v172, v0 :: v_dual_mov_b32 v173, v1
	v_dual_mov_b32 v174, v2 :: v_dual_mov_b32 v175, v3
.LBB198_24:
	s_wait_alu 0xfffe
	s_or_b32 exec_lo, exec_lo, s36
	v_mov_b32_dpp v4, v0 row_shr:2 row_mask:0xf bank_mask:0xf
	v_mov_b32_dpp v5, v1 row_shr:2 row_mask:0xf bank_mask:0xf
	v_mov_b32_dpp v6, v2 row_shr:2 row_mask:0xf bank_mask:0xf
	v_mov_b32_dpp v7, v3 row_shr:2 row_mask:0xf bank_mask:0xf
	s_mov_b32 s34, exec_lo
	v_cmpx_lt_u32_e32 1, v176
	s_cbranch_execz .LBB198_26
; %bb.25:
	v_dual_mov_b32 v0, v4 :: v_dual_mov_b32 v1, v5
	v_dual_mov_b32 v2, v6 :: v_dual_mov_b32 v3, v7
	v_dual_mov_b32 v4, v172 :: v_dual_mov_b32 v5, v173
	v_dual_mov_b32 v6, v174 :: v_dual_mov_b32 v7, v175
	s_getpc_b64 s[0:1]
	s_wait_alu 0xfffe
	s_sext_i32_i16 s1, s1
	s_add_co_u32 s0, s0, _ZZZZN2at6native31launch_logcumsumexp_cuda_kernelERKNS_10TensorBaseES3_lENKUlvE_clEvENKUlvE1_clEvENKUlN3c107complexIdEES8_E_clES8_S8_@rel32@lo+12
	s_wait_alu 0xfffe
	s_add_co_ci_u32 s1, s1, _ZZZZN2at6native31launch_logcumsumexp_cuda_kernelERKNS_10TensorBaseES3_lENKUlvE_clEvENKUlvE1_clEvENKUlN3c107complexIdEES8_E_clES8_S8_@rel32@hi+24
	s_wait_alu 0xfffe
	s_swappc_b64 s[30:31], s[0:1]
	v_dual_mov_b32 v175, v3 :: v_dual_mov_b32 v174, v2
	v_dual_mov_b32 v173, v1 :: v_dual_mov_b32 v172, v0
.LBB198_26:
	s_wait_alu 0xfffe
	s_or_b32 exec_lo, exec_lo, s34
	v_mov_b32_dpp v4, v0 row_shr:4 row_mask:0xf bank_mask:0xf
	v_mov_b32_dpp v5, v1 row_shr:4 row_mask:0xf bank_mask:0xf
	v_mov_b32_dpp v6, v2 row_shr:4 row_mask:0xf bank_mask:0xf
	v_mov_b32_dpp v7, v3 row_shr:4 row_mask:0xf bank_mask:0xf
	s_mov_b32 s34, exec_lo
	v_cmpx_lt_u32_e32 3, v176
	s_cbranch_execz .LBB198_28
; %bb.27:
	v_dual_mov_b32 v0, v4 :: v_dual_mov_b32 v1, v5
	v_dual_mov_b32 v2, v6 :: v_dual_mov_b32 v3, v7
	v_dual_mov_b32 v4, v172 :: v_dual_mov_b32 v5, v173
	v_dual_mov_b32 v6, v174 :: v_dual_mov_b32 v7, v175
	s_getpc_b64 s[0:1]
	s_wait_alu 0xfffe
	s_sext_i32_i16 s1, s1
	s_add_co_u32 s0, s0, _ZZZZN2at6native31launch_logcumsumexp_cuda_kernelERKNS_10TensorBaseES3_lENKUlvE_clEvENKUlvE1_clEvENKUlN3c107complexIdEES8_E_clES8_S8_@rel32@lo+12
	s_wait_alu 0xfffe
	s_add_co_ci_u32 s1, s1, _ZZZZN2at6native31launch_logcumsumexp_cuda_kernelERKNS_10TensorBaseES3_lENKUlvE_clEvENKUlvE1_clEvENKUlN3c107complexIdEES8_E_clES8_S8_@rel32@hi+24
	s_wait_alu 0xfffe
	s_swappc_b64 s[30:31], s[0:1]
	v_dual_mov_b32 v175, v3 :: v_dual_mov_b32 v174, v2
	v_dual_mov_b32 v173, v1 :: v_dual_mov_b32 v172, v0
.LBB198_28:
	;; [unrolled: 25-line block ×3, first 2 shown]
	s_wait_alu 0xfffe
	s_or_b32 exec_lo, exec_lo, s34
	ds_swizzle_b32 v0, v0 offset:swizzle(BROADCAST,32,15)
	ds_swizzle_b32 v1, v1 offset:swizzle(BROADCAST,32,15)
	ds_swizzle_b32 v2, v2 offset:swizzle(BROADCAST,32,15)
	ds_swizzle_b32 v3, v3 offset:swizzle(BROADCAST,32,15)
	v_and_b32_e32 v4, 16, v182
	s_mov_b32 s34, exec_lo
	s_delay_alu instid0(VALU_DEP_1)
	v_cmpx_ne_u32_e32 0, v4
	s_cbranch_execz .LBB198_32
; %bb.31:
	v_dual_mov_b32 v4, v172 :: v_dual_mov_b32 v5, v173
	v_dual_mov_b32 v6, v174 :: v_dual_mov_b32 v7, v175
	s_getpc_b64 s[0:1]
	s_wait_alu 0xfffe
	s_sext_i32_i16 s1, s1
	s_add_co_u32 s0, s0, _ZZZZN2at6native31launch_logcumsumexp_cuda_kernelERKNS_10TensorBaseES3_lENKUlvE_clEvENKUlvE1_clEvENKUlN3c107complexIdEES8_E_clES8_S8_@rel32@lo+12
	s_wait_alu 0xfffe
	s_add_co_ci_u32 s1, s1, _ZZZZN2at6native31launch_logcumsumexp_cuda_kernelERKNS_10TensorBaseES3_lENKUlvE_clEvENKUlvE1_clEvENKUlN3c107complexIdEES8_E_clES8_S8_@rel32@hi+24
	s_wait_alu 0xfffe
	s_swappc_b64 s[30:31], s[0:1]
	v_dual_mov_b32 v172, v0 :: v_dual_mov_b32 v173, v1
	v_dual_mov_b32 v174, v2 :: v_dual_mov_b32 v175, v3
.LBB198_32:
	s_wait_alu 0xfffe
	s_or_b32 exec_lo, exec_lo, s34
	s_wait_dscnt 0x3
	v_or_b32_e32 v0, 31, v180
	v_lshrrev_b32_e32 v184, 5, v180
	s_mov_b32 s0, exec_lo
	s_delay_alu instid0(VALU_DEP_2)
	v_cmpx_eq_u32_e64 v180, v0
; %bb.33:
	s_delay_alu instid0(VALU_DEP_2)
	v_lshlrev_b32_e32 v0, 4, v184
	ds_store_b128 v0, v[172:175]
; %bb.34:
	s_wait_alu 0xfffe
	s_or_b32 exec_lo, exec_lo, s0
	s_load_b64 s[18:19], s[18:19], 0x28
	s_mov_b32 s34, exec_lo
	s_wait_storecnt_dscnt 0x0
	s_barrier_signal -1
	s_barrier_wait -1
	global_inv scope:SCOPE_SE
	v_cmpx_gt_u32_e32 8, v180
	s_cbranch_execz .LBB198_42
; %bb.35:
	ds_load_b128 v[4:7], v181
	v_and_b32_e32 v176, 7, v182
	s_mov_b32 s35, exec_lo
	s_wait_dscnt 0x0
	v_mov_b32_dpp v0, v4 row_shr:1 row_mask:0xf bank_mask:0xf
	v_mov_b32_dpp v1, v5 row_shr:1 row_mask:0xf bank_mask:0xf
	;; [unrolled: 1-line block ×4, first 2 shown]
	v_cmpx_ne_u32_e32 0, v176
	s_cbranch_execz .LBB198_37
; %bb.36:
	s_getpc_b64 s[0:1]
	s_wait_alu 0xfffe
	s_sext_i32_i16 s1, s1
	s_add_co_u32 s0, s0, _ZZZZN2at6native31launch_logcumsumexp_cuda_kernelERKNS_10TensorBaseES3_lENKUlvE_clEvENKUlvE1_clEvENKUlN3c107complexIdEES8_E_clES8_S8_@rel32@lo+12
	s_wait_alu 0xfffe
	s_add_co_ci_u32 s1, s1, _ZZZZN2at6native31launch_logcumsumexp_cuda_kernelERKNS_10TensorBaseES3_lENKUlvE_clEvENKUlvE1_clEvENKUlN3c107complexIdEES8_E_clES8_S8_@rel32@hi+24
	s_wait_alu 0xfffe
	s_swappc_b64 s[30:31], s[0:1]
	v_dual_mov_b32 v4, v0 :: v_dual_mov_b32 v5, v1
	v_dual_mov_b32 v6, v2 :: v_dual_mov_b32 v7, v3
.LBB198_37:
	s_wait_alu 0xfffe
	s_or_b32 exec_lo, exec_lo, s35
	s_delay_alu instid0(VALU_DEP_2)
	v_mov_b32_dpp v0, v4 row_shr:2 row_mask:0xf bank_mask:0xf
	v_mov_b32_dpp v1, v5 row_shr:2 row_mask:0xf bank_mask:0xf
	;; [unrolled: 1-line block ×4, first 2 shown]
	s_mov_b32 s35, exec_lo
	v_cmpx_lt_u32_e32 1, v176
	s_cbranch_execz .LBB198_39
; %bb.38:
	s_getpc_b64 s[0:1]
	s_wait_alu 0xfffe
	s_sext_i32_i16 s1, s1
	s_add_co_u32 s0, s0, _ZZZZN2at6native31launch_logcumsumexp_cuda_kernelERKNS_10TensorBaseES3_lENKUlvE_clEvENKUlvE1_clEvENKUlN3c107complexIdEES8_E_clES8_S8_@rel32@lo+12
	s_wait_alu 0xfffe
	s_add_co_ci_u32 s1, s1, _ZZZZN2at6native31launch_logcumsumexp_cuda_kernelERKNS_10TensorBaseES3_lENKUlvE_clEvENKUlvE1_clEvENKUlN3c107complexIdEES8_E_clES8_S8_@rel32@hi+24
	s_wait_alu 0xfffe
	s_swappc_b64 s[30:31], s[0:1]
	v_dual_mov_b32 v4, v0 :: v_dual_mov_b32 v5, v1
	v_dual_mov_b32 v6, v2 :: v_dual_mov_b32 v7, v3
.LBB198_39:
	s_wait_alu 0xfffe
	s_or_b32 exec_lo, exec_lo, s35
	s_delay_alu instid0(VALU_DEP_2)
	v_mov_b32_dpp v0, v4 row_shr:4 row_mask:0xf bank_mask:0xf
	v_mov_b32_dpp v1, v5 row_shr:4 row_mask:0xf bank_mask:0xf
	;; [unrolled: 1-line block ×4, first 2 shown]
	s_mov_b32 s35, exec_lo
	v_cmpx_lt_u32_e32 3, v176
	s_cbranch_execz .LBB198_41
; %bb.40:
	s_getpc_b64 s[0:1]
	s_wait_alu 0xfffe
	s_sext_i32_i16 s1, s1
	s_add_co_u32 s0, s0, _ZZZZN2at6native31launch_logcumsumexp_cuda_kernelERKNS_10TensorBaseES3_lENKUlvE_clEvENKUlvE1_clEvENKUlN3c107complexIdEES8_E_clES8_S8_@rel32@lo+12
	s_wait_alu 0xfffe
	s_add_co_ci_u32 s1, s1, _ZZZZN2at6native31launch_logcumsumexp_cuda_kernelERKNS_10TensorBaseES3_lENKUlvE_clEvENKUlvE1_clEvENKUlN3c107complexIdEES8_E_clES8_S8_@rel32@hi+24
	s_wait_alu 0xfffe
	s_swappc_b64 s[30:31], s[0:1]
	v_dual_mov_b32 v4, v0 :: v_dual_mov_b32 v5, v1
	v_dual_mov_b32 v6, v2 :: v_dual_mov_b32 v7, v3
.LBB198_41:
	s_wait_alu 0xfffe
	s_or_b32 exec_lo, exec_lo, s35
	ds_store_b128 v181, v[4:7]
.LBB198_42:
	s_wait_alu 0xfffe
	s_or_b32 exec_lo, exec_lo, s34
	v_mov_b32_e32 v178, 0
	v_dual_mov_b32 v179, 0 :: v_dual_mov_b32 v176, 0
	v_mul_u32_u24_e32 v183, 0xa0, v180
	v_mov_b32_e32 v177, 0
	s_mov_b32 s34, exec_lo
	s_wait_storecnt 0x0
	s_wait_loadcnt_dscnt 0x0
	s_barrier_signal -1
	s_barrier_wait -1
	global_inv scope:SCOPE_SE
	v_cmpx_lt_u32_e32 31, v180
	s_cbranch_execz .LBB198_44
; %bb.43:
	v_lshl_add_u32 v0, v184, 4, -16
	v_dual_mov_b32 v4, v172 :: v_dual_mov_b32 v5, v173
	s_getpc_b64 s[0:1]
	s_wait_alu 0xfffe
	s_sext_i32_i16 s1, s1
	s_add_co_u32 s0, s0, _ZZZZN2at6native31launch_logcumsumexp_cuda_kernelERKNS_10TensorBaseES3_lENKUlvE_clEvENKUlvE1_clEvENKUlN3c107complexIdEES8_E_clES8_S8_@rel32@lo+12
	s_wait_alu 0xfffe
	s_add_co_ci_u32 s1, s1, _ZZZZN2at6native31launch_logcumsumexp_cuda_kernelERKNS_10TensorBaseES3_lENKUlvE_clEvENKUlvE1_clEvENKUlN3c107complexIdEES8_E_clES8_S8_@rel32@hi+24
	v_mov_b32_e32 v7, v175
	ds_load_b128 v[176:179], v0
	s_wait_dscnt 0x0
	v_dual_mov_b32 v6, v174 :: v_dual_mov_b32 v1, v177
	v_dual_mov_b32 v0, v176 :: v_dual_mov_b32 v3, v179
	v_mov_b32_e32 v2, v178
	s_wait_alu 0xfffe
	s_swappc_b64 s[30:31], s[0:1]
	s_delay_alu instid0(VALU_DEP_2) | instskip(NEXT) | instid1(VALU_DEP_2)
	v_dual_mov_b32 v172, v0 :: v_dual_mov_b32 v173, v1
	v_dual_mov_b32 v174, v2 :: v_dual_mov_b32 v175, v3
.LBB198_44:
	s_wait_alu 0xfffe
	s_or_b32 exec_lo, exec_lo, s34
	v_add_nc_u32_e32 v0, -1, v182
	s_mov_b32 s36, exec_lo
	s_delay_alu instid0(VALU_DEP_1) | instskip(SKIP_2) | instid1(VALU_DEP_1)
	v_cmp_gt_i32_e32 vcc_lo, 0, v0
	s_wait_alu 0xfffd
	v_cndmask_b32_e32 v0, v0, v182, vcc_lo
	v_lshlrev_b32_e32 v3, 2, v0
	ds_bpermute_b32 v0, v3, v172
	ds_bpermute_b32 v1, v3, v173
	;; [unrolled: 1-line block ×4, first 2 shown]
	v_cmpx_ne_u32_e32 0, v180
	s_cbranch_execz .LBB198_46
; %bb.45:
	v_cmp_eq_u32_e32 vcc_lo, 0, v182
	v_dual_mov_b32 v4, v40 :: v_dual_mov_b32 v5, v41
	v_dual_mov_b32 v6, v42 :: v_dual_mov_b32 v7, v43
	s_wait_dscnt 0x2
	s_wait_alu 0xfffd
	v_dual_cndmask_b32 v0, v0, v176 :: v_dual_cndmask_b32 v1, v1, v177
	s_wait_dscnt 0x0
	v_dual_cndmask_b32 v2, v2, v178 :: v_dual_cndmask_b32 v3, v3, v179
	s_getpc_b64 s[34:35]
	s_wait_alu 0xfffe
	s_sext_i32_i16 s35, s35
	s_add_co_u32 s34, s34, _ZZZZN2at6native31launch_logcumsumexp_cuda_kernelERKNS_10TensorBaseES3_lENKUlvE_clEvENKUlvE1_clEvENKUlN3c107complexIdEES8_E_clES8_S8_@rel32@lo+12
	s_wait_alu 0xfffe
	s_add_co_ci_u32 s35, s35, _ZZZZN2at6native31launch_logcumsumexp_cuda_kernelERKNS_10TensorBaseES3_lENKUlvE_clEvENKUlvE1_clEvENKUlN3c107complexIdEES8_E_clES8_S8_@rel32@hi+24
	s_wait_alu 0xfffe
	s_swappc_b64 s[30:31], s[34:35]
	v_dual_mov_b32 v4, v148 :: v_dual_mov_b32 v5, v149
	v_dual_mov_b32 v6, v150 :: v_dual_mov_b32 v7, v151
	;; [unrolled: 1-line block ×4, first 2 shown]
	;;#ASMSTART
	;;#ASMEND
	s_wait_alu 0xfffe
	s_swappc_b64 s[30:31], s[34:35]
	v_dual_mov_b32 v4, v140 :: v_dual_mov_b32 v5, v141
	v_dual_mov_b32 v6, v142 :: v_dual_mov_b32 v7, v143
	v_dual_mov_b32 v44, v0 :: v_dual_mov_b32 v45, v1
	v_dual_mov_b32 v46, v2 :: v_dual_mov_b32 v47, v3
	s_wait_alu 0xfffe
	s_swappc_b64 s[30:31], s[34:35]
	v_dual_mov_b32 v4, v136 :: v_dual_mov_b32 v5, v137
	v_dual_mov_b32 v6, v138 :: v_dual_mov_b32 v7, v139
	v_dual_mov_b32 v72, v0 :: v_dual_mov_b32 v73, v1
	v_dual_mov_b32 v74, v2 :: v_dual_mov_b32 v75, v3
	;; [unrolled: 6-line block ×9, first 2 shown]
	s_wait_alu 0xfffe
	s_swappc_b64 s[30:31], s[34:35]
	v_dual_mov_b32 v168, v0 :: v_dual_mov_b32 v169, v1
	v_dual_mov_b32 v170, v2 :: v_dual_mov_b32 v171, v3
.LBB198_46:
	s_wait_alu 0xfffe
	s_or_b32 exec_lo, exec_lo, s36
	s_wait_dscnt 0x3
	v_add_nc_u32_e32 v0, v181, v183
	s_wait_storecnt 0x0
	s_wait_loadcnt_dscnt 0x0
	s_barrier_signal -1
	s_barrier_wait -1
	global_inv scope:SCOPE_SE
	ds_store_b128 v0, v[40:43]
	ds_store_b128 v0, v[44:47] offset:16
	ds_store_b128 v0, v[72:75] offset:32
	ds_store_b128 v0, v[92:95] offset:48
	ds_store_b128 v0, v[120:123] offset:64
	ds_store_b128 v0, v[144:147] offset:80
	ds_store_b128 v0, v[152:155] offset:96
	ds_store_b128 v0, v[156:159] offset:112
	ds_store_b128 v0, v[160:163] offset:128
	ds_store_b128 v0, v[164:167] offset:144
	ds_store_b128 v0, v[168:171] offset:160
	s_wait_loadcnt_dscnt 0x0
	s_barrier_signal -1
	s_barrier_wait -1
	global_inv scope:SCOPE_SE
	ds_load_b128 v[32:35], v181 offset:8192
	ds_load_b128 v[28:31], v181 offset:12288
	ds_load_b128 v[24:27], v181 offset:16384
	ds_load_b128 v[20:23], v181 offset:20480
	ds_load_b128 v[16:19], v181 offset:24576
	ds_load_b128 v[12:15], v181 offset:28672
	ds_load_b128 v[8:11], v181 offset:32768
	ds_load_b128 v[4:7], v181 offset:36864
	ds_load_b128 v[36:39], v181 offset:4096
	ds_load_b128 v[0:3], v181 offset:40960
	v_lshlrev_b32_e32 v40, 4, v180
	s_wait_kmcnt 0x0
	s_delay_alu instid0(VALU_DEP_1)
	v_add_co_u32 v40, s0, s18, v40
	s_wait_alu 0xf1ff
	v_add_co_ci_u32_e64 v41, null, s19, 0, s0
	s_and_saveexec_b32 s0, s20
	s_cbranch_execnz .LBB198_58
; %bb.47:
	s_wait_alu 0xfffe
	s_or_b32 exec_lo, exec_lo, s0
	s_and_saveexec_b32 s0, s21
	s_cbranch_execnz .LBB198_59
.LBB198_48:
	s_wait_alu 0xfffe
	s_or_b32 exec_lo, exec_lo, s0
	s_and_saveexec_b32 s0, s22
	s_cbranch_execnz .LBB198_60
.LBB198_49:
	s_wait_alu 0xfffe
	s_or_b32 exec_lo, exec_lo, s0
	s_and_saveexec_b32 s0, s23
	s_cbranch_execnz .LBB198_61
.LBB198_50:
	s_wait_alu 0xfffe
	s_or_b32 exec_lo, exec_lo, s0
	s_and_saveexec_b32 s0, s24
	s_cbranch_execnz .LBB198_62
.LBB198_51:
	s_wait_alu 0xfffe
	s_or_b32 exec_lo, exec_lo, s0
	s_and_saveexec_b32 s0, s25
	s_cbranch_execnz .LBB198_63
.LBB198_52:
	s_wait_alu 0xfffe
	s_or_b32 exec_lo, exec_lo, s0
	s_and_saveexec_b32 s0, s26
	s_cbranch_execnz .LBB198_64
.LBB198_53:
	s_wait_alu 0xfffe
	s_or_b32 exec_lo, exec_lo, s0
	s_and_saveexec_b32 s0, s27
	s_cbranch_execnz .LBB198_65
.LBB198_54:
	s_wait_alu 0xfffe
	s_or_b32 exec_lo, exec_lo, s0
	s_and_saveexec_b32 s0, s28
	s_cbranch_execnz .LBB198_66
.LBB198_55:
	s_wait_alu 0xfffe
	s_or_b32 exec_lo, exec_lo, s0
	s_and_saveexec_b32 s0, s29
	s_cbranch_execnz .LBB198_67
.LBB198_56:
	s_wait_alu 0xfffe
	s_or_b32 exec_lo, exec_lo, s0
	s_and_saveexec_b32 s0, s33
	s_cbranch_execnz .LBB198_68
.LBB198_57:
	s_nop 0
	s_sendmsg sendmsg(MSG_DEALLOC_VGPRS)
	s_endpgm
.LBB198_58:
	ds_load_b128 v[42:45], v181
	s_wait_dscnt 0x0
	global_store_b128 v[40:41], v[42:45], off
	s_wait_alu 0xfffe
	s_or_b32 exec_lo, exec_lo, s0
	s_and_saveexec_b32 s0, s21
	s_cbranch_execz .LBB198_48
.LBB198_59:
	s_wait_dscnt 0x1
	global_store_b128 v[40:41], v[36:39], off offset:4096
	s_wait_alu 0xfffe
	s_or_b32 exec_lo, exec_lo, s0
	s_and_saveexec_b32 s0, s22
	s_cbranch_execz .LBB198_49
.LBB198_60:
	s_wait_dscnt 0x9
	global_store_b128 v[40:41], v[32:35], off offset:8192
	s_wait_alu 0xfffe
	s_or_b32 exec_lo, exec_lo, s0
	s_and_saveexec_b32 s0, s23
	s_cbranch_execz .LBB198_50
.LBB198_61:
	s_wait_dscnt 0x8
	global_store_b128 v[40:41], v[28:31], off offset:12288
	s_wait_alu 0xfffe
	s_or_b32 exec_lo, exec_lo, s0
	s_and_saveexec_b32 s0, s24
	s_cbranch_execz .LBB198_51
.LBB198_62:
	s_wait_dscnt 0x7
	global_store_b128 v[40:41], v[24:27], off offset:16384
	s_wait_alu 0xfffe
	s_or_b32 exec_lo, exec_lo, s0
	s_and_saveexec_b32 s0, s25
	s_cbranch_execz .LBB198_52
.LBB198_63:
	s_wait_dscnt 0x6
	global_store_b128 v[40:41], v[20:23], off offset:20480
	s_wait_alu 0xfffe
	s_or_b32 exec_lo, exec_lo, s0
	s_and_saveexec_b32 s0, s26
	s_cbranch_execz .LBB198_53
.LBB198_64:
	s_wait_dscnt 0x5
	global_store_b128 v[40:41], v[16:19], off offset:24576
	s_wait_alu 0xfffe
	s_or_b32 exec_lo, exec_lo, s0
	s_and_saveexec_b32 s0, s27
	s_cbranch_execz .LBB198_54
.LBB198_65:
	s_wait_dscnt 0x4
	global_store_b128 v[40:41], v[12:15], off offset:28672
	s_wait_alu 0xfffe
	s_or_b32 exec_lo, exec_lo, s0
	s_and_saveexec_b32 s0, s28
	s_cbranch_execz .LBB198_55
.LBB198_66:
	s_wait_dscnt 0x3
	global_store_b128 v[40:41], v[8:11], off offset:32768
	s_wait_alu 0xfffe
	s_or_b32 exec_lo, exec_lo, s0
	s_and_saveexec_b32 s0, s29
	s_cbranch_execz .LBB198_56
.LBB198_67:
	s_wait_dscnt 0x2
	global_store_b128 v[40:41], v[4:7], off offset:36864
	s_wait_alu 0xfffe
	s_or_b32 exec_lo, exec_lo, s0
	s_and_saveexec_b32 s0, s33
	s_cbranch_execz .LBB198_57
.LBB198_68:
	s_wait_dscnt 0x0
	global_store_b128 v[40:41], v[0:3], off offset:40960
	s_nop 0
	s_sendmsg sendmsg(MSG_DEALLOC_VGPRS)
	s_endpgm
	.section	.rodata,"a",@progbits
	.p2align	6, 0x0
	.amdhsa_kernel _ZN7rocprim17ROCPRIM_400000_NS6detail17trampoline_kernelINS0_14default_configENS1_20scan_config_selectorIN3c107complexIdEEEEZZNS1_9scan_implILNS1_25lookback_scan_determinismE0ELb0ELb0ES3_PKS7_PS7_S7_ZZZN2at6native31launch_logcumsumexp_cuda_kernelERKNSE_10TensorBaseESI_lENKUlvE_clEvENKUlvE1_clEvEUlS7_S7_E_S7_EEDaPvRmT3_T4_T5_mT6_P12ihipStream_tbENKUlT_T0_E_clISt17integral_constantIbLb0EESZ_EEDaSU_SV_EUlSU_E0_NS1_11comp_targetILNS1_3genE10ELNS1_11target_archE1201ELNS1_3gpuE5ELNS1_3repE0EEENS1_30default_config_static_selectorELNS0_4arch9wavefront6targetE0EEEvT1_
		.amdhsa_group_segment_fixed_size 45056
		.amdhsa_private_segment_fixed_size 0
		.amdhsa_kernarg_size 48
		.amdhsa_user_sgpr_count 2
		.amdhsa_user_sgpr_dispatch_ptr 0
		.amdhsa_user_sgpr_queue_ptr 0
		.amdhsa_user_sgpr_kernarg_segment_ptr 1
		.amdhsa_user_sgpr_dispatch_id 0
		.amdhsa_user_sgpr_private_segment_size 0
		.amdhsa_wavefront_size32 1
		.amdhsa_uses_dynamic_stack 0
		.amdhsa_enable_private_segment 0
		.amdhsa_system_sgpr_workgroup_id_x 1
		.amdhsa_system_sgpr_workgroup_id_y 0
		.amdhsa_system_sgpr_workgroup_id_z 0
		.amdhsa_system_sgpr_workgroup_info 0
		.amdhsa_system_vgpr_workitem_id 0
		.amdhsa_next_free_vgpr 241
		.amdhsa_next_free_sgpr 37
		.amdhsa_reserve_vcc 1
		.amdhsa_float_round_mode_32 0
		.amdhsa_float_round_mode_16_64 0
		.amdhsa_float_denorm_mode_32 3
		.amdhsa_float_denorm_mode_16_64 3
		.amdhsa_fp16_overflow 0
		.amdhsa_workgroup_processor_mode 1
		.amdhsa_memory_ordered 1
		.amdhsa_forward_progress 1
		.amdhsa_inst_pref_size 33
		.amdhsa_round_robin_scheduling 0
		.amdhsa_exception_fp_ieee_invalid_op 0
		.amdhsa_exception_fp_denorm_src 0
		.amdhsa_exception_fp_ieee_div_zero 0
		.amdhsa_exception_fp_ieee_overflow 0
		.amdhsa_exception_fp_ieee_underflow 0
		.amdhsa_exception_fp_ieee_inexact 0
		.amdhsa_exception_int_div_zero 0
	.end_amdhsa_kernel
	.section	.text._ZN7rocprim17ROCPRIM_400000_NS6detail17trampoline_kernelINS0_14default_configENS1_20scan_config_selectorIN3c107complexIdEEEEZZNS1_9scan_implILNS1_25lookback_scan_determinismE0ELb0ELb0ES3_PKS7_PS7_S7_ZZZN2at6native31launch_logcumsumexp_cuda_kernelERKNSE_10TensorBaseESI_lENKUlvE_clEvENKUlvE1_clEvEUlS7_S7_E_S7_EEDaPvRmT3_T4_T5_mT6_P12ihipStream_tbENKUlT_T0_E_clISt17integral_constantIbLb0EESZ_EEDaSU_SV_EUlSU_E0_NS1_11comp_targetILNS1_3genE10ELNS1_11target_archE1201ELNS1_3gpuE5ELNS1_3repE0EEENS1_30default_config_static_selectorELNS0_4arch9wavefront6targetE0EEEvT1_,"axG",@progbits,_ZN7rocprim17ROCPRIM_400000_NS6detail17trampoline_kernelINS0_14default_configENS1_20scan_config_selectorIN3c107complexIdEEEEZZNS1_9scan_implILNS1_25lookback_scan_determinismE0ELb0ELb0ES3_PKS7_PS7_S7_ZZZN2at6native31launch_logcumsumexp_cuda_kernelERKNSE_10TensorBaseESI_lENKUlvE_clEvENKUlvE1_clEvEUlS7_S7_E_S7_EEDaPvRmT3_T4_T5_mT6_P12ihipStream_tbENKUlT_T0_E_clISt17integral_constantIbLb0EESZ_EEDaSU_SV_EUlSU_E0_NS1_11comp_targetILNS1_3genE10ELNS1_11target_archE1201ELNS1_3gpuE5ELNS1_3repE0EEENS1_30default_config_static_selectorELNS0_4arch9wavefront6targetE0EEEvT1_,comdat
.Lfunc_end198:
	.size	_ZN7rocprim17ROCPRIM_400000_NS6detail17trampoline_kernelINS0_14default_configENS1_20scan_config_selectorIN3c107complexIdEEEEZZNS1_9scan_implILNS1_25lookback_scan_determinismE0ELb0ELb0ES3_PKS7_PS7_S7_ZZZN2at6native31launch_logcumsumexp_cuda_kernelERKNSE_10TensorBaseESI_lENKUlvE_clEvENKUlvE1_clEvEUlS7_S7_E_S7_EEDaPvRmT3_T4_T5_mT6_P12ihipStream_tbENKUlT_T0_E_clISt17integral_constantIbLb0EESZ_EEDaSU_SV_EUlSU_E0_NS1_11comp_targetILNS1_3genE10ELNS1_11target_archE1201ELNS1_3gpuE5ELNS1_3repE0EEENS1_30default_config_static_selectorELNS0_4arch9wavefront6targetE0EEEvT1_, .Lfunc_end198-_ZN7rocprim17ROCPRIM_400000_NS6detail17trampoline_kernelINS0_14default_configENS1_20scan_config_selectorIN3c107complexIdEEEEZZNS1_9scan_implILNS1_25lookback_scan_determinismE0ELb0ELb0ES3_PKS7_PS7_S7_ZZZN2at6native31launch_logcumsumexp_cuda_kernelERKNSE_10TensorBaseESI_lENKUlvE_clEvENKUlvE1_clEvEUlS7_S7_E_S7_EEDaPvRmT3_T4_T5_mT6_P12ihipStream_tbENKUlT_T0_E_clISt17integral_constantIbLb0EESZ_EEDaSU_SV_EUlSU_E0_NS1_11comp_targetILNS1_3genE10ELNS1_11target_archE1201ELNS1_3gpuE5ELNS1_3repE0EEENS1_30default_config_static_selectorELNS0_4arch9wavefront6targetE0EEEvT1_
                                        ; -- End function
	.set _ZN7rocprim17ROCPRIM_400000_NS6detail17trampoline_kernelINS0_14default_configENS1_20scan_config_selectorIN3c107complexIdEEEEZZNS1_9scan_implILNS1_25lookback_scan_determinismE0ELb0ELb0ES3_PKS7_PS7_S7_ZZZN2at6native31launch_logcumsumexp_cuda_kernelERKNSE_10TensorBaseESI_lENKUlvE_clEvENKUlvE1_clEvEUlS7_S7_E_S7_EEDaPvRmT3_T4_T5_mT6_P12ihipStream_tbENKUlT_T0_E_clISt17integral_constantIbLb0EESZ_EEDaSU_SV_EUlSU_E0_NS1_11comp_targetILNS1_3genE10ELNS1_11target_archE1201ELNS1_3gpuE5ELNS1_3repE0EEENS1_30default_config_static_selectorELNS0_4arch9wavefront6targetE0EEEvT1_.num_vgpr, max(185, .L_ZZZZN2at6native31launch_logcumsumexp_cuda_kernelERKNS_10TensorBaseES3_lENKUlvE_clEvENKUlvE1_clEvENKUlN3c107complexIdEES8_E_clES8_S8_.num_vgpr)
	.set _ZN7rocprim17ROCPRIM_400000_NS6detail17trampoline_kernelINS0_14default_configENS1_20scan_config_selectorIN3c107complexIdEEEEZZNS1_9scan_implILNS1_25lookback_scan_determinismE0ELb0ELb0ES3_PKS7_PS7_S7_ZZZN2at6native31launch_logcumsumexp_cuda_kernelERKNSE_10TensorBaseESI_lENKUlvE_clEvENKUlvE1_clEvEUlS7_S7_E_S7_EEDaPvRmT3_T4_T5_mT6_P12ihipStream_tbENKUlT_T0_E_clISt17integral_constantIbLb0EESZ_EEDaSU_SV_EUlSU_E0_NS1_11comp_targetILNS1_3genE10ELNS1_11target_archE1201ELNS1_3gpuE5ELNS1_3repE0EEENS1_30default_config_static_selectorELNS0_4arch9wavefront6targetE0EEEvT1_.num_agpr, max(0, .L_ZZZZN2at6native31launch_logcumsumexp_cuda_kernelERKNS_10TensorBaseES3_lENKUlvE_clEvENKUlvE1_clEvENKUlN3c107complexIdEES8_E_clES8_S8_.num_agpr)
	.set _ZN7rocprim17ROCPRIM_400000_NS6detail17trampoline_kernelINS0_14default_configENS1_20scan_config_selectorIN3c107complexIdEEEEZZNS1_9scan_implILNS1_25lookback_scan_determinismE0ELb0ELb0ES3_PKS7_PS7_S7_ZZZN2at6native31launch_logcumsumexp_cuda_kernelERKNSE_10TensorBaseESI_lENKUlvE_clEvENKUlvE1_clEvEUlS7_S7_E_S7_EEDaPvRmT3_T4_T5_mT6_P12ihipStream_tbENKUlT_T0_E_clISt17integral_constantIbLb0EESZ_EEDaSU_SV_EUlSU_E0_NS1_11comp_targetILNS1_3genE10ELNS1_11target_archE1201ELNS1_3gpuE5ELNS1_3repE0EEENS1_30default_config_static_selectorELNS0_4arch9wavefront6targetE0EEEvT1_.numbered_sgpr, max(37, .L_ZZZZN2at6native31launch_logcumsumexp_cuda_kernelERKNS_10TensorBaseES3_lENKUlvE_clEvENKUlvE1_clEvENKUlN3c107complexIdEES8_E_clES8_S8_.numbered_sgpr)
	.set _ZN7rocprim17ROCPRIM_400000_NS6detail17trampoline_kernelINS0_14default_configENS1_20scan_config_selectorIN3c107complexIdEEEEZZNS1_9scan_implILNS1_25lookback_scan_determinismE0ELb0ELb0ES3_PKS7_PS7_S7_ZZZN2at6native31launch_logcumsumexp_cuda_kernelERKNSE_10TensorBaseESI_lENKUlvE_clEvENKUlvE1_clEvEUlS7_S7_E_S7_EEDaPvRmT3_T4_T5_mT6_P12ihipStream_tbENKUlT_T0_E_clISt17integral_constantIbLb0EESZ_EEDaSU_SV_EUlSU_E0_NS1_11comp_targetILNS1_3genE10ELNS1_11target_archE1201ELNS1_3gpuE5ELNS1_3repE0EEENS1_30default_config_static_selectorELNS0_4arch9wavefront6targetE0EEEvT1_.num_named_barrier, max(0, .L_ZZZZN2at6native31launch_logcumsumexp_cuda_kernelERKNS_10TensorBaseES3_lENKUlvE_clEvENKUlvE1_clEvENKUlN3c107complexIdEES8_E_clES8_S8_.num_named_barrier)
	.set _ZN7rocprim17ROCPRIM_400000_NS6detail17trampoline_kernelINS0_14default_configENS1_20scan_config_selectorIN3c107complexIdEEEEZZNS1_9scan_implILNS1_25lookback_scan_determinismE0ELb0ELb0ES3_PKS7_PS7_S7_ZZZN2at6native31launch_logcumsumexp_cuda_kernelERKNSE_10TensorBaseESI_lENKUlvE_clEvENKUlvE1_clEvEUlS7_S7_E_S7_EEDaPvRmT3_T4_T5_mT6_P12ihipStream_tbENKUlT_T0_E_clISt17integral_constantIbLb0EESZ_EEDaSU_SV_EUlSU_E0_NS1_11comp_targetILNS1_3genE10ELNS1_11target_archE1201ELNS1_3gpuE5ELNS1_3repE0EEENS1_30default_config_static_selectorELNS0_4arch9wavefront6targetE0EEEvT1_.private_seg_size, 0+max(.L_ZZZZN2at6native31launch_logcumsumexp_cuda_kernelERKNS_10TensorBaseES3_lENKUlvE_clEvENKUlvE1_clEvENKUlN3c107complexIdEES8_E_clES8_S8_.private_seg_size)
	.set _ZN7rocprim17ROCPRIM_400000_NS6detail17trampoline_kernelINS0_14default_configENS1_20scan_config_selectorIN3c107complexIdEEEEZZNS1_9scan_implILNS1_25lookback_scan_determinismE0ELb0ELb0ES3_PKS7_PS7_S7_ZZZN2at6native31launch_logcumsumexp_cuda_kernelERKNSE_10TensorBaseESI_lENKUlvE_clEvENKUlvE1_clEvEUlS7_S7_E_S7_EEDaPvRmT3_T4_T5_mT6_P12ihipStream_tbENKUlT_T0_E_clISt17integral_constantIbLb0EESZ_EEDaSU_SV_EUlSU_E0_NS1_11comp_targetILNS1_3genE10ELNS1_11target_archE1201ELNS1_3gpuE5ELNS1_3repE0EEENS1_30default_config_static_selectorELNS0_4arch9wavefront6targetE0EEEvT1_.uses_vcc, or(1, .L_ZZZZN2at6native31launch_logcumsumexp_cuda_kernelERKNS_10TensorBaseES3_lENKUlvE_clEvENKUlvE1_clEvENKUlN3c107complexIdEES8_E_clES8_S8_.uses_vcc)
	.set _ZN7rocprim17ROCPRIM_400000_NS6detail17trampoline_kernelINS0_14default_configENS1_20scan_config_selectorIN3c107complexIdEEEEZZNS1_9scan_implILNS1_25lookback_scan_determinismE0ELb0ELb0ES3_PKS7_PS7_S7_ZZZN2at6native31launch_logcumsumexp_cuda_kernelERKNSE_10TensorBaseESI_lENKUlvE_clEvENKUlvE1_clEvEUlS7_S7_E_S7_EEDaPvRmT3_T4_T5_mT6_P12ihipStream_tbENKUlT_T0_E_clISt17integral_constantIbLb0EESZ_EEDaSU_SV_EUlSU_E0_NS1_11comp_targetILNS1_3genE10ELNS1_11target_archE1201ELNS1_3gpuE5ELNS1_3repE0EEENS1_30default_config_static_selectorELNS0_4arch9wavefront6targetE0EEEvT1_.uses_flat_scratch, or(0, .L_ZZZZN2at6native31launch_logcumsumexp_cuda_kernelERKNS_10TensorBaseES3_lENKUlvE_clEvENKUlvE1_clEvENKUlN3c107complexIdEES8_E_clES8_S8_.uses_flat_scratch)
	.set _ZN7rocprim17ROCPRIM_400000_NS6detail17trampoline_kernelINS0_14default_configENS1_20scan_config_selectorIN3c107complexIdEEEEZZNS1_9scan_implILNS1_25lookback_scan_determinismE0ELb0ELb0ES3_PKS7_PS7_S7_ZZZN2at6native31launch_logcumsumexp_cuda_kernelERKNSE_10TensorBaseESI_lENKUlvE_clEvENKUlvE1_clEvEUlS7_S7_E_S7_EEDaPvRmT3_T4_T5_mT6_P12ihipStream_tbENKUlT_T0_E_clISt17integral_constantIbLb0EESZ_EEDaSU_SV_EUlSU_E0_NS1_11comp_targetILNS1_3genE10ELNS1_11target_archE1201ELNS1_3gpuE5ELNS1_3repE0EEENS1_30default_config_static_selectorELNS0_4arch9wavefront6targetE0EEEvT1_.has_dyn_sized_stack, or(0, .L_ZZZZN2at6native31launch_logcumsumexp_cuda_kernelERKNS_10TensorBaseES3_lENKUlvE_clEvENKUlvE1_clEvENKUlN3c107complexIdEES8_E_clES8_S8_.has_dyn_sized_stack)
	.set _ZN7rocprim17ROCPRIM_400000_NS6detail17trampoline_kernelINS0_14default_configENS1_20scan_config_selectorIN3c107complexIdEEEEZZNS1_9scan_implILNS1_25lookback_scan_determinismE0ELb0ELb0ES3_PKS7_PS7_S7_ZZZN2at6native31launch_logcumsumexp_cuda_kernelERKNSE_10TensorBaseESI_lENKUlvE_clEvENKUlvE1_clEvEUlS7_S7_E_S7_EEDaPvRmT3_T4_T5_mT6_P12ihipStream_tbENKUlT_T0_E_clISt17integral_constantIbLb0EESZ_EEDaSU_SV_EUlSU_E0_NS1_11comp_targetILNS1_3genE10ELNS1_11target_archE1201ELNS1_3gpuE5ELNS1_3repE0EEENS1_30default_config_static_selectorELNS0_4arch9wavefront6targetE0EEEvT1_.has_recursion, or(0, .L_ZZZZN2at6native31launch_logcumsumexp_cuda_kernelERKNS_10TensorBaseES3_lENKUlvE_clEvENKUlvE1_clEvENKUlN3c107complexIdEES8_E_clES8_S8_.has_recursion)
	.set _ZN7rocprim17ROCPRIM_400000_NS6detail17trampoline_kernelINS0_14default_configENS1_20scan_config_selectorIN3c107complexIdEEEEZZNS1_9scan_implILNS1_25lookback_scan_determinismE0ELb0ELb0ES3_PKS7_PS7_S7_ZZZN2at6native31launch_logcumsumexp_cuda_kernelERKNSE_10TensorBaseESI_lENKUlvE_clEvENKUlvE1_clEvEUlS7_S7_E_S7_EEDaPvRmT3_T4_T5_mT6_P12ihipStream_tbENKUlT_T0_E_clISt17integral_constantIbLb0EESZ_EEDaSU_SV_EUlSU_E0_NS1_11comp_targetILNS1_3genE10ELNS1_11target_archE1201ELNS1_3gpuE5ELNS1_3repE0EEENS1_30default_config_static_selectorELNS0_4arch9wavefront6targetE0EEEvT1_.has_indirect_call, or(0, .L_ZZZZN2at6native31launch_logcumsumexp_cuda_kernelERKNS_10TensorBaseES3_lENKUlvE_clEvENKUlvE1_clEvENKUlN3c107complexIdEES8_E_clES8_S8_.has_indirect_call)
	.section	.AMDGPU.csdata,"",@progbits
; Kernel info:
; codeLenInByte = 4156
; TotalNumSgprs: 39
; NumVgprs: 185
; ScratchSize: 0
; MemoryBound: 1
; FloatMode: 240
; IeeeMode: 1
; LDSByteSize: 45056 bytes/workgroup (compile time only)
; SGPRBlocks: 0
; VGPRBlocks: 30
; NumSGPRsForWavesPerEU: 39
; NumVGPRsForWavesPerEU: 241
; Occupancy: 4
; WaveLimiterHint : 0
; COMPUTE_PGM_RSRC2:SCRATCH_EN: 0
; COMPUTE_PGM_RSRC2:USER_SGPR: 2
; COMPUTE_PGM_RSRC2:TRAP_HANDLER: 0
; COMPUTE_PGM_RSRC2:TGID_X_EN: 1
; COMPUTE_PGM_RSRC2:TGID_Y_EN: 0
; COMPUTE_PGM_RSRC2:TGID_Z_EN: 0
; COMPUTE_PGM_RSRC2:TIDIG_COMP_CNT: 0
	.section	.text._ZN7rocprim17ROCPRIM_400000_NS6detail17trampoline_kernelINS0_14default_configENS1_20scan_config_selectorIN3c107complexIdEEEEZZNS1_9scan_implILNS1_25lookback_scan_determinismE0ELb0ELb0ES3_PKS7_PS7_S7_ZZZN2at6native31launch_logcumsumexp_cuda_kernelERKNSE_10TensorBaseESI_lENKUlvE_clEvENKUlvE1_clEvEUlS7_S7_E_S7_EEDaPvRmT3_T4_T5_mT6_P12ihipStream_tbENKUlT_T0_E_clISt17integral_constantIbLb0EESZ_EEDaSU_SV_EUlSU_E0_NS1_11comp_targetILNS1_3genE10ELNS1_11target_archE1200ELNS1_3gpuE4ELNS1_3repE0EEENS1_30default_config_static_selectorELNS0_4arch9wavefront6targetE0EEEvT1_,"axG",@progbits,_ZN7rocprim17ROCPRIM_400000_NS6detail17trampoline_kernelINS0_14default_configENS1_20scan_config_selectorIN3c107complexIdEEEEZZNS1_9scan_implILNS1_25lookback_scan_determinismE0ELb0ELb0ES3_PKS7_PS7_S7_ZZZN2at6native31launch_logcumsumexp_cuda_kernelERKNSE_10TensorBaseESI_lENKUlvE_clEvENKUlvE1_clEvEUlS7_S7_E_S7_EEDaPvRmT3_T4_T5_mT6_P12ihipStream_tbENKUlT_T0_E_clISt17integral_constantIbLb0EESZ_EEDaSU_SV_EUlSU_E0_NS1_11comp_targetILNS1_3genE10ELNS1_11target_archE1200ELNS1_3gpuE4ELNS1_3repE0EEENS1_30default_config_static_selectorELNS0_4arch9wavefront6targetE0EEEvT1_,comdat
	.globl	_ZN7rocprim17ROCPRIM_400000_NS6detail17trampoline_kernelINS0_14default_configENS1_20scan_config_selectorIN3c107complexIdEEEEZZNS1_9scan_implILNS1_25lookback_scan_determinismE0ELb0ELb0ES3_PKS7_PS7_S7_ZZZN2at6native31launch_logcumsumexp_cuda_kernelERKNSE_10TensorBaseESI_lENKUlvE_clEvENKUlvE1_clEvEUlS7_S7_E_S7_EEDaPvRmT3_T4_T5_mT6_P12ihipStream_tbENKUlT_T0_E_clISt17integral_constantIbLb0EESZ_EEDaSU_SV_EUlSU_E0_NS1_11comp_targetILNS1_3genE10ELNS1_11target_archE1200ELNS1_3gpuE4ELNS1_3repE0EEENS1_30default_config_static_selectorELNS0_4arch9wavefront6targetE0EEEvT1_ ; -- Begin function _ZN7rocprim17ROCPRIM_400000_NS6detail17trampoline_kernelINS0_14default_configENS1_20scan_config_selectorIN3c107complexIdEEEEZZNS1_9scan_implILNS1_25lookback_scan_determinismE0ELb0ELb0ES3_PKS7_PS7_S7_ZZZN2at6native31launch_logcumsumexp_cuda_kernelERKNSE_10TensorBaseESI_lENKUlvE_clEvENKUlvE1_clEvEUlS7_S7_E_S7_EEDaPvRmT3_T4_T5_mT6_P12ihipStream_tbENKUlT_T0_E_clISt17integral_constantIbLb0EESZ_EEDaSU_SV_EUlSU_E0_NS1_11comp_targetILNS1_3genE10ELNS1_11target_archE1200ELNS1_3gpuE4ELNS1_3repE0EEENS1_30default_config_static_selectorELNS0_4arch9wavefront6targetE0EEEvT1_
	.p2align	8
	.type	_ZN7rocprim17ROCPRIM_400000_NS6detail17trampoline_kernelINS0_14default_configENS1_20scan_config_selectorIN3c107complexIdEEEEZZNS1_9scan_implILNS1_25lookback_scan_determinismE0ELb0ELb0ES3_PKS7_PS7_S7_ZZZN2at6native31launch_logcumsumexp_cuda_kernelERKNSE_10TensorBaseESI_lENKUlvE_clEvENKUlvE1_clEvEUlS7_S7_E_S7_EEDaPvRmT3_T4_T5_mT6_P12ihipStream_tbENKUlT_T0_E_clISt17integral_constantIbLb0EESZ_EEDaSU_SV_EUlSU_E0_NS1_11comp_targetILNS1_3genE10ELNS1_11target_archE1200ELNS1_3gpuE4ELNS1_3repE0EEENS1_30default_config_static_selectorELNS0_4arch9wavefront6targetE0EEEvT1_,@function
_ZN7rocprim17ROCPRIM_400000_NS6detail17trampoline_kernelINS0_14default_configENS1_20scan_config_selectorIN3c107complexIdEEEEZZNS1_9scan_implILNS1_25lookback_scan_determinismE0ELb0ELb0ES3_PKS7_PS7_S7_ZZZN2at6native31launch_logcumsumexp_cuda_kernelERKNSE_10TensorBaseESI_lENKUlvE_clEvENKUlvE1_clEvEUlS7_S7_E_S7_EEDaPvRmT3_T4_T5_mT6_P12ihipStream_tbENKUlT_T0_E_clISt17integral_constantIbLb0EESZ_EEDaSU_SV_EUlSU_E0_NS1_11comp_targetILNS1_3genE10ELNS1_11target_archE1200ELNS1_3gpuE4ELNS1_3repE0EEENS1_30default_config_static_selectorELNS0_4arch9wavefront6targetE0EEEvT1_: ; @_ZN7rocprim17ROCPRIM_400000_NS6detail17trampoline_kernelINS0_14default_configENS1_20scan_config_selectorIN3c107complexIdEEEEZZNS1_9scan_implILNS1_25lookback_scan_determinismE0ELb0ELb0ES3_PKS7_PS7_S7_ZZZN2at6native31launch_logcumsumexp_cuda_kernelERKNSE_10TensorBaseESI_lENKUlvE_clEvENKUlvE1_clEvEUlS7_S7_E_S7_EEDaPvRmT3_T4_T5_mT6_P12ihipStream_tbENKUlT_T0_E_clISt17integral_constantIbLb0EESZ_EEDaSU_SV_EUlSU_E0_NS1_11comp_targetILNS1_3genE10ELNS1_11target_archE1200ELNS1_3gpuE4ELNS1_3repE0EEENS1_30default_config_static_selectorELNS0_4arch9wavefront6targetE0EEEvT1_
; %bb.0:
	.section	.rodata,"a",@progbits
	.p2align	6, 0x0
	.amdhsa_kernel _ZN7rocprim17ROCPRIM_400000_NS6detail17trampoline_kernelINS0_14default_configENS1_20scan_config_selectorIN3c107complexIdEEEEZZNS1_9scan_implILNS1_25lookback_scan_determinismE0ELb0ELb0ES3_PKS7_PS7_S7_ZZZN2at6native31launch_logcumsumexp_cuda_kernelERKNSE_10TensorBaseESI_lENKUlvE_clEvENKUlvE1_clEvEUlS7_S7_E_S7_EEDaPvRmT3_T4_T5_mT6_P12ihipStream_tbENKUlT_T0_E_clISt17integral_constantIbLb0EESZ_EEDaSU_SV_EUlSU_E0_NS1_11comp_targetILNS1_3genE10ELNS1_11target_archE1200ELNS1_3gpuE4ELNS1_3repE0EEENS1_30default_config_static_selectorELNS0_4arch9wavefront6targetE0EEEvT1_
		.amdhsa_group_segment_fixed_size 0
		.amdhsa_private_segment_fixed_size 0
		.amdhsa_kernarg_size 48
		.amdhsa_user_sgpr_count 2
		.amdhsa_user_sgpr_dispatch_ptr 0
		.amdhsa_user_sgpr_queue_ptr 0
		.amdhsa_user_sgpr_kernarg_segment_ptr 1
		.amdhsa_user_sgpr_dispatch_id 0
		.amdhsa_user_sgpr_private_segment_size 0
		.amdhsa_wavefront_size32 1
		.amdhsa_uses_dynamic_stack 0
		.amdhsa_enable_private_segment 0
		.amdhsa_system_sgpr_workgroup_id_x 1
		.amdhsa_system_sgpr_workgroup_id_y 0
		.amdhsa_system_sgpr_workgroup_id_z 0
		.amdhsa_system_sgpr_workgroup_info 0
		.amdhsa_system_vgpr_workitem_id 0
		.amdhsa_next_free_vgpr 1
		.amdhsa_next_free_sgpr 1
		.amdhsa_reserve_vcc 0
		.amdhsa_float_round_mode_32 0
		.amdhsa_float_round_mode_16_64 0
		.amdhsa_float_denorm_mode_32 3
		.amdhsa_float_denorm_mode_16_64 3
		.amdhsa_fp16_overflow 0
		.amdhsa_workgroup_processor_mode 1
		.amdhsa_memory_ordered 1
		.amdhsa_forward_progress 1
		.amdhsa_inst_pref_size 0
		.amdhsa_round_robin_scheduling 0
		.amdhsa_exception_fp_ieee_invalid_op 0
		.amdhsa_exception_fp_denorm_src 0
		.amdhsa_exception_fp_ieee_div_zero 0
		.amdhsa_exception_fp_ieee_overflow 0
		.amdhsa_exception_fp_ieee_underflow 0
		.amdhsa_exception_fp_ieee_inexact 0
		.amdhsa_exception_int_div_zero 0
	.end_amdhsa_kernel
	.section	.text._ZN7rocprim17ROCPRIM_400000_NS6detail17trampoline_kernelINS0_14default_configENS1_20scan_config_selectorIN3c107complexIdEEEEZZNS1_9scan_implILNS1_25lookback_scan_determinismE0ELb0ELb0ES3_PKS7_PS7_S7_ZZZN2at6native31launch_logcumsumexp_cuda_kernelERKNSE_10TensorBaseESI_lENKUlvE_clEvENKUlvE1_clEvEUlS7_S7_E_S7_EEDaPvRmT3_T4_T5_mT6_P12ihipStream_tbENKUlT_T0_E_clISt17integral_constantIbLb0EESZ_EEDaSU_SV_EUlSU_E0_NS1_11comp_targetILNS1_3genE10ELNS1_11target_archE1200ELNS1_3gpuE4ELNS1_3repE0EEENS1_30default_config_static_selectorELNS0_4arch9wavefront6targetE0EEEvT1_,"axG",@progbits,_ZN7rocprim17ROCPRIM_400000_NS6detail17trampoline_kernelINS0_14default_configENS1_20scan_config_selectorIN3c107complexIdEEEEZZNS1_9scan_implILNS1_25lookback_scan_determinismE0ELb0ELb0ES3_PKS7_PS7_S7_ZZZN2at6native31launch_logcumsumexp_cuda_kernelERKNSE_10TensorBaseESI_lENKUlvE_clEvENKUlvE1_clEvEUlS7_S7_E_S7_EEDaPvRmT3_T4_T5_mT6_P12ihipStream_tbENKUlT_T0_E_clISt17integral_constantIbLb0EESZ_EEDaSU_SV_EUlSU_E0_NS1_11comp_targetILNS1_3genE10ELNS1_11target_archE1200ELNS1_3gpuE4ELNS1_3repE0EEENS1_30default_config_static_selectorELNS0_4arch9wavefront6targetE0EEEvT1_,comdat
.Lfunc_end199:
	.size	_ZN7rocprim17ROCPRIM_400000_NS6detail17trampoline_kernelINS0_14default_configENS1_20scan_config_selectorIN3c107complexIdEEEEZZNS1_9scan_implILNS1_25lookback_scan_determinismE0ELb0ELb0ES3_PKS7_PS7_S7_ZZZN2at6native31launch_logcumsumexp_cuda_kernelERKNSE_10TensorBaseESI_lENKUlvE_clEvENKUlvE1_clEvEUlS7_S7_E_S7_EEDaPvRmT3_T4_T5_mT6_P12ihipStream_tbENKUlT_T0_E_clISt17integral_constantIbLb0EESZ_EEDaSU_SV_EUlSU_E0_NS1_11comp_targetILNS1_3genE10ELNS1_11target_archE1200ELNS1_3gpuE4ELNS1_3repE0EEENS1_30default_config_static_selectorELNS0_4arch9wavefront6targetE0EEEvT1_, .Lfunc_end199-_ZN7rocprim17ROCPRIM_400000_NS6detail17trampoline_kernelINS0_14default_configENS1_20scan_config_selectorIN3c107complexIdEEEEZZNS1_9scan_implILNS1_25lookback_scan_determinismE0ELb0ELb0ES3_PKS7_PS7_S7_ZZZN2at6native31launch_logcumsumexp_cuda_kernelERKNSE_10TensorBaseESI_lENKUlvE_clEvENKUlvE1_clEvEUlS7_S7_E_S7_EEDaPvRmT3_T4_T5_mT6_P12ihipStream_tbENKUlT_T0_E_clISt17integral_constantIbLb0EESZ_EEDaSU_SV_EUlSU_E0_NS1_11comp_targetILNS1_3genE10ELNS1_11target_archE1200ELNS1_3gpuE4ELNS1_3repE0EEENS1_30default_config_static_selectorELNS0_4arch9wavefront6targetE0EEEvT1_
                                        ; -- End function
	.set _ZN7rocprim17ROCPRIM_400000_NS6detail17trampoline_kernelINS0_14default_configENS1_20scan_config_selectorIN3c107complexIdEEEEZZNS1_9scan_implILNS1_25lookback_scan_determinismE0ELb0ELb0ES3_PKS7_PS7_S7_ZZZN2at6native31launch_logcumsumexp_cuda_kernelERKNSE_10TensorBaseESI_lENKUlvE_clEvENKUlvE1_clEvEUlS7_S7_E_S7_EEDaPvRmT3_T4_T5_mT6_P12ihipStream_tbENKUlT_T0_E_clISt17integral_constantIbLb0EESZ_EEDaSU_SV_EUlSU_E0_NS1_11comp_targetILNS1_3genE10ELNS1_11target_archE1200ELNS1_3gpuE4ELNS1_3repE0EEENS1_30default_config_static_selectorELNS0_4arch9wavefront6targetE0EEEvT1_.num_vgpr, 0
	.set _ZN7rocprim17ROCPRIM_400000_NS6detail17trampoline_kernelINS0_14default_configENS1_20scan_config_selectorIN3c107complexIdEEEEZZNS1_9scan_implILNS1_25lookback_scan_determinismE0ELb0ELb0ES3_PKS7_PS7_S7_ZZZN2at6native31launch_logcumsumexp_cuda_kernelERKNSE_10TensorBaseESI_lENKUlvE_clEvENKUlvE1_clEvEUlS7_S7_E_S7_EEDaPvRmT3_T4_T5_mT6_P12ihipStream_tbENKUlT_T0_E_clISt17integral_constantIbLb0EESZ_EEDaSU_SV_EUlSU_E0_NS1_11comp_targetILNS1_3genE10ELNS1_11target_archE1200ELNS1_3gpuE4ELNS1_3repE0EEENS1_30default_config_static_selectorELNS0_4arch9wavefront6targetE0EEEvT1_.num_agpr, 0
	.set _ZN7rocprim17ROCPRIM_400000_NS6detail17trampoline_kernelINS0_14default_configENS1_20scan_config_selectorIN3c107complexIdEEEEZZNS1_9scan_implILNS1_25lookback_scan_determinismE0ELb0ELb0ES3_PKS7_PS7_S7_ZZZN2at6native31launch_logcumsumexp_cuda_kernelERKNSE_10TensorBaseESI_lENKUlvE_clEvENKUlvE1_clEvEUlS7_S7_E_S7_EEDaPvRmT3_T4_T5_mT6_P12ihipStream_tbENKUlT_T0_E_clISt17integral_constantIbLb0EESZ_EEDaSU_SV_EUlSU_E0_NS1_11comp_targetILNS1_3genE10ELNS1_11target_archE1200ELNS1_3gpuE4ELNS1_3repE0EEENS1_30default_config_static_selectorELNS0_4arch9wavefront6targetE0EEEvT1_.numbered_sgpr, 0
	.set _ZN7rocprim17ROCPRIM_400000_NS6detail17trampoline_kernelINS0_14default_configENS1_20scan_config_selectorIN3c107complexIdEEEEZZNS1_9scan_implILNS1_25lookback_scan_determinismE0ELb0ELb0ES3_PKS7_PS7_S7_ZZZN2at6native31launch_logcumsumexp_cuda_kernelERKNSE_10TensorBaseESI_lENKUlvE_clEvENKUlvE1_clEvEUlS7_S7_E_S7_EEDaPvRmT3_T4_T5_mT6_P12ihipStream_tbENKUlT_T0_E_clISt17integral_constantIbLb0EESZ_EEDaSU_SV_EUlSU_E0_NS1_11comp_targetILNS1_3genE10ELNS1_11target_archE1200ELNS1_3gpuE4ELNS1_3repE0EEENS1_30default_config_static_selectorELNS0_4arch9wavefront6targetE0EEEvT1_.num_named_barrier, 0
	.set _ZN7rocprim17ROCPRIM_400000_NS6detail17trampoline_kernelINS0_14default_configENS1_20scan_config_selectorIN3c107complexIdEEEEZZNS1_9scan_implILNS1_25lookback_scan_determinismE0ELb0ELb0ES3_PKS7_PS7_S7_ZZZN2at6native31launch_logcumsumexp_cuda_kernelERKNSE_10TensorBaseESI_lENKUlvE_clEvENKUlvE1_clEvEUlS7_S7_E_S7_EEDaPvRmT3_T4_T5_mT6_P12ihipStream_tbENKUlT_T0_E_clISt17integral_constantIbLb0EESZ_EEDaSU_SV_EUlSU_E0_NS1_11comp_targetILNS1_3genE10ELNS1_11target_archE1200ELNS1_3gpuE4ELNS1_3repE0EEENS1_30default_config_static_selectorELNS0_4arch9wavefront6targetE0EEEvT1_.private_seg_size, 0
	.set _ZN7rocprim17ROCPRIM_400000_NS6detail17trampoline_kernelINS0_14default_configENS1_20scan_config_selectorIN3c107complexIdEEEEZZNS1_9scan_implILNS1_25lookback_scan_determinismE0ELb0ELb0ES3_PKS7_PS7_S7_ZZZN2at6native31launch_logcumsumexp_cuda_kernelERKNSE_10TensorBaseESI_lENKUlvE_clEvENKUlvE1_clEvEUlS7_S7_E_S7_EEDaPvRmT3_T4_T5_mT6_P12ihipStream_tbENKUlT_T0_E_clISt17integral_constantIbLb0EESZ_EEDaSU_SV_EUlSU_E0_NS1_11comp_targetILNS1_3genE10ELNS1_11target_archE1200ELNS1_3gpuE4ELNS1_3repE0EEENS1_30default_config_static_selectorELNS0_4arch9wavefront6targetE0EEEvT1_.uses_vcc, 0
	.set _ZN7rocprim17ROCPRIM_400000_NS6detail17trampoline_kernelINS0_14default_configENS1_20scan_config_selectorIN3c107complexIdEEEEZZNS1_9scan_implILNS1_25lookback_scan_determinismE0ELb0ELb0ES3_PKS7_PS7_S7_ZZZN2at6native31launch_logcumsumexp_cuda_kernelERKNSE_10TensorBaseESI_lENKUlvE_clEvENKUlvE1_clEvEUlS7_S7_E_S7_EEDaPvRmT3_T4_T5_mT6_P12ihipStream_tbENKUlT_T0_E_clISt17integral_constantIbLb0EESZ_EEDaSU_SV_EUlSU_E0_NS1_11comp_targetILNS1_3genE10ELNS1_11target_archE1200ELNS1_3gpuE4ELNS1_3repE0EEENS1_30default_config_static_selectorELNS0_4arch9wavefront6targetE0EEEvT1_.uses_flat_scratch, 0
	.set _ZN7rocprim17ROCPRIM_400000_NS6detail17trampoline_kernelINS0_14default_configENS1_20scan_config_selectorIN3c107complexIdEEEEZZNS1_9scan_implILNS1_25lookback_scan_determinismE0ELb0ELb0ES3_PKS7_PS7_S7_ZZZN2at6native31launch_logcumsumexp_cuda_kernelERKNSE_10TensorBaseESI_lENKUlvE_clEvENKUlvE1_clEvEUlS7_S7_E_S7_EEDaPvRmT3_T4_T5_mT6_P12ihipStream_tbENKUlT_T0_E_clISt17integral_constantIbLb0EESZ_EEDaSU_SV_EUlSU_E0_NS1_11comp_targetILNS1_3genE10ELNS1_11target_archE1200ELNS1_3gpuE4ELNS1_3repE0EEENS1_30default_config_static_selectorELNS0_4arch9wavefront6targetE0EEEvT1_.has_dyn_sized_stack, 0
	.set _ZN7rocprim17ROCPRIM_400000_NS6detail17trampoline_kernelINS0_14default_configENS1_20scan_config_selectorIN3c107complexIdEEEEZZNS1_9scan_implILNS1_25lookback_scan_determinismE0ELb0ELb0ES3_PKS7_PS7_S7_ZZZN2at6native31launch_logcumsumexp_cuda_kernelERKNSE_10TensorBaseESI_lENKUlvE_clEvENKUlvE1_clEvEUlS7_S7_E_S7_EEDaPvRmT3_T4_T5_mT6_P12ihipStream_tbENKUlT_T0_E_clISt17integral_constantIbLb0EESZ_EEDaSU_SV_EUlSU_E0_NS1_11comp_targetILNS1_3genE10ELNS1_11target_archE1200ELNS1_3gpuE4ELNS1_3repE0EEENS1_30default_config_static_selectorELNS0_4arch9wavefront6targetE0EEEvT1_.has_recursion, 0
	.set _ZN7rocprim17ROCPRIM_400000_NS6detail17trampoline_kernelINS0_14default_configENS1_20scan_config_selectorIN3c107complexIdEEEEZZNS1_9scan_implILNS1_25lookback_scan_determinismE0ELb0ELb0ES3_PKS7_PS7_S7_ZZZN2at6native31launch_logcumsumexp_cuda_kernelERKNSE_10TensorBaseESI_lENKUlvE_clEvENKUlvE1_clEvEUlS7_S7_E_S7_EEDaPvRmT3_T4_T5_mT6_P12ihipStream_tbENKUlT_T0_E_clISt17integral_constantIbLb0EESZ_EEDaSU_SV_EUlSU_E0_NS1_11comp_targetILNS1_3genE10ELNS1_11target_archE1200ELNS1_3gpuE4ELNS1_3repE0EEENS1_30default_config_static_selectorELNS0_4arch9wavefront6targetE0EEEvT1_.has_indirect_call, 0
	.section	.AMDGPU.csdata,"",@progbits
; Kernel info:
; codeLenInByte = 0
; TotalNumSgprs: 0
; NumVgprs: 0
; ScratchSize: 0
; MemoryBound: 0
; FloatMode: 240
; IeeeMode: 1
; LDSByteSize: 0 bytes/workgroup (compile time only)
; SGPRBlocks: 0
; VGPRBlocks: 0
; NumSGPRsForWavesPerEU: 1
; NumVGPRsForWavesPerEU: 1
; Occupancy: 16
; WaveLimiterHint : 0
; COMPUTE_PGM_RSRC2:SCRATCH_EN: 0
; COMPUTE_PGM_RSRC2:USER_SGPR: 2
; COMPUTE_PGM_RSRC2:TRAP_HANDLER: 0
; COMPUTE_PGM_RSRC2:TGID_X_EN: 1
; COMPUTE_PGM_RSRC2:TGID_Y_EN: 0
; COMPUTE_PGM_RSRC2:TGID_Z_EN: 0
; COMPUTE_PGM_RSRC2:TIDIG_COMP_CNT: 0
	.section	.text._ZN7rocprim17ROCPRIM_400000_NS6detail17trampoline_kernelINS0_14default_configENS1_20scan_config_selectorIN3c107complexIdEEEEZZNS1_9scan_implILNS1_25lookback_scan_determinismE0ELb0ELb0ES3_PKS7_PS7_S7_ZZZN2at6native31launch_logcumsumexp_cuda_kernelERKNSE_10TensorBaseESI_lENKUlvE_clEvENKUlvE1_clEvEUlS7_S7_E_S7_EEDaPvRmT3_T4_T5_mT6_P12ihipStream_tbENKUlT_T0_E_clISt17integral_constantIbLb0EESZ_EEDaSU_SV_EUlSU_E0_NS1_11comp_targetILNS1_3genE9ELNS1_11target_archE1100ELNS1_3gpuE3ELNS1_3repE0EEENS1_30default_config_static_selectorELNS0_4arch9wavefront6targetE0EEEvT1_,"axG",@progbits,_ZN7rocprim17ROCPRIM_400000_NS6detail17trampoline_kernelINS0_14default_configENS1_20scan_config_selectorIN3c107complexIdEEEEZZNS1_9scan_implILNS1_25lookback_scan_determinismE0ELb0ELb0ES3_PKS7_PS7_S7_ZZZN2at6native31launch_logcumsumexp_cuda_kernelERKNSE_10TensorBaseESI_lENKUlvE_clEvENKUlvE1_clEvEUlS7_S7_E_S7_EEDaPvRmT3_T4_T5_mT6_P12ihipStream_tbENKUlT_T0_E_clISt17integral_constantIbLb0EESZ_EEDaSU_SV_EUlSU_E0_NS1_11comp_targetILNS1_3genE9ELNS1_11target_archE1100ELNS1_3gpuE3ELNS1_3repE0EEENS1_30default_config_static_selectorELNS0_4arch9wavefront6targetE0EEEvT1_,comdat
	.globl	_ZN7rocprim17ROCPRIM_400000_NS6detail17trampoline_kernelINS0_14default_configENS1_20scan_config_selectorIN3c107complexIdEEEEZZNS1_9scan_implILNS1_25lookback_scan_determinismE0ELb0ELb0ES3_PKS7_PS7_S7_ZZZN2at6native31launch_logcumsumexp_cuda_kernelERKNSE_10TensorBaseESI_lENKUlvE_clEvENKUlvE1_clEvEUlS7_S7_E_S7_EEDaPvRmT3_T4_T5_mT6_P12ihipStream_tbENKUlT_T0_E_clISt17integral_constantIbLb0EESZ_EEDaSU_SV_EUlSU_E0_NS1_11comp_targetILNS1_3genE9ELNS1_11target_archE1100ELNS1_3gpuE3ELNS1_3repE0EEENS1_30default_config_static_selectorELNS0_4arch9wavefront6targetE0EEEvT1_ ; -- Begin function _ZN7rocprim17ROCPRIM_400000_NS6detail17trampoline_kernelINS0_14default_configENS1_20scan_config_selectorIN3c107complexIdEEEEZZNS1_9scan_implILNS1_25lookback_scan_determinismE0ELb0ELb0ES3_PKS7_PS7_S7_ZZZN2at6native31launch_logcumsumexp_cuda_kernelERKNSE_10TensorBaseESI_lENKUlvE_clEvENKUlvE1_clEvEUlS7_S7_E_S7_EEDaPvRmT3_T4_T5_mT6_P12ihipStream_tbENKUlT_T0_E_clISt17integral_constantIbLb0EESZ_EEDaSU_SV_EUlSU_E0_NS1_11comp_targetILNS1_3genE9ELNS1_11target_archE1100ELNS1_3gpuE3ELNS1_3repE0EEENS1_30default_config_static_selectorELNS0_4arch9wavefront6targetE0EEEvT1_
	.p2align	8
	.type	_ZN7rocprim17ROCPRIM_400000_NS6detail17trampoline_kernelINS0_14default_configENS1_20scan_config_selectorIN3c107complexIdEEEEZZNS1_9scan_implILNS1_25lookback_scan_determinismE0ELb0ELb0ES3_PKS7_PS7_S7_ZZZN2at6native31launch_logcumsumexp_cuda_kernelERKNSE_10TensorBaseESI_lENKUlvE_clEvENKUlvE1_clEvEUlS7_S7_E_S7_EEDaPvRmT3_T4_T5_mT6_P12ihipStream_tbENKUlT_T0_E_clISt17integral_constantIbLb0EESZ_EEDaSU_SV_EUlSU_E0_NS1_11comp_targetILNS1_3genE9ELNS1_11target_archE1100ELNS1_3gpuE3ELNS1_3repE0EEENS1_30default_config_static_selectorELNS0_4arch9wavefront6targetE0EEEvT1_,@function
_ZN7rocprim17ROCPRIM_400000_NS6detail17trampoline_kernelINS0_14default_configENS1_20scan_config_selectorIN3c107complexIdEEEEZZNS1_9scan_implILNS1_25lookback_scan_determinismE0ELb0ELb0ES3_PKS7_PS7_S7_ZZZN2at6native31launch_logcumsumexp_cuda_kernelERKNSE_10TensorBaseESI_lENKUlvE_clEvENKUlvE1_clEvEUlS7_S7_E_S7_EEDaPvRmT3_T4_T5_mT6_P12ihipStream_tbENKUlT_T0_E_clISt17integral_constantIbLb0EESZ_EEDaSU_SV_EUlSU_E0_NS1_11comp_targetILNS1_3genE9ELNS1_11target_archE1100ELNS1_3gpuE3ELNS1_3repE0EEENS1_30default_config_static_selectorELNS0_4arch9wavefront6targetE0EEEvT1_: ; @_ZN7rocprim17ROCPRIM_400000_NS6detail17trampoline_kernelINS0_14default_configENS1_20scan_config_selectorIN3c107complexIdEEEEZZNS1_9scan_implILNS1_25lookback_scan_determinismE0ELb0ELb0ES3_PKS7_PS7_S7_ZZZN2at6native31launch_logcumsumexp_cuda_kernelERKNSE_10TensorBaseESI_lENKUlvE_clEvENKUlvE1_clEvEUlS7_S7_E_S7_EEDaPvRmT3_T4_T5_mT6_P12ihipStream_tbENKUlT_T0_E_clISt17integral_constantIbLb0EESZ_EEDaSU_SV_EUlSU_E0_NS1_11comp_targetILNS1_3genE9ELNS1_11target_archE1100ELNS1_3gpuE3ELNS1_3repE0EEENS1_30default_config_static_selectorELNS0_4arch9wavefront6targetE0EEEvT1_
; %bb.0:
	.section	.rodata,"a",@progbits
	.p2align	6, 0x0
	.amdhsa_kernel _ZN7rocprim17ROCPRIM_400000_NS6detail17trampoline_kernelINS0_14default_configENS1_20scan_config_selectorIN3c107complexIdEEEEZZNS1_9scan_implILNS1_25lookback_scan_determinismE0ELb0ELb0ES3_PKS7_PS7_S7_ZZZN2at6native31launch_logcumsumexp_cuda_kernelERKNSE_10TensorBaseESI_lENKUlvE_clEvENKUlvE1_clEvEUlS7_S7_E_S7_EEDaPvRmT3_T4_T5_mT6_P12ihipStream_tbENKUlT_T0_E_clISt17integral_constantIbLb0EESZ_EEDaSU_SV_EUlSU_E0_NS1_11comp_targetILNS1_3genE9ELNS1_11target_archE1100ELNS1_3gpuE3ELNS1_3repE0EEENS1_30default_config_static_selectorELNS0_4arch9wavefront6targetE0EEEvT1_
		.amdhsa_group_segment_fixed_size 0
		.amdhsa_private_segment_fixed_size 0
		.amdhsa_kernarg_size 48
		.amdhsa_user_sgpr_count 2
		.amdhsa_user_sgpr_dispatch_ptr 0
		.amdhsa_user_sgpr_queue_ptr 0
		.amdhsa_user_sgpr_kernarg_segment_ptr 1
		.amdhsa_user_sgpr_dispatch_id 0
		.amdhsa_user_sgpr_private_segment_size 0
		.amdhsa_wavefront_size32 1
		.amdhsa_uses_dynamic_stack 0
		.amdhsa_enable_private_segment 0
		.amdhsa_system_sgpr_workgroup_id_x 1
		.amdhsa_system_sgpr_workgroup_id_y 0
		.amdhsa_system_sgpr_workgroup_id_z 0
		.amdhsa_system_sgpr_workgroup_info 0
		.amdhsa_system_vgpr_workitem_id 0
		.amdhsa_next_free_vgpr 1
		.amdhsa_next_free_sgpr 1
		.amdhsa_reserve_vcc 0
		.amdhsa_float_round_mode_32 0
		.amdhsa_float_round_mode_16_64 0
		.amdhsa_float_denorm_mode_32 3
		.amdhsa_float_denorm_mode_16_64 3
		.amdhsa_fp16_overflow 0
		.amdhsa_workgroup_processor_mode 1
		.amdhsa_memory_ordered 1
		.amdhsa_forward_progress 1
		.amdhsa_inst_pref_size 0
		.amdhsa_round_robin_scheduling 0
		.amdhsa_exception_fp_ieee_invalid_op 0
		.amdhsa_exception_fp_denorm_src 0
		.amdhsa_exception_fp_ieee_div_zero 0
		.amdhsa_exception_fp_ieee_overflow 0
		.amdhsa_exception_fp_ieee_underflow 0
		.amdhsa_exception_fp_ieee_inexact 0
		.amdhsa_exception_int_div_zero 0
	.end_amdhsa_kernel
	.section	.text._ZN7rocprim17ROCPRIM_400000_NS6detail17trampoline_kernelINS0_14default_configENS1_20scan_config_selectorIN3c107complexIdEEEEZZNS1_9scan_implILNS1_25lookback_scan_determinismE0ELb0ELb0ES3_PKS7_PS7_S7_ZZZN2at6native31launch_logcumsumexp_cuda_kernelERKNSE_10TensorBaseESI_lENKUlvE_clEvENKUlvE1_clEvEUlS7_S7_E_S7_EEDaPvRmT3_T4_T5_mT6_P12ihipStream_tbENKUlT_T0_E_clISt17integral_constantIbLb0EESZ_EEDaSU_SV_EUlSU_E0_NS1_11comp_targetILNS1_3genE9ELNS1_11target_archE1100ELNS1_3gpuE3ELNS1_3repE0EEENS1_30default_config_static_selectorELNS0_4arch9wavefront6targetE0EEEvT1_,"axG",@progbits,_ZN7rocprim17ROCPRIM_400000_NS6detail17trampoline_kernelINS0_14default_configENS1_20scan_config_selectorIN3c107complexIdEEEEZZNS1_9scan_implILNS1_25lookback_scan_determinismE0ELb0ELb0ES3_PKS7_PS7_S7_ZZZN2at6native31launch_logcumsumexp_cuda_kernelERKNSE_10TensorBaseESI_lENKUlvE_clEvENKUlvE1_clEvEUlS7_S7_E_S7_EEDaPvRmT3_T4_T5_mT6_P12ihipStream_tbENKUlT_T0_E_clISt17integral_constantIbLb0EESZ_EEDaSU_SV_EUlSU_E0_NS1_11comp_targetILNS1_3genE9ELNS1_11target_archE1100ELNS1_3gpuE3ELNS1_3repE0EEENS1_30default_config_static_selectorELNS0_4arch9wavefront6targetE0EEEvT1_,comdat
.Lfunc_end200:
	.size	_ZN7rocprim17ROCPRIM_400000_NS6detail17trampoline_kernelINS0_14default_configENS1_20scan_config_selectorIN3c107complexIdEEEEZZNS1_9scan_implILNS1_25lookback_scan_determinismE0ELb0ELb0ES3_PKS7_PS7_S7_ZZZN2at6native31launch_logcumsumexp_cuda_kernelERKNSE_10TensorBaseESI_lENKUlvE_clEvENKUlvE1_clEvEUlS7_S7_E_S7_EEDaPvRmT3_T4_T5_mT6_P12ihipStream_tbENKUlT_T0_E_clISt17integral_constantIbLb0EESZ_EEDaSU_SV_EUlSU_E0_NS1_11comp_targetILNS1_3genE9ELNS1_11target_archE1100ELNS1_3gpuE3ELNS1_3repE0EEENS1_30default_config_static_selectorELNS0_4arch9wavefront6targetE0EEEvT1_, .Lfunc_end200-_ZN7rocprim17ROCPRIM_400000_NS6detail17trampoline_kernelINS0_14default_configENS1_20scan_config_selectorIN3c107complexIdEEEEZZNS1_9scan_implILNS1_25lookback_scan_determinismE0ELb0ELb0ES3_PKS7_PS7_S7_ZZZN2at6native31launch_logcumsumexp_cuda_kernelERKNSE_10TensorBaseESI_lENKUlvE_clEvENKUlvE1_clEvEUlS7_S7_E_S7_EEDaPvRmT3_T4_T5_mT6_P12ihipStream_tbENKUlT_T0_E_clISt17integral_constantIbLb0EESZ_EEDaSU_SV_EUlSU_E0_NS1_11comp_targetILNS1_3genE9ELNS1_11target_archE1100ELNS1_3gpuE3ELNS1_3repE0EEENS1_30default_config_static_selectorELNS0_4arch9wavefront6targetE0EEEvT1_
                                        ; -- End function
	.set _ZN7rocprim17ROCPRIM_400000_NS6detail17trampoline_kernelINS0_14default_configENS1_20scan_config_selectorIN3c107complexIdEEEEZZNS1_9scan_implILNS1_25lookback_scan_determinismE0ELb0ELb0ES3_PKS7_PS7_S7_ZZZN2at6native31launch_logcumsumexp_cuda_kernelERKNSE_10TensorBaseESI_lENKUlvE_clEvENKUlvE1_clEvEUlS7_S7_E_S7_EEDaPvRmT3_T4_T5_mT6_P12ihipStream_tbENKUlT_T0_E_clISt17integral_constantIbLb0EESZ_EEDaSU_SV_EUlSU_E0_NS1_11comp_targetILNS1_3genE9ELNS1_11target_archE1100ELNS1_3gpuE3ELNS1_3repE0EEENS1_30default_config_static_selectorELNS0_4arch9wavefront6targetE0EEEvT1_.num_vgpr, 0
	.set _ZN7rocprim17ROCPRIM_400000_NS6detail17trampoline_kernelINS0_14default_configENS1_20scan_config_selectorIN3c107complexIdEEEEZZNS1_9scan_implILNS1_25lookback_scan_determinismE0ELb0ELb0ES3_PKS7_PS7_S7_ZZZN2at6native31launch_logcumsumexp_cuda_kernelERKNSE_10TensorBaseESI_lENKUlvE_clEvENKUlvE1_clEvEUlS7_S7_E_S7_EEDaPvRmT3_T4_T5_mT6_P12ihipStream_tbENKUlT_T0_E_clISt17integral_constantIbLb0EESZ_EEDaSU_SV_EUlSU_E0_NS1_11comp_targetILNS1_3genE9ELNS1_11target_archE1100ELNS1_3gpuE3ELNS1_3repE0EEENS1_30default_config_static_selectorELNS0_4arch9wavefront6targetE0EEEvT1_.num_agpr, 0
	.set _ZN7rocprim17ROCPRIM_400000_NS6detail17trampoline_kernelINS0_14default_configENS1_20scan_config_selectorIN3c107complexIdEEEEZZNS1_9scan_implILNS1_25lookback_scan_determinismE0ELb0ELb0ES3_PKS7_PS7_S7_ZZZN2at6native31launch_logcumsumexp_cuda_kernelERKNSE_10TensorBaseESI_lENKUlvE_clEvENKUlvE1_clEvEUlS7_S7_E_S7_EEDaPvRmT3_T4_T5_mT6_P12ihipStream_tbENKUlT_T0_E_clISt17integral_constantIbLb0EESZ_EEDaSU_SV_EUlSU_E0_NS1_11comp_targetILNS1_3genE9ELNS1_11target_archE1100ELNS1_3gpuE3ELNS1_3repE0EEENS1_30default_config_static_selectorELNS0_4arch9wavefront6targetE0EEEvT1_.numbered_sgpr, 0
	.set _ZN7rocprim17ROCPRIM_400000_NS6detail17trampoline_kernelINS0_14default_configENS1_20scan_config_selectorIN3c107complexIdEEEEZZNS1_9scan_implILNS1_25lookback_scan_determinismE0ELb0ELb0ES3_PKS7_PS7_S7_ZZZN2at6native31launch_logcumsumexp_cuda_kernelERKNSE_10TensorBaseESI_lENKUlvE_clEvENKUlvE1_clEvEUlS7_S7_E_S7_EEDaPvRmT3_T4_T5_mT6_P12ihipStream_tbENKUlT_T0_E_clISt17integral_constantIbLb0EESZ_EEDaSU_SV_EUlSU_E0_NS1_11comp_targetILNS1_3genE9ELNS1_11target_archE1100ELNS1_3gpuE3ELNS1_3repE0EEENS1_30default_config_static_selectorELNS0_4arch9wavefront6targetE0EEEvT1_.num_named_barrier, 0
	.set _ZN7rocprim17ROCPRIM_400000_NS6detail17trampoline_kernelINS0_14default_configENS1_20scan_config_selectorIN3c107complexIdEEEEZZNS1_9scan_implILNS1_25lookback_scan_determinismE0ELb0ELb0ES3_PKS7_PS7_S7_ZZZN2at6native31launch_logcumsumexp_cuda_kernelERKNSE_10TensorBaseESI_lENKUlvE_clEvENKUlvE1_clEvEUlS7_S7_E_S7_EEDaPvRmT3_T4_T5_mT6_P12ihipStream_tbENKUlT_T0_E_clISt17integral_constantIbLb0EESZ_EEDaSU_SV_EUlSU_E0_NS1_11comp_targetILNS1_3genE9ELNS1_11target_archE1100ELNS1_3gpuE3ELNS1_3repE0EEENS1_30default_config_static_selectorELNS0_4arch9wavefront6targetE0EEEvT1_.private_seg_size, 0
	.set _ZN7rocprim17ROCPRIM_400000_NS6detail17trampoline_kernelINS0_14default_configENS1_20scan_config_selectorIN3c107complexIdEEEEZZNS1_9scan_implILNS1_25lookback_scan_determinismE0ELb0ELb0ES3_PKS7_PS7_S7_ZZZN2at6native31launch_logcumsumexp_cuda_kernelERKNSE_10TensorBaseESI_lENKUlvE_clEvENKUlvE1_clEvEUlS7_S7_E_S7_EEDaPvRmT3_T4_T5_mT6_P12ihipStream_tbENKUlT_T0_E_clISt17integral_constantIbLb0EESZ_EEDaSU_SV_EUlSU_E0_NS1_11comp_targetILNS1_3genE9ELNS1_11target_archE1100ELNS1_3gpuE3ELNS1_3repE0EEENS1_30default_config_static_selectorELNS0_4arch9wavefront6targetE0EEEvT1_.uses_vcc, 0
	.set _ZN7rocprim17ROCPRIM_400000_NS6detail17trampoline_kernelINS0_14default_configENS1_20scan_config_selectorIN3c107complexIdEEEEZZNS1_9scan_implILNS1_25lookback_scan_determinismE0ELb0ELb0ES3_PKS7_PS7_S7_ZZZN2at6native31launch_logcumsumexp_cuda_kernelERKNSE_10TensorBaseESI_lENKUlvE_clEvENKUlvE1_clEvEUlS7_S7_E_S7_EEDaPvRmT3_T4_T5_mT6_P12ihipStream_tbENKUlT_T0_E_clISt17integral_constantIbLb0EESZ_EEDaSU_SV_EUlSU_E0_NS1_11comp_targetILNS1_3genE9ELNS1_11target_archE1100ELNS1_3gpuE3ELNS1_3repE0EEENS1_30default_config_static_selectorELNS0_4arch9wavefront6targetE0EEEvT1_.uses_flat_scratch, 0
	.set _ZN7rocprim17ROCPRIM_400000_NS6detail17trampoline_kernelINS0_14default_configENS1_20scan_config_selectorIN3c107complexIdEEEEZZNS1_9scan_implILNS1_25lookback_scan_determinismE0ELb0ELb0ES3_PKS7_PS7_S7_ZZZN2at6native31launch_logcumsumexp_cuda_kernelERKNSE_10TensorBaseESI_lENKUlvE_clEvENKUlvE1_clEvEUlS7_S7_E_S7_EEDaPvRmT3_T4_T5_mT6_P12ihipStream_tbENKUlT_T0_E_clISt17integral_constantIbLb0EESZ_EEDaSU_SV_EUlSU_E0_NS1_11comp_targetILNS1_3genE9ELNS1_11target_archE1100ELNS1_3gpuE3ELNS1_3repE0EEENS1_30default_config_static_selectorELNS0_4arch9wavefront6targetE0EEEvT1_.has_dyn_sized_stack, 0
	.set _ZN7rocprim17ROCPRIM_400000_NS6detail17trampoline_kernelINS0_14default_configENS1_20scan_config_selectorIN3c107complexIdEEEEZZNS1_9scan_implILNS1_25lookback_scan_determinismE0ELb0ELb0ES3_PKS7_PS7_S7_ZZZN2at6native31launch_logcumsumexp_cuda_kernelERKNSE_10TensorBaseESI_lENKUlvE_clEvENKUlvE1_clEvEUlS7_S7_E_S7_EEDaPvRmT3_T4_T5_mT6_P12ihipStream_tbENKUlT_T0_E_clISt17integral_constantIbLb0EESZ_EEDaSU_SV_EUlSU_E0_NS1_11comp_targetILNS1_3genE9ELNS1_11target_archE1100ELNS1_3gpuE3ELNS1_3repE0EEENS1_30default_config_static_selectorELNS0_4arch9wavefront6targetE0EEEvT1_.has_recursion, 0
	.set _ZN7rocprim17ROCPRIM_400000_NS6detail17trampoline_kernelINS0_14default_configENS1_20scan_config_selectorIN3c107complexIdEEEEZZNS1_9scan_implILNS1_25lookback_scan_determinismE0ELb0ELb0ES3_PKS7_PS7_S7_ZZZN2at6native31launch_logcumsumexp_cuda_kernelERKNSE_10TensorBaseESI_lENKUlvE_clEvENKUlvE1_clEvEUlS7_S7_E_S7_EEDaPvRmT3_T4_T5_mT6_P12ihipStream_tbENKUlT_T0_E_clISt17integral_constantIbLb0EESZ_EEDaSU_SV_EUlSU_E0_NS1_11comp_targetILNS1_3genE9ELNS1_11target_archE1100ELNS1_3gpuE3ELNS1_3repE0EEENS1_30default_config_static_selectorELNS0_4arch9wavefront6targetE0EEEvT1_.has_indirect_call, 0
	.section	.AMDGPU.csdata,"",@progbits
; Kernel info:
; codeLenInByte = 0
; TotalNumSgprs: 0
; NumVgprs: 0
; ScratchSize: 0
; MemoryBound: 0
; FloatMode: 240
; IeeeMode: 1
; LDSByteSize: 0 bytes/workgroup (compile time only)
; SGPRBlocks: 0
; VGPRBlocks: 0
; NumSGPRsForWavesPerEU: 1
; NumVGPRsForWavesPerEU: 1
; Occupancy: 16
; WaveLimiterHint : 0
; COMPUTE_PGM_RSRC2:SCRATCH_EN: 0
; COMPUTE_PGM_RSRC2:USER_SGPR: 2
; COMPUTE_PGM_RSRC2:TRAP_HANDLER: 0
; COMPUTE_PGM_RSRC2:TGID_X_EN: 1
; COMPUTE_PGM_RSRC2:TGID_Y_EN: 0
; COMPUTE_PGM_RSRC2:TGID_Z_EN: 0
; COMPUTE_PGM_RSRC2:TIDIG_COMP_CNT: 0
	.section	.text._ZN7rocprim17ROCPRIM_400000_NS6detail17trampoline_kernelINS0_14default_configENS1_20scan_config_selectorIN3c107complexIdEEEEZZNS1_9scan_implILNS1_25lookback_scan_determinismE0ELb0ELb0ES3_PKS7_PS7_S7_ZZZN2at6native31launch_logcumsumexp_cuda_kernelERKNSE_10TensorBaseESI_lENKUlvE_clEvENKUlvE1_clEvEUlS7_S7_E_S7_EEDaPvRmT3_T4_T5_mT6_P12ihipStream_tbENKUlT_T0_E_clISt17integral_constantIbLb0EESZ_EEDaSU_SV_EUlSU_E0_NS1_11comp_targetILNS1_3genE8ELNS1_11target_archE1030ELNS1_3gpuE2ELNS1_3repE0EEENS1_30default_config_static_selectorELNS0_4arch9wavefront6targetE0EEEvT1_,"axG",@progbits,_ZN7rocprim17ROCPRIM_400000_NS6detail17trampoline_kernelINS0_14default_configENS1_20scan_config_selectorIN3c107complexIdEEEEZZNS1_9scan_implILNS1_25lookback_scan_determinismE0ELb0ELb0ES3_PKS7_PS7_S7_ZZZN2at6native31launch_logcumsumexp_cuda_kernelERKNSE_10TensorBaseESI_lENKUlvE_clEvENKUlvE1_clEvEUlS7_S7_E_S7_EEDaPvRmT3_T4_T5_mT6_P12ihipStream_tbENKUlT_T0_E_clISt17integral_constantIbLb0EESZ_EEDaSU_SV_EUlSU_E0_NS1_11comp_targetILNS1_3genE8ELNS1_11target_archE1030ELNS1_3gpuE2ELNS1_3repE0EEENS1_30default_config_static_selectorELNS0_4arch9wavefront6targetE0EEEvT1_,comdat
	.globl	_ZN7rocprim17ROCPRIM_400000_NS6detail17trampoline_kernelINS0_14default_configENS1_20scan_config_selectorIN3c107complexIdEEEEZZNS1_9scan_implILNS1_25lookback_scan_determinismE0ELb0ELb0ES3_PKS7_PS7_S7_ZZZN2at6native31launch_logcumsumexp_cuda_kernelERKNSE_10TensorBaseESI_lENKUlvE_clEvENKUlvE1_clEvEUlS7_S7_E_S7_EEDaPvRmT3_T4_T5_mT6_P12ihipStream_tbENKUlT_T0_E_clISt17integral_constantIbLb0EESZ_EEDaSU_SV_EUlSU_E0_NS1_11comp_targetILNS1_3genE8ELNS1_11target_archE1030ELNS1_3gpuE2ELNS1_3repE0EEENS1_30default_config_static_selectorELNS0_4arch9wavefront6targetE0EEEvT1_ ; -- Begin function _ZN7rocprim17ROCPRIM_400000_NS6detail17trampoline_kernelINS0_14default_configENS1_20scan_config_selectorIN3c107complexIdEEEEZZNS1_9scan_implILNS1_25lookback_scan_determinismE0ELb0ELb0ES3_PKS7_PS7_S7_ZZZN2at6native31launch_logcumsumexp_cuda_kernelERKNSE_10TensorBaseESI_lENKUlvE_clEvENKUlvE1_clEvEUlS7_S7_E_S7_EEDaPvRmT3_T4_T5_mT6_P12ihipStream_tbENKUlT_T0_E_clISt17integral_constantIbLb0EESZ_EEDaSU_SV_EUlSU_E0_NS1_11comp_targetILNS1_3genE8ELNS1_11target_archE1030ELNS1_3gpuE2ELNS1_3repE0EEENS1_30default_config_static_selectorELNS0_4arch9wavefront6targetE0EEEvT1_
	.p2align	8
	.type	_ZN7rocprim17ROCPRIM_400000_NS6detail17trampoline_kernelINS0_14default_configENS1_20scan_config_selectorIN3c107complexIdEEEEZZNS1_9scan_implILNS1_25lookback_scan_determinismE0ELb0ELb0ES3_PKS7_PS7_S7_ZZZN2at6native31launch_logcumsumexp_cuda_kernelERKNSE_10TensorBaseESI_lENKUlvE_clEvENKUlvE1_clEvEUlS7_S7_E_S7_EEDaPvRmT3_T4_T5_mT6_P12ihipStream_tbENKUlT_T0_E_clISt17integral_constantIbLb0EESZ_EEDaSU_SV_EUlSU_E0_NS1_11comp_targetILNS1_3genE8ELNS1_11target_archE1030ELNS1_3gpuE2ELNS1_3repE0EEENS1_30default_config_static_selectorELNS0_4arch9wavefront6targetE0EEEvT1_,@function
_ZN7rocprim17ROCPRIM_400000_NS6detail17trampoline_kernelINS0_14default_configENS1_20scan_config_selectorIN3c107complexIdEEEEZZNS1_9scan_implILNS1_25lookback_scan_determinismE0ELb0ELb0ES3_PKS7_PS7_S7_ZZZN2at6native31launch_logcumsumexp_cuda_kernelERKNSE_10TensorBaseESI_lENKUlvE_clEvENKUlvE1_clEvEUlS7_S7_E_S7_EEDaPvRmT3_T4_T5_mT6_P12ihipStream_tbENKUlT_T0_E_clISt17integral_constantIbLb0EESZ_EEDaSU_SV_EUlSU_E0_NS1_11comp_targetILNS1_3genE8ELNS1_11target_archE1030ELNS1_3gpuE2ELNS1_3repE0EEENS1_30default_config_static_selectorELNS0_4arch9wavefront6targetE0EEEvT1_: ; @_ZN7rocprim17ROCPRIM_400000_NS6detail17trampoline_kernelINS0_14default_configENS1_20scan_config_selectorIN3c107complexIdEEEEZZNS1_9scan_implILNS1_25lookback_scan_determinismE0ELb0ELb0ES3_PKS7_PS7_S7_ZZZN2at6native31launch_logcumsumexp_cuda_kernelERKNSE_10TensorBaseESI_lENKUlvE_clEvENKUlvE1_clEvEUlS7_S7_E_S7_EEDaPvRmT3_T4_T5_mT6_P12ihipStream_tbENKUlT_T0_E_clISt17integral_constantIbLb0EESZ_EEDaSU_SV_EUlSU_E0_NS1_11comp_targetILNS1_3genE8ELNS1_11target_archE1030ELNS1_3gpuE2ELNS1_3repE0EEENS1_30default_config_static_selectorELNS0_4arch9wavefront6targetE0EEEvT1_
; %bb.0:
	.section	.rodata,"a",@progbits
	.p2align	6, 0x0
	.amdhsa_kernel _ZN7rocprim17ROCPRIM_400000_NS6detail17trampoline_kernelINS0_14default_configENS1_20scan_config_selectorIN3c107complexIdEEEEZZNS1_9scan_implILNS1_25lookback_scan_determinismE0ELb0ELb0ES3_PKS7_PS7_S7_ZZZN2at6native31launch_logcumsumexp_cuda_kernelERKNSE_10TensorBaseESI_lENKUlvE_clEvENKUlvE1_clEvEUlS7_S7_E_S7_EEDaPvRmT3_T4_T5_mT6_P12ihipStream_tbENKUlT_T0_E_clISt17integral_constantIbLb0EESZ_EEDaSU_SV_EUlSU_E0_NS1_11comp_targetILNS1_3genE8ELNS1_11target_archE1030ELNS1_3gpuE2ELNS1_3repE0EEENS1_30default_config_static_selectorELNS0_4arch9wavefront6targetE0EEEvT1_
		.amdhsa_group_segment_fixed_size 0
		.amdhsa_private_segment_fixed_size 0
		.amdhsa_kernarg_size 48
		.amdhsa_user_sgpr_count 2
		.amdhsa_user_sgpr_dispatch_ptr 0
		.amdhsa_user_sgpr_queue_ptr 0
		.amdhsa_user_sgpr_kernarg_segment_ptr 1
		.amdhsa_user_sgpr_dispatch_id 0
		.amdhsa_user_sgpr_private_segment_size 0
		.amdhsa_wavefront_size32 1
		.amdhsa_uses_dynamic_stack 0
		.amdhsa_enable_private_segment 0
		.amdhsa_system_sgpr_workgroup_id_x 1
		.amdhsa_system_sgpr_workgroup_id_y 0
		.amdhsa_system_sgpr_workgroup_id_z 0
		.amdhsa_system_sgpr_workgroup_info 0
		.amdhsa_system_vgpr_workitem_id 0
		.amdhsa_next_free_vgpr 1
		.amdhsa_next_free_sgpr 1
		.amdhsa_reserve_vcc 0
		.amdhsa_float_round_mode_32 0
		.amdhsa_float_round_mode_16_64 0
		.amdhsa_float_denorm_mode_32 3
		.amdhsa_float_denorm_mode_16_64 3
		.amdhsa_fp16_overflow 0
		.amdhsa_workgroup_processor_mode 1
		.amdhsa_memory_ordered 1
		.amdhsa_forward_progress 1
		.amdhsa_inst_pref_size 0
		.amdhsa_round_robin_scheduling 0
		.amdhsa_exception_fp_ieee_invalid_op 0
		.amdhsa_exception_fp_denorm_src 0
		.amdhsa_exception_fp_ieee_div_zero 0
		.amdhsa_exception_fp_ieee_overflow 0
		.amdhsa_exception_fp_ieee_underflow 0
		.amdhsa_exception_fp_ieee_inexact 0
		.amdhsa_exception_int_div_zero 0
	.end_amdhsa_kernel
	.section	.text._ZN7rocprim17ROCPRIM_400000_NS6detail17trampoline_kernelINS0_14default_configENS1_20scan_config_selectorIN3c107complexIdEEEEZZNS1_9scan_implILNS1_25lookback_scan_determinismE0ELb0ELb0ES3_PKS7_PS7_S7_ZZZN2at6native31launch_logcumsumexp_cuda_kernelERKNSE_10TensorBaseESI_lENKUlvE_clEvENKUlvE1_clEvEUlS7_S7_E_S7_EEDaPvRmT3_T4_T5_mT6_P12ihipStream_tbENKUlT_T0_E_clISt17integral_constantIbLb0EESZ_EEDaSU_SV_EUlSU_E0_NS1_11comp_targetILNS1_3genE8ELNS1_11target_archE1030ELNS1_3gpuE2ELNS1_3repE0EEENS1_30default_config_static_selectorELNS0_4arch9wavefront6targetE0EEEvT1_,"axG",@progbits,_ZN7rocprim17ROCPRIM_400000_NS6detail17trampoline_kernelINS0_14default_configENS1_20scan_config_selectorIN3c107complexIdEEEEZZNS1_9scan_implILNS1_25lookback_scan_determinismE0ELb0ELb0ES3_PKS7_PS7_S7_ZZZN2at6native31launch_logcumsumexp_cuda_kernelERKNSE_10TensorBaseESI_lENKUlvE_clEvENKUlvE1_clEvEUlS7_S7_E_S7_EEDaPvRmT3_T4_T5_mT6_P12ihipStream_tbENKUlT_T0_E_clISt17integral_constantIbLb0EESZ_EEDaSU_SV_EUlSU_E0_NS1_11comp_targetILNS1_3genE8ELNS1_11target_archE1030ELNS1_3gpuE2ELNS1_3repE0EEENS1_30default_config_static_selectorELNS0_4arch9wavefront6targetE0EEEvT1_,comdat
.Lfunc_end201:
	.size	_ZN7rocprim17ROCPRIM_400000_NS6detail17trampoline_kernelINS0_14default_configENS1_20scan_config_selectorIN3c107complexIdEEEEZZNS1_9scan_implILNS1_25lookback_scan_determinismE0ELb0ELb0ES3_PKS7_PS7_S7_ZZZN2at6native31launch_logcumsumexp_cuda_kernelERKNSE_10TensorBaseESI_lENKUlvE_clEvENKUlvE1_clEvEUlS7_S7_E_S7_EEDaPvRmT3_T4_T5_mT6_P12ihipStream_tbENKUlT_T0_E_clISt17integral_constantIbLb0EESZ_EEDaSU_SV_EUlSU_E0_NS1_11comp_targetILNS1_3genE8ELNS1_11target_archE1030ELNS1_3gpuE2ELNS1_3repE0EEENS1_30default_config_static_selectorELNS0_4arch9wavefront6targetE0EEEvT1_, .Lfunc_end201-_ZN7rocprim17ROCPRIM_400000_NS6detail17trampoline_kernelINS0_14default_configENS1_20scan_config_selectorIN3c107complexIdEEEEZZNS1_9scan_implILNS1_25lookback_scan_determinismE0ELb0ELb0ES3_PKS7_PS7_S7_ZZZN2at6native31launch_logcumsumexp_cuda_kernelERKNSE_10TensorBaseESI_lENKUlvE_clEvENKUlvE1_clEvEUlS7_S7_E_S7_EEDaPvRmT3_T4_T5_mT6_P12ihipStream_tbENKUlT_T0_E_clISt17integral_constantIbLb0EESZ_EEDaSU_SV_EUlSU_E0_NS1_11comp_targetILNS1_3genE8ELNS1_11target_archE1030ELNS1_3gpuE2ELNS1_3repE0EEENS1_30default_config_static_selectorELNS0_4arch9wavefront6targetE0EEEvT1_
                                        ; -- End function
	.set _ZN7rocprim17ROCPRIM_400000_NS6detail17trampoline_kernelINS0_14default_configENS1_20scan_config_selectorIN3c107complexIdEEEEZZNS1_9scan_implILNS1_25lookback_scan_determinismE0ELb0ELb0ES3_PKS7_PS7_S7_ZZZN2at6native31launch_logcumsumexp_cuda_kernelERKNSE_10TensorBaseESI_lENKUlvE_clEvENKUlvE1_clEvEUlS7_S7_E_S7_EEDaPvRmT3_T4_T5_mT6_P12ihipStream_tbENKUlT_T0_E_clISt17integral_constantIbLb0EESZ_EEDaSU_SV_EUlSU_E0_NS1_11comp_targetILNS1_3genE8ELNS1_11target_archE1030ELNS1_3gpuE2ELNS1_3repE0EEENS1_30default_config_static_selectorELNS0_4arch9wavefront6targetE0EEEvT1_.num_vgpr, 0
	.set _ZN7rocprim17ROCPRIM_400000_NS6detail17trampoline_kernelINS0_14default_configENS1_20scan_config_selectorIN3c107complexIdEEEEZZNS1_9scan_implILNS1_25lookback_scan_determinismE0ELb0ELb0ES3_PKS7_PS7_S7_ZZZN2at6native31launch_logcumsumexp_cuda_kernelERKNSE_10TensorBaseESI_lENKUlvE_clEvENKUlvE1_clEvEUlS7_S7_E_S7_EEDaPvRmT3_T4_T5_mT6_P12ihipStream_tbENKUlT_T0_E_clISt17integral_constantIbLb0EESZ_EEDaSU_SV_EUlSU_E0_NS1_11comp_targetILNS1_3genE8ELNS1_11target_archE1030ELNS1_3gpuE2ELNS1_3repE0EEENS1_30default_config_static_selectorELNS0_4arch9wavefront6targetE0EEEvT1_.num_agpr, 0
	.set _ZN7rocprim17ROCPRIM_400000_NS6detail17trampoline_kernelINS0_14default_configENS1_20scan_config_selectorIN3c107complexIdEEEEZZNS1_9scan_implILNS1_25lookback_scan_determinismE0ELb0ELb0ES3_PKS7_PS7_S7_ZZZN2at6native31launch_logcumsumexp_cuda_kernelERKNSE_10TensorBaseESI_lENKUlvE_clEvENKUlvE1_clEvEUlS7_S7_E_S7_EEDaPvRmT3_T4_T5_mT6_P12ihipStream_tbENKUlT_T0_E_clISt17integral_constantIbLb0EESZ_EEDaSU_SV_EUlSU_E0_NS1_11comp_targetILNS1_3genE8ELNS1_11target_archE1030ELNS1_3gpuE2ELNS1_3repE0EEENS1_30default_config_static_selectorELNS0_4arch9wavefront6targetE0EEEvT1_.numbered_sgpr, 0
	.set _ZN7rocprim17ROCPRIM_400000_NS6detail17trampoline_kernelINS0_14default_configENS1_20scan_config_selectorIN3c107complexIdEEEEZZNS1_9scan_implILNS1_25lookback_scan_determinismE0ELb0ELb0ES3_PKS7_PS7_S7_ZZZN2at6native31launch_logcumsumexp_cuda_kernelERKNSE_10TensorBaseESI_lENKUlvE_clEvENKUlvE1_clEvEUlS7_S7_E_S7_EEDaPvRmT3_T4_T5_mT6_P12ihipStream_tbENKUlT_T0_E_clISt17integral_constantIbLb0EESZ_EEDaSU_SV_EUlSU_E0_NS1_11comp_targetILNS1_3genE8ELNS1_11target_archE1030ELNS1_3gpuE2ELNS1_3repE0EEENS1_30default_config_static_selectorELNS0_4arch9wavefront6targetE0EEEvT1_.num_named_barrier, 0
	.set _ZN7rocprim17ROCPRIM_400000_NS6detail17trampoline_kernelINS0_14default_configENS1_20scan_config_selectorIN3c107complexIdEEEEZZNS1_9scan_implILNS1_25lookback_scan_determinismE0ELb0ELb0ES3_PKS7_PS7_S7_ZZZN2at6native31launch_logcumsumexp_cuda_kernelERKNSE_10TensorBaseESI_lENKUlvE_clEvENKUlvE1_clEvEUlS7_S7_E_S7_EEDaPvRmT3_T4_T5_mT6_P12ihipStream_tbENKUlT_T0_E_clISt17integral_constantIbLb0EESZ_EEDaSU_SV_EUlSU_E0_NS1_11comp_targetILNS1_3genE8ELNS1_11target_archE1030ELNS1_3gpuE2ELNS1_3repE0EEENS1_30default_config_static_selectorELNS0_4arch9wavefront6targetE0EEEvT1_.private_seg_size, 0
	.set _ZN7rocprim17ROCPRIM_400000_NS6detail17trampoline_kernelINS0_14default_configENS1_20scan_config_selectorIN3c107complexIdEEEEZZNS1_9scan_implILNS1_25lookback_scan_determinismE0ELb0ELb0ES3_PKS7_PS7_S7_ZZZN2at6native31launch_logcumsumexp_cuda_kernelERKNSE_10TensorBaseESI_lENKUlvE_clEvENKUlvE1_clEvEUlS7_S7_E_S7_EEDaPvRmT3_T4_T5_mT6_P12ihipStream_tbENKUlT_T0_E_clISt17integral_constantIbLb0EESZ_EEDaSU_SV_EUlSU_E0_NS1_11comp_targetILNS1_3genE8ELNS1_11target_archE1030ELNS1_3gpuE2ELNS1_3repE0EEENS1_30default_config_static_selectorELNS0_4arch9wavefront6targetE0EEEvT1_.uses_vcc, 0
	.set _ZN7rocprim17ROCPRIM_400000_NS6detail17trampoline_kernelINS0_14default_configENS1_20scan_config_selectorIN3c107complexIdEEEEZZNS1_9scan_implILNS1_25lookback_scan_determinismE0ELb0ELb0ES3_PKS7_PS7_S7_ZZZN2at6native31launch_logcumsumexp_cuda_kernelERKNSE_10TensorBaseESI_lENKUlvE_clEvENKUlvE1_clEvEUlS7_S7_E_S7_EEDaPvRmT3_T4_T5_mT6_P12ihipStream_tbENKUlT_T0_E_clISt17integral_constantIbLb0EESZ_EEDaSU_SV_EUlSU_E0_NS1_11comp_targetILNS1_3genE8ELNS1_11target_archE1030ELNS1_3gpuE2ELNS1_3repE0EEENS1_30default_config_static_selectorELNS0_4arch9wavefront6targetE0EEEvT1_.uses_flat_scratch, 0
	.set _ZN7rocprim17ROCPRIM_400000_NS6detail17trampoline_kernelINS0_14default_configENS1_20scan_config_selectorIN3c107complexIdEEEEZZNS1_9scan_implILNS1_25lookback_scan_determinismE0ELb0ELb0ES3_PKS7_PS7_S7_ZZZN2at6native31launch_logcumsumexp_cuda_kernelERKNSE_10TensorBaseESI_lENKUlvE_clEvENKUlvE1_clEvEUlS7_S7_E_S7_EEDaPvRmT3_T4_T5_mT6_P12ihipStream_tbENKUlT_T0_E_clISt17integral_constantIbLb0EESZ_EEDaSU_SV_EUlSU_E0_NS1_11comp_targetILNS1_3genE8ELNS1_11target_archE1030ELNS1_3gpuE2ELNS1_3repE0EEENS1_30default_config_static_selectorELNS0_4arch9wavefront6targetE0EEEvT1_.has_dyn_sized_stack, 0
	.set _ZN7rocprim17ROCPRIM_400000_NS6detail17trampoline_kernelINS0_14default_configENS1_20scan_config_selectorIN3c107complexIdEEEEZZNS1_9scan_implILNS1_25lookback_scan_determinismE0ELb0ELb0ES3_PKS7_PS7_S7_ZZZN2at6native31launch_logcumsumexp_cuda_kernelERKNSE_10TensorBaseESI_lENKUlvE_clEvENKUlvE1_clEvEUlS7_S7_E_S7_EEDaPvRmT3_T4_T5_mT6_P12ihipStream_tbENKUlT_T0_E_clISt17integral_constantIbLb0EESZ_EEDaSU_SV_EUlSU_E0_NS1_11comp_targetILNS1_3genE8ELNS1_11target_archE1030ELNS1_3gpuE2ELNS1_3repE0EEENS1_30default_config_static_selectorELNS0_4arch9wavefront6targetE0EEEvT1_.has_recursion, 0
	.set _ZN7rocprim17ROCPRIM_400000_NS6detail17trampoline_kernelINS0_14default_configENS1_20scan_config_selectorIN3c107complexIdEEEEZZNS1_9scan_implILNS1_25lookback_scan_determinismE0ELb0ELb0ES3_PKS7_PS7_S7_ZZZN2at6native31launch_logcumsumexp_cuda_kernelERKNSE_10TensorBaseESI_lENKUlvE_clEvENKUlvE1_clEvEUlS7_S7_E_S7_EEDaPvRmT3_T4_T5_mT6_P12ihipStream_tbENKUlT_T0_E_clISt17integral_constantIbLb0EESZ_EEDaSU_SV_EUlSU_E0_NS1_11comp_targetILNS1_3genE8ELNS1_11target_archE1030ELNS1_3gpuE2ELNS1_3repE0EEENS1_30default_config_static_selectorELNS0_4arch9wavefront6targetE0EEEvT1_.has_indirect_call, 0
	.section	.AMDGPU.csdata,"",@progbits
; Kernel info:
; codeLenInByte = 0
; TotalNumSgprs: 0
; NumVgprs: 0
; ScratchSize: 0
; MemoryBound: 0
; FloatMode: 240
; IeeeMode: 1
; LDSByteSize: 0 bytes/workgroup (compile time only)
; SGPRBlocks: 0
; VGPRBlocks: 0
; NumSGPRsForWavesPerEU: 1
; NumVGPRsForWavesPerEU: 1
; Occupancy: 16
; WaveLimiterHint : 0
; COMPUTE_PGM_RSRC2:SCRATCH_EN: 0
; COMPUTE_PGM_RSRC2:USER_SGPR: 2
; COMPUTE_PGM_RSRC2:TRAP_HANDLER: 0
; COMPUTE_PGM_RSRC2:TGID_X_EN: 1
; COMPUTE_PGM_RSRC2:TGID_Y_EN: 0
; COMPUTE_PGM_RSRC2:TGID_Z_EN: 0
; COMPUTE_PGM_RSRC2:TIDIG_COMP_CNT: 0
	.section	.text._ZN7rocprim17ROCPRIM_400000_NS6detail31init_lookback_scan_state_kernelINS1_19lookback_scan_stateIN3c107complexIdEELb1ELb0EEENS1_16block_id_wrapperIjLb1EEEEEvT_jT0_jPNSA_10value_typeE,"axG",@progbits,_ZN7rocprim17ROCPRIM_400000_NS6detail31init_lookback_scan_state_kernelINS1_19lookback_scan_stateIN3c107complexIdEELb1ELb0EEENS1_16block_id_wrapperIjLb1EEEEEvT_jT0_jPNSA_10value_typeE,comdat
	.protected	_ZN7rocprim17ROCPRIM_400000_NS6detail31init_lookback_scan_state_kernelINS1_19lookback_scan_stateIN3c107complexIdEELb1ELb0EEENS1_16block_id_wrapperIjLb1EEEEEvT_jT0_jPNSA_10value_typeE ; -- Begin function _ZN7rocprim17ROCPRIM_400000_NS6detail31init_lookback_scan_state_kernelINS1_19lookback_scan_stateIN3c107complexIdEELb1ELb0EEENS1_16block_id_wrapperIjLb1EEEEEvT_jT0_jPNSA_10value_typeE
	.globl	_ZN7rocprim17ROCPRIM_400000_NS6detail31init_lookback_scan_state_kernelINS1_19lookback_scan_stateIN3c107complexIdEELb1ELb0EEENS1_16block_id_wrapperIjLb1EEEEEvT_jT0_jPNSA_10value_typeE
	.p2align	8
	.type	_ZN7rocprim17ROCPRIM_400000_NS6detail31init_lookback_scan_state_kernelINS1_19lookback_scan_stateIN3c107complexIdEELb1ELb0EEENS1_16block_id_wrapperIjLb1EEEEEvT_jT0_jPNSA_10value_typeE,@function
_ZN7rocprim17ROCPRIM_400000_NS6detail31init_lookback_scan_state_kernelINS1_19lookback_scan_stateIN3c107complexIdEELb1ELb0EEENS1_16block_id_wrapperIjLb1EEEEEvT_jT0_jPNSA_10value_typeE: ; @_ZN7rocprim17ROCPRIM_400000_NS6detail31init_lookback_scan_state_kernelINS1_19lookback_scan_stateIN3c107complexIdEELb1ELb0EEENS1_16block_id_wrapperIjLb1EEEEEvT_jT0_jPNSA_10value_typeE
; %bb.0:
	s_clause 0x2
	s_load_b32 s4, s[0:1], 0x44
	s_load_b64 s[2:3], s[0:1], 0x30
	s_load_b96 s[8:10], s[0:1], 0x10
	s_wait_kmcnt 0x0
	s_and_b32 s4, s4, 0xffff
	s_cmp_eq_u64 s[2:3], 0
	v_mad_co_u64_u32 v[0:1], null, ttmp9, s4, v[0:1]
	s_cbranch_scc1 .LBB202_9
; %bb.1:
	s_load_b32 s4, s[0:1], 0x28
	s_mov_b32 s13, 0
	s_mov_b32 s11, exec_lo
	s_wait_kmcnt 0x0
	s_cmp_lt_u32 s4, s10
	s_cselect_b32 s5, s4, 0
	s_wait_alu 0xfffe
	v_cmpx_eq_u32_e64 s5, v0
	s_cbranch_execz .LBB202_8
; %bb.2:
	s_add_co_i32 s12, s4, 32
	s_load_b128 s[4:7], s[0:1], 0x0
	v_mov_b32_e32 v1, s12
	global_load_u8 v1, v1, s[8:9] scope:SCOPE_DEV
	s_wait_loadcnt 0x0
	v_and_b32_e32 v2, 0xffff, v1
	v_readfirstlane_b32 s17, v1
	s_delay_alu instid0(VALU_DEP_2)
	v_cmp_ne_u32_e32 vcc_lo, 0, v2
	s_cbranch_vccnz .LBB202_7
; %bb.3:
	v_mov_b32_e32 v1, 0
	s_add_nc_u64 s[14:15], s[8:9], s[12:13]
	s_mov_b32 s16, 1
.LBB202_4:                              ; =>This Loop Header: Depth=1
                                        ;     Child Loop BB202_5 Depth 2
	s_delay_alu instid0(SALU_CYCLE_1)
	s_mov_b32 s17, s16
.LBB202_5:                              ;   Parent Loop BB202_4 Depth=1
                                        ; =>  This Inner Loop Header: Depth=2
	s_delay_alu instid0(SALU_CYCLE_1)
	s_add_co_i32 s17, s17, -1
	s_sleep 1
	s_cmp_eq_u32 s17, 0
	s_cbranch_scc0 .LBB202_5
; %bb.6:                                ;   in Loop: Header=BB202_4 Depth=1
	global_load_u8 v2, v1, s[14:15] scope:SCOPE_DEV
	s_cmp_lt_u32 s16, 32
	s_cselect_b32 s17, -1, 0
	s_delay_alu instid0(SALU_CYCLE_1) | instskip(SKIP_4) | instid1(VALU_DEP_2)
	s_cmp_lg_u32 s17, 0
	s_add_co_ci_u32 s16, s16, 0
	s_wait_loadcnt 0x0
	v_and_b32_e32 v3, 0xffff, v2
	v_readfirstlane_b32 s17, v2
	v_cmp_ne_u32_e32 vcc_lo, 0, v3
	s_cbranch_vccz .LBB202_4
.LBB202_7:
	s_and_b32 s14, 0xffff, s17
	v_mov_b32_e32 v5, 0
	s_cmp_eq_u32 s14, 1
	global_inv scope:SCOPE_DEV
	s_wait_kmcnt 0x0
	s_cselect_b32 s5, s5, s7
	s_cselect_b32 s4, s4, s6
	s_lshl_b64 s[6:7], s[12:13], 4
	s_wait_alu 0xfffe
	s_add_nc_u64 s[4:5], s[4:5], s[6:7]
	global_load_b128 v[1:4], v5, s[4:5]
	s_wait_loadcnt 0x0
	global_store_b128 v5, v[1:4], s[2:3]
.LBB202_8:
	s_or_b32 exec_lo, exec_lo, s11
.LBB202_9:
	s_delay_alu instid0(SALU_CYCLE_1)
	s_mov_b32 s2, exec_lo
	v_cmpx_eq_u32_e32 0, v0
	s_cbranch_execz .LBB202_11
; %bb.10:
	s_load_b64 s[0:1], s[0:1], 0x20
	v_mov_b32_e32 v1, 0
	s_wait_kmcnt 0x0
	global_store_b32 v1, v1, s[0:1]
.LBB202_11:
	s_or_b32 exec_lo, exec_lo, s2
	s_delay_alu instid0(SALU_CYCLE_1)
	s_mov_b32 s0, exec_lo
	v_cmpx_gt_u32_e64 s10, v0
	s_cbranch_execz .LBB202_13
; %bb.12:
	v_dual_mov_b32 v2, 0 :: v_dual_add_nc_u32 v1, 32, v0
	global_store_b8 v1, v2, s[8:9]
.LBB202_13:
	s_wait_alu 0xfffe
	s_or_b32 exec_lo, exec_lo, s0
	s_delay_alu instid0(SALU_CYCLE_1)
	s_mov_b32 s0, exec_lo
	v_cmpx_gt_u32_e32 32, v0
	s_cbranch_execz .LBB202_15
; %bb.14:
	v_mov_b32_e32 v1, 0xff
	global_store_b8 v0, v1, s[8:9]
.LBB202_15:
	s_endpgm
	.section	.rodata,"a",@progbits
	.p2align	6, 0x0
	.amdhsa_kernel _ZN7rocprim17ROCPRIM_400000_NS6detail31init_lookback_scan_state_kernelINS1_19lookback_scan_stateIN3c107complexIdEELb1ELb0EEENS1_16block_id_wrapperIjLb1EEEEEvT_jT0_jPNSA_10value_typeE
		.amdhsa_group_segment_fixed_size 0
		.amdhsa_private_segment_fixed_size 0
		.amdhsa_kernarg_size 312
		.amdhsa_user_sgpr_count 2
		.amdhsa_user_sgpr_dispatch_ptr 0
		.amdhsa_user_sgpr_queue_ptr 0
		.amdhsa_user_sgpr_kernarg_segment_ptr 1
		.amdhsa_user_sgpr_dispatch_id 0
		.amdhsa_user_sgpr_private_segment_size 0
		.amdhsa_wavefront_size32 1
		.amdhsa_uses_dynamic_stack 0
		.amdhsa_enable_private_segment 0
		.amdhsa_system_sgpr_workgroup_id_x 1
		.amdhsa_system_sgpr_workgroup_id_y 0
		.amdhsa_system_sgpr_workgroup_id_z 0
		.amdhsa_system_sgpr_workgroup_info 0
		.amdhsa_system_vgpr_workitem_id 0
		.amdhsa_next_free_vgpr 6
		.amdhsa_next_free_sgpr 18
		.amdhsa_reserve_vcc 1
		.amdhsa_float_round_mode_32 0
		.amdhsa_float_round_mode_16_64 0
		.amdhsa_float_denorm_mode_32 3
		.amdhsa_float_denorm_mode_16_64 3
		.amdhsa_fp16_overflow 0
		.amdhsa_workgroup_processor_mode 1
		.amdhsa_memory_ordered 1
		.amdhsa_forward_progress 1
		.amdhsa_inst_pref_size 4
		.amdhsa_round_robin_scheduling 0
		.amdhsa_exception_fp_ieee_invalid_op 0
		.amdhsa_exception_fp_denorm_src 0
		.amdhsa_exception_fp_ieee_div_zero 0
		.amdhsa_exception_fp_ieee_overflow 0
		.amdhsa_exception_fp_ieee_underflow 0
		.amdhsa_exception_fp_ieee_inexact 0
		.amdhsa_exception_int_div_zero 0
	.end_amdhsa_kernel
	.section	.text._ZN7rocprim17ROCPRIM_400000_NS6detail31init_lookback_scan_state_kernelINS1_19lookback_scan_stateIN3c107complexIdEELb1ELb0EEENS1_16block_id_wrapperIjLb1EEEEEvT_jT0_jPNSA_10value_typeE,"axG",@progbits,_ZN7rocprim17ROCPRIM_400000_NS6detail31init_lookback_scan_state_kernelINS1_19lookback_scan_stateIN3c107complexIdEELb1ELb0EEENS1_16block_id_wrapperIjLb1EEEEEvT_jT0_jPNSA_10value_typeE,comdat
.Lfunc_end202:
	.size	_ZN7rocprim17ROCPRIM_400000_NS6detail31init_lookback_scan_state_kernelINS1_19lookback_scan_stateIN3c107complexIdEELb1ELb0EEENS1_16block_id_wrapperIjLb1EEEEEvT_jT0_jPNSA_10value_typeE, .Lfunc_end202-_ZN7rocprim17ROCPRIM_400000_NS6detail31init_lookback_scan_state_kernelINS1_19lookback_scan_stateIN3c107complexIdEELb1ELb0EEENS1_16block_id_wrapperIjLb1EEEEEvT_jT0_jPNSA_10value_typeE
                                        ; -- End function
	.set _ZN7rocprim17ROCPRIM_400000_NS6detail31init_lookback_scan_state_kernelINS1_19lookback_scan_stateIN3c107complexIdEELb1ELb0EEENS1_16block_id_wrapperIjLb1EEEEEvT_jT0_jPNSA_10value_typeE.num_vgpr, 6
	.set _ZN7rocprim17ROCPRIM_400000_NS6detail31init_lookback_scan_state_kernelINS1_19lookback_scan_stateIN3c107complexIdEELb1ELb0EEENS1_16block_id_wrapperIjLb1EEEEEvT_jT0_jPNSA_10value_typeE.num_agpr, 0
	.set _ZN7rocprim17ROCPRIM_400000_NS6detail31init_lookback_scan_state_kernelINS1_19lookback_scan_stateIN3c107complexIdEELb1ELb0EEENS1_16block_id_wrapperIjLb1EEEEEvT_jT0_jPNSA_10value_typeE.numbered_sgpr, 18
	.set _ZN7rocprim17ROCPRIM_400000_NS6detail31init_lookback_scan_state_kernelINS1_19lookback_scan_stateIN3c107complexIdEELb1ELb0EEENS1_16block_id_wrapperIjLb1EEEEEvT_jT0_jPNSA_10value_typeE.num_named_barrier, 0
	.set _ZN7rocprim17ROCPRIM_400000_NS6detail31init_lookback_scan_state_kernelINS1_19lookback_scan_stateIN3c107complexIdEELb1ELb0EEENS1_16block_id_wrapperIjLb1EEEEEvT_jT0_jPNSA_10value_typeE.private_seg_size, 0
	.set _ZN7rocprim17ROCPRIM_400000_NS6detail31init_lookback_scan_state_kernelINS1_19lookback_scan_stateIN3c107complexIdEELb1ELb0EEENS1_16block_id_wrapperIjLb1EEEEEvT_jT0_jPNSA_10value_typeE.uses_vcc, 1
	.set _ZN7rocprim17ROCPRIM_400000_NS6detail31init_lookback_scan_state_kernelINS1_19lookback_scan_stateIN3c107complexIdEELb1ELb0EEENS1_16block_id_wrapperIjLb1EEEEEvT_jT0_jPNSA_10value_typeE.uses_flat_scratch, 0
	.set _ZN7rocprim17ROCPRIM_400000_NS6detail31init_lookback_scan_state_kernelINS1_19lookback_scan_stateIN3c107complexIdEELb1ELb0EEENS1_16block_id_wrapperIjLb1EEEEEvT_jT0_jPNSA_10value_typeE.has_dyn_sized_stack, 0
	.set _ZN7rocprim17ROCPRIM_400000_NS6detail31init_lookback_scan_state_kernelINS1_19lookback_scan_stateIN3c107complexIdEELb1ELb0EEENS1_16block_id_wrapperIjLb1EEEEEvT_jT0_jPNSA_10value_typeE.has_recursion, 0
	.set _ZN7rocprim17ROCPRIM_400000_NS6detail31init_lookback_scan_state_kernelINS1_19lookback_scan_stateIN3c107complexIdEELb1ELb0EEENS1_16block_id_wrapperIjLb1EEEEEvT_jT0_jPNSA_10value_typeE.has_indirect_call, 0
	.section	.AMDGPU.csdata,"",@progbits
; Kernel info:
; codeLenInByte = 472
; TotalNumSgprs: 20
; NumVgprs: 6
; ScratchSize: 0
; MemoryBound: 0
; FloatMode: 240
; IeeeMode: 1
; LDSByteSize: 0 bytes/workgroup (compile time only)
; SGPRBlocks: 0
; VGPRBlocks: 0
; NumSGPRsForWavesPerEU: 20
; NumVGPRsForWavesPerEU: 6
; Occupancy: 16
; WaveLimiterHint : 0
; COMPUTE_PGM_RSRC2:SCRATCH_EN: 0
; COMPUTE_PGM_RSRC2:USER_SGPR: 2
; COMPUTE_PGM_RSRC2:TRAP_HANDLER: 0
; COMPUTE_PGM_RSRC2:TGID_X_EN: 1
; COMPUTE_PGM_RSRC2:TGID_Y_EN: 0
; COMPUTE_PGM_RSRC2:TGID_Z_EN: 0
; COMPUTE_PGM_RSRC2:TIDIG_COMP_CNT: 0
	.section	.text._ZN7rocprim17ROCPRIM_400000_NS6detail17trampoline_kernelINS0_14default_configENS1_20scan_config_selectorIN3c107complexIdEEEEZZNS1_9scan_implILNS1_25lookback_scan_determinismE0ELb0ELb0ES3_PKS7_PS7_S7_ZZZN2at6native31launch_logcumsumexp_cuda_kernelERKNSE_10TensorBaseESI_lENKUlvE_clEvENKUlvE1_clEvEUlS7_S7_E_S7_EEDaPvRmT3_T4_T5_mT6_P12ihipStream_tbENKUlT_T0_E_clISt17integral_constantIbLb1EESZ_EEDaSU_SV_EUlSU_E_NS1_11comp_targetILNS1_3genE0ELNS1_11target_archE4294967295ELNS1_3gpuE0ELNS1_3repE0EEENS1_30default_config_static_selectorELNS0_4arch9wavefront6targetE0EEEvT1_,"axG",@progbits,_ZN7rocprim17ROCPRIM_400000_NS6detail17trampoline_kernelINS0_14default_configENS1_20scan_config_selectorIN3c107complexIdEEEEZZNS1_9scan_implILNS1_25lookback_scan_determinismE0ELb0ELb0ES3_PKS7_PS7_S7_ZZZN2at6native31launch_logcumsumexp_cuda_kernelERKNSE_10TensorBaseESI_lENKUlvE_clEvENKUlvE1_clEvEUlS7_S7_E_S7_EEDaPvRmT3_T4_T5_mT6_P12ihipStream_tbENKUlT_T0_E_clISt17integral_constantIbLb1EESZ_EEDaSU_SV_EUlSU_E_NS1_11comp_targetILNS1_3genE0ELNS1_11target_archE4294967295ELNS1_3gpuE0ELNS1_3repE0EEENS1_30default_config_static_selectorELNS0_4arch9wavefront6targetE0EEEvT1_,comdat
	.globl	_ZN7rocprim17ROCPRIM_400000_NS6detail17trampoline_kernelINS0_14default_configENS1_20scan_config_selectorIN3c107complexIdEEEEZZNS1_9scan_implILNS1_25lookback_scan_determinismE0ELb0ELb0ES3_PKS7_PS7_S7_ZZZN2at6native31launch_logcumsumexp_cuda_kernelERKNSE_10TensorBaseESI_lENKUlvE_clEvENKUlvE1_clEvEUlS7_S7_E_S7_EEDaPvRmT3_T4_T5_mT6_P12ihipStream_tbENKUlT_T0_E_clISt17integral_constantIbLb1EESZ_EEDaSU_SV_EUlSU_E_NS1_11comp_targetILNS1_3genE0ELNS1_11target_archE4294967295ELNS1_3gpuE0ELNS1_3repE0EEENS1_30default_config_static_selectorELNS0_4arch9wavefront6targetE0EEEvT1_ ; -- Begin function _ZN7rocprim17ROCPRIM_400000_NS6detail17trampoline_kernelINS0_14default_configENS1_20scan_config_selectorIN3c107complexIdEEEEZZNS1_9scan_implILNS1_25lookback_scan_determinismE0ELb0ELb0ES3_PKS7_PS7_S7_ZZZN2at6native31launch_logcumsumexp_cuda_kernelERKNSE_10TensorBaseESI_lENKUlvE_clEvENKUlvE1_clEvEUlS7_S7_E_S7_EEDaPvRmT3_T4_T5_mT6_P12ihipStream_tbENKUlT_T0_E_clISt17integral_constantIbLb1EESZ_EEDaSU_SV_EUlSU_E_NS1_11comp_targetILNS1_3genE0ELNS1_11target_archE4294967295ELNS1_3gpuE0ELNS1_3repE0EEENS1_30default_config_static_selectorELNS0_4arch9wavefront6targetE0EEEvT1_
	.p2align	8
	.type	_ZN7rocprim17ROCPRIM_400000_NS6detail17trampoline_kernelINS0_14default_configENS1_20scan_config_selectorIN3c107complexIdEEEEZZNS1_9scan_implILNS1_25lookback_scan_determinismE0ELb0ELb0ES3_PKS7_PS7_S7_ZZZN2at6native31launch_logcumsumexp_cuda_kernelERKNSE_10TensorBaseESI_lENKUlvE_clEvENKUlvE1_clEvEUlS7_S7_E_S7_EEDaPvRmT3_T4_T5_mT6_P12ihipStream_tbENKUlT_T0_E_clISt17integral_constantIbLb1EESZ_EEDaSU_SV_EUlSU_E_NS1_11comp_targetILNS1_3genE0ELNS1_11target_archE4294967295ELNS1_3gpuE0ELNS1_3repE0EEENS1_30default_config_static_selectorELNS0_4arch9wavefront6targetE0EEEvT1_,@function
_ZN7rocprim17ROCPRIM_400000_NS6detail17trampoline_kernelINS0_14default_configENS1_20scan_config_selectorIN3c107complexIdEEEEZZNS1_9scan_implILNS1_25lookback_scan_determinismE0ELb0ELb0ES3_PKS7_PS7_S7_ZZZN2at6native31launch_logcumsumexp_cuda_kernelERKNSE_10TensorBaseESI_lENKUlvE_clEvENKUlvE1_clEvEUlS7_S7_E_S7_EEDaPvRmT3_T4_T5_mT6_P12ihipStream_tbENKUlT_T0_E_clISt17integral_constantIbLb1EESZ_EEDaSU_SV_EUlSU_E_NS1_11comp_targetILNS1_3genE0ELNS1_11target_archE4294967295ELNS1_3gpuE0ELNS1_3repE0EEENS1_30default_config_static_selectorELNS0_4arch9wavefront6targetE0EEEvT1_: ; @_ZN7rocprim17ROCPRIM_400000_NS6detail17trampoline_kernelINS0_14default_configENS1_20scan_config_selectorIN3c107complexIdEEEEZZNS1_9scan_implILNS1_25lookback_scan_determinismE0ELb0ELb0ES3_PKS7_PS7_S7_ZZZN2at6native31launch_logcumsumexp_cuda_kernelERKNSE_10TensorBaseESI_lENKUlvE_clEvENKUlvE1_clEvEUlS7_S7_E_S7_EEDaPvRmT3_T4_T5_mT6_P12ihipStream_tbENKUlT_T0_E_clISt17integral_constantIbLb1EESZ_EEDaSU_SV_EUlSU_E_NS1_11comp_targetILNS1_3genE0ELNS1_11target_archE4294967295ELNS1_3gpuE0ELNS1_3repE0EEENS1_30default_config_static_selectorELNS0_4arch9wavefront6targetE0EEEvT1_
; %bb.0:
	.section	.rodata,"a",@progbits
	.p2align	6, 0x0
	.amdhsa_kernel _ZN7rocprim17ROCPRIM_400000_NS6detail17trampoline_kernelINS0_14default_configENS1_20scan_config_selectorIN3c107complexIdEEEEZZNS1_9scan_implILNS1_25lookback_scan_determinismE0ELb0ELb0ES3_PKS7_PS7_S7_ZZZN2at6native31launch_logcumsumexp_cuda_kernelERKNSE_10TensorBaseESI_lENKUlvE_clEvENKUlvE1_clEvEUlS7_S7_E_S7_EEDaPvRmT3_T4_T5_mT6_P12ihipStream_tbENKUlT_T0_E_clISt17integral_constantIbLb1EESZ_EEDaSU_SV_EUlSU_E_NS1_11comp_targetILNS1_3genE0ELNS1_11target_archE4294967295ELNS1_3gpuE0ELNS1_3repE0EEENS1_30default_config_static_selectorELNS0_4arch9wavefront6targetE0EEEvT1_
		.amdhsa_group_segment_fixed_size 0
		.amdhsa_private_segment_fixed_size 0
		.amdhsa_kernarg_size 128
		.amdhsa_user_sgpr_count 2
		.amdhsa_user_sgpr_dispatch_ptr 0
		.amdhsa_user_sgpr_queue_ptr 0
		.amdhsa_user_sgpr_kernarg_segment_ptr 1
		.amdhsa_user_sgpr_dispatch_id 0
		.amdhsa_user_sgpr_private_segment_size 0
		.amdhsa_wavefront_size32 1
		.amdhsa_uses_dynamic_stack 0
		.amdhsa_enable_private_segment 0
		.amdhsa_system_sgpr_workgroup_id_x 1
		.amdhsa_system_sgpr_workgroup_id_y 0
		.amdhsa_system_sgpr_workgroup_id_z 0
		.amdhsa_system_sgpr_workgroup_info 0
		.amdhsa_system_vgpr_workitem_id 0
		.amdhsa_next_free_vgpr 1
		.amdhsa_next_free_sgpr 1
		.amdhsa_reserve_vcc 0
		.amdhsa_float_round_mode_32 0
		.amdhsa_float_round_mode_16_64 0
		.amdhsa_float_denorm_mode_32 3
		.amdhsa_float_denorm_mode_16_64 3
		.amdhsa_fp16_overflow 0
		.amdhsa_workgroup_processor_mode 1
		.amdhsa_memory_ordered 1
		.amdhsa_forward_progress 1
		.amdhsa_inst_pref_size 0
		.amdhsa_round_robin_scheduling 0
		.amdhsa_exception_fp_ieee_invalid_op 0
		.amdhsa_exception_fp_denorm_src 0
		.amdhsa_exception_fp_ieee_div_zero 0
		.amdhsa_exception_fp_ieee_overflow 0
		.amdhsa_exception_fp_ieee_underflow 0
		.amdhsa_exception_fp_ieee_inexact 0
		.amdhsa_exception_int_div_zero 0
	.end_amdhsa_kernel
	.section	.text._ZN7rocprim17ROCPRIM_400000_NS6detail17trampoline_kernelINS0_14default_configENS1_20scan_config_selectorIN3c107complexIdEEEEZZNS1_9scan_implILNS1_25lookback_scan_determinismE0ELb0ELb0ES3_PKS7_PS7_S7_ZZZN2at6native31launch_logcumsumexp_cuda_kernelERKNSE_10TensorBaseESI_lENKUlvE_clEvENKUlvE1_clEvEUlS7_S7_E_S7_EEDaPvRmT3_T4_T5_mT6_P12ihipStream_tbENKUlT_T0_E_clISt17integral_constantIbLb1EESZ_EEDaSU_SV_EUlSU_E_NS1_11comp_targetILNS1_3genE0ELNS1_11target_archE4294967295ELNS1_3gpuE0ELNS1_3repE0EEENS1_30default_config_static_selectorELNS0_4arch9wavefront6targetE0EEEvT1_,"axG",@progbits,_ZN7rocprim17ROCPRIM_400000_NS6detail17trampoline_kernelINS0_14default_configENS1_20scan_config_selectorIN3c107complexIdEEEEZZNS1_9scan_implILNS1_25lookback_scan_determinismE0ELb0ELb0ES3_PKS7_PS7_S7_ZZZN2at6native31launch_logcumsumexp_cuda_kernelERKNSE_10TensorBaseESI_lENKUlvE_clEvENKUlvE1_clEvEUlS7_S7_E_S7_EEDaPvRmT3_T4_T5_mT6_P12ihipStream_tbENKUlT_T0_E_clISt17integral_constantIbLb1EESZ_EEDaSU_SV_EUlSU_E_NS1_11comp_targetILNS1_3genE0ELNS1_11target_archE4294967295ELNS1_3gpuE0ELNS1_3repE0EEENS1_30default_config_static_selectorELNS0_4arch9wavefront6targetE0EEEvT1_,comdat
.Lfunc_end203:
	.size	_ZN7rocprim17ROCPRIM_400000_NS6detail17trampoline_kernelINS0_14default_configENS1_20scan_config_selectorIN3c107complexIdEEEEZZNS1_9scan_implILNS1_25lookback_scan_determinismE0ELb0ELb0ES3_PKS7_PS7_S7_ZZZN2at6native31launch_logcumsumexp_cuda_kernelERKNSE_10TensorBaseESI_lENKUlvE_clEvENKUlvE1_clEvEUlS7_S7_E_S7_EEDaPvRmT3_T4_T5_mT6_P12ihipStream_tbENKUlT_T0_E_clISt17integral_constantIbLb1EESZ_EEDaSU_SV_EUlSU_E_NS1_11comp_targetILNS1_3genE0ELNS1_11target_archE4294967295ELNS1_3gpuE0ELNS1_3repE0EEENS1_30default_config_static_selectorELNS0_4arch9wavefront6targetE0EEEvT1_, .Lfunc_end203-_ZN7rocprim17ROCPRIM_400000_NS6detail17trampoline_kernelINS0_14default_configENS1_20scan_config_selectorIN3c107complexIdEEEEZZNS1_9scan_implILNS1_25lookback_scan_determinismE0ELb0ELb0ES3_PKS7_PS7_S7_ZZZN2at6native31launch_logcumsumexp_cuda_kernelERKNSE_10TensorBaseESI_lENKUlvE_clEvENKUlvE1_clEvEUlS7_S7_E_S7_EEDaPvRmT3_T4_T5_mT6_P12ihipStream_tbENKUlT_T0_E_clISt17integral_constantIbLb1EESZ_EEDaSU_SV_EUlSU_E_NS1_11comp_targetILNS1_3genE0ELNS1_11target_archE4294967295ELNS1_3gpuE0ELNS1_3repE0EEENS1_30default_config_static_selectorELNS0_4arch9wavefront6targetE0EEEvT1_
                                        ; -- End function
	.set _ZN7rocprim17ROCPRIM_400000_NS6detail17trampoline_kernelINS0_14default_configENS1_20scan_config_selectorIN3c107complexIdEEEEZZNS1_9scan_implILNS1_25lookback_scan_determinismE0ELb0ELb0ES3_PKS7_PS7_S7_ZZZN2at6native31launch_logcumsumexp_cuda_kernelERKNSE_10TensorBaseESI_lENKUlvE_clEvENKUlvE1_clEvEUlS7_S7_E_S7_EEDaPvRmT3_T4_T5_mT6_P12ihipStream_tbENKUlT_T0_E_clISt17integral_constantIbLb1EESZ_EEDaSU_SV_EUlSU_E_NS1_11comp_targetILNS1_3genE0ELNS1_11target_archE4294967295ELNS1_3gpuE0ELNS1_3repE0EEENS1_30default_config_static_selectorELNS0_4arch9wavefront6targetE0EEEvT1_.num_vgpr, 0
	.set _ZN7rocprim17ROCPRIM_400000_NS6detail17trampoline_kernelINS0_14default_configENS1_20scan_config_selectorIN3c107complexIdEEEEZZNS1_9scan_implILNS1_25lookback_scan_determinismE0ELb0ELb0ES3_PKS7_PS7_S7_ZZZN2at6native31launch_logcumsumexp_cuda_kernelERKNSE_10TensorBaseESI_lENKUlvE_clEvENKUlvE1_clEvEUlS7_S7_E_S7_EEDaPvRmT3_T4_T5_mT6_P12ihipStream_tbENKUlT_T0_E_clISt17integral_constantIbLb1EESZ_EEDaSU_SV_EUlSU_E_NS1_11comp_targetILNS1_3genE0ELNS1_11target_archE4294967295ELNS1_3gpuE0ELNS1_3repE0EEENS1_30default_config_static_selectorELNS0_4arch9wavefront6targetE0EEEvT1_.num_agpr, 0
	.set _ZN7rocprim17ROCPRIM_400000_NS6detail17trampoline_kernelINS0_14default_configENS1_20scan_config_selectorIN3c107complexIdEEEEZZNS1_9scan_implILNS1_25lookback_scan_determinismE0ELb0ELb0ES3_PKS7_PS7_S7_ZZZN2at6native31launch_logcumsumexp_cuda_kernelERKNSE_10TensorBaseESI_lENKUlvE_clEvENKUlvE1_clEvEUlS7_S7_E_S7_EEDaPvRmT3_T4_T5_mT6_P12ihipStream_tbENKUlT_T0_E_clISt17integral_constantIbLb1EESZ_EEDaSU_SV_EUlSU_E_NS1_11comp_targetILNS1_3genE0ELNS1_11target_archE4294967295ELNS1_3gpuE0ELNS1_3repE0EEENS1_30default_config_static_selectorELNS0_4arch9wavefront6targetE0EEEvT1_.numbered_sgpr, 0
	.set _ZN7rocprim17ROCPRIM_400000_NS6detail17trampoline_kernelINS0_14default_configENS1_20scan_config_selectorIN3c107complexIdEEEEZZNS1_9scan_implILNS1_25lookback_scan_determinismE0ELb0ELb0ES3_PKS7_PS7_S7_ZZZN2at6native31launch_logcumsumexp_cuda_kernelERKNSE_10TensorBaseESI_lENKUlvE_clEvENKUlvE1_clEvEUlS7_S7_E_S7_EEDaPvRmT3_T4_T5_mT6_P12ihipStream_tbENKUlT_T0_E_clISt17integral_constantIbLb1EESZ_EEDaSU_SV_EUlSU_E_NS1_11comp_targetILNS1_3genE0ELNS1_11target_archE4294967295ELNS1_3gpuE0ELNS1_3repE0EEENS1_30default_config_static_selectorELNS0_4arch9wavefront6targetE0EEEvT1_.num_named_barrier, 0
	.set _ZN7rocprim17ROCPRIM_400000_NS6detail17trampoline_kernelINS0_14default_configENS1_20scan_config_selectorIN3c107complexIdEEEEZZNS1_9scan_implILNS1_25lookback_scan_determinismE0ELb0ELb0ES3_PKS7_PS7_S7_ZZZN2at6native31launch_logcumsumexp_cuda_kernelERKNSE_10TensorBaseESI_lENKUlvE_clEvENKUlvE1_clEvEUlS7_S7_E_S7_EEDaPvRmT3_T4_T5_mT6_P12ihipStream_tbENKUlT_T0_E_clISt17integral_constantIbLb1EESZ_EEDaSU_SV_EUlSU_E_NS1_11comp_targetILNS1_3genE0ELNS1_11target_archE4294967295ELNS1_3gpuE0ELNS1_3repE0EEENS1_30default_config_static_selectorELNS0_4arch9wavefront6targetE0EEEvT1_.private_seg_size, 0
	.set _ZN7rocprim17ROCPRIM_400000_NS6detail17trampoline_kernelINS0_14default_configENS1_20scan_config_selectorIN3c107complexIdEEEEZZNS1_9scan_implILNS1_25lookback_scan_determinismE0ELb0ELb0ES3_PKS7_PS7_S7_ZZZN2at6native31launch_logcumsumexp_cuda_kernelERKNSE_10TensorBaseESI_lENKUlvE_clEvENKUlvE1_clEvEUlS7_S7_E_S7_EEDaPvRmT3_T4_T5_mT6_P12ihipStream_tbENKUlT_T0_E_clISt17integral_constantIbLb1EESZ_EEDaSU_SV_EUlSU_E_NS1_11comp_targetILNS1_3genE0ELNS1_11target_archE4294967295ELNS1_3gpuE0ELNS1_3repE0EEENS1_30default_config_static_selectorELNS0_4arch9wavefront6targetE0EEEvT1_.uses_vcc, 0
	.set _ZN7rocprim17ROCPRIM_400000_NS6detail17trampoline_kernelINS0_14default_configENS1_20scan_config_selectorIN3c107complexIdEEEEZZNS1_9scan_implILNS1_25lookback_scan_determinismE0ELb0ELb0ES3_PKS7_PS7_S7_ZZZN2at6native31launch_logcumsumexp_cuda_kernelERKNSE_10TensorBaseESI_lENKUlvE_clEvENKUlvE1_clEvEUlS7_S7_E_S7_EEDaPvRmT3_T4_T5_mT6_P12ihipStream_tbENKUlT_T0_E_clISt17integral_constantIbLb1EESZ_EEDaSU_SV_EUlSU_E_NS1_11comp_targetILNS1_3genE0ELNS1_11target_archE4294967295ELNS1_3gpuE0ELNS1_3repE0EEENS1_30default_config_static_selectorELNS0_4arch9wavefront6targetE0EEEvT1_.uses_flat_scratch, 0
	.set _ZN7rocprim17ROCPRIM_400000_NS6detail17trampoline_kernelINS0_14default_configENS1_20scan_config_selectorIN3c107complexIdEEEEZZNS1_9scan_implILNS1_25lookback_scan_determinismE0ELb0ELb0ES3_PKS7_PS7_S7_ZZZN2at6native31launch_logcumsumexp_cuda_kernelERKNSE_10TensorBaseESI_lENKUlvE_clEvENKUlvE1_clEvEUlS7_S7_E_S7_EEDaPvRmT3_T4_T5_mT6_P12ihipStream_tbENKUlT_T0_E_clISt17integral_constantIbLb1EESZ_EEDaSU_SV_EUlSU_E_NS1_11comp_targetILNS1_3genE0ELNS1_11target_archE4294967295ELNS1_3gpuE0ELNS1_3repE0EEENS1_30default_config_static_selectorELNS0_4arch9wavefront6targetE0EEEvT1_.has_dyn_sized_stack, 0
	.set _ZN7rocprim17ROCPRIM_400000_NS6detail17trampoline_kernelINS0_14default_configENS1_20scan_config_selectorIN3c107complexIdEEEEZZNS1_9scan_implILNS1_25lookback_scan_determinismE0ELb0ELb0ES3_PKS7_PS7_S7_ZZZN2at6native31launch_logcumsumexp_cuda_kernelERKNSE_10TensorBaseESI_lENKUlvE_clEvENKUlvE1_clEvEUlS7_S7_E_S7_EEDaPvRmT3_T4_T5_mT6_P12ihipStream_tbENKUlT_T0_E_clISt17integral_constantIbLb1EESZ_EEDaSU_SV_EUlSU_E_NS1_11comp_targetILNS1_3genE0ELNS1_11target_archE4294967295ELNS1_3gpuE0ELNS1_3repE0EEENS1_30default_config_static_selectorELNS0_4arch9wavefront6targetE0EEEvT1_.has_recursion, 0
	.set _ZN7rocprim17ROCPRIM_400000_NS6detail17trampoline_kernelINS0_14default_configENS1_20scan_config_selectorIN3c107complexIdEEEEZZNS1_9scan_implILNS1_25lookback_scan_determinismE0ELb0ELb0ES3_PKS7_PS7_S7_ZZZN2at6native31launch_logcumsumexp_cuda_kernelERKNSE_10TensorBaseESI_lENKUlvE_clEvENKUlvE1_clEvEUlS7_S7_E_S7_EEDaPvRmT3_T4_T5_mT6_P12ihipStream_tbENKUlT_T0_E_clISt17integral_constantIbLb1EESZ_EEDaSU_SV_EUlSU_E_NS1_11comp_targetILNS1_3genE0ELNS1_11target_archE4294967295ELNS1_3gpuE0ELNS1_3repE0EEENS1_30default_config_static_selectorELNS0_4arch9wavefront6targetE0EEEvT1_.has_indirect_call, 0
	.section	.AMDGPU.csdata,"",@progbits
; Kernel info:
; codeLenInByte = 0
; TotalNumSgprs: 0
; NumVgprs: 0
; ScratchSize: 0
; MemoryBound: 0
; FloatMode: 240
; IeeeMode: 1
; LDSByteSize: 0 bytes/workgroup (compile time only)
; SGPRBlocks: 0
; VGPRBlocks: 0
; NumSGPRsForWavesPerEU: 1
; NumVGPRsForWavesPerEU: 1
; Occupancy: 16
; WaveLimiterHint : 0
; COMPUTE_PGM_RSRC2:SCRATCH_EN: 0
; COMPUTE_PGM_RSRC2:USER_SGPR: 2
; COMPUTE_PGM_RSRC2:TRAP_HANDLER: 0
; COMPUTE_PGM_RSRC2:TGID_X_EN: 1
; COMPUTE_PGM_RSRC2:TGID_Y_EN: 0
; COMPUTE_PGM_RSRC2:TGID_Z_EN: 0
; COMPUTE_PGM_RSRC2:TIDIG_COMP_CNT: 0
	.section	.text._ZN7rocprim17ROCPRIM_400000_NS6detail17trampoline_kernelINS0_14default_configENS1_20scan_config_selectorIN3c107complexIdEEEEZZNS1_9scan_implILNS1_25lookback_scan_determinismE0ELb0ELb0ES3_PKS7_PS7_S7_ZZZN2at6native31launch_logcumsumexp_cuda_kernelERKNSE_10TensorBaseESI_lENKUlvE_clEvENKUlvE1_clEvEUlS7_S7_E_S7_EEDaPvRmT3_T4_T5_mT6_P12ihipStream_tbENKUlT_T0_E_clISt17integral_constantIbLb1EESZ_EEDaSU_SV_EUlSU_E_NS1_11comp_targetILNS1_3genE5ELNS1_11target_archE942ELNS1_3gpuE9ELNS1_3repE0EEENS1_30default_config_static_selectorELNS0_4arch9wavefront6targetE0EEEvT1_,"axG",@progbits,_ZN7rocprim17ROCPRIM_400000_NS6detail17trampoline_kernelINS0_14default_configENS1_20scan_config_selectorIN3c107complexIdEEEEZZNS1_9scan_implILNS1_25lookback_scan_determinismE0ELb0ELb0ES3_PKS7_PS7_S7_ZZZN2at6native31launch_logcumsumexp_cuda_kernelERKNSE_10TensorBaseESI_lENKUlvE_clEvENKUlvE1_clEvEUlS7_S7_E_S7_EEDaPvRmT3_T4_T5_mT6_P12ihipStream_tbENKUlT_T0_E_clISt17integral_constantIbLb1EESZ_EEDaSU_SV_EUlSU_E_NS1_11comp_targetILNS1_3genE5ELNS1_11target_archE942ELNS1_3gpuE9ELNS1_3repE0EEENS1_30default_config_static_selectorELNS0_4arch9wavefront6targetE0EEEvT1_,comdat
	.globl	_ZN7rocprim17ROCPRIM_400000_NS6detail17trampoline_kernelINS0_14default_configENS1_20scan_config_selectorIN3c107complexIdEEEEZZNS1_9scan_implILNS1_25lookback_scan_determinismE0ELb0ELb0ES3_PKS7_PS7_S7_ZZZN2at6native31launch_logcumsumexp_cuda_kernelERKNSE_10TensorBaseESI_lENKUlvE_clEvENKUlvE1_clEvEUlS7_S7_E_S7_EEDaPvRmT3_T4_T5_mT6_P12ihipStream_tbENKUlT_T0_E_clISt17integral_constantIbLb1EESZ_EEDaSU_SV_EUlSU_E_NS1_11comp_targetILNS1_3genE5ELNS1_11target_archE942ELNS1_3gpuE9ELNS1_3repE0EEENS1_30default_config_static_selectorELNS0_4arch9wavefront6targetE0EEEvT1_ ; -- Begin function _ZN7rocprim17ROCPRIM_400000_NS6detail17trampoline_kernelINS0_14default_configENS1_20scan_config_selectorIN3c107complexIdEEEEZZNS1_9scan_implILNS1_25lookback_scan_determinismE0ELb0ELb0ES3_PKS7_PS7_S7_ZZZN2at6native31launch_logcumsumexp_cuda_kernelERKNSE_10TensorBaseESI_lENKUlvE_clEvENKUlvE1_clEvEUlS7_S7_E_S7_EEDaPvRmT3_T4_T5_mT6_P12ihipStream_tbENKUlT_T0_E_clISt17integral_constantIbLb1EESZ_EEDaSU_SV_EUlSU_E_NS1_11comp_targetILNS1_3genE5ELNS1_11target_archE942ELNS1_3gpuE9ELNS1_3repE0EEENS1_30default_config_static_selectorELNS0_4arch9wavefront6targetE0EEEvT1_
	.p2align	8
	.type	_ZN7rocprim17ROCPRIM_400000_NS6detail17trampoline_kernelINS0_14default_configENS1_20scan_config_selectorIN3c107complexIdEEEEZZNS1_9scan_implILNS1_25lookback_scan_determinismE0ELb0ELb0ES3_PKS7_PS7_S7_ZZZN2at6native31launch_logcumsumexp_cuda_kernelERKNSE_10TensorBaseESI_lENKUlvE_clEvENKUlvE1_clEvEUlS7_S7_E_S7_EEDaPvRmT3_T4_T5_mT6_P12ihipStream_tbENKUlT_T0_E_clISt17integral_constantIbLb1EESZ_EEDaSU_SV_EUlSU_E_NS1_11comp_targetILNS1_3genE5ELNS1_11target_archE942ELNS1_3gpuE9ELNS1_3repE0EEENS1_30default_config_static_selectorELNS0_4arch9wavefront6targetE0EEEvT1_,@function
_ZN7rocprim17ROCPRIM_400000_NS6detail17trampoline_kernelINS0_14default_configENS1_20scan_config_selectorIN3c107complexIdEEEEZZNS1_9scan_implILNS1_25lookback_scan_determinismE0ELb0ELb0ES3_PKS7_PS7_S7_ZZZN2at6native31launch_logcumsumexp_cuda_kernelERKNSE_10TensorBaseESI_lENKUlvE_clEvENKUlvE1_clEvEUlS7_S7_E_S7_EEDaPvRmT3_T4_T5_mT6_P12ihipStream_tbENKUlT_T0_E_clISt17integral_constantIbLb1EESZ_EEDaSU_SV_EUlSU_E_NS1_11comp_targetILNS1_3genE5ELNS1_11target_archE942ELNS1_3gpuE9ELNS1_3repE0EEENS1_30default_config_static_selectorELNS0_4arch9wavefront6targetE0EEEvT1_: ; @_ZN7rocprim17ROCPRIM_400000_NS6detail17trampoline_kernelINS0_14default_configENS1_20scan_config_selectorIN3c107complexIdEEEEZZNS1_9scan_implILNS1_25lookback_scan_determinismE0ELb0ELb0ES3_PKS7_PS7_S7_ZZZN2at6native31launch_logcumsumexp_cuda_kernelERKNSE_10TensorBaseESI_lENKUlvE_clEvENKUlvE1_clEvEUlS7_S7_E_S7_EEDaPvRmT3_T4_T5_mT6_P12ihipStream_tbENKUlT_T0_E_clISt17integral_constantIbLb1EESZ_EEDaSU_SV_EUlSU_E_NS1_11comp_targetILNS1_3genE5ELNS1_11target_archE942ELNS1_3gpuE9ELNS1_3repE0EEENS1_30default_config_static_selectorELNS0_4arch9wavefront6targetE0EEEvT1_
; %bb.0:
	.section	.rodata,"a",@progbits
	.p2align	6, 0x0
	.amdhsa_kernel _ZN7rocprim17ROCPRIM_400000_NS6detail17trampoline_kernelINS0_14default_configENS1_20scan_config_selectorIN3c107complexIdEEEEZZNS1_9scan_implILNS1_25lookback_scan_determinismE0ELb0ELb0ES3_PKS7_PS7_S7_ZZZN2at6native31launch_logcumsumexp_cuda_kernelERKNSE_10TensorBaseESI_lENKUlvE_clEvENKUlvE1_clEvEUlS7_S7_E_S7_EEDaPvRmT3_T4_T5_mT6_P12ihipStream_tbENKUlT_T0_E_clISt17integral_constantIbLb1EESZ_EEDaSU_SV_EUlSU_E_NS1_11comp_targetILNS1_3genE5ELNS1_11target_archE942ELNS1_3gpuE9ELNS1_3repE0EEENS1_30default_config_static_selectorELNS0_4arch9wavefront6targetE0EEEvT1_
		.amdhsa_group_segment_fixed_size 0
		.amdhsa_private_segment_fixed_size 0
		.amdhsa_kernarg_size 128
		.amdhsa_user_sgpr_count 2
		.amdhsa_user_sgpr_dispatch_ptr 0
		.amdhsa_user_sgpr_queue_ptr 0
		.amdhsa_user_sgpr_kernarg_segment_ptr 1
		.amdhsa_user_sgpr_dispatch_id 0
		.amdhsa_user_sgpr_private_segment_size 0
		.amdhsa_wavefront_size32 1
		.amdhsa_uses_dynamic_stack 0
		.amdhsa_enable_private_segment 0
		.amdhsa_system_sgpr_workgroup_id_x 1
		.amdhsa_system_sgpr_workgroup_id_y 0
		.amdhsa_system_sgpr_workgroup_id_z 0
		.amdhsa_system_sgpr_workgroup_info 0
		.amdhsa_system_vgpr_workitem_id 0
		.amdhsa_next_free_vgpr 1
		.amdhsa_next_free_sgpr 1
		.amdhsa_reserve_vcc 0
		.amdhsa_float_round_mode_32 0
		.amdhsa_float_round_mode_16_64 0
		.amdhsa_float_denorm_mode_32 3
		.amdhsa_float_denorm_mode_16_64 3
		.amdhsa_fp16_overflow 0
		.amdhsa_workgroup_processor_mode 1
		.amdhsa_memory_ordered 1
		.amdhsa_forward_progress 1
		.amdhsa_inst_pref_size 0
		.amdhsa_round_robin_scheduling 0
		.amdhsa_exception_fp_ieee_invalid_op 0
		.amdhsa_exception_fp_denorm_src 0
		.amdhsa_exception_fp_ieee_div_zero 0
		.amdhsa_exception_fp_ieee_overflow 0
		.amdhsa_exception_fp_ieee_underflow 0
		.amdhsa_exception_fp_ieee_inexact 0
		.amdhsa_exception_int_div_zero 0
	.end_amdhsa_kernel
	.section	.text._ZN7rocprim17ROCPRIM_400000_NS6detail17trampoline_kernelINS0_14default_configENS1_20scan_config_selectorIN3c107complexIdEEEEZZNS1_9scan_implILNS1_25lookback_scan_determinismE0ELb0ELb0ES3_PKS7_PS7_S7_ZZZN2at6native31launch_logcumsumexp_cuda_kernelERKNSE_10TensorBaseESI_lENKUlvE_clEvENKUlvE1_clEvEUlS7_S7_E_S7_EEDaPvRmT3_T4_T5_mT6_P12ihipStream_tbENKUlT_T0_E_clISt17integral_constantIbLb1EESZ_EEDaSU_SV_EUlSU_E_NS1_11comp_targetILNS1_3genE5ELNS1_11target_archE942ELNS1_3gpuE9ELNS1_3repE0EEENS1_30default_config_static_selectorELNS0_4arch9wavefront6targetE0EEEvT1_,"axG",@progbits,_ZN7rocprim17ROCPRIM_400000_NS6detail17trampoline_kernelINS0_14default_configENS1_20scan_config_selectorIN3c107complexIdEEEEZZNS1_9scan_implILNS1_25lookback_scan_determinismE0ELb0ELb0ES3_PKS7_PS7_S7_ZZZN2at6native31launch_logcumsumexp_cuda_kernelERKNSE_10TensorBaseESI_lENKUlvE_clEvENKUlvE1_clEvEUlS7_S7_E_S7_EEDaPvRmT3_T4_T5_mT6_P12ihipStream_tbENKUlT_T0_E_clISt17integral_constantIbLb1EESZ_EEDaSU_SV_EUlSU_E_NS1_11comp_targetILNS1_3genE5ELNS1_11target_archE942ELNS1_3gpuE9ELNS1_3repE0EEENS1_30default_config_static_selectorELNS0_4arch9wavefront6targetE0EEEvT1_,comdat
.Lfunc_end204:
	.size	_ZN7rocprim17ROCPRIM_400000_NS6detail17trampoline_kernelINS0_14default_configENS1_20scan_config_selectorIN3c107complexIdEEEEZZNS1_9scan_implILNS1_25lookback_scan_determinismE0ELb0ELb0ES3_PKS7_PS7_S7_ZZZN2at6native31launch_logcumsumexp_cuda_kernelERKNSE_10TensorBaseESI_lENKUlvE_clEvENKUlvE1_clEvEUlS7_S7_E_S7_EEDaPvRmT3_T4_T5_mT6_P12ihipStream_tbENKUlT_T0_E_clISt17integral_constantIbLb1EESZ_EEDaSU_SV_EUlSU_E_NS1_11comp_targetILNS1_3genE5ELNS1_11target_archE942ELNS1_3gpuE9ELNS1_3repE0EEENS1_30default_config_static_selectorELNS0_4arch9wavefront6targetE0EEEvT1_, .Lfunc_end204-_ZN7rocprim17ROCPRIM_400000_NS6detail17trampoline_kernelINS0_14default_configENS1_20scan_config_selectorIN3c107complexIdEEEEZZNS1_9scan_implILNS1_25lookback_scan_determinismE0ELb0ELb0ES3_PKS7_PS7_S7_ZZZN2at6native31launch_logcumsumexp_cuda_kernelERKNSE_10TensorBaseESI_lENKUlvE_clEvENKUlvE1_clEvEUlS7_S7_E_S7_EEDaPvRmT3_T4_T5_mT6_P12ihipStream_tbENKUlT_T0_E_clISt17integral_constantIbLb1EESZ_EEDaSU_SV_EUlSU_E_NS1_11comp_targetILNS1_3genE5ELNS1_11target_archE942ELNS1_3gpuE9ELNS1_3repE0EEENS1_30default_config_static_selectorELNS0_4arch9wavefront6targetE0EEEvT1_
                                        ; -- End function
	.set _ZN7rocprim17ROCPRIM_400000_NS6detail17trampoline_kernelINS0_14default_configENS1_20scan_config_selectorIN3c107complexIdEEEEZZNS1_9scan_implILNS1_25lookback_scan_determinismE0ELb0ELb0ES3_PKS7_PS7_S7_ZZZN2at6native31launch_logcumsumexp_cuda_kernelERKNSE_10TensorBaseESI_lENKUlvE_clEvENKUlvE1_clEvEUlS7_S7_E_S7_EEDaPvRmT3_T4_T5_mT6_P12ihipStream_tbENKUlT_T0_E_clISt17integral_constantIbLb1EESZ_EEDaSU_SV_EUlSU_E_NS1_11comp_targetILNS1_3genE5ELNS1_11target_archE942ELNS1_3gpuE9ELNS1_3repE0EEENS1_30default_config_static_selectorELNS0_4arch9wavefront6targetE0EEEvT1_.num_vgpr, 0
	.set _ZN7rocprim17ROCPRIM_400000_NS6detail17trampoline_kernelINS0_14default_configENS1_20scan_config_selectorIN3c107complexIdEEEEZZNS1_9scan_implILNS1_25lookback_scan_determinismE0ELb0ELb0ES3_PKS7_PS7_S7_ZZZN2at6native31launch_logcumsumexp_cuda_kernelERKNSE_10TensorBaseESI_lENKUlvE_clEvENKUlvE1_clEvEUlS7_S7_E_S7_EEDaPvRmT3_T4_T5_mT6_P12ihipStream_tbENKUlT_T0_E_clISt17integral_constantIbLb1EESZ_EEDaSU_SV_EUlSU_E_NS1_11comp_targetILNS1_3genE5ELNS1_11target_archE942ELNS1_3gpuE9ELNS1_3repE0EEENS1_30default_config_static_selectorELNS0_4arch9wavefront6targetE0EEEvT1_.num_agpr, 0
	.set _ZN7rocprim17ROCPRIM_400000_NS6detail17trampoline_kernelINS0_14default_configENS1_20scan_config_selectorIN3c107complexIdEEEEZZNS1_9scan_implILNS1_25lookback_scan_determinismE0ELb0ELb0ES3_PKS7_PS7_S7_ZZZN2at6native31launch_logcumsumexp_cuda_kernelERKNSE_10TensorBaseESI_lENKUlvE_clEvENKUlvE1_clEvEUlS7_S7_E_S7_EEDaPvRmT3_T4_T5_mT6_P12ihipStream_tbENKUlT_T0_E_clISt17integral_constantIbLb1EESZ_EEDaSU_SV_EUlSU_E_NS1_11comp_targetILNS1_3genE5ELNS1_11target_archE942ELNS1_3gpuE9ELNS1_3repE0EEENS1_30default_config_static_selectorELNS0_4arch9wavefront6targetE0EEEvT1_.numbered_sgpr, 0
	.set _ZN7rocprim17ROCPRIM_400000_NS6detail17trampoline_kernelINS0_14default_configENS1_20scan_config_selectorIN3c107complexIdEEEEZZNS1_9scan_implILNS1_25lookback_scan_determinismE0ELb0ELb0ES3_PKS7_PS7_S7_ZZZN2at6native31launch_logcumsumexp_cuda_kernelERKNSE_10TensorBaseESI_lENKUlvE_clEvENKUlvE1_clEvEUlS7_S7_E_S7_EEDaPvRmT3_T4_T5_mT6_P12ihipStream_tbENKUlT_T0_E_clISt17integral_constantIbLb1EESZ_EEDaSU_SV_EUlSU_E_NS1_11comp_targetILNS1_3genE5ELNS1_11target_archE942ELNS1_3gpuE9ELNS1_3repE0EEENS1_30default_config_static_selectorELNS0_4arch9wavefront6targetE0EEEvT1_.num_named_barrier, 0
	.set _ZN7rocprim17ROCPRIM_400000_NS6detail17trampoline_kernelINS0_14default_configENS1_20scan_config_selectorIN3c107complexIdEEEEZZNS1_9scan_implILNS1_25lookback_scan_determinismE0ELb0ELb0ES3_PKS7_PS7_S7_ZZZN2at6native31launch_logcumsumexp_cuda_kernelERKNSE_10TensorBaseESI_lENKUlvE_clEvENKUlvE1_clEvEUlS7_S7_E_S7_EEDaPvRmT3_T4_T5_mT6_P12ihipStream_tbENKUlT_T0_E_clISt17integral_constantIbLb1EESZ_EEDaSU_SV_EUlSU_E_NS1_11comp_targetILNS1_3genE5ELNS1_11target_archE942ELNS1_3gpuE9ELNS1_3repE0EEENS1_30default_config_static_selectorELNS0_4arch9wavefront6targetE0EEEvT1_.private_seg_size, 0
	.set _ZN7rocprim17ROCPRIM_400000_NS6detail17trampoline_kernelINS0_14default_configENS1_20scan_config_selectorIN3c107complexIdEEEEZZNS1_9scan_implILNS1_25lookback_scan_determinismE0ELb0ELb0ES3_PKS7_PS7_S7_ZZZN2at6native31launch_logcumsumexp_cuda_kernelERKNSE_10TensorBaseESI_lENKUlvE_clEvENKUlvE1_clEvEUlS7_S7_E_S7_EEDaPvRmT3_T4_T5_mT6_P12ihipStream_tbENKUlT_T0_E_clISt17integral_constantIbLb1EESZ_EEDaSU_SV_EUlSU_E_NS1_11comp_targetILNS1_3genE5ELNS1_11target_archE942ELNS1_3gpuE9ELNS1_3repE0EEENS1_30default_config_static_selectorELNS0_4arch9wavefront6targetE0EEEvT1_.uses_vcc, 0
	.set _ZN7rocprim17ROCPRIM_400000_NS6detail17trampoline_kernelINS0_14default_configENS1_20scan_config_selectorIN3c107complexIdEEEEZZNS1_9scan_implILNS1_25lookback_scan_determinismE0ELb0ELb0ES3_PKS7_PS7_S7_ZZZN2at6native31launch_logcumsumexp_cuda_kernelERKNSE_10TensorBaseESI_lENKUlvE_clEvENKUlvE1_clEvEUlS7_S7_E_S7_EEDaPvRmT3_T4_T5_mT6_P12ihipStream_tbENKUlT_T0_E_clISt17integral_constantIbLb1EESZ_EEDaSU_SV_EUlSU_E_NS1_11comp_targetILNS1_3genE5ELNS1_11target_archE942ELNS1_3gpuE9ELNS1_3repE0EEENS1_30default_config_static_selectorELNS0_4arch9wavefront6targetE0EEEvT1_.uses_flat_scratch, 0
	.set _ZN7rocprim17ROCPRIM_400000_NS6detail17trampoline_kernelINS0_14default_configENS1_20scan_config_selectorIN3c107complexIdEEEEZZNS1_9scan_implILNS1_25lookback_scan_determinismE0ELb0ELb0ES3_PKS7_PS7_S7_ZZZN2at6native31launch_logcumsumexp_cuda_kernelERKNSE_10TensorBaseESI_lENKUlvE_clEvENKUlvE1_clEvEUlS7_S7_E_S7_EEDaPvRmT3_T4_T5_mT6_P12ihipStream_tbENKUlT_T0_E_clISt17integral_constantIbLb1EESZ_EEDaSU_SV_EUlSU_E_NS1_11comp_targetILNS1_3genE5ELNS1_11target_archE942ELNS1_3gpuE9ELNS1_3repE0EEENS1_30default_config_static_selectorELNS0_4arch9wavefront6targetE0EEEvT1_.has_dyn_sized_stack, 0
	.set _ZN7rocprim17ROCPRIM_400000_NS6detail17trampoline_kernelINS0_14default_configENS1_20scan_config_selectorIN3c107complexIdEEEEZZNS1_9scan_implILNS1_25lookback_scan_determinismE0ELb0ELb0ES3_PKS7_PS7_S7_ZZZN2at6native31launch_logcumsumexp_cuda_kernelERKNSE_10TensorBaseESI_lENKUlvE_clEvENKUlvE1_clEvEUlS7_S7_E_S7_EEDaPvRmT3_T4_T5_mT6_P12ihipStream_tbENKUlT_T0_E_clISt17integral_constantIbLb1EESZ_EEDaSU_SV_EUlSU_E_NS1_11comp_targetILNS1_3genE5ELNS1_11target_archE942ELNS1_3gpuE9ELNS1_3repE0EEENS1_30default_config_static_selectorELNS0_4arch9wavefront6targetE0EEEvT1_.has_recursion, 0
	.set _ZN7rocprim17ROCPRIM_400000_NS6detail17trampoline_kernelINS0_14default_configENS1_20scan_config_selectorIN3c107complexIdEEEEZZNS1_9scan_implILNS1_25lookback_scan_determinismE0ELb0ELb0ES3_PKS7_PS7_S7_ZZZN2at6native31launch_logcumsumexp_cuda_kernelERKNSE_10TensorBaseESI_lENKUlvE_clEvENKUlvE1_clEvEUlS7_S7_E_S7_EEDaPvRmT3_T4_T5_mT6_P12ihipStream_tbENKUlT_T0_E_clISt17integral_constantIbLb1EESZ_EEDaSU_SV_EUlSU_E_NS1_11comp_targetILNS1_3genE5ELNS1_11target_archE942ELNS1_3gpuE9ELNS1_3repE0EEENS1_30default_config_static_selectorELNS0_4arch9wavefront6targetE0EEEvT1_.has_indirect_call, 0
	.section	.AMDGPU.csdata,"",@progbits
; Kernel info:
; codeLenInByte = 0
; TotalNumSgprs: 0
; NumVgprs: 0
; ScratchSize: 0
; MemoryBound: 0
; FloatMode: 240
; IeeeMode: 1
; LDSByteSize: 0 bytes/workgroup (compile time only)
; SGPRBlocks: 0
; VGPRBlocks: 0
; NumSGPRsForWavesPerEU: 1
; NumVGPRsForWavesPerEU: 1
; Occupancy: 16
; WaveLimiterHint : 0
; COMPUTE_PGM_RSRC2:SCRATCH_EN: 0
; COMPUTE_PGM_RSRC2:USER_SGPR: 2
; COMPUTE_PGM_RSRC2:TRAP_HANDLER: 0
; COMPUTE_PGM_RSRC2:TGID_X_EN: 1
; COMPUTE_PGM_RSRC2:TGID_Y_EN: 0
; COMPUTE_PGM_RSRC2:TGID_Z_EN: 0
; COMPUTE_PGM_RSRC2:TIDIG_COMP_CNT: 0
	.section	.text._ZN7rocprim17ROCPRIM_400000_NS6detail17trampoline_kernelINS0_14default_configENS1_20scan_config_selectorIN3c107complexIdEEEEZZNS1_9scan_implILNS1_25lookback_scan_determinismE0ELb0ELb0ES3_PKS7_PS7_S7_ZZZN2at6native31launch_logcumsumexp_cuda_kernelERKNSE_10TensorBaseESI_lENKUlvE_clEvENKUlvE1_clEvEUlS7_S7_E_S7_EEDaPvRmT3_T4_T5_mT6_P12ihipStream_tbENKUlT_T0_E_clISt17integral_constantIbLb1EESZ_EEDaSU_SV_EUlSU_E_NS1_11comp_targetILNS1_3genE4ELNS1_11target_archE910ELNS1_3gpuE8ELNS1_3repE0EEENS1_30default_config_static_selectorELNS0_4arch9wavefront6targetE0EEEvT1_,"axG",@progbits,_ZN7rocprim17ROCPRIM_400000_NS6detail17trampoline_kernelINS0_14default_configENS1_20scan_config_selectorIN3c107complexIdEEEEZZNS1_9scan_implILNS1_25lookback_scan_determinismE0ELb0ELb0ES3_PKS7_PS7_S7_ZZZN2at6native31launch_logcumsumexp_cuda_kernelERKNSE_10TensorBaseESI_lENKUlvE_clEvENKUlvE1_clEvEUlS7_S7_E_S7_EEDaPvRmT3_T4_T5_mT6_P12ihipStream_tbENKUlT_T0_E_clISt17integral_constantIbLb1EESZ_EEDaSU_SV_EUlSU_E_NS1_11comp_targetILNS1_3genE4ELNS1_11target_archE910ELNS1_3gpuE8ELNS1_3repE0EEENS1_30default_config_static_selectorELNS0_4arch9wavefront6targetE0EEEvT1_,comdat
	.globl	_ZN7rocprim17ROCPRIM_400000_NS6detail17trampoline_kernelINS0_14default_configENS1_20scan_config_selectorIN3c107complexIdEEEEZZNS1_9scan_implILNS1_25lookback_scan_determinismE0ELb0ELb0ES3_PKS7_PS7_S7_ZZZN2at6native31launch_logcumsumexp_cuda_kernelERKNSE_10TensorBaseESI_lENKUlvE_clEvENKUlvE1_clEvEUlS7_S7_E_S7_EEDaPvRmT3_T4_T5_mT6_P12ihipStream_tbENKUlT_T0_E_clISt17integral_constantIbLb1EESZ_EEDaSU_SV_EUlSU_E_NS1_11comp_targetILNS1_3genE4ELNS1_11target_archE910ELNS1_3gpuE8ELNS1_3repE0EEENS1_30default_config_static_selectorELNS0_4arch9wavefront6targetE0EEEvT1_ ; -- Begin function _ZN7rocprim17ROCPRIM_400000_NS6detail17trampoline_kernelINS0_14default_configENS1_20scan_config_selectorIN3c107complexIdEEEEZZNS1_9scan_implILNS1_25lookback_scan_determinismE0ELb0ELb0ES3_PKS7_PS7_S7_ZZZN2at6native31launch_logcumsumexp_cuda_kernelERKNSE_10TensorBaseESI_lENKUlvE_clEvENKUlvE1_clEvEUlS7_S7_E_S7_EEDaPvRmT3_T4_T5_mT6_P12ihipStream_tbENKUlT_T0_E_clISt17integral_constantIbLb1EESZ_EEDaSU_SV_EUlSU_E_NS1_11comp_targetILNS1_3genE4ELNS1_11target_archE910ELNS1_3gpuE8ELNS1_3repE0EEENS1_30default_config_static_selectorELNS0_4arch9wavefront6targetE0EEEvT1_
	.p2align	8
	.type	_ZN7rocprim17ROCPRIM_400000_NS6detail17trampoline_kernelINS0_14default_configENS1_20scan_config_selectorIN3c107complexIdEEEEZZNS1_9scan_implILNS1_25lookback_scan_determinismE0ELb0ELb0ES3_PKS7_PS7_S7_ZZZN2at6native31launch_logcumsumexp_cuda_kernelERKNSE_10TensorBaseESI_lENKUlvE_clEvENKUlvE1_clEvEUlS7_S7_E_S7_EEDaPvRmT3_T4_T5_mT6_P12ihipStream_tbENKUlT_T0_E_clISt17integral_constantIbLb1EESZ_EEDaSU_SV_EUlSU_E_NS1_11comp_targetILNS1_3genE4ELNS1_11target_archE910ELNS1_3gpuE8ELNS1_3repE0EEENS1_30default_config_static_selectorELNS0_4arch9wavefront6targetE0EEEvT1_,@function
_ZN7rocprim17ROCPRIM_400000_NS6detail17trampoline_kernelINS0_14default_configENS1_20scan_config_selectorIN3c107complexIdEEEEZZNS1_9scan_implILNS1_25lookback_scan_determinismE0ELb0ELb0ES3_PKS7_PS7_S7_ZZZN2at6native31launch_logcumsumexp_cuda_kernelERKNSE_10TensorBaseESI_lENKUlvE_clEvENKUlvE1_clEvEUlS7_S7_E_S7_EEDaPvRmT3_T4_T5_mT6_P12ihipStream_tbENKUlT_T0_E_clISt17integral_constantIbLb1EESZ_EEDaSU_SV_EUlSU_E_NS1_11comp_targetILNS1_3genE4ELNS1_11target_archE910ELNS1_3gpuE8ELNS1_3repE0EEENS1_30default_config_static_selectorELNS0_4arch9wavefront6targetE0EEEvT1_: ; @_ZN7rocprim17ROCPRIM_400000_NS6detail17trampoline_kernelINS0_14default_configENS1_20scan_config_selectorIN3c107complexIdEEEEZZNS1_9scan_implILNS1_25lookback_scan_determinismE0ELb0ELb0ES3_PKS7_PS7_S7_ZZZN2at6native31launch_logcumsumexp_cuda_kernelERKNSE_10TensorBaseESI_lENKUlvE_clEvENKUlvE1_clEvEUlS7_S7_E_S7_EEDaPvRmT3_T4_T5_mT6_P12ihipStream_tbENKUlT_T0_E_clISt17integral_constantIbLb1EESZ_EEDaSU_SV_EUlSU_E_NS1_11comp_targetILNS1_3genE4ELNS1_11target_archE910ELNS1_3gpuE8ELNS1_3repE0EEENS1_30default_config_static_selectorELNS0_4arch9wavefront6targetE0EEEvT1_
; %bb.0:
	.section	.rodata,"a",@progbits
	.p2align	6, 0x0
	.amdhsa_kernel _ZN7rocprim17ROCPRIM_400000_NS6detail17trampoline_kernelINS0_14default_configENS1_20scan_config_selectorIN3c107complexIdEEEEZZNS1_9scan_implILNS1_25lookback_scan_determinismE0ELb0ELb0ES3_PKS7_PS7_S7_ZZZN2at6native31launch_logcumsumexp_cuda_kernelERKNSE_10TensorBaseESI_lENKUlvE_clEvENKUlvE1_clEvEUlS7_S7_E_S7_EEDaPvRmT3_T4_T5_mT6_P12ihipStream_tbENKUlT_T0_E_clISt17integral_constantIbLb1EESZ_EEDaSU_SV_EUlSU_E_NS1_11comp_targetILNS1_3genE4ELNS1_11target_archE910ELNS1_3gpuE8ELNS1_3repE0EEENS1_30default_config_static_selectorELNS0_4arch9wavefront6targetE0EEEvT1_
		.amdhsa_group_segment_fixed_size 0
		.amdhsa_private_segment_fixed_size 0
		.amdhsa_kernarg_size 128
		.amdhsa_user_sgpr_count 2
		.amdhsa_user_sgpr_dispatch_ptr 0
		.amdhsa_user_sgpr_queue_ptr 0
		.amdhsa_user_sgpr_kernarg_segment_ptr 1
		.amdhsa_user_sgpr_dispatch_id 0
		.amdhsa_user_sgpr_private_segment_size 0
		.amdhsa_wavefront_size32 1
		.amdhsa_uses_dynamic_stack 0
		.amdhsa_enable_private_segment 0
		.amdhsa_system_sgpr_workgroup_id_x 1
		.amdhsa_system_sgpr_workgroup_id_y 0
		.amdhsa_system_sgpr_workgroup_id_z 0
		.amdhsa_system_sgpr_workgroup_info 0
		.amdhsa_system_vgpr_workitem_id 0
		.amdhsa_next_free_vgpr 1
		.amdhsa_next_free_sgpr 1
		.amdhsa_reserve_vcc 0
		.amdhsa_float_round_mode_32 0
		.amdhsa_float_round_mode_16_64 0
		.amdhsa_float_denorm_mode_32 3
		.amdhsa_float_denorm_mode_16_64 3
		.amdhsa_fp16_overflow 0
		.amdhsa_workgroup_processor_mode 1
		.amdhsa_memory_ordered 1
		.amdhsa_forward_progress 1
		.amdhsa_inst_pref_size 0
		.amdhsa_round_robin_scheduling 0
		.amdhsa_exception_fp_ieee_invalid_op 0
		.amdhsa_exception_fp_denorm_src 0
		.amdhsa_exception_fp_ieee_div_zero 0
		.amdhsa_exception_fp_ieee_overflow 0
		.amdhsa_exception_fp_ieee_underflow 0
		.amdhsa_exception_fp_ieee_inexact 0
		.amdhsa_exception_int_div_zero 0
	.end_amdhsa_kernel
	.section	.text._ZN7rocprim17ROCPRIM_400000_NS6detail17trampoline_kernelINS0_14default_configENS1_20scan_config_selectorIN3c107complexIdEEEEZZNS1_9scan_implILNS1_25lookback_scan_determinismE0ELb0ELb0ES3_PKS7_PS7_S7_ZZZN2at6native31launch_logcumsumexp_cuda_kernelERKNSE_10TensorBaseESI_lENKUlvE_clEvENKUlvE1_clEvEUlS7_S7_E_S7_EEDaPvRmT3_T4_T5_mT6_P12ihipStream_tbENKUlT_T0_E_clISt17integral_constantIbLb1EESZ_EEDaSU_SV_EUlSU_E_NS1_11comp_targetILNS1_3genE4ELNS1_11target_archE910ELNS1_3gpuE8ELNS1_3repE0EEENS1_30default_config_static_selectorELNS0_4arch9wavefront6targetE0EEEvT1_,"axG",@progbits,_ZN7rocprim17ROCPRIM_400000_NS6detail17trampoline_kernelINS0_14default_configENS1_20scan_config_selectorIN3c107complexIdEEEEZZNS1_9scan_implILNS1_25lookback_scan_determinismE0ELb0ELb0ES3_PKS7_PS7_S7_ZZZN2at6native31launch_logcumsumexp_cuda_kernelERKNSE_10TensorBaseESI_lENKUlvE_clEvENKUlvE1_clEvEUlS7_S7_E_S7_EEDaPvRmT3_T4_T5_mT6_P12ihipStream_tbENKUlT_T0_E_clISt17integral_constantIbLb1EESZ_EEDaSU_SV_EUlSU_E_NS1_11comp_targetILNS1_3genE4ELNS1_11target_archE910ELNS1_3gpuE8ELNS1_3repE0EEENS1_30default_config_static_selectorELNS0_4arch9wavefront6targetE0EEEvT1_,comdat
.Lfunc_end205:
	.size	_ZN7rocprim17ROCPRIM_400000_NS6detail17trampoline_kernelINS0_14default_configENS1_20scan_config_selectorIN3c107complexIdEEEEZZNS1_9scan_implILNS1_25lookback_scan_determinismE0ELb0ELb0ES3_PKS7_PS7_S7_ZZZN2at6native31launch_logcumsumexp_cuda_kernelERKNSE_10TensorBaseESI_lENKUlvE_clEvENKUlvE1_clEvEUlS7_S7_E_S7_EEDaPvRmT3_T4_T5_mT6_P12ihipStream_tbENKUlT_T0_E_clISt17integral_constantIbLb1EESZ_EEDaSU_SV_EUlSU_E_NS1_11comp_targetILNS1_3genE4ELNS1_11target_archE910ELNS1_3gpuE8ELNS1_3repE0EEENS1_30default_config_static_selectorELNS0_4arch9wavefront6targetE0EEEvT1_, .Lfunc_end205-_ZN7rocprim17ROCPRIM_400000_NS6detail17trampoline_kernelINS0_14default_configENS1_20scan_config_selectorIN3c107complexIdEEEEZZNS1_9scan_implILNS1_25lookback_scan_determinismE0ELb0ELb0ES3_PKS7_PS7_S7_ZZZN2at6native31launch_logcumsumexp_cuda_kernelERKNSE_10TensorBaseESI_lENKUlvE_clEvENKUlvE1_clEvEUlS7_S7_E_S7_EEDaPvRmT3_T4_T5_mT6_P12ihipStream_tbENKUlT_T0_E_clISt17integral_constantIbLb1EESZ_EEDaSU_SV_EUlSU_E_NS1_11comp_targetILNS1_3genE4ELNS1_11target_archE910ELNS1_3gpuE8ELNS1_3repE0EEENS1_30default_config_static_selectorELNS0_4arch9wavefront6targetE0EEEvT1_
                                        ; -- End function
	.set _ZN7rocprim17ROCPRIM_400000_NS6detail17trampoline_kernelINS0_14default_configENS1_20scan_config_selectorIN3c107complexIdEEEEZZNS1_9scan_implILNS1_25lookback_scan_determinismE0ELb0ELb0ES3_PKS7_PS7_S7_ZZZN2at6native31launch_logcumsumexp_cuda_kernelERKNSE_10TensorBaseESI_lENKUlvE_clEvENKUlvE1_clEvEUlS7_S7_E_S7_EEDaPvRmT3_T4_T5_mT6_P12ihipStream_tbENKUlT_T0_E_clISt17integral_constantIbLb1EESZ_EEDaSU_SV_EUlSU_E_NS1_11comp_targetILNS1_3genE4ELNS1_11target_archE910ELNS1_3gpuE8ELNS1_3repE0EEENS1_30default_config_static_selectorELNS0_4arch9wavefront6targetE0EEEvT1_.num_vgpr, 0
	.set _ZN7rocprim17ROCPRIM_400000_NS6detail17trampoline_kernelINS0_14default_configENS1_20scan_config_selectorIN3c107complexIdEEEEZZNS1_9scan_implILNS1_25lookback_scan_determinismE0ELb0ELb0ES3_PKS7_PS7_S7_ZZZN2at6native31launch_logcumsumexp_cuda_kernelERKNSE_10TensorBaseESI_lENKUlvE_clEvENKUlvE1_clEvEUlS7_S7_E_S7_EEDaPvRmT3_T4_T5_mT6_P12ihipStream_tbENKUlT_T0_E_clISt17integral_constantIbLb1EESZ_EEDaSU_SV_EUlSU_E_NS1_11comp_targetILNS1_3genE4ELNS1_11target_archE910ELNS1_3gpuE8ELNS1_3repE0EEENS1_30default_config_static_selectorELNS0_4arch9wavefront6targetE0EEEvT1_.num_agpr, 0
	.set _ZN7rocprim17ROCPRIM_400000_NS6detail17trampoline_kernelINS0_14default_configENS1_20scan_config_selectorIN3c107complexIdEEEEZZNS1_9scan_implILNS1_25lookback_scan_determinismE0ELb0ELb0ES3_PKS7_PS7_S7_ZZZN2at6native31launch_logcumsumexp_cuda_kernelERKNSE_10TensorBaseESI_lENKUlvE_clEvENKUlvE1_clEvEUlS7_S7_E_S7_EEDaPvRmT3_T4_T5_mT6_P12ihipStream_tbENKUlT_T0_E_clISt17integral_constantIbLb1EESZ_EEDaSU_SV_EUlSU_E_NS1_11comp_targetILNS1_3genE4ELNS1_11target_archE910ELNS1_3gpuE8ELNS1_3repE0EEENS1_30default_config_static_selectorELNS0_4arch9wavefront6targetE0EEEvT1_.numbered_sgpr, 0
	.set _ZN7rocprim17ROCPRIM_400000_NS6detail17trampoline_kernelINS0_14default_configENS1_20scan_config_selectorIN3c107complexIdEEEEZZNS1_9scan_implILNS1_25lookback_scan_determinismE0ELb0ELb0ES3_PKS7_PS7_S7_ZZZN2at6native31launch_logcumsumexp_cuda_kernelERKNSE_10TensorBaseESI_lENKUlvE_clEvENKUlvE1_clEvEUlS7_S7_E_S7_EEDaPvRmT3_T4_T5_mT6_P12ihipStream_tbENKUlT_T0_E_clISt17integral_constantIbLb1EESZ_EEDaSU_SV_EUlSU_E_NS1_11comp_targetILNS1_3genE4ELNS1_11target_archE910ELNS1_3gpuE8ELNS1_3repE0EEENS1_30default_config_static_selectorELNS0_4arch9wavefront6targetE0EEEvT1_.num_named_barrier, 0
	.set _ZN7rocprim17ROCPRIM_400000_NS6detail17trampoline_kernelINS0_14default_configENS1_20scan_config_selectorIN3c107complexIdEEEEZZNS1_9scan_implILNS1_25lookback_scan_determinismE0ELb0ELb0ES3_PKS7_PS7_S7_ZZZN2at6native31launch_logcumsumexp_cuda_kernelERKNSE_10TensorBaseESI_lENKUlvE_clEvENKUlvE1_clEvEUlS7_S7_E_S7_EEDaPvRmT3_T4_T5_mT6_P12ihipStream_tbENKUlT_T0_E_clISt17integral_constantIbLb1EESZ_EEDaSU_SV_EUlSU_E_NS1_11comp_targetILNS1_3genE4ELNS1_11target_archE910ELNS1_3gpuE8ELNS1_3repE0EEENS1_30default_config_static_selectorELNS0_4arch9wavefront6targetE0EEEvT1_.private_seg_size, 0
	.set _ZN7rocprim17ROCPRIM_400000_NS6detail17trampoline_kernelINS0_14default_configENS1_20scan_config_selectorIN3c107complexIdEEEEZZNS1_9scan_implILNS1_25lookback_scan_determinismE0ELb0ELb0ES3_PKS7_PS7_S7_ZZZN2at6native31launch_logcumsumexp_cuda_kernelERKNSE_10TensorBaseESI_lENKUlvE_clEvENKUlvE1_clEvEUlS7_S7_E_S7_EEDaPvRmT3_T4_T5_mT6_P12ihipStream_tbENKUlT_T0_E_clISt17integral_constantIbLb1EESZ_EEDaSU_SV_EUlSU_E_NS1_11comp_targetILNS1_3genE4ELNS1_11target_archE910ELNS1_3gpuE8ELNS1_3repE0EEENS1_30default_config_static_selectorELNS0_4arch9wavefront6targetE0EEEvT1_.uses_vcc, 0
	.set _ZN7rocprim17ROCPRIM_400000_NS6detail17trampoline_kernelINS0_14default_configENS1_20scan_config_selectorIN3c107complexIdEEEEZZNS1_9scan_implILNS1_25lookback_scan_determinismE0ELb0ELb0ES3_PKS7_PS7_S7_ZZZN2at6native31launch_logcumsumexp_cuda_kernelERKNSE_10TensorBaseESI_lENKUlvE_clEvENKUlvE1_clEvEUlS7_S7_E_S7_EEDaPvRmT3_T4_T5_mT6_P12ihipStream_tbENKUlT_T0_E_clISt17integral_constantIbLb1EESZ_EEDaSU_SV_EUlSU_E_NS1_11comp_targetILNS1_3genE4ELNS1_11target_archE910ELNS1_3gpuE8ELNS1_3repE0EEENS1_30default_config_static_selectorELNS0_4arch9wavefront6targetE0EEEvT1_.uses_flat_scratch, 0
	.set _ZN7rocprim17ROCPRIM_400000_NS6detail17trampoline_kernelINS0_14default_configENS1_20scan_config_selectorIN3c107complexIdEEEEZZNS1_9scan_implILNS1_25lookback_scan_determinismE0ELb0ELb0ES3_PKS7_PS7_S7_ZZZN2at6native31launch_logcumsumexp_cuda_kernelERKNSE_10TensorBaseESI_lENKUlvE_clEvENKUlvE1_clEvEUlS7_S7_E_S7_EEDaPvRmT3_T4_T5_mT6_P12ihipStream_tbENKUlT_T0_E_clISt17integral_constantIbLb1EESZ_EEDaSU_SV_EUlSU_E_NS1_11comp_targetILNS1_3genE4ELNS1_11target_archE910ELNS1_3gpuE8ELNS1_3repE0EEENS1_30default_config_static_selectorELNS0_4arch9wavefront6targetE0EEEvT1_.has_dyn_sized_stack, 0
	.set _ZN7rocprim17ROCPRIM_400000_NS6detail17trampoline_kernelINS0_14default_configENS1_20scan_config_selectorIN3c107complexIdEEEEZZNS1_9scan_implILNS1_25lookback_scan_determinismE0ELb0ELb0ES3_PKS7_PS7_S7_ZZZN2at6native31launch_logcumsumexp_cuda_kernelERKNSE_10TensorBaseESI_lENKUlvE_clEvENKUlvE1_clEvEUlS7_S7_E_S7_EEDaPvRmT3_T4_T5_mT6_P12ihipStream_tbENKUlT_T0_E_clISt17integral_constantIbLb1EESZ_EEDaSU_SV_EUlSU_E_NS1_11comp_targetILNS1_3genE4ELNS1_11target_archE910ELNS1_3gpuE8ELNS1_3repE0EEENS1_30default_config_static_selectorELNS0_4arch9wavefront6targetE0EEEvT1_.has_recursion, 0
	.set _ZN7rocprim17ROCPRIM_400000_NS6detail17trampoline_kernelINS0_14default_configENS1_20scan_config_selectorIN3c107complexIdEEEEZZNS1_9scan_implILNS1_25lookback_scan_determinismE0ELb0ELb0ES3_PKS7_PS7_S7_ZZZN2at6native31launch_logcumsumexp_cuda_kernelERKNSE_10TensorBaseESI_lENKUlvE_clEvENKUlvE1_clEvEUlS7_S7_E_S7_EEDaPvRmT3_T4_T5_mT6_P12ihipStream_tbENKUlT_T0_E_clISt17integral_constantIbLb1EESZ_EEDaSU_SV_EUlSU_E_NS1_11comp_targetILNS1_3genE4ELNS1_11target_archE910ELNS1_3gpuE8ELNS1_3repE0EEENS1_30default_config_static_selectorELNS0_4arch9wavefront6targetE0EEEvT1_.has_indirect_call, 0
	.section	.AMDGPU.csdata,"",@progbits
; Kernel info:
; codeLenInByte = 0
; TotalNumSgprs: 0
; NumVgprs: 0
; ScratchSize: 0
; MemoryBound: 0
; FloatMode: 240
; IeeeMode: 1
; LDSByteSize: 0 bytes/workgroup (compile time only)
; SGPRBlocks: 0
; VGPRBlocks: 0
; NumSGPRsForWavesPerEU: 1
; NumVGPRsForWavesPerEU: 1
; Occupancy: 16
; WaveLimiterHint : 0
; COMPUTE_PGM_RSRC2:SCRATCH_EN: 0
; COMPUTE_PGM_RSRC2:USER_SGPR: 2
; COMPUTE_PGM_RSRC2:TRAP_HANDLER: 0
; COMPUTE_PGM_RSRC2:TGID_X_EN: 1
; COMPUTE_PGM_RSRC2:TGID_Y_EN: 0
; COMPUTE_PGM_RSRC2:TGID_Z_EN: 0
; COMPUTE_PGM_RSRC2:TIDIG_COMP_CNT: 0
	.section	.text._ZN7rocprim17ROCPRIM_400000_NS6detail17trampoline_kernelINS0_14default_configENS1_20scan_config_selectorIN3c107complexIdEEEEZZNS1_9scan_implILNS1_25lookback_scan_determinismE0ELb0ELb0ES3_PKS7_PS7_S7_ZZZN2at6native31launch_logcumsumexp_cuda_kernelERKNSE_10TensorBaseESI_lENKUlvE_clEvENKUlvE1_clEvEUlS7_S7_E_S7_EEDaPvRmT3_T4_T5_mT6_P12ihipStream_tbENKUlT_T0_E_clISt17integral_constantIbLb1EESZ_EEDaSU_SV_EUlSU_E_NS1_11comp_targetILNS1_3genE3ELNS1_11target_archE908ELNS1_3gpuE7ELNS1_3repE0EEENS1_30default_config_static_selectorELNS0_4arch9wavefront6targetE0EEEvT1_,"axG",@progbits,_ZN7rocprim17ROCPRIM_400000_NS6detail17trampoline_kernelINS0_14default_configENS1_20scan_config_selectorIN3c107complexIdEEEEZZNS1_9scan_implILNS1_25lookback_scan_determinismE0ELb0ELb0ES3_PKS7_PS7_S7_ZZZN2at6native31launch_logcumsumexp_cuda_kernelERKNSE_10TensorBaseESI_lENKUlvE_clEvENKUlvE1_clEvEUlS7_S7_E_S7_EEDaPvRmT3_T4_T5_mT6_P12ihipStream_tbENKUlT_T0_E_clISt17integral_constantIbLb1EESZ_EEDaSU_SV_EUlSU_E_NS1_11comp_targetILNS1_3genE3ELNS1_11target_archE908ELNS1_3gpuE7ELNS1_3repE0EEENS1_30default_config_static_selectorELNS0_4arch9wavefront6targetE0EEEvT1_,comdat
	.globl	_ZN7rocprim17ROCPRIM_400000_NS6detail17trampoline_kernelINS0_14default_configENS1_20scan_config_selectorIN3c107complexIdEEEEZZNS1_9scan_implILNS1_25lookback_scan_determinismE0ELb0ELb0ES3_PKS7_PS7_S7_ZZZN2at6native31launch_logcumsumexp_cuda_kernelERKNSE_10TensorBaseESI_lENKUlvE_clEvENKUlvE1_clEvEUlS7_S7_E_S7_EEDaPvRmT3_T4_T5_mT6_P12ihipStream_tbENKUlT_T0_E_clISt17integral_constantIbLb1EESZ_EEDaSU_SV_EUlSU_E_NS1_11comp_targetILNS1_3genE3ELNS1_11target_archE908ELNS1_3gpuE7ELNS1_3repE0EEENS1_30default_config_static_selectorELNS0_4arch9wavefront6targetE0EEEvT1_ ; -- Begin function _ZN7rocprim17ROCPRIM_400000_NS6detail17trampoline_kernelINS0_14default_configENS1_20scan_config_selectorIN3c107complexIdEEEEZZNS1_9scan_implILNS1_25lookback_scan_determinismE0ELb0ELb0ES3_PKS7_PS7_S7_ZZZN2at6native31launch_logcumsumexp_cuda_kernelERKNSE_10TensorBaseESI_lENKUlvE_clEvENKUlvE1_clEvEUlS7_S7_E_S7_EEDaPvRmT3_T4_T5_mT6_P12ihipStream_tbENKUlT_T0_E_clISt17integral_constantIbLb1EESZ_EEDaSU_SV_EUlSU_E_NS1_11comp_targetILNS1_3genE3ELNS1_11target_archE908ELNS1_3gpuE7ELNS1_3repE0EEENS1_30default_config_static_selectorELNS0_4arch9wavefront6targetE0EEEvT1_
	.p2align	8
	.type	_ZN7rocprim17ROCPRIM_400000_NS6detail17trampoline_kernelINS0_14default_configENS1_20scan_config_selectorIN3c107complexIdEEEEZZNS1_9scan_implILNS1_25lookback_scan_determinismE0ELb0ELb0ES3_PKS7_PS7_S7_ZZZN2at6native31launch_logcumsumexp_cuda_kernelERKNSE_10TensorBaseESI_lENKUlvE_clEvENKUlvE1_clEvEUlS7_S7_E_S7_EEDaPvRmT3_T4_T5_mT6_P12ihipStream_tbENKUlT_T0_E_clISt17integral_constantIbLb1EESZ_EEDaSU_SV_EUlSU_E_NS1_11comp_targetILNS1_3genE3ELNS1_11target_archE908ELNS1_3gpuE7ELNS1_3repE0EEENS1_30default_config_static_selectorELNS0_4arch9wavefront6targetE0EEEvT1_,@function
_ZN7rocprim17ROCPRIM_400000_NS6detail17trampoline_kernelINS0_14default_configENS1_20scan_config_selectorIN3c107complexIdEEEEZZNS1_9scan_implILNS1_25lookback_scan_determinismE0ELb0ELb0ES3_PKS7_PS7_S7_ZZZN2at6native31launch_logcumsumexp_cuda_kernelERKNSE_10TensorBaseESI_lENKUlvE_clEvENKUlvE1_clEvEUlS7_S7_E_S7_EEDaPvRmT3_T4_T5_mT6_P12ihipStream_tbENKUlT_T0_E_clISt17integral_constantIbLb1EESZ_EEDaSU_SV_EUlSU_E_NS1_11comp_targetILNS1_3genE3ELNS1_11target_archE908ELNS1_3gpuE7ELNS1_3repE0EEENS1_30default_config_static_selectorELNS0_4arch9wavefront6targetE0EEEvT1_: ; @_ZN7rocprim17ROCPRIM_400000_NS6detail17trampoline_kernelINS0_14default_configENS1_20scan_config_selectorIN3c107complexIdEEEEZZNS1_9scan_implILNS1_25lookback_scan_determinismE0ELb0ELb0ES3_PKS7_PS7_S7_ZZZN2at6native31launch_logcumsumexp_cuda_kernelERKNSE_10TensorBaseESI_lENKUlvE_clEvENKUlvE1_clEvEUlS7_S7_E_S7_EEDaPvRmT3_T4_T5_mT6_P12ihipStream_tbENKUlT_T0_E_clISt17integral_constantIbLb1EESZ_EEDaSU_SV_EUlSU_E_NS1_11comp_targetILNS1_3genE3ELNS1_11target_archE908ELNS1_3gpuE7ELNS1_3repE0EEENS1_30default_config_static_selectorELNS0_4arch9wavefront6targetE0EEEvT1_
; %bb.0:
	.section	.rodata,"a",@progbits
	.p2align	6, 0x0
	.amdhsa_kernel _ZN7rocprim17ROCPRIM_400000_NS6detail17trampoline_kernelINS0_14default_configENS1_20scan_config_selectorIN3c107complexIdEEEEZZNS1_9scan_implILNS1_25lookback_scan_determinismE0ELb0ELb0ES3_PKS7_PS7_S7_ZZZN2at6native31launch_logcumsumexp_cuda_kernelERKNSE_10TensorBaseESI_lENKUlvE_clEvENKUlvE1_clEvEUlS7_S7_E_S7_EEDaPvRmT3_T4_T5_mT6_P12ihipStream_tbENKUlT_T0_E_clISt17integral_constantIbLb1EESZ_EEDaSU_SV_EUlSU_E_NS1_11comp_targetILNS1_3genE3ELNS1_11target_archE908ELNS1_3gpuE7ELNS1_3repE0EEENS1_30default_config_static_selectorELNS0_4arch9wavefront6targetE0EEEvT1_
		.amdhsa_group_segment_fixed_size 0
		.amdhsa_private_segment_fixed_size 0
		.amdhsa_kernarg_size 128
		.amdhsa_user_sgpr_count 2
		.amdhsa_user_sgpr_dispatch_ptr 0
		.amdhsa_user_sgpr_queue_ptr 0
		.amdhsa_user_sgpr_kernarg_segment_ptr 1
		.amdhsa_user_sgpr_dispatch_id 0
		.amdhsa_user_sgpr_private_segment_size 0
		.amdhsa_wavefront_size32 1
		.amdhsa_uses_dynamic_stack 0
		.amdhsa_enable_private_segment 0
		.amdhsa_system_sgpr_workgroup_id_x 1
		.amdhsa_system_sgpr_workgroup_id_y 0
		.amdhsa_system_sgpr_workgroup_id_z 0
		.amdhsa_system_sgpr_workgroup_info 0
		.amdhsa_system_vgpr_workitem_id 0
		.amdhsa_next_free_vgpr 1
		.amdhsa_next_free_sgpr 1
		.amdhsa_reserve_vcc 0
		.amdhsa_float_round_mode_32 0
		.amdhsa_float_round_mode_16_64 0
		.amdhsa_float_denorm_mode_32 3
		.amdhsa_float_denorm_mode_16_64 3
		.amdhsa_fp16_overflow 0
		.amdhsa_workgroup_processor_mode 1
		.amdhsa_memory_ordered 1
		.amdhsa_forward_progress 1
		.amdhsa_inst_pref_size 0
		.amdhsa_round_robin_scheduling 0
		.amdhsa_exception_fp_ieee_invalid_op 0
		.amdhsa_exception_fp_denorm_src 0
		.amdhsa_exception_fp_ieee_div_zero 0
		.amdhsa_exception_fp_ieee_overflow 0
		.amdhsa_exception_fp_ieee_underflow 0
		.amdhsa_exception_fp_ieee_inexact 0
		.amdhsa_exception_int_div_zero 0
	.end_amdhsa_kernel
	.section	.text._ZN7rocprim17ROCPRIM_400000_NS6detail17trampoline_kernelINS0_14default_configENS1_20scan_config_selectorIN3c107complexIdEEEEZZNS1_9scan_implILNS1_25lookback_scan_determinismE0ELb0ELb0ES3_PKS7_PS7_S7_ZZZN2at6native31launch_logcumsumexp_cuda_kernelERKNSE_10TensorBaseESI_lENKUlvE_clEvENKUlvE1_clEvEUlS7_S7_E_S7_EEDaPvRmT3_T4_T5_mT6_P12ihipStream_tbENKUlT_T0_E_clISt17integral_constantIbLb1EESZ_EEDaSU_SV_EUlSU_E_NS1_11comp_targetILNS1_3genE3ELNS1_11target_archE908ELNS1_3gpuE7ELNS1_3repE0EEENS1_30default_config_static_selectorELNS0_4arch9wavefront6targetE0EEEvT1_,"axG",@progbits,_ZN7rocprim17ROCPRIM_400000_NS6detail17trampoline_kernelINS0_14default_configENS1_20scan_config_selectorIN3c107complexIdEEEEZZNS1_9scan_implILNS1_25lookback_scan_determinismE0ELb0ELb0ES3_PKS7_PS7_S7_ZZZN2at6native31launch_logcumsumexp_cuda_kernelERKNSE_10TensorBaseESI_lENKUlvE_clEvENKUlvE1_clEvEUlS7_S7_E_S7_EEDaPvRmT3_T4_T5_mT6_P12ihipStream_tbENKUlT_T0_E_clISt17integral_constantIbLb1EESZ_EEDaSU_SV_EUlSU_E_NS1_11comp_targetILNS1_3genE3ELNS1_11target_archE908ELNS1_3gpuE7ELNS1_3repE0EEENS1_30default_config_static_selectorELNS0_4arch9wavefront6targetE0EEEvT1_,comdat
.Lfunc_end206:
	.size	_ZN7rocprim17ROCPRIM_400000_NS6detail17trampoline_kernelINS0_14default_configENS1_20scan_config_selectorIN3c107complexIdEEEEZZNS1_9scan_implILNS1_25lookback_scan_determinismE0ELb0ELb0ES3_PKS7_PS7_S7_ZZZN2at6native31launch_logcumsumexp_cuda_kernelERKNSE_10TensorBaseESI_lENKUlvE_clEvENKUlvE1_clEvEUlS7_S7_E_S7_EEDaPvRmT3_T4_T5_mT6_P12ihipStream_tbENKUlT_T0_E_clISt17integral_constantIbLb1EESZ_EEDaSU_SV_EUlSU_E_NS1_11comp_targetILNS1_3genE3ELNS1_11target_archE908ELNS1_3gpuE7ELNS1_3repE0EEENS1_30default_config_static_selectorELNS0_4arch9wavefront6targetE0EEEvT1_, .Lfunc_end206-_ZN7rocprim17ROCPRIM_400000_NS6detail17trampoline_kernelINS0_14default_configENS1_20scan_config_selectorIN3c107complexIdEEEEZZNS1_9scan_implILNS1_25lookback_scan_determinismE0ELb0ELb0ES3_PKS7_PS7_S7_ZZZN2at6native31launch_logcumsumexp_cuda_kernelERKNSE_10TensorBaseESI_lENKUlvE_clEvENKUlvE1_clEvEUlS7_S7_E_S7_EEDaPvRmT3_T4_T5_mT6_P12ihipStream_tbENKUlT_T0_E_clISt17integral_constantIbLb1EESZ_EEDaSU_SV_EUlSU_E_NS1_11comp_targetILNS1_3genE3ELNS1_11target_archE908ELNS1_3gpuE7ELNS1_3repE0EEENS1_30default_config_static_selectorELNS0_4arch9wavefront6targetE0EEEvT1_
                                        ; -- End function
	.set _ZN7rocprim17ROCPRIM_400000_NS6detail17trampoline_kernelINS0_14default_configENS1_20scan_config_selectorIN3c107complexIdEEEEZZNS1_9scan_implILNS1_25lookback_scan_determinismE0ELb0ELb0ES3_PKS7_PS7_S7_ZZZN2at6native31launch_logcumsumexp_cuda_kernelERKNSE_10TensorBaseESI_lENKUlvE_clEvENKUlvE1_clEvEUlS7_S7_E_S7_EEDaPvRmT3_T4_T5_mT6_P12ihipStream_tbENKUlT_T0_E_clISt17integral_constantIbLb1EESZ_EEDaSU_SV_EUlSU_E_NS1_11comp_targetILNS1_3genE3ELNS1_11target_archE908ELNS1_3gpuE7ELNS1_3repE0EEENS1_30default_config_static_selectorELNS0_4arch9wavefront6targetE0EEEvT1_.num_vgpr, 0
	.set _ZN7rocprim17ROCPRIM_400000_NS6detail17trampoline_kernelINS0_14default_configENS1_20scan_config_selectorIN3c107complexIdEEEEZZNS1_9scan_implILNS1_25lookback_scan_determinismE0ELb0ELb0ES3_PKS7_PS7_S7_ZZZN2at6native31launch_logcumsumexp_cuda_kernelERKNSE_10TensorBaseESI_lENKUlvE_clEvENKUlvE1_clEvEUlS7_S7_E_S7_EEDaPvRmT3_T4_T5_mT6_P12ihipStream_tbENKUlT_T0_E_clISt17integral_constantIbLb1EESZ_EEDaSU_SV_EUlSU_E_NS1_11comp_targetILNS1_3genE3ELNS1_11target_archE908ELNS1_3gpuE7ELNS1_3repE0EEENS1_30default_config_static_selectorELNS0_4arch9wavefront6targetE0EEEvT1_.num_agpr, 0
	.set _ZN7rocprim17ROCPRIM_400000_NS6detail17trampoline_kernelINS0_14default_configENS1_20scan_config_selectorIN3c107complexIdEEEEZZNS1_9scan_implILNS1_25lookback_scan_determinismE0ELb0ELb0ES3_PKS7_PS7_S7_ZZZN2at6native31launch_logcumsumexp_cuda_kernelERKNSE_10TensorBaseESI_lENKUlvE_clEvENKUlvE1_clEvEUlS7_S7_E_S7_EEDaPvRmT3_T4_T5_mT6_P12ihipStream_tbENKUlT_T0_E_clISt17integral_constantIbLb1EESZ_EEDaSU_SV_EUlSU_E_NS1_11comp_targetILNS1_3genE3ELNS1_11target_archE908ELNS1_3gpuE7ELNS1_3repE0EEENS1_30default_config_static_selectorELNS0_4arch9wavefront6targetE0EEEvT1_.numbered_sgpr, 0
	.set _ZN7rocprim17ROCPRIM_400000_NS6detail17trampoline_kernelINS0_14default_configENS1_20scan_config_selectorIN3c107complexIdEEEEZZNS1_9scan_implILNS1_25lookback_scan_determinismE0ELb0ELb0ES3_PKS7_PS7_S7_ZZZN2at6native31launch_logcumsumexp_cuda_kernelERKNSE_10TensorBaseESI_lENKUlvE_clEvENKUlvE1_clEvEUlS7_S7_E_S7_EEDaPvRmT3_T4_T5_mT6_P12ihipStream_tbENKUlT_T0_E_clISt17integral_constantIbLb1EESZ_EEDaSU_SV_EUlSU_E_NS1_11comp_targetILNS1_3genE3ELNS1_11target_archE908ELNS1_3gpuE7ELNS1_3repE0EEENS1_30default_config_static_selectorELNS0_4arch9wavefront6targetE0EEEvT1_.num_named_barrier, 0
	.set _ZN7rocprim17ROCPRIM_400000_NS6detail17trampoline_kernelINS0_14default_configENS1_20scan_config_selectorIN3c107complexIdEEEEZZNS1_9scan_implILNS1_25lookback_scan_determinismE0ELb0ELb0ES3_PKS7_PS7_S7_ZZZN2at6native31launch_logcumsumexp_cuda_kernelERKNSE_10TensorBaseESI_lENKUlvE_clEvENKUlvE1_clEvEUlS7_S7_E_S7_EEDaPvRmT3_T4_T5_mT6_P12ihipStream_tbENKUlT_T0_E_clISt17integral_constantIbLb1EESZ_EEDaSU_SV_EUlSU_E_NS1_11comp_targetILNS1_3genE3ELNS1_11target_archE908ELNS1_3gpuE7ELNS1_3repE0EEENS1_30default_config_static_selectorELNS0_4arch9wavefront6targetE0EEEvT1_.private_seg_size, 0
	.set _ZN7rocprim17ROCPRIM_400000_NS6detail17trampoline_kernelINS0_14default_configENS1_20scan_config_selectorIN3c107complexIdEEEEZZNS1_9scan_implILNS1_25lookback_scan_determinismE0ELb0ELb0ES3_PKS7_PS7_S7_ZZZN2at6native31launch_logcumsumexp_cuda_kernelERKNSE_10TensorBaseESI_lENKUlvE_clEvENKUlvE1_clEvEUlS7_S7_E_S7_EEDaPvRmT3_T4_T5_mT6_P12ihipStream_tbENKUlT_T0_E_clISt17integral_constantIbLb1EESZ_EEDaSU_SV_EUlSU_E_NS1_11comp_targetILNS1_3genE3ELNS1_11target_archE908ELNS1_3gpuE7ELNS1_3repE0EEENS1_30default_config_static_selectorELNS0_4arch9wavefront6targetE0EEEvT1_.uses_vcc, 0
	.set _ZN7rocprim17ROCPRIM_400000_NS6detail17trampoline_kernelINS0_14default_configENS1_20scan_config_selectorIN3c107complexIdEEEEZZNS1_9scan_implILNS1_25lookback_scan_determinismE0ELb0ELb0ES3_PKS7_PS7_S7_ZZZN2at6native31launch_logcumsumexp_cuda_kernelERKNSE_10TensorBaseESI_lENKUlvE_clEvENKUlvE1_clEvEUlS7_S7_E_S7_EEDaPvRmT3_T4_T5_mT6_P12ihipStream_tbENKUlT_T0_E_clISt17integral_constantIbLb1EESZ_EEDaSU_SV_EUlSU_E_NS1_11comp_targetILNS1_3genE3ELNS1_11target_archE908ELNS1_3gpuE7ELNS1_3repE0EEENS1_30default_config_static_selectorELNS0_4arch9wavefront6targetE0EEEvT1_.uses_flat_scratch, 0
	.set _ZN7rocprim17ROCPRIM_400000_NS6detail17trampoline_kernelINS0_14default_configENS1_20scan_config_selectorIN3c107complexIdEEEEZZNS1_9scan_implILNS1_25lookback_scan_determinismE0ELb0ELb0ES3_PKS7_PS7_S7_ZZZN2at6native31launch_logcumsumexp_cuda_kernelERKNSE_10TensorBaseESI_lENKUlvE_clEvENKUlvE1_clEvEUlS7_S7_E_S7_EEDaPvRmT3_T4_T5_mT6_P12ihipStream_tbENKUlT_T0_E_clISt17integral_constantIbLb1EESZ_EEDaSU_SV_EUlSU_E_NS1_11comp_targetILNS1_3genE3ELNS1_11target_archE908ELNS1_3gpuE7ELNS1_3repE0EEENS1_30default_config_static_selectorELNS0_4arch9wavefront6targetE0EEEvT1_.has_dyn_sized_stack, 0
	.set _ZN7rocprim17ROCPRIM_400000_NS6detail17trampoline_kernelINS0_14default_configENS1_20scan_config_selectorIN3c107complexIdEEEEZZNS1_9scan_implILNS1_25lookback_scan_determinismE0ELb0ELb0ES3_PKS7_PS7_S7_ZZZN2at6native31launch_logcumsumexp_cuda_kernelERKNSE_10TensorBaseESI_lENKUlvE_clEvENKUlvE1_clEvEUlS7_S7_E_S7_EEDaPvRmT3_T4_T5_mT6_P12ihipStream_tbENKUlT_T0_E_clISt17integral_constantIbLb1EESZ_EEDaSU_SV_EUlSU_E_NS1_11comp_targetILNS1_3genE3ELNS1_11target_archE908ELNS1_3gpuE7ELNS1_3repE0EEENS1_30default_config_static_selectorELNS0_4arch9wavefront6targetE0EEEvT1_.has_recursion, 0
	.set _ZN7rocprim17ROCPRIM_400000_NS6detail17trampoline_kernelINS0_14default_configENS1_20scan_config_selectorIN3c107complexIdEEEEZZNS1_9scan_implILNS1_25lookback_scan_determinismE0ELb0ELb0ES3_PKS7_PS7_S7_ZZZN2at6native31launch_logcumsumexp_cuda_kernelERKNSE_10TensorBaseESI_lENKUlvE_clEvENKUlvE1_clEvEUlS7_S7_E_S7_EEDaPvRmT3_T4_T5_mT6_P12ihipStream_tbENKUlT_T0_E_clISt17integral_constantIbLb1EESZ_EEDaSU_SV_EUlSU_E_NS1_11comp_targetILNS1_3genE3ELNS1_11target_archE908ELNS1_3gpuE7ELNS1_3repE0EEENS1_30default_config_static_selectorELNS0_4arch9wavefront6targetE0EEEvT1_.has_indirect_call, 0
	.section	.AMDGPU.csdata,"",@progbits
; Kernel info:
; codeLenInByte = 0
; TotalNumSgprs: 0
; NumVgprs: 0
; ScratchSize: 0
; MemoryBound: 0
; FloatMode: 240
; IeeeMode: 1
; LDSByteSize: 0 bytes/workgroup (compile time only)
; SGPRBlocks: 0
; VGPRBlocks: 0
; NumSGPRsForWavesPerEU: 1
; NumVGPRsForWavesPerEU: 1
; Occupancy: 16
; WaveLimiterHint : 0
; COMPUTE_PGM_RSRC2:SCRATCH_EN: 0
; COMPUTE_PGM_RSRC2:USER_SGPR: 2
; COMPUTE_PGM_RSRC2:TRAP_HANDLER: 0
; COMPUTE_PGM_RSRC2:TGID_X_EN: 1
; COMPUTE_PGM_RSRC2:TGID_Y_EN: 0
; COMPUTE_PGM_RSRC2:TGID_Z_EN: 0
; COMPUTE_PGM_RSRC2:TIDIG_COMP_CNT: 0
	.section	.text._ZN7rocprim17ROCPRIM_400000_NS6detail17trampoline_kernelINS0_14default_configENS1_20scan_config_selectorIN3c107complexIdEEEEZZNS1_9scan_implILNS1_25lookback_scan_determinismE0ELb0ELb0ES3_PKS7_PS7_S7_ZZZN2at6native31launch_logcumsumexp_cuda_kernelERKNSE_10TensorBaseESI_lENKUlvE_clEvENKUlvE1_clEvEUlS7_S7_E_S7_EEDaPvRmT3_T4_T5_mT6_P12ihipStream_tbENKUlT_T0_E_clISt17integral_constantIbLb1EESZ_EEDaSU_SV_EUlSU_E_NS1_11comp_targetILNS1_3genE2ELNS1_11target_archE906ELNS1_3gpuE6ELNS1_3repE0EEENS1_30default_config_static_selectorELNS0_4arch9wavefront6targetE0EEEvT1_,"axG",@progbits,_ZN7rocprim17ROCPRIM_400000_NS6detail17trampoline_kernelINS0_14default_configENS1_20scan_config_selectorIN3c107complexIdEEEEZZNS1_9scan_implILNS1_25lookback_scan_determinismE0ELb0ELb0ES3_PKS7_PS7_S7_ZZZN2at6native31launch_logcumsumexp_cuda_kernelERKNSE_10TensorBaseESI_lENKUlvE_clEvENKUlvE1_clEvEUlS7_S7_E_S7_EEDaPvRmT3_T4_T5_mT6_P12ihipStream_tbENKUlT_T0_E_clISt17integral_constantIbLb1EESZ_EEDaSU_SV_EUlSU_E_NS1_11comp_targetILNS1_3genE2ELNS1_11target_archE906ELNS1_3gpuE6ELNS1_3repE0EEENS1_30default_config_static_selectorELNS0_4arch9wavefront6targetE0EEEvT1_,comdat
	.globl	_ZN7rocprim17ROCPRIM_400000_NS6detail17trampoline_kernelINS0_14default_configENS1_20scan_config_selectorIN3c107complexIdEEEEZZNS1_9scan_implILNS1_25lookback_scan_determinismE0ELb0ELb0ES3_PKS7_PS7_S7_ZZZN2at6native31launch_logcumsumexp_cuda_kernelERKNSE_10TensorBaseESI_lENKUlvE_clEvENKUlvE1_clEvEUlS7_S7_E_S7_EEDaPvRmT3_T4_T5_mT6_P12ihipStream_tbENKUlT_T0_E_clISt17integral_constantIbLb1EESZ_EEDaSU_SV_EUlSU_E_NS1_11comp_targetILNS1_3genE2ELNS1_11target_archE906ELNS1_3gpuE6ELNS1_3repE0EEENS1_30default_config_static_selectorELNS0_4arch9wavefront6targetE0EEEvT1_ ; -- Begin function _ZN7rocprim17ROCPRIM_400000_NS6detail17trampoline_kernelINS0_14default_configENS1_20scan_config_selectorIN3c107complexIdEEEEZZNS1_9scan_implILNS1_25lookback_scan_determinismE0ELb0ELb0ES3_PKS7_PS7_S7_ZZZN2at6native31launch_logcumsumexp_cuda_kernelERKNSE_10TensorBaseESI_lENKUlvE_clEvENKUlvE1_clEvEUlS7_S7_E_S7_EEDaPvRmT3_T4_T5_mT6_P12ihipStream_tbENKUlT_T0_E_clISt17integral_constantIbLb1EESZ_EEDaSU_SV_EUlSU_E_NS1_11comp_targetILNS1_3genE2ELNS1_11target_archE906ELNS1_3gpuE6ELNS1_3repE0EEENS1_30default_config_static_selectorELNS0_4arch9wavefront6targetE0EEEvT1_
	.p2align	8
	.type	_ZN7rocprim17ROCPRIM_400000_NS6detail17trampoline_kernelINS0_14default_configENS1_20scan_config_selectorIN3c107complexIdEEEEZZNS1_9scan_implILNS1_25lookback_scan_determinismE0ELb0ELb0ES3_PKS7_PS7_S7_ZZZN2at6native31launch_logcumsumexp_cuda_kernelERKNSE_10TensorBaseESI_lENKUlvE_clEvENKUlvE1_clEvEUlS7_S7_E_S7_EEDaPvRmT3_T4_T5_mT6_P12ihipStream_tbENKUlT_T0_E_clISt17integral_constantIbLb1EESZ_EEDaSU_SV_EUlSU_E_NS1_11comp_targetILNS1_3genE2ELNS1_11target_archE906ELNS1_3gpuE6ELNS1_3repE0EEENS1_30default_config_static_selectorELNS0_4arch9wavefront6targetE0EEEvT1_,@function
_ZN7rocprim17ROCPRIM_400000_NS6detail17trampoline_kernelINS0_14default_configENS1_20scan_config_selectorIN3c107complexIdEEEEZZNS1_9scan_implILNS1_25lookback_scan_determinismE0ELb0ELb0ES3_PKS7_PS7_S7_ZZZN2at6native31launch_logcumsumexp_cuda_kernelERKNSE_10TensorBaseESI_lENKUlvE_clEvENKUlvE1_clEvEUlS7_S7_E_S7_EEDaPvRmT3_T4_T5_mT6_P12ihipStream_tbENKUlT_T0_E_clISt17integral_constantIbLb1EESZ_EEDaSU_SV_EUlSU_E_NS1_11comp_targetILNS1_3genE2ELNS1_11target_archE906ELNS1_3gpuE6ELNS1_3repE0EEENS1_30default_config_static_selectorELNS0_4arch9wavefront6targetE0EEEvT1_: ; @_ZN7rocprim17ROCPRIM_400000_NS6detail17trampoline_kernelINS0_14default_configENS1_20scan_config_selectorIN3c107complexIdEEEEZZNS1_9scan_implILNS1_25lookback_scan_determinismE0ELb0ELb0ES3_PKS7_PS7_S7_ZZZN2at6native31launch_logcumsumexp_cuda_kernelERKNSE_10TensorBaseESI_lENKUlvE_clEvENKUlvE1_clEvEUlS7_S7_E_S7_EEDaPvRmT3_T4_T5_mT6_P12ihipStream_tbENKUlT_T0_E_clISt17integral_constantIbLb1EESZ_EEDaSU_SV_EUlSU_E_NS1_11comp_targetILNS1_3genE2ELNS1_11target_archE906ELNS1_3gpuE6ELNS1_3repE0EEENS1_30default_config_static_selectorELNS0_4arch9wavefront6targetE0EEEvT1_
; %bb.0:
	.section	.rodata,"a",@progbits
	.p2align	6, 0x0
	.amdhsa_kernel _ZN7rocprim17ROCPRIM_400000_NS6detail17trampoline_kernelINS0_14default_configENS1_20scan_config_selectorIN3c107complexIdEEEEZZNS1_9scan_implILNS1_25lookback_scan_determinismE0ELb0ELb0ES3_PKS7_PS7_S7_ZZZN2at6native31launch_logcumsumexp_cuda_kernelERKNSE_10TensorBaseESI_lENKUlvE_clEvENKUlvE1_clEvEUlS7_S7_E_S7_EEDaPvRmT3_T4_T5_mT6_P12ihipStream_tbENKUlT_T0_E_clISt17integral_constantIbLb1EESZ_EEDaSU_SV_EUlSU_E_NS1_11comp_targetILNS1_3genE2ELNS1_11target_archE906ELNS1_3gpuE6ELNS1_3repE0EEENS1_30default_config_static_selectorELNS0_4arch9wavefront6targetE0EEEvT1_
		.amdhsa_group_segment_fixed_size 0
		.amdhsa_private_segment_fixed_size 0
		.amdhsa_kernarg_size 128
		.amdhsa_user_sgpr_count 2
		.amdhsa_user_sgpr_dispatch_ptr 0
		.amdhsa_user_sgpr_queue_ptr 0
		.amdhsa_user_sgpr_kernarg_segment_ptr 1
		.amdhsa_user_sgpr_dispatch_id 0
		.amdhsa_user_sgpr_private_segment_size 0
		.amdhsa_wavefront_size32 1
		.amdhsa_uses_dynamic_stack 0
		.amdhsa_enable_private_segment 0
		.amdhsa_system_sgpr_workgroup_id_x 1
		.amdhsa_system_sgpr_workgroup_id_y 0
		.amdhsa_system_sgpr_workgroup_id_z 0
		.amdhsa_system_sgpr_workgroup_info 0
		.amdhsa_system_vgpr_workitem_id 0
		.amdhsa_next_free_vgpr 1
		.amdhsa_next_free_sgpr 1
		.amdhsa_reserve_vcc 0
		.amdhsa_float_round_mode_32 0
		.amdhsa_float_round_mode_16_64 0
		.amdhsa_float_denorm_mode_32 3
		.amdhsa_float_denorm_mode_16_64 3
		.amdhsa_fp16_overflow 0
		.amdhsa_workgroup_processor_mode 1
		.amdhsa_memory_ordered 1
		.amdhsa_forward_progress 1
		.amdhsa_inst_pref_size 0
		.amdhsa_round_robin_scheduling 0
		.amdhsa_exception_fp_ieee_invalid_op 0
		.amdhsa_exception_fp_denorm_src 0
		.amdhsa_exception_fp_ieee_div_zero 0
		.amdhsa_exception_fp_ieee_overflow 0
		.amdhsa_exception_fp_ieee_underflow 0
		.amdhsa_exception_fp_ieee_inexact 0
		.amdhsa_exception_int_div_zero 0
	.end_amdhsa_kernel
	.section	.text._ZN7rocprim17ROCPRIM_400000_NS6detail17trampoline_kernelINS0_14default_configENS1_20scan_config_selectorIN3c107complexIdEEEEZZNS1_9scan_implILNS1_25lookback_scan_determinismE0ELb0ELb0ES3_PKS7_PS7_S7_ZZZN2at6native31launch_logcumsumexp_cuda_kernelERKNSE_10TensorBaseESI_lENKUlvE_clEvENKUlvE1_clEvEUlS7_S7_E_S7_EEDaPvRmT3_T4_T5_mT6_P12ihipStream_tbENKUlT_T0_E_clISt17integral_constantIbLb1EESZ_EEDaSU_SV_EUlSU_E_NS1_11comp_targetILNS1_3genE2ELNS1_11target_archE906ELNS1_3gpuE6ELNS1_3repE0EEENS1_30default_config_static_selectorELNS0_4arch9wavefront6targetE0EEEvT1_,"axG",@progbits,_ZN7rocprim17ROCPRIM_400000_NS6detail17trampoline_kernelINS0_14default_configENS1_20scan_config_selectorIN3c107complexIdEEEEZZNS1_9scan_implILNS1_25lookback_scan_determinismE0ELb0ELb0ES3_PKS7_PS7_S7_ZZZN2at6native31launch_logcumsumexp_cuda_kernelERKNSE_10TensorBaseESI_lENKUlvE_clEvENKUlvE1_clEvEUlS7_S7_E_S7_EEDaPvRmT3_T4_T5_mT6_P12ihipStream_tbENKUlT_T0_E_clISt17integral_constantIbLb1EESZ_EEDaSU_SV_EUlSU_E_NS1_11comp_targetILNS1_3genE2ELNS1_11target_archE906ELNS1_3gpuE6ELNS1_3repE0EEENS1_30default_config_static_selectorELNS0_4arch9wavefront6targetE0EEEvT1_,comdat
.Lfunc_end207:
	.size	_ZN7rocprim17ROCPRIM_400000_NS6detail17trampoline_kernelINS0_14default_configENS1_20scan_config_selectorIN3c107complexIdEEEEZZNS1_9scan_implILNS1_25lookback_scan_determinismE0ELb0ELb0ES3_PKS7_PS7_S7_ZZZN2at6native31launch_logcumsumexp_cuda_kernelERKNSE_10TensorBaseESI_lENKUlvE_clEvENKUlvE1_clEvEUlS7_S7_E_S7_EEDaPvRmT3_T4_T5_mT6_P12ihipStream_tbENKUlT_T0_E_clISt17integral_constantIbLb1EESZ_EEDaSU_SV_EUlSU_E_NS1_11comp_targetILNS1_3genE2ELNS1_11target_archE906ELNS1_3gpuE6ELNS1_3repE0EEENS1_30default_config_static_selectorELNS0_4arch9wavefront6targetE0EEEvT1_, .Lfunc_end207-_ZN7rocprim17ROCPRIM_400000_NS6detail17trampoline_kernelINS0_14default_configENS1_20scan_config_selectorIN3c107complexIdEEEEZZNS1_9scan_implILNS1_25lookback_scan_determinismE0ELb0ELb0ES3_PKS7_PS7_S7_ZZZN2at6native31launch_logcumsumexp_cuda_kernelERKNSE_10TensorBaseESI_lENKUlvE_clEvENKUlvE1_clEvEUlS7_S7_E_S7_EEDaPvRmT3_T4_T5_mT6_P12ihipStream_tbENKUlT_T0_E_clISt17integral_constantIbLb1EESZ_EEDaSU_SV_EUlSU_E_NS1_11comp_targetILNS1_3genE2ELNS1_11target_archE906ELNS1_3gpuE6ELNS1_3repE0EEENS1_30default_config_static_selectorELNS0_4arch9wavefront6targetE0EEEvT1_
                                        ; -- End function
	.set _ZN7rocprim17ROCPRIM_400000_NS6detail17trampoline_kernelINS0_14default_configENS1_20scan_config_selectorIN3c107complexIdEEEEZZNS1_9scan_implILNS1_25lookback_scan_determinismE0ELb0ELb0ES3_PKS7_PS7_S7_ZZZN2at6native31launch_logcumsumexp_cuda_kernelERKNSE_10TensorBaseESI_lENKUlvE_clEvENKUlvE1_clEvEUlS7_S7_E_S7_EEDaPvRmT3_T4_T5_mT6_P12ihipStream_tbENKUlT_T0_E_clISt17integral_constantIbLb1EESZ_EEDaSU_SV_EUlSU_E_NS1_11comp_targetILNS1_3genE2ELNS1_11target_archE906ELNS1_3gpuE6ELNS1_3repE0EEENS1_30default_config_static_selectorELNS0_4arch9wavefront6targetE0EEEvT1_.num_vgpr, 0
	.set _ZN7rocprim17ROCPRIM_400000_NS6detail17trampoline_kernelINS0_14default_configENS1_20scan_config_selectorIN3c107complexIdEEEEZZNS1_9scan_implILNS1_25lookback_scan_determinismE0ELb0ELb0ES3_PKS7_PS7_S7_ZZZN2at6native31launch_logcumsumexp_cuda_kernelERKNSE_10TensorBaseESI_lENKUlvE_clEvENKUlvE1_clEvEUlS7_S7_E_S7_EEDaPvRmT3_T4_T5_mT6_P12ihipStream_tbENKUlT_T0_E_clISt17integral_constantIbLb1EESZ_EEDaSU_SV_EUlSU_E_NS1_11comp_targetILNS1_3genE2ELNS1_11target_archE906ELNS1_3gpuE6ELNS1_3repE0EEENS1_30default_config_static_selectorELNS0_4arch9wavefront6targetE0EEEvT1_.num_agpr, 0
	.set _ZN7rocprim17ROCPRIM_400000_NS6detail17trampoline_kernelINS0_14default_configENS1_20scan_config_selectorIN3c107complexIdEEEEZZNS1_9scan_implILNS1_25lookback_scan_determinismE0ELb0ELb0ES3_PKS7_PS7_S7_ZZZN2at6native31launch_logcumsumexp_cuda_kernelERKNSE_10TensorBaseESI_lENKUlvE_clEvENKUlvE1_clEvEUlS7_S7_E_S7_EEDaPvRmT3_T4_T5_mT6_P12ihipStream_tbENKUlT_T0_E_clISt17integral_constantIbLb1EESZ_EEDaSU_SV_EUlSU_E_NS1_11comp_targetILNS1_3genE2ELNS1_11target_archE906ELNS1_3gpuE6ELNS1_3repE0EEENS1_30default_config_static_selectorELNS0_4arch9wavefront6targetE0EEEvT1_.numbered_sgpr, 0
	.set _ZN7rocprim17ROCPRIM_400000_NS6detail17trampoline_kernelINS0_14default_configENS1_20scan_config_selectorIN3c107complexIdEEEEZZNS1_9scan_implILNS1_25lookback_scan_determinismE0ELb0ELb0ES3_PKS7_PS7_S7_ZZZN2at6native31launch_logcumsumexp_cuda_kernelERKNSE_10TensorBaseESI_lENKUlvE_clEvENKUlvE1_clEvEUlS7_S7_E_S7_EEDaPvRmT3_T4_T5_mT6_P12ihipStream_tbENKUlT_T0_E_clISt17integral_constantIbLb1EESZ_EEDaSU_SV_EUlSU_E_NS1_11comp_targetILNS1_3genE2ELNS1_11target_archE906ELNS1_3gpuE6ELNS1_3repE0EEENS1_30default_config_static_selectorELNS0_4arch9wavefront6targetE0EEEvT1_.num_named_barrier, 0
	.set _ZN7rocprim17ROCPRIM_400000_NS6detail17trampoline_kernelINS0_14default_configENS1_20scan_config_selectorIN3c107complexIdEEEEZZNS1_9scan_implILNS1_25lookback_scan_determinismE0ELb0ELb0ES3_PKS7_PS7_S7_ZZZN2at6native31launch_logcumsumexp_cuda_kernelERKNSE_10TensorBaseESI_lENKUlvE_clEvENKUlvE1_clEvEUlS7_S7_E_S7_EEDaPvRmT3_T4_T5_mT6_P12ihipStream_tbENKUlT_T0_E_clISt17integral_constantIbLb1EESZ_EEDaSU_SV_EUlSU_E_NS1_11comp_targetILNS1_3genE2ELNS1_11target_archE906ELNS1_3gpuE6ELNS1_3repE0EEENS1_30default_config_static_selectorELNS0_4arch9wavefront6targetE0EEEvT1_.private_seg_size, 0
	.set _ZN7rocprim17ROCPRIM_400000_NS6detail17trampoline_kernelINS0_14default_configENS1_20scan_config_selectorIN3c107complexIdEEEEZZNS1_9scan_implILNS1_25lookback_scan_determinismE0ELb0ELb0ES3_PKS7_PS7_S7_ZZZN2at6native31launch_logcumsumexp_cuda_kernelERKNSE_10TensorBaseESI_lENKUlvE_clEvENKUlvE1_clEvEUlS7_S7_E_S7_EEDaPvRmT3_T4_T5_mT6_P12ihipStream_tbENKUlT_T0_E_clISt17integral_constantIbLb1EESZ_EEDaSU_SV_EUlSU_E_NS1_11comp_targetILNS1_3genE2ELNS1_11target_archE906ELNS1_3gpuE6ELNS1_3repE0EEENS1_30default_config_static_selectorELNS0_4arch9wavefront6targetE0EEEvT1_.uses_vcc, 0
	.set _ZN7rocprim17ROCPRIM_400000_NS6detail17trampoline_kernelINS0_14default_configENS1_20scan_config_selectorIN3c107complexIdEEEEZZNS1_9scan_implILNS1_25lookback_scan_determinismE0ELb0ELb0ES3_PKS7_PS7_S7_ZZZN2at6native31launch_logcumsumexp_cuda_kernelERKNSE_10TensorBaseESI_lENKUlvE_clEvENKUlvE1_clEvEUlS7_S7_E_S7_EEDaPvRmT3_T4_T5_mT6_P12ihipStream_tbENKUlT_T0_E_clISt17integral_constantIbLb1EESZ_EEDaSU_SV_EUlSU_E_NS1_11comp_targetILNS1_3genE2ELNS1_11target_archE906ELNS1_3gpuE6ELNS1_3repE0EEENS1_30default_config_static_selectorELNS0_4arch9wavefront6targetE0EEEvT1_.uses_flat_scratch, 0
	.set _ZN7rocprim17ROCPRIM_400000_NS6detail17trampoline_kernelINS0_14default_configENS1_20scan_config_selectorIN3c107complexIdEEEEZZNS1_9scan_implILNS1_25lookback_scan_determinismE0ELb0ELb0ES3_PKS7_PS7_S7_ZZZN2at6native31launch_logcumsumexp_cuda_kernelERKNSE_10TensorBaseESI_lENKUlvE_clEvENKUlvE1_clEvEUlS7_S7_E_S7_EEDaPvRmT3_T4_T5_mT6_P12ihipStream_tbENKUlT_T0_E_clISt17integral_constantIbLb1EESZ_EEDaSU_SV_EUlSU_E_NS1_11comp_targetILNS1_3genE2ELNS1_11target_archE906ELNS1_3gpuE6ELNS1_3repE0EEENS1_30default_config_static_selectorELNS0_4arch9wavefront6targetE0EEEvT1_.has_dyn_sized_stack, 0
	.set _ZN7rocprim17ROCPRIM_400000_NS6detail17trampoline_kernelINS0_14default_configENS1_20scan_config_selectorIN3c107complexIdEEEEZZNS1_9scan_implILNS1_25lookback_scan_determinismE0ELb0ELb0ES3_PKS7_PS7_S7_ZZZN2at6native31launch_logcumsumexp_cuda_kernelERKNSE_10TensorBaseESI_lENKUlvE_clEvENKUlvE1_clEvEUlS7_S7_E_S7_EEDaPvRmT3_T4_T5_mT6_P12ihipStream_tbENKUlT_T0_E_clISt17integral_constantIbLb1EESZ_EEDaSU_SV_EUlSU_E_NS1_11comp_targetILNS1_3genE2ELNS1_11target_archE906ELNS1_3gpuE6ELNS1_3repE0EEENS1_30default_config_static_selectorELNS0_4arch9wavefront6targetE0EEEvT1_.has_recursion, 0
	.set _ZN7rocprim17ROCPRIM_400000_NS6detail17trampoline_kernelINS0_14default_configENS1_20scan_config_selectorIN3c107complexIdEEEEZZNS1_9scan_implILNS1_25lookback_scan_determinismE0ELb0ELb0ES3_PKS7_PS7_S7_ZZZN2at6native31launch_logcumsumexp_cuda_kernelERKNSE_10TensorBaseESI_lENKUlvE_clEvENKUlvE1_clEvEUlS7_S7_E_S7_EEDaPvRmT3_T4_T5_mT6_P12ihipStream_tbENKUlT_T0_E_clISt17integral_constantIbLb1EESZ_EEDaSU_SV_EUlSU_E_NS1_11comp_targetILNS1_3genE2ELNS1_11target_archE906ELNS1_3gpuE6ELNS1_3repE0EEENS1_30default_config_static_selectorELNS0_4arch9wavefront6targetE0EEEvT1_.has_indirect_call, 0
	.section	.AMDGPU.csdata,"",@progbits
; Kernel info:
; codeLenInByte = 0
; TotalNumSgprs: 0
; NumVgprs: 0
; ScratchSize: 0
; MemoryBound: 0
; FloatMode: 240
; IeeeMode: 1
; LDSByteSize: 0 bytes/workgroup (compile time only)
; SGPRBlocks: 0
; VGPRBlocks: 0
; NumSGPRsForWavesPerEU: 1
; NumVGPRsForWavesPerEU: 1
; Occupancy: 16
; WaveLimiterHint : 0
; COMPUTE_PGM_RSRC2:SCRATCH_EN: 0
; COMPUTE_PGM_RSRC2:USER_SGPR: 2
; COMPUTE_PGM_RSRC2:TRAP_HANDLER: 0
; COMPUTE_PGM_RSRC2:TGID_X_EN: 1
; COMPUTE_PGM_RSRC2:TGID_Y_EN: 0
; COMPUTE_PGM_RSRC2:TGID_Z_EN: 0
; COMPUTE_PGM_RSRC2:TIDIG_COMP_CNT: 0
	.section	.text._ZN7rocprim17ROCPRIM_400000_NS6detail17trampoline_kernelINS0_14default_configENS1_20scan_config_selectorIN3c107complexIdEEEEZZNS1_9scan_implILNS1_25lookback_scan_determinismE0ELb0ELb0ES3_PKS7_PS7_S7_ZZZN2at6native31launch_logcumsumexp_cuda_kernelERKNSE_10TensorBaseESI_lENKUlvE_clEvENKUlvE1_clEvEUlS7_S7_E_S7_EEDaPvRmT3_T4_T5_mT6_P12ihipStream_tbENKUlT_T0_E_clISt17integral_constantIbLb1EESZ_EEDaSU_SV_EUlSU_E_NS1_11comp_targetILNS1_3genE10ELNS1_11target_archE1201ELNS1_3gpuE5ELNS1_3repE0EEENS1_30default_config_static_selectorELNS0_4arch9wavefront6targetE0EEEvT1_,"axG",@progbits,_ZN7rocprim17ROCPRIM_400000_NS6detail17trampoline_kernelINS0_14default_configENS1_20scan_config_selectorIN3c107complexIdEEEEZZNS1_9scan_implILNS1_25lookback_scan_determinismE0ELb0ELb0ES3_PKS7_PS7_S7_ZZZN2at6native31launch_logcumsumexp_cuda_kernelERKNSE_10TensorBaseESI_lENKUlvE_clEvENKUlvE1_clEvEUlS7_S7_E_S7_EEDaPvRmT3_T4_T5_mT6_P12ihipStream_tbENKUlT_T0_E_clISt17integral_constantIbLb1EESZ_EEDaSU_SV_EUlSU_E_NS1_11comp_targetILNS1_3genE10ELNS1_11target_archE1201ELNS1_3gpuE5ELNS1_3repE0EEENS1_30default_config_static_selectorELNS0_4arch9wavefront6targetE0EEEvT1_,comdat
	.globl	_ZN7rocprim17ROCPRIM_400000_NS6detail17trampoline_kernelINS0_14default_configENS1_20scan_config_selectorIN3c107complexIdEEEEZZNS1_9scan_implILNS1_25lookback_scan_determinismE0ELb0ELb0ES3_PKS7_PS7_S7_ZZZN2at6native31launch_logcumsumexp_cuda_kernelERKNSE_10TensorBaseESI_lENKUlvE_clEvENKUlvE1_clEvEUlS7_S7_E_S7_EEDaPvRmT3_T4_T5_mT6_P12ihipStream_tbENKUlT_T0_E_clISt17integral_constantIbLb1EESZ_EEDaSU_SV_EUlSU_E_NS1_11comp_targetILNS1_3genE10ELNS1_11target_archE1201ELNS1_3gpuE5ELNS1_3repE0EEENS1_30default_config_static_selectorELNS0_4arch9wavefront6targetE0EEEvT1_ ; -- Begin function _ZN7rocprim17ROCPRIM_400000_NS6detail17trampoline_kernelINS0_14default_configENS1_20scan_config_selectorIN3c107complexIdEEEEZZNS1_9scan_implILNS1_25lookback_scan_determinismE0ELb0ELb0ES3_PKS7_PS7_S7_ZZZN2at6native31launch_logcumsumexp_cuda_kernelERKNSE_10TensorBaseESI_lENKUlvE_clEvENKUlvE1_clEvEUlS7_S7_E_S7_EEDaPvRmT3_T4_T5_mT6_P12ihipStream_tbENKUlT_T0_E_clISt17integral_constantIbLb1EESZ_EEDaSU_SV_EUlSU_E_NS1_11comp_targetILNS1_3genE10ELNS1_11target_archE1201ELNS1_3gpuE5ELNS1_3repE0EEENS1_30default_config_static_selectorELNS0_4arch9wavefront6targetE0EEEvT1_
	.p2align	8
	.type	_ZN7rocprim17ROCPRIM_400000_NS6detail17trampoline_kernelINS0_14default_configENS1_20scan_config_selectorIN3c107complexIdEEEEZZNS1_9scan_implILNS1_25lookback_scan_determinismE0ELb0ELb0ES3_PKS7_PS7_S7_ZZZN2at6native31launch_logcumsumexp_cuda_kernelERKNSE_10TensorBaseESI_lENKUlvE_clEvENKUlvE1_clEvEUlS7_S7_E_S7_EEDaPvRmT3_T4_T5_mT6_P12ihipStream_tbENKUlT_T0_E_clISt17integral_constantIbLb1EESZ_EEDaSU_SV_EUlSU_E_NS1_11comp_targetILNS1_3genE10ELNS1_11target_archE1201ELNS1_3gpuE5ELNS1_3repE0EEENS1_30default_config_static_selectorELNS0_4arch9wavefront6targetE0EEEvT1_,@function
_ZN7rocprim17ROCPRIM_400000_NS6detail17trampoline_kernelINS0_14default_configENS1_20scan_config_selectorIN3c107complexIdEEEEZZNS1_9scan_implILNS1_25lookback_scan_determinismE0ELb0ELb0ES3_PKS7_PS7_S7_ZZZN2at6native31launch_logcumsumexp_cuda_kernelERKNSE_10TensorBaseESI_lENKUlvE_clEvENKUlvE1_clEvEUlS7_S7_E_S7_EEDaPvRmT3_T4_T5_mT6_P12ihipStream_tbENKUlT_T0_E_clISt17integral_constantIbLb1EESZ_EEDaSU_SV_EUlSU_E_NS1_11comp_targetILNS1_3genE10ELNS1_11target_archE1201ELNS1_3gpuE5ELNS1_3repE0EEENS1_30default_config_static_selectorELNS0_4arch9wavefront6targetE0EEEvT1_: ; @_ZN7rocprim17ROCPRIM_400000_NS6detail17trampoline_kernelINS0_14default_configENS1_20scan_config_selectorIN3c107complexIdEEEEZZNS1_9scan_implILNS1_25lookback_scan_determinismE0ELb0ELb0ES3_PKS7_PS7_S7_ZZZN2at6native31launch_logcumsumexp_cuda_kernelERKNSE_10TensorBaseESI_lENKUlvE_clEvENKUlvE1_clEvEUlS7_S7_E_S7_EEDaPvRmT3_T4_T5_mT6_P12ihipStream_tbENKUlT_T0_E_clISt17integral_constantIbLb1EESZ_EEDaSU_SV_EUlSU_E_NS1_11comp_targetILNS1_3genE10ELNS1_11target_archE1201ELNS1_3gpuE5ELNS1_3repE0EEENS1_30default_config_static_selectorELNS0_4arch9wavefront6targetE0EEEvT1_
; %bb.0:
	s_endpgm
	.section	.rodata,"a",@progbits
	.p2align	6, 0x0
	.amdhsa_kernel _ZN7rocprim17ROCPRIM_400000_NS6detail17trampoline_kernelINS0_14default_configENS1_20scan_config_selectorIN3c107complexIdEEEEZZNS1_9scan_implILNS1_25lookback_scan_determinismE0ELb0ELb0ES3_PKS7_PS7_S7_ZZZN2at6native31launch_logcumsumexp_cuda_kernelERKNSE_10TensorBaseESI_lENKUlvE_clEvENKUlvE1_clEvEUlS7_S7_E_S7_EEDaPvRmT3_T4_T5_mT6_P12ihipStream_tbENKUlT_T0_E_clISt17integral_constantIbLb1EESZ_EEDaSU_SV_EUlSU_E_NS1_11comp_targetILNS1_3genE10ELNS1_11target_archE1201ELNS1_3gpuE5ELNS1_3repE0EEENS1_30default_config_static_selectorELNS0_4arch9wavefront6targetE0EEEvT1_
		.amdhsa_group_segment_fixed_size 0
		.amdhsa_private_segment_fixed_size 0
		.amdhsa_kernarg_size 128
		.amdhsa_user_sgpr_count 2
		.amdhsa_user_sgpr_dispatch_ptr 0
		.amdhsa_user_sgpr_queue_ptr 0
		.amdhsa_user_sgpr_kernarg_segment_ptr 1
		.amdhsa_user_sgpr_dispatch_id 0
		.amdhsa_user_sgpr_private_segment_size 0
		.amdhsa_wavefront_size32 1
		.amdhsa_uses_dynamic_stack 0
		.amdhsa_enable_private_segment 0
		.amdhsa_system_sgpr_workgroup_id_x 1
		.amdhsa_system_sgpr_workgroup_id_y 0
		.amdhsa_system_sgpr_workgroup_id_z 0
		.amdhsa_system_sgpr_workgroup_info 0
		.amdhsa_system_vgpr_workitem_id 0
		.amdhsa_next_free_vgpr 1
		.amdhsa_next_free_sgpr 1
		.amdhsa_reserve_vcc 0
		.amdhsa_float_round_mode_32 0
		.amdhsa_float_round_mode_16_64 0
		.amdhsa_float_denorm_mode_32 3
		.amdhsa_float_denorm_mode_16_64 3
		.amdhsa_fp16_overflow 0
		.amdhsa_workgroup_processor_mode 1
		.amdhsa_memory_ordered 1
		.amdhsa_forward_progress 1
		.amdhsa_inst_pref_size 1
		.amdhsa_round_robin_scheduling 0
		.amdhsa_exception_fp_ieee_invalid_op 0
		.amdhsa_exception_fp_denorm_src 0
		.amdhsa_exception_fp_ieee_div_zero 0
		.amdhsa_exception_fp_ieee_overflow 0
		.amdhsa_exception_fp_ieee_underflow 0
		.amdhsa_exception_fp_ieee_inexact 0
		.amdhsa_exception_int_div_zero 0
	.end_amdhsa_kernel
	.section	.text._ZN7rocprim17ROCPRIM_400000_NS6detail17trampoline_kernelINS0_14default_configENS1_20scan_config_selectorIN3c107complexIdEEEEZZNS1_9scan_implILNS1_25lookback_scan_determinismE0ELb0ELb0ES3_PKS7_PS7_S7_ZZZN2at6native31launch_logcumsumexp_cuda_kernelERKNSE_10TensorBaseESI_lENKUlvE_clEvENKUlvE1_clEvEUlS7_S7_E_S7_EEDaPvRmT3_T4_T5_mT6_P12ihipStream_tbENKUlT_T0_E_clISt17integral_constantIbLb1EESZ_EEDaSU_SV_EUlSU_E_NS1_11comp_targetILNS1_3genE10ELNS1_11target_archE1201ELNS1_3gpuE5ELNS1_3repE0EEENS1_30default_config_static_selectorELNS0_4arch9wavefront6targetE0EEEvT1_,"axG",@progbits,_ZN7rocprim17ROCPRIM_400000_NS6detail17trampoline_kernelINS0_14default_configENS1_20scan_config_selectorIN3c107complexIdEEEEZZNS1_9scan_implILNS1_25lookback_scan_determinismE0ELb0ELb0ES3_PKS7_PS7_S7_ZZZN2at6native31launch_logcumsumexp_cuda_kernelERKNSE_10TensorBaseESI_lENKUlvE_clEvENKUlvE1_clEvEUlS7_S7_E_S7_EEDaPvRmT3_T4_T5_mT6_P12ihipStream_tbENKUlT_T0_E_clISt17integral_constantIbLb1EESZ_EEDaSU_SV_EUlSU_E_NS1_11comp_targetILNS1_3genE10ELNS1_11target_archE1201ELNS1_3gpuE5ELNS1_3repE0EEENS1_30default_config_static_selectorELNS0_4arch9wavefront6targetE0EEEvT1_,comdat
.Lfunc_end208:
	.size	_ZN7rocprim17ROCPRIM_400000_NS6detail17trampoline_kernelINS0_14default_configENS1_20scan_config_selectorIN3c107complexIdEEEEZZNS1_9scan_implILNS1_25lookback_scan_determinismE0ELb0ELb0ES3_PKS7_PS7_S7_ZZZN2at6native31launch_logcumsumexp_cuda_kernelERKNSE_10TensorBaseESI_lENKUlvE_clEvENKUlvE1_clEvEUlS7_S7_E_S7_EEDaPvRmT3_T4_T5_mT6_P12ihipStream_tbENKUlT_T0_E_clISt17integral_constantIbLb1EESZ_EEDaSU_SV_EUlSU_E_NS1_11comp_targetILNS1_3genE10ELNS1_11target_archE1201ELNS1_3gpuE5ELNS1_3repE0EEENS1_30default_config_static_selectorELNS0_4arch9wavefront6targetE0EEEvT1_, .Lfunc_end208-_ZN7rocprim17ROCPRIM_400000_NS6detail17trampoline_kernelINS0_14default_configENS1_20scan_config_selectorIN3c107complexIdEEEEZZNS1_9scan_implILNS1_25lookback_scan_determinismE0ELb0ELb0ES3_PKS7_PS7_S7_ZZZN2at6native31launch_logcumsumexp_cuda_kernelERKNSE_10TensorBaseESI_lENKUlvE_clEvENKUlvE1_clEvEUlS7_S7_E_S7_EEDaPvRmT3_T4_T5_mT6_P12ihipStream_tbENKUlT_T0_E_clISt17integral_constantIbLb1EESZ_EEDaSU_SV_EUlSU_E_NS1_11comp_targetILNS1_3genE10ELNS1_11target_archE1201ELNS1_3gpuE5ELNS1_3repE0EEENS1_30default_config_static_selectorELNS0_4arch9wavefront6targetE0EEEvT1_
                                        ; -- End function
	.set _ZN7rocprim17ROCPRIM_400000_NS6detail17trampoline_kernelINS0_14default_configENS1_20scan_config_selectorIN3c107complexIdEEEEZZNS1_9scan_implILNS1_25lookback_scan_determinismE0ELb0ELb0ES3_PKS7_PS7_S7_ZZZN2at6native31launch_logcumsumexp_cuda_kernelERKNSE_10TensorBaseESI_lENKUlvE_clEvENKUlvE1_clEvEUlS7_S7_E_S7_EEDaPvRmT3_T4_T5_mT6_P12ihipStream_tbENKUlT_T0_E_clISt17integral_constantIbLb1EESZ_EEDaSU_SV_EUlSU_E_NS1_11comp_targetILNS1_3genE10ELNS1_11target_archE1201ELNS1_3gpuE5ELNS1_3repE0EEENS1_30default_config_static_selectorELNS0_4arch9wavefront6targetE0EEEvT1_.num_vgpr, 0
	.set _ZN7rocprim17ROCPRIM_400000_NS6detail17trampoline_kernelINS0_14default_configENS1_20scan_config_selectorIN3c107complexIdEEEEZZNS1_9scan_implILNS1_25lookback_scan_determinismE0ELb0ELb0ES3_PKS7_PS7_S7_ZZZN2at6native31launch_logcumsumexp_cuda_kernelERKNSE_10TensorBaseESI_lENKUlvE_clEvENKUlvE1_clEvEUlS7_S7_E_S7_EEDaPvRmT3_T4_T5_mT6_P12ihipStream_tbENKUlT_T0_E_clISt17integral_constantIbLb1EESZ_EEDaSU_SV_EUlSU_E_NS1_11comp_targetILNS1_3genE10ELNS1_11target_archE1201ELNS1_3gpuE5ELNS1_3repE0EEENS1_30default_config_static_selectorELNS0_4arch9wavefront6targetE0EEEvT1_.num_agpr, 0
	.set _ZN7rocprim17ROCPRIM_400000_NS6detail17trampoline_kernelINS0_14default_configENS1_20scan_config_selectorIN3c107complexIdEEEEZZNS1_9scan_implILNS1_25lookback_scan_determinismE0ELb0ELb0ES3_PKS7_PS7_S7_ZZZN2at6native31launch_logcumsumexp_cuda_kernelERKNSE_10TensorBaseESI_lENKUlvE_clEvENKUlvE1_clEvEUlS7_S7_E_S7_EEDaPvRmT3_T4_T5_mT6_P12ihipStream_tbENKUlT_T0_E_clISt17integral_constantIbLb1EESZ_EEDaSU_SV_EUlSU_E_NS1_11comp_targetILNS1_3genE10ELNS1_11target_archE1201ELNS1_3gpuE5ELNS1_3repE0EEENS1_30default_config_static_selectorELNS0_4arch9wavefront6targetE0EEEvT1_.numbered_sgpr, 0
	.set _ZN7rocprim17ROCPRIM_400000_NS6detail17trampoline_kernelINS0_14default_configENS1_20scan_config_selectorIN3c107complexIdEEEEZZNS1_9scan_implILNS1_25lookback_scan_determinismE0ELb0ELb0ES3_PKS7_PS7_S7_ZZZN2at6native31launch_logcumsumexp_cuda_kernelERKNSE_10TensorBaseESI_lENKUlvE_clEvENKUlvE1_clEvEUlS7_S7_E_S7_EEDaPvRmT3_T4_T5_mT6_P12ihipStream_tbENKUlT_T0_E_clISt17integral_constantIbLb1EESZ_EEDaSU_SV_EUlSU_E_NS1_11comp_targetILNS1_3genE10ELNS1_11target_archE1201ELNS1_3gpuE5ELNS1_3repE0EEENS1_30default_config_static_selectorELNS0_4arch9wavefront6targetE0EEEvT1_.num_named_barrier, 0
	.set _ZN7rocprim17ROCPRIM_400000_NS6detail17trampoline_kernelINS0_14default_configENS1_20scan_config_selectorIN3c107complexIdEEEEZZNS1_9scan_implILNS1_25lookback_scan_determinismE0ELb0ELb0ES3_PKS7_PS7_S7_ZZZN2at6native31launch_logcumsumexp_cuda_kernelERKNSE_10TensorBaseESI_lENKUlvE_clEvENKUlvE1_clEvEUlS7_S7_E_S7_EEDaPvRmT3_T4_T5_mT6_P12ihipStream_tbENKUlT_T0_E_clISt17integral_constantIbLb1EESZ_EEDaSU_SV_EUlSU_E_NS1_11comp_targetILNS1_3genE10ELNS1_11target_archE1201ELNS1_3gpuE5ELNS1_3repE0EEENS1_30default_config_static_selectorELNS0_4arch9wavefront6targetE0EEEvT1_.private_seg_size, 0
	.set _ZN7rocprim17ROCPRIM_400000_NS6detail17trampoline_kernelINS0_14default_configENS1_20scan_config_selectorIN3c107complexIdEEEEZZNS1_9scan_implILNS1_25lookback_scan_determinismE0ELb0ELb0ES3_PKS7_PS7_S7_ZZZN2at6native31launch_logcumsumexp_cuda_kernelERKNSE_10TensorBaseESI_lENKUlvE_clEvENKUlvE1_clEvEUlS7_S7_E_S7_EEDaPvRmT3_T4_T5_mT6_P12ihipStream_tbENKUlT_T0_E_clISt17integral_constantIbLb1EESZ_EEDaSU_SV_EUlSU_E_NS1_11comp_targetILNS1_3genE10ELNS1_11target_archE1201ELNS1_3gpuE5ELNS1_3repE0EEENS1_30default_config_static_selectorELNS0_4arch9wavefront6targetE0EEEvT1_.uses_vcc, 0
	.set _ZN7rocprim17ROCPRIM_400000_NS6detail17trampoline_kernelINS0_14default_configENS1_20scan_config_selectorIN3c107complexIdEEEEZZNS1_9scan_implILNS1_25lookback_scan_determinismE0ELb0ELb0ES3_PKS7_PS7_S7_ZZZN2at6native31launch_logcumsumexp_cuda_kernelERKNSE_10TensorBaseESI_lENKUlvE_clEvENKUlvE1_clEvEUlS7_S7_E_S7_EEDaPvRmT3_T4_T5_mT6_P12ihipStream_tbENKUlT_T0_E_clISt17integral_constantIbLb1EESZ_EEDaSU_SV_EUlSU_E_NS1_11comp_targetILNS1_3genE10ELNS1_11target_archE1201ELNS1_3gpuE5ELNS1_3repE0EEENS1_30default_config_static_selectorELNS0_4arch9wavefront6targetE0EEEvT1_.uses_flat_scratch, 0
	.set _ZN7rocprim17ROCPRIM_400000_NS6detail17trampoline_kernelINS0_14default_configENS1_20scan_config_selectorIN3c107complexIdEEEEZZNS1_9scan_implILNS1_25lookback_scan_determinismE0ELb0ELb0ES3_PKS7_PS7_S7_ZZZN2at6native31launch_logcumsumexp_cuda_kernelERKNSE_10TensorBaseESI_lENKUlvE_clEvENKUlvE1_clEvEUlS7_S7_E_S7_EEDaPvRmT3_T4_T5_mT6_P12ihipStream_tbENKUlT_T0_E_clISt17integral_constantIbLb1EESZ_EEDaSU_SV_EUlSU_E_NS1_11comp_targetILNS1_3genE10ELNS1_11target_archE1201ELNS1_3gpuE5ELNS1_3repE0EEENS1_30default_config_static_selectorELNS0_4arch9wavefront6targetE0EEEvT1_.has_dyn_sized_stack, 0
	.set _ZN7rocprim17ROCPRIM_400000_NS6detail17trampoline_kernelINS0_14default_configENS1_20scan_config_selectorIN3c107complexIdEEEEZZNS1_9scan_implILNS1_25lookback_scan_determinismE0ELb0ELb0ES3_PKS7_PS7_S7_ZZZN2at6native31launch_logcumsumexp_cuda_kernelERKNSE_10TensorBaseESI_lENKUlvE_clEvENKUlvE1_clEvEUlS7_S7_E_S7_EEDaPvRmT3_T4_T5_mT6_P12ihipStream_tbENKUlT_T0_E_clISt17integral_constantIbLb1EESZ_EEDaSU_SV_EUlSU_E_NS1_11comp_targetILNS1_3genE10ELNS1_11target_archE1201ELNS1_3gpuE5ELNS1_3repE0EEENS1_30default_config_static_selectorELNS0_4arch9wavefront6targetE0EEEvT1_.has_recursion, 0
	.set _ZN7rocprim17ROCPRIM_400000_NS6detail17trampoline_kernelINS0_14default_configENS1_20scan_config_selectorIN3c107complexIdEEEEZZNS1_9scan_implILNS1_25lookback_scan_determinismE0ELb0ELb0ES3_PKS7_PS7_S7_ZZZN2at6native31launch_logcumsumexp_cuda_kernelERKNSE_10TensorBaseESI_lENKUlvE_clEvENKUlvE1_clEvEUlS7_S7_E_S7_EEDaPvRmT3_T4_T5_mT6_P12ihipStream_tbENKUlT_T0_E_clISt17integral_constantIbLb1EESZ_EEDaSU_SV_EUlSU_E_NS1_11comp_targetILNS1_3genE10ELNS1_11target_archE1201ELNS1_3gpuE5ELNS1_3repE0EEENS1_30default_config_static_selectorELNS0_4arch9wavefront6targetE0EEEvT1_.has_indirect_call, 0
	.section	.AMDGPU.csdata,"",@progbits
; Kernel info:
; codeLenInByte = 4
; TotalNumSgprs: 0
; NumVgprs: 0
; ScratchSize: 0
; MemoryBound: 0
; FloatMode: 240
; IeeeMode: 1
; LDSByteSize: 0 bytes/workgroup (compile time only)
; SGPRBlocks: 0
; VGPRBlocks: 0
; NumSGPRsForWavesPerEU: 1
; NumVGPRsForWavesPerEU: 1
; Occupancy: 16
; WaveLimiterHint : 0
; COMPUTE_PGM_RSRC2:SCRATCH_EN: 0
; COMPUTE_PGM_RSRC2:USER_SGPR: 2
; COMPUTE_PGM_RSRC2:TRAP_HANDLER: 0
; COMPUTE_PGM_RSRC2:TGID_X_EN: 1
; COMPUTE_PGM_RSRC2:TGID_Y_EN: 0
; COMPUTE_PGM_RSRC2:TGID_Z_EN: 0
; COMPUTE_PGM_RSRC2:TIDIG_COMP_CNT: 0
	.section	.text._ZN7rocprim17ROCPRIM_400000_NS6detail17trampoline_kernelINS0_14default_configENS1_20scan_config_selectorIN3c107complexIdEEEEZZNS1_9scan_implILNS1_25lookback_scan_determinismE0ELb0ELb0ES3_PKS7_PS7_S7_ZZZN2at6native31launch_logcumsumexp_cuda_kernelERKNSE_10TensorBaseESI_lENKUlvE_clEvENKUlvE1_clEvEUlS7_S7_E_S7_EEDaPvRmT3_T4_T5_mT6_P12ihipStream_tbENKUlT_T0_E_clISt17integral_constantIbLb1EESZ_EEDaSU_SV_EUlSU_E_NS1_11comp_targetILNS1_3genE10ELNS1_11target_archE1200ELNS1_3gpuE4ELNS1_3repE0EEENS1_30default_config_static_selectorELNS0_4arch9wavefront6targetE0EEEvT1_,"axG",@progbits,_ZN7rocprim17ROCPRIM_400000_NS6detail17trampoline_kernelINS0_14default_configENS1_20scan_config_selectorIN3c107complexIdEEEEZZNS1_9scan_implILNS1_25lookback_scan_determinismE0ELb0ELb0ES3_PKS7_PS7_S7_ZZZN2at6native31launch_logcumsumexp_cuda_kernelERKNSE_10TensorBaseESI_lENKUlvE_clEvENKUlvE1_clEvEUlS7_S7_E_S7_EEDaPvRmT3_T4_T5_mT6_P12ihipStream_tbENKUlT_T0_E_clISt17integral_constantIbLb1EESZ_EEDaSU_SV_EUlSU_E_NS1_11comp_targetILNS1_3genE10ELNS1_11target_archE1200ELNS1_3gpuE4ELNS1_3repE0EEENS1_30default_config_static_selectorELNS0_4arch9wavefront6targetE0EEEvT1_,comdat
	.globl	_ZN7rocprim17ROCPRIM_400000_NS6detail17trampoline_kernelINS0_14default_configENS1_20scan_config_selectorIN3c107complexIdEEEEZZNS1_9scan_implILNS1_25lookback_scan_determinismE0ELb0ELb0ES3_PKS7_PS7_S7_ZZZN2at6native31launch_logcumsumexp_cuda_kernelERKNSE_10TensorBaseESI_lENKUlvE_clEvENKUlvE1_clEvEUlS7_S7_E_S7_EEDaPvRmT3_T4_T5_mT6_P12ihipStream_tbENKUlT_T0_E_clISt17integral_constantIbLb1EESZ_EEDaSU_SV_EUlSU_E_NS1_11comp_targetILNS1_3genE10ELNS1_11target_archE1200ELNS1_3gpuE4ELNS1_3repE0EEENS1_30default_config_static_selectorELNS0_4arch9wavefront6targetE0EEEvT1_ ; -- Begin function _ZN7rocprim17ROCPRIM_400000_NS6detail17trampoline_kernelINS0_14default_configENS1_20scan_config_selectorIN3c107complexIdEEEEZZNS1_9scan_implILNS1_25lookback_scan_determinismE0ELb0ELb0ES3_PKS7_PS7_S7_ZZZN2at6native31launch_logcumsumexp_cuda_kernelERKNSE_10TensorBaseESI_lENKUlvE_clEvENKUlvE1_clEvEUlS7_S7_E_S7_EEDaPvRmT3_T4_T5_mT6_P12ihipStream_tbENKUlT_T0_E_clISt17integral_constantIbLb1EESZ_EEDaSU_SV_EUlSU_E_NS1_11comp_targetILNS1_3genE10ELNS1_11target_archE1200ELNS1_3gpuE4ELNS1_3repE0EEENS1_30default_config_static_selectorELNS0_4arch9wavefront6targetE0EEEvT1_
	.p2align	8
	.type	_ZN7rocprim17ROCPRIM_400000_NS6detail17trampoline_kernelINS0_14default_configENS1_20scan_config_selectorIN3c107complexIdEEEEZZNS1_9scan_implILNS1_25lookback_scan_determinismE0ELb0ELb0ES3_PKS7_PS7_S7_ZZZN2at6native31launch_logcumsumexp_cuda_kernelERKNSE_10TensorBaseESI_lENKUlvE_clEvENKUlvE1_clEvEUlS7_S7_E_S7_EEDaPvRmT3_T4_T5_mT6_P12ihipStream_tbENKUlT_T0_E_clISt17integral_constantIbLb1EESZ_EEDaSU_SV_EUlSU_E_NS1_11comp_targetILNS1_3genE10ELNS1_11target_archE1200ELNS1_3gpuE4ELNS1_3repE0EEENS1_30default_config_static_selectorELNS0_4arch9wavefront6targetE0EEEvT1_,@function
_ZN7rocprim17ROCPRIM_400000_NS6detail17trampoline_kernelINS0_14default_configENS1_20scan_config_selectorIN3c107complexIdEEEEZZNS1_9scan_implILNS1_25lookback_scan_determinismE0ELb0ELb0ES3_PKS7_PS7_S7_ZZZN2at6native31launch_logcumsumexp_cuda_kernelERKNSE_10TensorBaseESI_lENKUlvE_clEvENKUlvE1_clEvEUlS7_S7_E_S7_EEDaPvRmT3_T4_T5_mT6_P12ihipStream_tbENKUlT_T0_E_clISt17integral_constantIbLb1EESZ_EEDaSU_SV_EUlSU_E_NS1_11comp_targetILNS1_3genE10ELNS1_11target_archE1200ELNS1_3gpuE4ELNS1_3repE0EEENS1_30default_config_static_selectorELNS0_4arch9wavefront6targetE0EEEvT1_: ; @_ZN7rocprim17ROCPRIM_400000_NS6detail17trampoline_kernelINS0_14default_configENS1_20scan_config_selectorIN3c107complexIdEEEEZZNS1_9scan_implILNS1_25lookback_scan_determinismE0ELb0ELb0ES3_PKS7_PS7_S7_ZZZN2at6native31launch_logcumsumexp_cuda_kernelERKNSE_10TensorBaseESI_lENKUlvE_clEvENKUlvE1_clEvEUlS7_S7_E_S7_EEDaPvRmT3_T4_T5_mT6_P12ihipStream_tbENKUlT_T0_E_clISt17integral_constantIbLb1EESZ_EEDaSU_SV_EUlSU_E_NS1_11comp_targetILNS1_3genE10ELNS1_11target_archE1200ELNS1_3gpuE4ELNS1_3repE0EEENS1_30default_config_static_selectorELNS0_4arch9wavefront6targetE0EEEvT1_
; %bb.0:
	.section	.rodata,"a",@progbits
	.p2align	6, 0x0
	.amdhsa_kernel _ZN7rocprim17ROCPRIM_400000_NS6detail17trampoline_kernelINS0_14default_configENS1_20scan_config_selectorIN3c107complexIdEEEEZZNS1_9scan_implILNS1_25lookback_scan_determinismE0ELb0ELb0ES3_PKS7_PS7_S7_ZZZN2at6native31launch_logcumsumexp_cuda_kernelERKNSE_10TensorBaseESI_lENKUlvE_clEvENKUlvE1_clEvEUlS7_S7_E_S7_EEDaPvRmT3_T4_T5_mT6_P12ihipStream_tbENKUlT_T0_E_clISt17integral_constantIbLb1EESZ_EEDaSU_SV_EUlSU_E_NS1_11comp_targetILNS1_3genE10ELNS1_11target_archE1200ELNS1_3gpuE4ELNS1_3repE0EEENS1_30default_config_static_selectorELNS0_4arch9wavefront6targetE0EEEvT1_
		.amdhsa_group_segment_fixed_size 0
		.amdhsa_private_segment_fixed_size 0
		.amdhsa_kernarg_size 128
		.amdhsa_user_sgpr_count 2
		.amdhsa_user_sgpr_dispatch_ptr 0
		.amdhsa_user_sgpr_queue_ptr 0
		.amdhsa_user_sgpr_kernarg_segment_ptr 1
		.amdhsa_user_sgpr_dispatch_id 0
		.amdhsa_user_sgpr_private_segment_size 0
		.amdhsa_wavefront_size32 1
		.amdhsa_uses_dynamic_stack 0
		.amdhsa_enable_private_segment 0
		.amdhsa_system_sgpr_workgroup_id_x 1
		.amdhsa_system_sgpr_workgroup_id_y 0
		.amdhsa_system_sgpr_workgroup_id_z 0
		.amdhsa_system_sgpr_workgroup_info 0
		.amdhsa_system_vgpr_workitem_id 0
		.amdhsa_next_free_vgpr 1
		.amdhsa_next_free_sgpr 1
		.amdhsa_reserve_vcc 0
		.amdhsa_float_round_mode_32 0
		.amdhsa_float_round_mode_16_64 0
		.amdhsa_float_denorm_mode_32 3
		.amdhsa_float_denorm_mode_16_64 3
		.amdhsa_fp16_overflow 0
		.amdhsa_workgroup_processor_mode 1
		.amdhsa_memory_ordered 1
		.amdhsa_forward_progress 1
		.amdhsa_inst_pref_size 0
		.amdhsa_round_robin_scheduling 0
		.amdhsa_exception_fp_ieee_invalid_op 0
		.amdhsa_exception_fp_denorm_src 0
		.amdhsa_exception_fp_ieee_div_zero 0
		.amdhsa_exception_fp_ieee_overflow 0
		.amdhsa_exception_fp_ieee_underflow 0
		.amdhsa_exception_fp_ieee_inexact 0
		.amdhsa_exception_int_div_zero 0
	.end_amdhsa_kernel
	.section	.text._ZN7rocprim17ROCPRIM_400000_NS6detail17trampoline_kernelINS0_14default_configENS1_20scan_config_selectorIN3c107complexIdEEEEZZNS1_9scan_implILNS1_25lookback_scan_determinismE0ELb0ELb0ES3_PKS7_PS7_S7_ZZZN2at6native31launch_logcumsumexp_cuda_kernelERKNSE_10TensorBaseESI_lENKUlvE_clEvENKUlvE1_clEvEUlS7_S7_E_S7_EEDaPvRmT3_T4_T5_mT6_P12ihipStream_tbENKUlT_T0_E_clISt17integral_constantIbLb1EESZ_EEDaSU_SV_EUlSU_E_NS1_11comp_targetILNS1_3genE10ELNS1_11target_archE1200ELNS1_3gpuE4ELNS1_3repE0EEENS1_30default_config_static_selectorELNS0_4arch9wavefront6targetE0EEEvT1_,"axG",@progbits,_ZN7rocprim17ROCPRIM_400000_NS6detail17trampoline_kernelINS0_14default_configENS1_20scan_config_selectorIN3c107complexIdEEEEZZNS1_9scan_implILNS1_25lookback_scan_determinismE0ELb0ELb0ES3_PKS7_PS7_S7_ZZZN2at6native31launch_logcumsumexp_cuda_kernelERKNSE_10TensorBaseESI_lENKUlvE_clEvENKUlvE1_clEvEUlS7_S7_E_S7_EEDaPvRmT3_T4_T5_mT6_P12ihipStream_tbENKUlT_T0_E_clISt17integral_constantIbLb1EESZ_EEDaSU_SV_EUlSU_E_NS1_11comp_targetILNS1_3genE10ELNS1_11target_archE1200ELNS1_3gpuE4ELNS1_3repE0EEENS1_30default_config_static_selectorELNS0_4arch9wavefront6targetE0EEEvT1_,comdat
.Lfunc_end209:
	.size	_ZN7rocprim17ROCPRIM_400000_NS6detail17trampoline_kernelINS0_14default_configENS1_20scan_config_selectorIN3c107complexIdEEEEZZNS1_9scan_implILNS1_25lookback_scan_determinismE0ELb0ELb0ES3_PKS7_PS7_S7_ZZZN2at6native31launch_logcumsumexp_cuda_kernelERKNSE_10TensorBaseESI_lENKUlvE_clEvENKUlvE1_clEvEUlS7_S7_E_S7_EEDaPvRmT3_T4_T5_mT6_P12ihipStream_tbENKUlT_T0_E_clISt17integral_constantIbLb1EESZ_EEDaSU_SV_EUlSU_E_NS1_11comp_targetILNS1_3genE10ELNS1_11target_archE1200ELNS1_3gpuE4ELNS1_3repE0EEENS1_30default_config_static_selectorELNS0_4arch9wavefront6targetE0EEEvT1_, .Lfunc_end209-_ZN7rocprim17ROCPRIM_400000_NS6detail17trampoline_kernelINS0_14default_configENS1_20scan_config_selectorIN3c107complexIdEEEEZZNS1_9scan_implILNS1_25lookback_scan_determinismE0ELb0ELb0ES3_PKS7_PS7_S7_ZZZN2at6native31launch_logcumsumexp_cuda_kernelERKNSE_10TensorBaseESI_lENKUlvE_clEvENKUlvE1_clEvEUlS7_S7_E_S7_EEDaPvRmT3_T4_T5_mT6_P12ihipStream_tbENKUlT_T0_E_clISt17integral_constantIbLb1EESZ_EEDaSU_SV_EUlSU_E_NS1_11comp_targetILNS1_3genE10ELNS1_11target_archE1200ELNS1_3gpuE4ELNS1_3repE0EEENS1_30default_config_static_selectorELNS0_4arch9wavefront6targetE0EEEvT1_
                                        ; -- End function
	.set _ZN7rocprim17ROCPRIM_400000_NS6detail17trampoline_kernelINS0_14default_configENS1_20scan_config_selectorIN3c107complexIdEEEEZZNS1_9scan_implILNS1_25lookback_scan_determinismE0ELb0ELb0ES3_PKS7_PS7_S7_ZZZN2at6native31launch_logcumsumexp_cuda_kernelERKNSE_10TensorBaseESI_lENKUlvE_clEvENKUlvE1_clEvEUlS7_S7_E_S7_EEDaPvRmT3_T4_T5_mT6_P12ihipStream_tbENKUlT_T0_E_clISt17integral_constantIbLb1EESZ_EEDaSU_SV_EUlSU_E_NS1_11comp_targetILNS1_3genE10ELNS1_11target_archE1200ELNS1_3gpuE4ELNS1_3repE0EEENS1_30default_config_static_selectorELNS0_4arch9wavefront6targetE0EEEvT1_.num_vgpr, 0
	.set _ZN7rocprim17ROCPRIM_400000_NS6detail17trampoline_kernelINS0_14default_configENS1_20scan_config_selectorIN3c107complexIdEEEEZZNS1_9scan_implILNS1_25lookback_scan_determinismE0ELb0ELb0ES3_PKS7_PS7_S7_ZZZN2at6native31launch_logcumsumexp_cuda_kernelERKNSE_10TensorBaseESI_lENKUlvE_clEvENKUlvE1_clEvEUlS7_S7_E_S7_EEDaPvRmT3_T4_T5_mT6_P12ihipStream_tbENKUlT_T0_E_clISt17integral_constantIbLb1EESZ_EEDaSU_SV_EUlSU_E_NS1_11comp_targetILNS1_3genE10ELNS1_11target_archE1200ELNS1_3gpuE4ELNS1_3repE0EEENS1_30default_config_static_selectorELNS0_4arch9wavefront6targetE0EEEvT1_.num_agpr, 0
	.set _ZN7rocprim17ROCPRIM_400000_NS6detail17trampoline_kernelINS0_14default_configENS1_20scan_config_selectorIN3c107complexIdEEEEZZNS1_9scan_implILNS1_25lookback_scan_determinismE0ELb0ELb0ES3_PKS7_PS7_S7_ZZZN2at6native31launch_logcumsumexp_cuda_kernelERKNSE_10TensorBaseESI_lENKUlvE_clEvENKUlvE1_clEvEUlS7_S7_E_S7_EEDaPvRmT3_T4_T5_mT6_P12ihipStream_tbENKUlT_T0_E_clISt17integral_constantIbLb1EESZ_EEDaSU_SV_EUlSU_E_NS1_11comp_targetILNS1_3genE10ELNS1_11target_archE1200ELNS1_3gpuE4ELNS1_3repE0EEENS1_30default_config_static_selectorELNS0_4arch9wavefront6targetE0EEEvT1_.numbered_sgpr, 0
	.set _ZN7rocprim17ROCPRIM_400000_NS6detail17trampoline_kernelINS0_14default_configENS1_20scan_config_selectorIN3c107complexIdEEEEZZNS1_9scan_implILNS1_25lookback_scan_determinismE0ELb0ELb0ES3_PKS7_PS7_S7_ZZZN2at6native31launch_logcumsumexp_cuda_kernelERKNSE_10TensorBaseESI_lENKUlvE_clEvENKUlvE1_clEvEUlS7_S7_E_S7_EEDaPvRmT3_T4_T5_mT6_P12ihipStream_tbENKUlT_T0_E_clISt17integral_constantIbLb1EESZ_EEDaSU_SV_EUlSU_E_NS1_11comp_targetILNS1_3genE10ELNS1_11target_archE1200ELNS1_3gpuE4ELNS1_3repE0EEENS1_30default_config_static_selectorELNS0_4arch9wavefront6targetE0EEEvT1_.num_named_barrier, 0
	.set _ZN7rocprim17ROCPRIM_400000_NS6detail17trampoline_kernelINS0_14default_configENS1_20scan_config_selectorIN3c107complexIdEEEEZZNS1_9scan_implILNS1_25lookback_scan_determinismE0ELb0ELb0ES3_PKS7_PS7_S7_ZZZN2at6native31launch_logcumsumexp_cuda_kernelERKNSE_10TensorBaseESI_lENKUlvE_clEvENKUlvE1_clEvEUlS7_S7_E_S7_EEDaPvRmT3_T4_T5_mT6_P12ihipStream_tbENKUlT_T0_E_clISt17integral_constantIbLb1EESZ_EEDaSU_SV_EUlSU_E_NS1_11comp_targetILNS1_3genE10ELNS1_11target_archE1200ELNS1_3gpuE4ELNS1_3repE0EEENS1_30default_config_static_selectorELNS0_4arch9wavefront6targetE0EEEvT1_.private_seg_size, 0
	.set _ZN7rocprim17ROCPRIM_400000_NS6detail17trampoline_kernelINS0_14default_configENS1_20scan_config_selectorIN3c107complexIdEEEEZZNS1_9scan_implILNS1_25lookback_scan_determinismE0ELb0ELb0ES3_PKS7_PS7_S7_ZZZN2at6native31launch_logcumsumexp_cuda_kernelERKNSE_10TensorBaseESI_lENKUlvE_clEvENKUlvE1_clEvEUlS7_S7_E_S7_EEDaPvRmT3_T4_T5_mT6_P12ihipStream_tbENKUlT_T0_E_clISt17integral_constantIbLb1EESZ_EEDaSU_SV_EUlSU_E_NS1_11comp_targetILNS1_3genE10ELNS1_11target_archE1200ELNS1_3gpuE4ELNS1_3repE0EEENS1_30default_config_static_selectorELNS0_4arch9wavefront6targetE0EEEvT1_.uses_vcc, 0
	.set _ZN7rocprim17ROCPRIM_400000_NS6detail17trampoline_kernelINS0_14default_configENS1_20scan_config_selectorIN3c107complexIdEEEEZZNS1_9scan_implILNS1_25lookback_scan_determinismE0ELb0ELb0ES3_PKS7_PS7_S7_ZZZN2at6native31launch_logcumsumexp_cuda_kernelERKNSE_10TensorBaseESI_lENKUlvE_clEvENKUlvE1_clEvEUlS7_S7_E_S7_EEDaPvRmT3_T4_T5_mT6_P12ihipStream_tbENKUlT_T0_E_clISt17integral_constantIbLb1EESZ_EEDaSU_SV_EUlSU_E_NS1_11comp_targetILNS1_3genE10ELNS1_11target_archE1200ELNS1_3gpuE4ELNS1_3repE0EEENS1_30default_config_static_selectorELNS0_4arch9wavefront6targetE0EEEvT1_.uses_flat_scratch, 0
	.set _ZN7rocprim17ROCPRIM_400000_NS6detail17trampoline_kernelINS0_14default_configENS1_20scan_config_selectorIN3c107complexIdEEEEZZNS1_9scan_implILNS1_25lookback_scan_determinismE0ELb0ELb0ES3_PKS7_PS7_S7_ZZZN2at6native31launch_logcumsumexp_cuda_kernelERKNSE_10TensorBaseESI_lENKUlvE_clEvENKUlvE1_clEvEUlS7_S7_E_S7_EEDaPvRmT3_T4_T5_mT6_P12ihipStream_tbENKUlT_T0_E_clISt17integral_constantIbLb1EESZ_EEDaSU_SV_EUlSU_E_NS1_11comp_targetILNS1_3genE10ELNS1_11target_archE1200ELNS1_3gpuE4ELNS1_3repE0EEENS1_30default_config_static_selectorELNS0_4arch9wavefront6targetE0EEEvT1_.has_dyn_sized_stack, 0
	.set _ZN7rocprim17ROCPRIM_400000_NS6detail17trampoline_kernelINS0_14default_configENS1_20scan_config_selectorIN3c107complexIdEEEEZZNS1_9scan_implILNS1_25lookback_scan_determinismE0ELb0ELb0ES3_PKS7_PS7_S7_ZZZN2at6native31launch_logcumsumexp_cuda_kernelERKNSE_10TensorBaseESI_lENKUlvE_clEvENKUlvE1_clEvEUlS7_S7_E_S7_EEDaPvRmT3_T4_T5_mT6_P12ihipStream_tbENKUlT_T0_E_clISt17integral_constantIbLb1EESZ_EEDaSU_SV_EUlSU_E_NS1_11comp_targetILNS1_3genE10ELNS1_11target_archE1200ELNS1_3gpuE4ELNS1_3repE0EEENS1_30default_config_static_selectorELNS0_4arch9wavefront6targetE0EEEvT1_.has_recursion, 0
	.set _ZN7rocprim17ROCPRIM_400000_NS6detail17trampoline_kernelINS0_14default_configENS1_20scan_config_selectorIN3c107complexIdEEEEZZNS1_9scan_implILNS1_25lookback_scan_determinismE0ELb0ELb0ES3_PKS7_PS7_S7_ZZZN2at6native31launch_logcumsumexp_cuda_kernelERKNSE_10TensorBaseESI_lENKUlvE_clEvENKUlvE1_clEvEUlS7_S7_E_S7_EEDaPvRmT3_T4_T5_mT6_P12ihipStream_tbENKUlT_T0_E_clISt17integral_constantIbLb1EESZ_EEDaSU_SV_EUlSU_E_NS1_11comp_targetILNS1_3genE10ELNS1_11target_archE1200ELNS1_3gpuE4ELNS1_3repE0EEENS1_30default_config_static_selectorELNS0_4arch9wavefront6targetE0EEEvT1_.has_indirect_call, 0
	.section	.AMDGPU.csdata,"",@progbits
; Kernel info:
; codeLenInByte = 0
; TotalNumSgprs: 0
; NumVgprs: 0
; ScratchSize: 0
; MemoryBound: 0
; FloatMode: 240
; IeeeMode: 1
; LDSByteSize: 0 bytes/workgroup (compile time only)
; SGPRBlocks: 0
; VGPRBlocks: 0
; NumSGPRsForWavesPerEU: 1
; NumVGPRsForWavesPerEU: 1
; Occupancy: 16
; WaveLimiterHint : 0
; COMPUTE_PGM_RSRC2:SCRATCH_EN: 0
; COMPUTE_PGM_RSRC2:USER_SGPR: 2
; COMPUTE_PGM_RSRC2:TRAP_HANDLER: 0
; COMPUTE_PGM_RSRC2:TGID_X_EN: 1
; COMPUTE_PGM_RSRC2:TGID_Y_EN: 0
; COMPUTE_PGM_RSRC2:TGID_Z_EN: 0
; COMPUTE_PGM_RSRC2:TIDIG_COMP_CNT: 0
	.section	.text._ZN7rocprim17ROCPRIM_400000_NS6detail17trampoline_kernelINS0_14default_configENS1_20scan_config_selectorIN3c107complexIdEEEEZZNS1_9scan_implILNS1_25lookback_scan_determinismE0ELb0ELb0ES3_PKS7_PS7_S7_ZZZN2at6native31launch_logcumsumexp_cuda_kernelERKNSE_10TensorBaseESI_lENKUlvE_clEvENKUlvE1_clEvEUlS7_S7_E_S7_EEDaPvRmT3_T4_T5_mT6_P12ihipStream_tbENKUlT_T0_E_clISt17integral_constantIbLb1EESZ_EEDaSU_SV_EUlSU_E_NS1_11comp_targetILNS1_3genE9ELNS1_11target_archE1100ELNS1_3gpuE3ELNS1_3repE0EEENS1_30default_config_static_selectorELNS0_4arch9wavefront6targetE0EEEvT1_,"axG",@progbits,_ZN7rocprim17ROCPRIM_400000_NS6detail17trampoline_kernelINS0_14default_configENS1_20scan_config_selectorIN3c107complexIdEEEEZZNS1_9scan_implILNS1_25lookback_scan_determinismE0ELb0ELb0ES3_PKS7_PS7_S7_ZZZN2at6native31launch_logcumsumexp_cuda_kernelERKNSE_10TensorBaseESI_lENKUlvE_clEvENKUlvE1_clEvEUlS7_S7_E_S7_EEDaPvRmT3_T4_T5_mT6_P12ihipStream_tbENKUlT_T0_E_clISt17integral_constantIbLb1EESZ_EEDaSU_SV_EUlSU_E_NS1_11comp_targetILNS1_3genE9ELNS1_11target_archE1100ELNS1_3gpuE3ELNS1_3repE0EEENS1_30default_config_static_selectorELNS0_4arch9wavefront6targetE0EEEvT1_,comdat
	.globl	_ZN7rocprim17ROCPRIM_400000_NS6detail17trampoline_kernelINS0_14default_configENS1_20scan_config_selectorIN3c107complexIdEEEEZZNS1_9scan_implILNS1_25lookback_scan_determinismE0ELb0ELb0ES3_PKS7_PS7_S7_ZZZN2at6native31launch_logcumsumexp_cuda_kernelERKNSE_10TensorBaseESI_lENKUlvE_clEvENKUlvE1_clEvEUlS7_S7_E_S7_EEDaPvRmT3_T4_T5_mT6_P12ihipStream_tbENKUlT_T0_E_clISt17integral_constantIbLb1EESZ_EEDaSU_SV_EUlSU_E_NS1_11comp_targetILNS1_3genE9ELNS1_11target_archE1100ELNS1_3gpuE3ELNS1_3repE0EEENS1_30default_config_static_selectorELNS0_4arch9wavefront6targetE0EEEvT1_ ; -- Begin function _ZN7rocprim17ROCPRIM_400000_NS6detail17trampoline_kernelINS0_14default_configENS1_20scan_config_selectorIN3c107complexIdEEEEZZNS1_9scan_implILNS1_25lookback_scan_determinismE0ELb0ELb0ES3_PKS7_PS7_S7_ZZZN2at6native31launch_logcumsumexp_cuda_kernelERKNSE_10TensorBaseESI_lENKUlvE_clEvENKUlvE1_clEvEUlS7_S7_E_S7_EEDaPvRmT3_T4_T5_mT6_P12ihipStream_tbENKUlT_T0_E_clISt17integral_constantIbLb1EESZ_EEDaSU_SV_EUlSU_E_NS1_11comp_targetILNS1_3genE9ELNS1_11target_archE1100ELNS1_3gpuE3ELNS1_3repE0EEENS1_30default_config_static_selectorELNS0_4arch9wavefront6targetE0EEEvT1_
	.p2align	8
	.type	_ZN7rocprim17ROCPRIM_400000_NS6detail17trampoline_kernelINS0_14default_configENS1_20scan_config_selectorIN3c107complexIdEEEEZZNS1_9scan_implILNS1_25lookback_scan_determinismE0ELb0ELb0ES3_PKS7_PS7_S7_ZZZN2at6native31launch_logcumsumexp_cuda_kernelERKNSE_10TensorBaseESI_lENKUlvE_clEvENKUlvE1_clEvEUlS7_S7_E_S7_EEDaPvRmT3_T4_T5_mT6_P12ihipStream_tbENKUlT_T0_E_clISt17integral_constantIbLb1EESZ_EEDaSU_SV_EUlSU_E_NS1_11comp_targetILNS1_3genE9ELNS1_11target_archE1100ELNS1_3gpuE3ELNS1_3repE0EEENS1_30default_config_static_selectorELNS0_4arch9wavefront6targetE0EEEvT1_,@function
_ZN7rocprim17ROCPRIM_400000_NS6detail17trampoline_kernelINS0_14default_configENS1_20scan_config_selectorIN3c107complexIdEEEEZZNS1_9scan_implILNS1_25lookback_scan_determinismE0ELb0ELb0ES3_PKS7_PS7_S7_ZZZN2at6native31launch_logcumsumexp_cuda_kernelERKNSE_10TensorBaseESI_lENKUlvE_clEvENKUlvE1_clEvEUlS7_S7_E_S7_EEDaPvRmT3_T4_T5_mT6_P12ihipStream_tbENKUlT_T0_E_clISt17integral_constantIbLb1EESZ_EEDaSU_SV_EUlSU_E_NS1_11comp_targetILNS1_3genE9ELNS1_11target_archE1100ELNS1_3gpuE3ELNS1_3repE0EEENS1_30default_config_static_selectorELNS0_4arch9wavefront6targetE0EEEvT1_: ; @_ZN7rocprim17ROCPRIM_400000_NS6detail17trampoline_kernelINS0_14default_configENS1_20scan_config_selectorIN3c107complexIdEEEEZZNS1_9scan_implILNS1_25lookback_scan_determinismE0ELb0ELb0ES3_PKS7_PS7_S7_ZZZN2at6native31launch_logcumsumexp_cuda_kernelERKNSE_10TensorBaseESI_lENKUlvE_clEvENKUlvE1_clEvEUlS7_S7_E_S7_EEDaPvRmT3_T4_T5_mT6_P12ihipStream_tbENKUlT_T0_E_clISt17integral_constantIbLb1EESZ_EEDaSU_SV_EUlSU_E_NS1_11comp_targetILNS1_3genE9ELNS1_11target_archE1100ELNS1_3gpuE3ELNS1_3repE0EEENS1_30default_config_static_selectorELNS0_4arch9wavefront6targetE0EEEvT1_
; %bb.0:
	.section	.rodata,"a",@progbits
	.p2align	6, 0x0
	.amdhsa_kernel _ZN7rocprim17ROCPRIM_400000_NS6detail17trampoline_kernelINS0_14default_configENS1_20scan_config_selectorIN3c107complexIdEEEEZZNS1_9scan_implILNS1_25lookback_scan_determinismE0ELb0ELb0ES3_PKS7_PS7_S7_ZZZN2at6native31launch_logcumsumexp_cuda_kernelERKNSE_10TensorBaseESI_lENKUlvE_clEvENKUlvE1_clEvEUlS7_S7_E_S7_EEDaPvRmT3_T4_T5_mT6_P12ihipStream_tbENKUlT_T0_E_clISt17integral_constantIbLb1EESZ_EEDaSU_SV_EUlSU_E_NS1_11comp_targetILNS1_3genE9ELNS1_11target_archE1100ELNS1_3gpuE3ELNS1_3repE0EEENS1_30default_config_static_selectorELNS0_4arch9wavefront6targetE0EEEvT1_
		.amdhsa_group_segment_fixed_size 0
		.amdhsa_private_segment_fixed_size 0
		.amdhsa_kernarg_size 128
		.amdhsa_user_sgpr_count 2
		.amdhsa_user_sgpr_dispatch_ptr 0
		.amdhsa_user_sgpr_queue_ptr 0
		.amdhsa_user_sgpr_kernarg_segment_ptr 1
		.amdhsa_user_sgpr_dispatch_id 0
		.amdhsa_user_sgpr_private_segment_size 0
		.amdhsa_wavefront_size32 1
		.amdhsa_uses_dynamic_stack 0
		.amdhsa_enable_private_segment 0
		.amdhsa_system_sgpr_workgroup_id_x 1
		.amdhsa_system_sgpr_workgroup_id_y 0
		.amdhsa_system_sgpr_workgroup_id_z 0
		.amdhsa_system_sgpr_workgroup_info 0
		.amdhsa_system_vgpr_workitem_id 0
		.amdhsa_next_free_vgpr 1
		.amdhsa_next_free_sgpr 1
		.amdhsa_reserve_vcc 0
		.amdhsa_float_round_mode_32 0
		.amdhsa_float_round_mode_16_64 0
		.amdhsa_float_denorm_mode_32 3
		.amdhsa_float_denorm_mode_16_64 3
		.amdhsa_fp16_overflow 0
		.amdhsa_workgroup_processor_mode 1
		.amdhsa_memory_ordered 1
		.amdhsa_forward_progress 1
		.amdhsa_inst_pref_size 0
		.amdhsa_round_robin_scheduling 0
		.amdhsa_exception_fp_ieee_invalid_op 0
		.amdhsa_exception_fp_denorm_src 0
		.amdhsa_exception_fp_ieee_div_zero 0
		.amdhsa_exception_fp_ieee_overflow 0
		.amdhsa_exception_fp_ieee_underflow 0
		.amdhsa_exception_fp_ieee_inexact 0
		.amdhsa_exception_int_div_zero 0
	.end_amdhsa_kernel
	.section	.text._ZN7rocprim17ROCPRIM_400000_NS6detail17trampoline_kernelINS0_14default_configENS1_20scan_config_selectorIN3c107complexIdEEEEZZNS1_9scan_implILNS1_25lookback_scan_determinismE0ELb0ELb0ES3_PKS7_PS7_S7_ZZZN2at6native31launch_logcumsumexp_cuda_kernelERKNSE_10TensorBaseESI_lENKUlvE_clEvENKUlvE1_clEvEUlS7_S7_E_S7_EEDaPvRmT3_T4_T5_mT6_P12ihipStream_tbENKUlT_T0_E_clISt17integral_constantIbLb1EESZ_EEDaSU_SV_EUlSU_E_NS1_11comp_targetILNS1_3genE9ELNS1_11target_archE1100ELNS1_3gpuE3ELNS1_3repE0EEENS1_30default_config_static_selectorELNS0_4arch9wavefront6targetE0EEEvT1_,"axG",@progbits,_ZN7rocprim17ROCPRIM_400000_NS6detail17trampoline_kernelINS0_14default_configENS1_20scan_config_selectorIN3c107complexIdEEEEZZNS1_9scan_implILNS1_25lookback_scan_determinismE0ELb0ELb0ES3_PKS7_PS7_S7_ZZZN2at6native31launch_logcumsumexp_cuda_kernelERKNSE_10TensorBaseESI_lENKUlvE_clEvENKUlvE1_clEvEUlS7_S7_E_S7_EEDaPvRmT3_T4_T5_mT6_P12ihipStream_tbENKUlT_T0_E_clISt17integral_constantIbLb1EESZ_EEDaSU_SV_EUlSU_E_NS1_11comp_targetILNS1_3genE9ELNS1_11target_archE1100ELNS1_3gpuE3ELNS1_3repE0EEENS1_30default_config_static_selectorELNS0_4arch9wavefront6targetE0EEEvT1_,comdat
.Lfunc_end210:
	.size	_ZN7rocprim17ROCPRIM_400000_NS6detail17trampoline_kernelINS0_14default_configENS1_20scan_config_selectorIN3c107complexIdEEEEZZNS1_9scan_implILNS1_25lookback_scan_determinismE0ELb0ELb0ES3_PKS7_PS7_S7_ZZZN2at6native31launch_logcumsumexp_cuda_kernelERKNSE_10TensorBaseESI_lENKUlvE_clEvENKUlvE1_clEvEUlS7_S7_E_S7_EEDaPvRmT3_T4_T5_mT6_P12ihipStream_tbENKUlT_T0_E_clISt17integral_constantIbLb1EESZ_EEDaSU_SV_EUlSU_E_NS1_11comp_targetILNS1_3genE9ELNS1_11target_archE1100ELNS1_3gpuE3ELNS1_3repE0EEENS1_30default_config_static_selectorELNS0_4arch9wavefront6targetE0EEEvT1_, .Lfunc_end210-_ZN7rocprim17ROCPRIM_400000_NS6detail17trampoline_kernelINS0_14default_configENS1_20scan_config_selectorIN3c107complexIdEEEEZZNS1_9scan_implILNS1_25lookback_scan_determinismE0ELb0ELb0ES3_PKS7_PS7_S7_ZZZN2at6native31launch_logcumsumexp_cuda_kernelERKNSE_10TensorBaseESI_lENKUlvE_clEvENKUlvE1_clEvEUlS7_S7_E_S7_EEDaPvRmT3_T4_T5_mT6_P12ihipStream_tbENKUlT_T0_E_clISt17integral_constantIbLb1EESZ_EEDaSU_SV_EUlSU_E_NS1_11comp_targetILNS1_3genE9ELNS1_11target_archE1100ELNS1_3gpuE3ELNS1_3repE0EEENS1_30default_config_static_selectorELNS0_4arch9wavefront6targetE0EEEvT1_
                                        ; -- End function
	.set _ZN7rocprim17ROCPRIM_400000_NS6detail17trampoline_kernelINS0_14default_configENS1_20scan_config_selectorIN3c107complexIdEEEEZZNS1_9scan_implILNS1_25lookback_scan_determinismE0ELb0ELb0ES3_PKS7_PS7_S7_ZZZN2at6native31launch_logcumsumexp_cuda_kernelERKNSE_10TensorBaseESI_lENKUlvE_clEvENKUlvE1_clEvEUlS7_S7_E_S7_EEDaPvRmT3_T4_T5_mT6_P12ihipStream_tbENKUlT_T0_E_clISt17integral_constantIbLb1EESZ_EEDaSU_SV_EUlSU_E_NS1_11comp_targetILNS1_3genE9ELNS1_11target_archE1100ELNS1_3gpuE3ELNS1_3repE0EEENS1_30default_config_static_selectorELNS0_4arch9wavefront6targetE0EEEvT1_.num_vgpr, 0
	.set _ZN7rocprim17ROCPRIM_400000_NS6detail17trampoline_kernelINS0_14default_configENS1_20scan_config_selectorIN3c107complexIdEEEEZZNS1_9scan_implILNS1_25lookback_scan_determinismE0ELb0ELb0ES3_PKS7_PS7_S7_ZZZN2at6native31launch_logcumsumexp_cuda_kernelERKNSE_10TensorBaseESI_lENKUlvE_clEvENKUlvE1_clEvEUlS7_S7_E_S7_EEDaPvRmT3_T4_T5_mT6_P12ihipStream_tbENKUlT_T0_E_clISt17integral_constantIbLb1EESZ_EEDaSU_SV_EUlSU_E_NS1_11comp_targetILNS1_3genE9ELNS1_11target_archE1100ELNS1_3gpuE3ELNS1_3repE0EEENS1_30default_config_static_selectorELNS0_4arch9wavefront6targetE0EEEvT1_.num_agpr, 0
	.set _ZN7rocprim17ROCPRIM_400000_NS6detail17trampoline_kernelINS0_14default_configENS1_20scan_config_selectorIN3c107complexIdEEEEZZNS1_9scan_implILNS1_25lookback_scan_determinismE0ELb0ELb0ES3_PKS7_PS7_S7_ZZZN2at6native31launch_logcumsumexp_cuda_kernelERKNSE_10TensorBaseESI_lENKUlvE_clEvENKUlvE1_clEvEUlS7_S7_E_S7_EEDaPvRmT3_T4_T5_mT6_P12ihipStream_tbENKUlT_T0_E_clISt17integral_constantIbLb1EESZ_EEDaSU_SV_EUlSU_E_NS1_11comp_targetILNS1_3genE9ELNS1_11target_archE1100ELNS1_3gpuE3ELNS1_3repE0EEENS1_30default_config_static_selectorELNS0_4arch9wavefront6targetE0EEEvT1_.numbered_sgpr, 0
	.set _ZN7rocprim17ROCPRIM_400000_NS6detail17trampoline_kernelINS0_14default_configENS1_20scan_config_selectorIN3c107complexIdEEEEZZNS1_9scan_implILNS1_25lookback_scan_determinismE0ELb0ELb0ES3_PKS7_PS7_S7_ZZZN2at6native31launch_logcumsumexp_cuda_kernelERKNSE_10TensorBaseESI_lENKUlvE_clEvENKUlvE1_clEvEUlS7_S7_E_S7_EEDaPvRmT3_T4_T5_mT6_P12ihipStream_tbENKUlT_T0_E_clISt17integral_constantIbLb1EESZ_EEDaSU_SV_EUlSU_E_NS1_11comp_targetILNS1_3genE9ELNS1_11target_archE1100ELNS1_3gpuE3ELNS1_3repE0EEENS1_30default_config_static_selectorELNS0_4arch9wavefront6targetE0EEEvT1_.num_named_barrier, 0
	.set _ZN7rocprim17ROCPRIM_400000_NS6detail17trampoline_kernelINS0_14default_configENS1_20scan_config_selectorIN3c107complexIdEEEEZZNS1_9scan_implILNS1_25lookback_scan_determinismE0ELb0ELb0ES3_PKS7_PS7_S7_ZZZN2at6native31launch_logcumsumexp_cuda_kernelERKNSE_10TensorBaseESI_lENKUlvE_clEvENKUlvE1_clEvEUlS7_S7_E_S7_EEDaPvRmT3_T4_T5_mT6_P12ihipStream_tbENKUlT_T0_E_clISt17integral_constantIbLb1EESZ_EEDaSU_SV_EUlSU_E_NS1_11comp_targetILNS1_3genE9ELNS1_11target_archE1100ELNS1_3gpuE3ELNS1_3repE0EEENS1_30default_config_static_selectorELNS0_4arch9wavefront6targetE0EEEvT1_.private_seg_size, 0
	.set _ZN7rocprim17ROCPRIM_400000_NS6detail17trampoline_kernelINS0_14default_configENS1_20scan_config_selectorIN3c107complexIdEEEEZZNS1_9scan_implILNS1_25lookback_scan_determinismE0ELb0ELb0ES3_PKS7_PS7_S7_ZZZN2at6native31launch_logcumsumexp_cuda_kernelERKNSE_10TensorBaseESI_lENKUlvE_clEvENKUlvE1_clEvEUlS7_S7_E_S7_EEDaPvRmT3_T4_T5_mT6_P12ihipStream_tbENKUlT_T0_E_clISt17integral_constantIbLb1EESZ_EEDaSU_SV_EUlSU_E_NS1_11comp_targetILNS1_3genE9ELNS1_11target_archE1100ELNS1_3gpuE3ELNS1_3repE0EEENS1_30default_config_static_selectorELNS0_4arch9wavefront6targetE0EEEvT1_.uses_vcc, 0
	.set _ZN7rocprim17ROCPRIM_400000_NS6detail17trampoline_kernelINS0_14default_configENS1_20scan_config_selectorIN3c107complexIdEEEEZZNS1_9scan_implILNS1_25lookback_scan_determinismE0ELb0ELb0ES3_PKS7_PS7_S7_ZZZN2at6native31launch_logcumsumexp_cuda_kernelERKNSE_10TensorBaseESI_lENKUlvE_clEvENKUlvE1_clEvEUlS7_S7_E_S7_EEDaPvRmT3_T4_T5_mT6_P12ihipStream_tbENKUlT_T0_E_clISt17integral_constantIbLb1EESZ_EEDaSU_SV_EUlSU_E_NS1_11comp_targetILNS1_3genE9ELNS1_11target_archE1100ELNS1_3gpuE3ELNS1_3repE0EEENS1_30default_config_static_selectorELNS0_4arch9wavefront6targetE0EEEvT1_.uses_flat_scratch, 0
	.set _ZN7rocprim17ROCPRIM_400000_NS6detail17trampoline_kernelINS0_14default_configENS1_20scan_config_selectorIN3c107complexIdEEEEZZNS1_9scan_implILNS1_25lookback_scan_determinismE0ELb0ELb0ES3_PKS7_PS7_S7_ZZZN2at6native31launch_logcumsumexp_cuda_kernelERKNSE_10TensorBaseESI_lENKUlvE_clEvENKUlvE1_clEvEUlS7_S7_E_S7_EEDaPvRmT3_T4_T5_mT6_P12ihipStream_tbENKUlT_T0_E_clISt17integral_constantIbLb1EESZ_EEDaSU_SV_EUlSU_E_NS1_11comp_targetILNS1_3genE9ELNS1_11target_archE1100ELNS1_3gpuE3ELNS1_3repE0EEENS1_30default_config_static_selectorELNS0_4arch9wavefront6targetE0EEEvT1_.has_dyn_sized_stack, 0
	.set _ZN7rocprim17ROCPRIM_400000_NS6detail17trampoline_kernelINS0_14default_configENS1_20scan_config_selectorIN3c107complexIdEEEEZZNS1_9scan_implILNS1_25lookback_scan_determinismE0ELb0ELb0ES3_PKS7_PS7_S7_ZZZN2at6native31launch_logcumsumexp_cuda_kernelERKNSE_10TensorBaseESI_lENKUlvE_clEvENKUlvE1_clEvEUlS7_S7_E_S7_EEDaPvRmT3_T4_T5_mT6_P12ihipStream_tbENKUlT_T0_E_clISt17integral_constantIbLb1EESZ_EEDaSU_SV_EUlSU_E_NS1_11comp_targetILNS1_3genE9ELNS1_11target_archE1100ELNS1_3gpuE3ELNS1_3repE0EEENS1_30default_config_static_selectorELNS0_4arch9wavefront6targetE0EEEvT1_.has_recursion, 0
	.set _ZN7rocprim17ROCPRIM_400000_NS6detail17trampoline_kernelINS0_14default_configENS1_20scan_config_selectorIN3c107complexIdEEEEZZNS1_9scan_implILNS1_25lookback_scan_determinismE0ELb0ELb0ES3_PKS7_PS7_S7_ZZZN2at6native31launch_logcumsumexp_cuda_kernelERKNSE_10TensorBaseESI_lENKUlvE_clEvENKUlvE1_clEvEUlS7_S7_E_S7_EEDaPvRmT3_T4_T5_mT6_P12ihipStream_tbENKUlT_T0_E_clISt17integral_constantIbLb1EESZ_EEDaSU_SV_EUlSU_E_NS1_11comp_targetILNS1_3genE9ELNS1_11target_archE1100ELNS1_3gpuE3ELNS1_3repE0EEENS1_30default_config_static_selectorELNS0_4arch9wavefront6targetE0EEEvT1_.has_indirect_call, 0
	.section	.AMDGPU.csdata,"",@progbits
; Kernel info:
; codeLenInByte = 0
; TotalNumSgprs: 0
; NumVgprs: 0
; ScratchSize: 0
; MemoryBound: 0
; FloatMode: 240
; IeeeMode: 1
; LDSByteSize: 0 bytes/workgroup (compile time only)
; SGPRBlocks: 0
; VGPRBlocks: 0
; NumSGPRsForWavesPerEU: 1
; NumVGPRsForWavesPerEU: 1
; Occupancy: 16
; WaveLimiterHint : 0
; COMPUTE_PGM_RSRC2:SCRATCH_EN: 0
; COMPUTE_PGM_RSRC2:USER_SGPR: 2
; COMPUTE_PGM_RSRC2:TRAP_HANDLER: 0
; COMPUTE_PGM_RSRC2:TGID_X_EN: 1
; COMPUTE_PGM_RSRC2:TGID_Y_EN: 0
; COMPUTE_PGM_RSRC2:TGID_Z_EN: 0
; COMPUTE_PGM_RSRC2:TIDIG_COMP_CNT: 0
	.section	.text._ZN7rocprim17ROCPRIM_400000_NS6detail17trampoline_kernelINS0_14default_configENS1_20scan_config_selectorIN3c107complexIdEEEEZZNS1_9scan_implILNS1_25lookback_scan_determinismE0ELb0ELb0ES3_PKS7_PS7_S7_ZZZN2at6native31launch_logcumsumexp_cuda_kernelERKNSE_10TensorBaseESI_lENKUlvE_clEvENKUlvE1_clEvEUlS7_S7_E_S7_EEDaPvRmT3_T4_T5_mT6_P12ihipStream_tbENKUlT_T0_E_clISt17integral_constantIbLb1EESZ_EEDaSU_SV_EUlSU_E_NS1_11comp_targetILNS1_3genE8ELNS1_11target_archE1030ELNS1_3gpuE2ELNS1_3repE0EEENS1_30default_config_static_selectorELNS0_4arch9wavefront6targetE0EEEvT1_,"axG",@progbits,_ZN7rocprim17ROCPRIM_400000_NS6detail17trampoline_kernelINS0_14default_configENS1_20scan_config_selectorIN3c107complexIdEEEEZZNS1_9scan_implILNS1_25lookback_scan_determinismE0ELb0ELb0ES3_PKS7_PS7_S7_ZZZN2at6native31launch_logcumsumexp_cuda_kernelERKNSE_10TensorBaseESI_lENKUlvE_clEvENKUlvE1_clEvEUlS7_S7_E_S7_EEDaPvRmT3_T4_T5_mT6_P12ihipStream_tbENKUlT_T0_E_clISt17integral_constantIbLb1EESZ_EEDaSU_SV_EUlSU_E_NS1_11comp_targetILNS1_3genE8ELNS1_11target_archE1030ELNS1_3gpuE2ELNS1_3repE0EEENS1_30default_config_static_selectorELNS0_4arch9wavefront6targetE0EEEvT1_,comdat
	.globl	_ZN7rocprim17ROCPRIM_400000_NS6detail17trampoline_kernelINS0_14default_configENS1_20scan_config_selectorIN3c107complexIdEEEEZZNS1_9scan_implILNS1_25lookback_scan_determinismE0ELb0ELb0ES3_PKS7_PS7_S7_ZZZN2at6native31launch_logcumsumexp_cuda_kernelERKNSE_10TensorBaseESI_lENKUlvE_clEvENKUlvE1_clEvEUlS7_S7_E_S7_EEDaPvRmT3_T4_T5_mT6_P12ihipStream_tbENKUlT_T0_E_clISt17integral_constantIbLb1EESZ_EEDaSU_SV_EUlSU_E_NS1_11comp_targetILNS1_3genE8ELNS1_11target_archE1030ELNS1_3gpuE2ELNS1_3repE0EEENS1_30default_config_static_selectorELNS0_4arch9wavefront6targetE0EEEvT1_ ; -- Begin function _ZN7rocprim17ROCPRIM_400000_NS6detail17trampoline_kernelINS0_14default_configENS1_20scan_config_selectorIN3c107complexIdEEEEZZNS1_9scan_implILNS1_25lookback_scan_determinismE0ELb0ELb0ES3_PKS7_PS7_S7_ZZZN2at6native31launch_logcumsumexp_cuda_kernelERKNSE_10TensorBaseESI_lENKUlvE_clEvENKUlvE1_clEvEUlS7_S7_E_S7_EEDaPvRmT3_T4_T5_mT6_P12ihipStream_tbENKUlT_T0_E_clISt17integral_constantIbLb1EESZ_EEDaSU_SV_EUlSU_E_NS1_11comp_targetILNS1_3genE8ELNS1_11target_archE1030ELNS1_3gpuE2ELNS1_3repE0EEENS1_30default_config_static_selectorELNS0_4arch9wavefront6targetE0EEEvT1_
	.p2align	8
	.type	_ZN7rocprim17ROCPRIM_400000_NS6detail17trampoline_kernelINS0_14default_configENS1_20scan_config_selectorIN3c107complexIdEEEEZZNS1_9scan_implILNS1_25lookback_scan_determinismE0ELb0ELb0ES3_PKS7_PS7_S7_ZZZN2at6native31launch_logcumsumexp_cuda_kernelERKNSE_10TensorBaseESI_lENKUlvE_clEvENKUlvE1_clEvEUlS7_S7_E_S7_EEDaPvRmT3_T4_T5_mT6_P12ihipStream_tbENKUlT_T0_E_clISt17integral_constantIbLb1EESZ_EEDaSU_SV_EUlSU_E_NS1_11comp_targetILNS1_3genE8ELNS1_11target_archE1030ELNS1_3gpuE2ELNS1_3repE0EEENS1_30default_config_static_selectorELNS0_4arch9wavefront6targetE0EEEvT1_,@function
_ZN7rocprim17ROCPRIM_400000_NS6detail17trampoline_kernelINS0_14default_configENS1_20scan_config_selectorIN3c107complexIdEEEEZZNS1_9scan_implILNS1_25lookback_scan_determinismE0ELb0ELb0ES3_PKS7_PS7_S7_ZZZN2at6native31launch_logcumsumexp_cuda_kernelERKNSE_10TensorBaseESI_lENKUlvE_clEvENKUlvE1_clEvEUlS7_S7_E_S7_EEDaPvRmT3_T4_T5_mT6_P12ihipStream_tbENKUlT_T0_E_clISt17integral_constantIbLb1EESZ_EEDaSU_SV_EUlSU_E_NS1_11comp_targetILNS1_3genE8ELNS1_11target_archE1030ELNS1_3gpuE2ELNS1_3repE0EEENS1_30default_config_static_selectorELNS0_4arch9wavefront6targetE0EEEvT1_: ; @_ZN7rocprim17ROCPRIM_400000_NS6detail17trampoline_kernelINS0_14default_configENS1_20scan_config_selectorIN3c107complexIdEEEEZZNS1_9scan_implILNS1_25lookback_scan_determinismE0ELb0ELb0ES3_PKS7_PS7_S7_ZZZN2at6native31launch_logcumsumexp_cuda_kernelERKNSE_10TensorBaseESI_lENKUlvE_clEvENKUlvE1_clEvEUlS7_S7_E_S7_EEDaPvRmT3_T4_T5_mT6_P12ihipStream_tbENKUlT_T0_E_clISt17integral_constantIbLb1EESZ_EEDaSU_SV_EUlSU_E_NS1_11comp_targetILNS1_3genE8ELNS1_11target_archE1030ELNS1_3gpuE2ELNS1_3repE0EEENS1_30default_config_static_selectorELNS0_4arch9wavefront6targetE0EEEvT1_
; %bb.0:
	.section	.rodata,"a",@progbits
	.p2align	6, 0x0
	.amdhsa_kernel _ZN7rocprim17ROCPRIM_400000_NS6detail17trampoline_kernelINS0_14default_configENS1_20scan_config_selectorIN3c107complexIdEEEEZZNS1_9scan_implILNS1_25lookback_scan_determinismE0ELb0ELb0ES3_PKS7_PS7_S7_ZZZN2at6native31launch_logcumsumexp_cuda_kernelERKNSE_10TensorBaseESI_lENKUlvE_clEvENKUlvE1_clEvEUlS7_S7_E_S7_EEDaPvRmT3_T4_T5_mT6_P12ihipStream_tbENKUlT_T0_E_clISt17integral_constantIbLb1EESZ_EEDaSU_SV_EUlSU_E_NS1_11comp_targetILNS1_3genE8ELNS1_11target_archE1030ELNS1_3gpuE2ELNS1_3repE0EEENS1_30default_config_static_selectorELNS0_4arch9wavefront6targetE0EEEvT1_
		.amdhsa_group_segment_fixed_size 0
		.amdhsa_private_segment_fixed_size 0
		.amdhsa_kernarg_size 128
		.amdhsa_user_sgpr_count 2
		.amdhsa_user_sgpr_dispatch_ptr 0
		.amdhsa_user_sgpr_queue_ptr 0
		.amdhsa_user_sgpr_kernarg_segment_ptr 1
		.amdhsa_user_sgpr_dispatch_id 0
		.amdhsa_user_sgpr_private_segment_size 0
		.amdhsa_wavefront_size32 1
		.amdhsa_uses_dynamic_stack 0
		.amdhsa_enable_private_segment 0
		.amdhsa_system_sgpr_workgroup_id_x 1
		.amdhsa_system_sgpr_workgroup_id_y 0
		.amdhsa_system_sgpr_workgroup_id_z 0
		.amdhsa_system_sgpr_workgroup_info 0
		.amdhsa_system_vgpr_workitem_id 0
		.amdhsa_next_free_vgpr 1
		.amdhsa_next_free_sgpr 1
		.amdhsa_reserve_vcc 0
		.amdhsa_float_round_mode_32 0
		.amdhsa_float_round_mode_16_64 0
		.amdhsa_float_denorm_mode_32 3
		.amdhsa_float_denorm_mode_16_64 3
		.amdhsa_fp16_overflow 0
		.amdhsa_workgroup_processor_mode 1
		.amdhsa_memory_ordered 1
		.amdhsa_forward_progress 1
		.amdhsa_inst_pref_size 0
		.amdhsa_round_robin_scheduling 0
		.amdhsa_exception_fp_ieee_invalid_op 0
		.amdhsa_exception_fp_denorm_src 0
		.amdhsa_exception_fp_ieee_div_zero 0
		.amdhsa_exception_fp_ieee_overflow 0
		.amdhsa_exception_fp_ieee_underflow 0
		.amdhsa_exception_fp_ieee_inexact 0
		.amdhsa_exception_int_div_zero 0
	.end_amdhsa_kernel
	.section	.text._ZN7rocprim17ROCPRIM_400000_NS6detail17trampoline_kernelINS0_14default_configENS1_20scan_config_selectorIN3c107complexIdEEEEZZNS1_9scan_implILNS1_25lookback_scan_determinismE0ELb0ELb0ES3_PKS7_PS7_S7_ZZZN2at6native31launch_logcumsumexp_cuda_kernelERKNSE_10TensorBaseESI_lENKUlvE_clEvENKUlvE1_clEvEUlS7_S7_E_S7_EEDaPvRmT3_T4_T5_mT6_P12ihipStream_tbENKUlT_T0_E_clISt17integral_constantIbLb1EESZ_EEDaSU_SV_EUlSU_E_NS1_11comp_targetILNS1_3genE8ELNS1_11target_archE1030ELNS1_3gpuE2ELNS1_3repE0EEENS1_30default_config_static_selectorELNS0_4arch9wavefront6targetE0EEEvT1_,"axG",@progbits,_ZN7rocprim17ROCPRIM_400000_NS6detail17trampoline_kernelINS0_14default_configENS1_20scan_config_selectorIN3c107complexIdEEEEZZNS1_9scan_implILNS1_25lookback_scan_determinismE0ELb0ELb0ES3_PKS7_PS7_S7_ZZZN2at6native31launch_logcumsumexp_cuda_kernelERKNSE_10TensorBaseESI_lENKUlvE_clEvENKUlvE1_clEvEUlS7_S7_E_S7_EEDaPvRmT3_T4_T5_mT6_P12ihipStream_tbENKUlT_T0_E_clISt17integral_constantIbLb1EESZ_EEDaSU_SV_EUlSU_E_NS1_11comp_targetILNS1_3genE8ELNS1_11target_archE1030ELNS1_3gpuE2ELNS1_3repE0EEENS1_30default_config_static_selectorELNS0_4arch9wavefront6targetE0EEEvT1_,comdat
.Lfunc_end211:
	.size	_ZN7rocprim17ROCPRIM_400000_NS6detail17trampoline_kernelINS0_14default_configENS1_20scan_config_selectorIN3c107complexIdEEEEZZNS1_9scan_implILNS1_25lookback_scan_determinismE0ELb0ELb0ES3_PKS7_PS7_S7_ZZZN2at6native31launch_logcumsumexp_cuda_kernelERKNSE_10TensorBaseESI_lENKUlvE_clEvENKUlvE1_clEvEUlS7_S7_E_S7_EEDaPvRmT3_T4_T5_mT6_P12ihipStream_tbENKUlT_T0_E_clISt17integral_constantIbLb1EESZ_EEDaSU_SV_EUlSU_E_NS1_11comp_targetILNS1_3genE8ELNS1_11target_archE1030ELNS1_3gpuE2ELNS1_3repE0EEENS1_30default_config_static_selectorELNS0_4arch9wavefront6targetE0EEEvT1_, .Lfunc_end211-_ZN7rocprim17ROCPRIM_400000_NS6detail17trampoline_kernelINS0_14default_configENS1_20scan_config_selectorIN3c107complexIdEEEEZZNS1_9scan_implILNS1_25lookback_scan_determinismE0ELb0ELb0ES3_PKS7_PS7_S7_ZZZN2at6native31launch_logcumsumexp_cuda_kernelERKNSE_10TensorBaseESI_lENKUlvE_clEvENKUlvE1_clEvEUlS7_S7_E_S7_EEDaPvRmT3_T4_T5_mT6_P12ihipStream_tbENKUlT_T0_E_clISt17integral_constantIbLb1EESZ_EEDaSU_SV_EUlSU_E_NS1_11comp_targetILNS1_3genE8ELNS1_11target_archE1030ELNS1_3gpuE2ELNS1_3repE0EEENS1_30default_config_static_selectorELNS0_4arch9wavefront6targetE0EEEvT1_
                                        ; -- End function
	.set _ZN7rocprim17ROCPRIM_400000_NS6detail17trampoline_kernelINS0_14default_configENS1_20scan_config_selectorIN3c107complexIdEEEEZZNS1_9scan_implILNS1_25lookback_scan_determinismE0ELb0ELb0ES3_PKS7_PS7_S7_ZZZN2at6native31launch_logcumsumexp_cuda_kernelERKNSE_10TensorBaseESI_lENKUlvE_clEvENKUlvE1_clEvEUlS7_S7_E_S7_EEDaPvRmT3_T4_T5_mT6_P12ihipStream_tbENKUlT_T0_E_clISt17integral_constantIbLb1EESZ_EEDaSU_SV_EUlSU_E_NS1_11comp_targetILNS1_3genE8ELNS1_11target_archE1030ELNS1_3gpuE2ELNS1_3repE0EEENS1_30default_config_static_selectorELNS0_4arch9wavefront6targetE0EEEvT1_.num_vgpr, 0
	.set _ZN7rocprim17ROCPRIM_400000_NS6detail17trampoline_kernelINS0_14default_configENS1_20scan_config_selectorIN3c107complexIdEEEEZZNS1_9scan_implILNS1_25lookback_scan_determinismE0ELb0ELb0ES3_PKS7_PS7_S7_ZZZN2at6native31launch_logcumsumexp_cuda_kernelERKNSE_10TensorBaseESI_lENKUlvE_clEvENKUlvE1_clEvEUlS7_S7_E_S7_EEDaPvRmT3_T4_T5_mT6_P12ihipStream_tbENKUlT_T0_E_clISt17integral_constantIbLb1EESZ_EEDaSU_SV_EUlSU_E_NS1_11comp_targetILNS1_3genE8ELNS1_11target_archE1030ELNS1_3gpuE2ELNS1_3repE0EEENS1_30default_config_static_selectorELNS0_4arch9wavefront6targetE0EEEvT1_.num_agpr, 0
	.set _ZN7rocprim17ROCPRIM_400000_NS6detail17trampoline_kernelINS0_14default_configENS1_20scan_config_selectorIN3c107complexIdEEEEZZNS1_9scan_implILNS1_25lookback_scan_determinismE0ELb0ELb0ES3_PKS7_PS7_S7_ZZZN2at6native31launch_logcumsumexp_cuda_kernelERKNSE_10TensorBaseESI_lENKUlvE_clEvENKUlvE1_clEvEUlS7_S7_E_S7_EEDaPvRmT3_T4_T5_mT6_P12ihipStream_tbENKUlT_T0_E_clISt17integral_constantIbLb1EESZ_EEDaSU_SV_EUlSU_E_NS1_11comp_targetILNS1_3genE8ELNS1_11target_archE1030ELNS1_3gpuE2ELNS1_3repE0EEENS1_30default_config_static_selectorELNS0_4arch9wavefront6targetE0EEEvT1_.numbered_sgpr, 0
	.set _ZN7rocprim17ROCPRIM_400000_NS6detail17trampoline_kernelINS0_14default_configENS1_20scan_config_selectorIN3c107complexIdEEEEZZNS1_9scan_implILNS1_25lookback_scan_determinismE0ELb0ELb0ES3_PKS7_PS7_S7_ZZZN2at6native31launch_logcumsumexp_cuda_kernelERKNSE_10TensorBaseESI_lENKUlvE_clEvENKUlvE1_clEvEUlS7_S7_E_S7_EEDaPvRmT3_T4_T5_mT6_P12ihipStream_tbENKUlT_T0_E_clISt17integral_constantIbLb1EESZ_EEDaSU_SV_EUlSU_E_NS1_11comp_targetILNS1_3genE8ELNS1_11target_archE1030ELNS1_3gpuE2ELNS1_3repE0EEENS1_30default_config_static_selectorELNS0_4arch9wavefront6targetE0EEEvT1_.num_named_barrier, 0
	.set _ZN7rocprim17ROCPRIM_400000_NS6detail17trampoline_kernelINS0_14default_configENS1_20scan_config_selectorIN3c107complexIdEEEEZZNS1_9scan_implILNS1_25lookback_scan_determinismE0ELb0ELb0ES3_PKS7_PS7_S7_ZZZN2at6native31launch_logcumsumexp_cuda_kernelERKNSE_10TensorBaseESI_lENKUlvE_clEvENKUlvE1_clEvEUlS7_S7_E_S7_EEDaPvRmT3_T4_T5_mT6_P12ihipStream_tbENKUlT_T0_E_clISt17integral_constantIbLb1EESZ_EEDaSU_SV_EUlSU_E_NS1_11comp_targetILNS1_3genE8ELNS1_11target_archE1030ELNS1_3gpuE2ELNS1_3repE0EEENS1_30default_config_static_selectorELNS0_4arch9wavefront6targetE0EEEvT1_.private_seg_size, 0
	.set _ZN7rocprim17ROCPRIM_400000_NS6detail17trampoline_kernelINS0_14default_configENS1_20scan_config_selectorIN3c107complexIdEEEEZZNS1_9scan_implILNS1_25lookback_scan_determinismE0ELb0ELb0ES3_PKS7_PS7_S7_ZZZN2at6native31launch_logcumsumexp_cuda_kernelERKNSE_10TensorBaseESI_lENKUlvE_clEvENKUlvE1_clEvEUlS7_S7_E_S7_EEDaPvRmT3_T4_T5_mT6_P12ihipStream_tbENKUlT_T0_E_clISt17integral_constantIbLb1EESZ_EEDaSU_SV_EUlSU_E_NS1_11comp_targetILNS1_3genE8ELNS1_11target_archE1030ELNS1_3gpuE2ELNS1_3repE0EEENS1_30default_config_static_selectorELNS0_4arch9wavefront6targetE0EEEvT1_.uses_vcc, 0
	.set _ZN7rocprim17ROCPRIM_400000_NS6detail17trampoline_kernelINS0_14default_configENS1_20scan_config_selectorIN3c107complexIdEEEEZZNS1_9scan_implILNS1_25lookback_scan_determinismE0ELb0ELb0ES3_PKS7_PS7_S7_ZZZN2at6native31launch_logcumsumexp_cuda_kernelERKNSE_10TensorBaseESI_lENKUlvE_clEvENKUlvE1_clEvEUlS7_S7_E_S7_EEDaPvRmT3_T4_T5_mT6_P12ihipStream_tbENKUlT_T0_E_clISt17integral_constantIbLb1EESZ_EEDaSU_SV_EUlSU_E_NS1_11comp_targetILNS1_3genE8ELNS1_11target_archE1030ELNS1_3gpuE2ELNS1_3repE0EEENS1_30default_config_static_selectorELNS0_4arch9wavefront6targetE0EEEvT1_.uses_flat_scratch, 0
	.set _ZN7rocprim17ROCPRIM_400000_NS6detail17trampoline_kernelINS0_14default_configENS1_20scan_config_selectorIN3c107complexIdEEEEZZNS1_9scan_implILNS1_25lookback_scan_determinismE0ELb0ELb0ES3_PKS7_PS7_S7_ZZZN2at6native31launch_logcumsumexp_cuda_kernelERKNSE_10TensorBaseESI_lENKUlvE_clEvENKUlvE1_clEvEUlS7_S7_E_S7_EEDaPvRmT3_T4_T5_mT6_P12ihipStream_tbENKUlT_T0_E_clISt17integral_constantIbLb1EESZ_EEDaSU_SV_EUlSU_E_NS1_11comp_targetILNS1_3genE8ELNS1_11target_archE1030ELNS1_3gpuE2ELNS1_3repE0EEENS1_30default_config_static_selectorELNS0_4arch9wavefront6targetE0EEEvT1_.has_dyn_sized_stack, 0
	.set _ZN7rocprim17ROCPRIM_400000_NS6detail17trampoline_kernelINS0_14default_configENS1_20scan_config_selectorIN3c107complexIdEEEEZZNS1_9scan_implILNS1_25lookback_scan_determinismE0ELb0ELb0ES3_PKS7_PS7_S7_ZZZN2at6native31launch_logcumsumexp_cuda_kernelERKNSE_10TensorBaseESI_lENKUlvE_clEvENKUlvE1_clEvEUlS7_S7_E_S7_EEDaPvRmT3_T4_T5_mT6_P12ihipStream_tbENKUlT_T0_E_clISt17integral_constantIbLb1EESZ_EEDaSU_SV_EUlSU_E_NS1_11comp_targetILNS1_3genE8ELNS1_11target_archE1030ELNS1_3gpuE2ELNS1_3repE0EEENS1_30default_config_static_selectorELNS0_4arch9wavefront6targetE0EEEvT1_.has_recursion, 0
	.set _ZN7rocprim17ROCPRIM_400000_NS6detail17trampoline_kernelINS0_14default_configENS1_20scan_config_selectorIN3c107complexIdEEEEZZNS1_9scan_implILNS1_25lookback_scan_determinismE0ELb0ELb0ES3_PKS7_PS7_S7_ZZZN2at6native31launch_logcumsumexp_cuda_kernelERKNSE_10TensorBaseESI_lENKUlvE_clEvENKUlvE1_clEvEUlS7_S7_E_S7_EEDaPvRmT3_T4_T5_mT6_P12ihipStream_tbENKUlT_T0_E_clISt17integral_constantIbLb1EESZ_EEDaSU_SV_EUlSU_E_NS1_11comp_targetILNS1_3genE8ELNS1_11target_archE1030ELNS1_3gpuE2ELNS1_3repE0EEENS1_30default_config_static_selectorELNS0_4arch9wavefront6targetE0EEEvT1_.has_indirect_call, 0
	.section	.AMDGPU.csdata,"",@progbits
; Kernel info:
; codeLenInByte = 0
; TotalNumSgprs: 0
; NumVgprs: 0
; ScratchSize: 0
; MemoryBound: 0
; FloatMode: 240
; IeeeMode: 1
; LDSByteSize: 0 bytes/workgroup (compile time only)
; SGPRBlocks: 0
; VGPRBlocks: 0
; NumSGPRsForWavesPerEU: 1
; NumVGPRsForWavesPerEU: 1
; Occupancy: 16
; WaveLimiterHint : 0
; COMPUTE_PGM_RSRC2:SCRATCH_EN: 0
; COMPUTE_PGM_RSRC2:USER_SGPR: 2
; COMPUTE_PGM_RSRC2:TRAP_HANDLER: 0
; COMPUTE_PGM_RSRC2:TGID_X_EN: 1
; COMPUTE_PGM_RSRC2:TGID_Y_EN: 0
; COMPUTE_PGM_RSRC2:TGID_Z_EN: 0
; COMPUTE_PGM_RSRC2:TIDIG_COMP_CNT: 0
	.section	.text._ZN7rocprim17ROCPRIM_400000_NS6detail17trampoline_kernelINS0_14default_configENS1_20scan_config_selectorIN3c107complexIdEEEEZZNS1_9scan_implILNS1_25lookback_scan_determinismE0ELb0ELb0ES3_PKS7_PS7_S7_ZZZN2at6native31launch_logcumsumexp_cuda_kernelERKNSE_10TensorBaseESI_lENKUlvE_clEvENKUlvE1_clEvEUlS7_S7_E_S7_EEDaPvRmT3_T4_T5_mT6_P12ihipStream_tbENKUlT_T0_E_clISt17integral_constantIbLb1EESZ_EEDaSU_SV_EUlSU_E0_NS1_11comp_targetILNS1_3genE0ELNS1_11target_archE4294967295ELNS1_3gpuE0ELNS1_3repE0EEENS1_30default_config_static_selectorELNS0_4arch9wavefront6targetE0EEEvT1_,"axG",@progbits,_ZN7rocprim17ROCPRIM_400000_NS6detail17trampoline_kernelINS0_14default_configENS1_20scan_config_selectorIN3c107complexIdEEEEZZNS1_9scan_implILNS1_25lookback_scan_determinismE0ELb0ELb0ES3_PKS7_PS7_S7_ZZZN2at6native31launch_logcumsumexp_cuda_kernelERKNSE_10TensorBaseESI_lENKUlvE_clEvENKUlvE1_clEvEUlS7_S7_E_S7_EEDaPvRmT3_T4_T5_mT6_P12ihipStream_tbENKUlT_T0_E_clISt17integral_constantIbLb1EESZ_EEDaSU_SV_EUlSU_E0_NS1_11comp_targetILNS1_3genE0ELNS1_11target_archE4294967295ELNS1_3gpuE0ELNS1_3repE0EEENS1_30default_config_static_selectorELNS0_4arch9wavefront6targetE0EEEvT1_,comdat
	.globl	_ZN7rocprim17ROCPRIM_400000_NS6detail17trampoline_kernelINS0_14default_configENS1_20scan_config_selectorIN3c107complexIdEEEEZZNS1_9scan_implILNS1_25lookback_scan_determinismE0ELb0ELb0ES3_PKS7_PS7_S7_ZZZN2at6native31launch_logcumsumexp_cuda_kernelERKNSE_10TensorBaseESI_lENKUlvE_clEvENKUlvE1_clEvEUlS7_S7_E_S7_EEDaPvRmT3_T4_T5_mT6_P12ihipStream_tbENKUlT_T0_E_clISt17integral_constantIbLb1EESZ_EEDaSU_SV_EUlSU_E0_NS1_11comp_targetILNS1_3genE0ELNS1_11target_archE4294967295ELNS1_3gpuE0ELNS1_3repE0EEENS1_30default_config_static_selectorELNS0_4arch9wavefront6targetE0EEEvT1_ ; -- Begin function _ZN7rocprim17ROCPRIM_400000_NS6detail17trampoline_kernelINS0_14default_configENS1_20scan_config_selectorIN3c107complexIdEEEEZZNS1_9scan_implILNS1_25lookback_scan_determinismE0ELb0ELb0ES3_PKS7_PS7_S7_ZZZN2at6native31launch_logcumsumexp_cuda_kernelERKNSE_10TensorBaseESI_lENKUlvE_clEvENKUlvE1_clEvEUlS7_S7_E_S7_EEDaPvRmT3_T4_T5_mT6_P12ihipStream_tbENKUlT_T0_E_clISt17integral_constantIbLb1EESZ_EEDaSU_SV_EUlSU_E0_NS1_11comp_targetILNS1_3genE0ELNS1_11target_archE4294967295ELNS1_3gpuE0ELNS1_3repE0EEENS1_30default_config_static_selectorELNS0_4arch9wavefront6targetE0EEEvT1_
	.p2align	8
	.type	_ZN7rocprim17ROCPRIM_400000_NS6detail17trampoline_kernelINS0_14default_configENS1_20scan_config_selectorIN3c107complexIdEEEEZZNS1_9scan_implILNS1_25lookback_scan_determinismE0ELb0ELb0ES3_PKS7_PS7_S7_ZZZN2at6native31launch_logcumsumexp_cuda_kernelERKNSE_10TensorBaseESI_lENKUlvE_clEvENKUlvE1_clEvEUlS7_S7_E_S7_EEDaPvRmT3_T4_T5_mT6_P12ihipStream_tbENKUlT_T0_E_clISt17integral_constantIbLb1EESZ_EEDaSU_SV_EUlSU_E0_NS1_11comp_targetILNS1_3genE0ELNS1_11target_archE4294967295ELNS1_3gpuE0ELNS1_3repE0EEENS1_30default_config_static_selectorELNS0_4arch9wavefront6targetE0EEEvT1_,@function
_ZN7rocprim17ROCPRIM_400000_NS6detail17trampoline_kernelINS0_14default_configENS1_20scan_config_selectorIN3c107complexIdEEEEZZNS1_9scan_implILNS1_25lookback_scan_determinismE0ELb0ELb0ES3_PKS7_PS7_S7_ZZZN2at6native31launch_logcumsumexp_cuda_kernelERKNSE_10TensorBaseESI_lENKUlvE_clEvENKUlvE1_clEvEUlS7_S7_E_S7_EEDaPvRmT3_T4_T5_mT6_P12ihipStream_tbENKUlT_T0_E_clISt17integral_constantIbLb1EESZ_EEDaSU_SV_EUlSU_E0_NS1_11comp_targetILNS1_3genE0ELNS1_11target_archE4294967295ELNS1_3gpuE0ELNS1_3repE0EEENS1_30default_config_static_selectorELNS0_4arch9wavefront6targetE0EEEvT1_: ; @_ZN7rocprim17ROCPRIM_400000_NS6detail17trampoline_kernelINS0_14default_configENS1_20scan_config_selectorIN3c107complexIdEEEEZZNS1_9scan_implILNS1_25lookback_scan_determinismE0ELb0ELb0ES3_PKS7_PS7_S7_ZZZN2at6native31launch_logcumsumexp_cuda_kernelERKNSE_10TensorBaseESI_lENKUlvE_clEvENKUlvE1_clEvEUlS7_S7_E_S7_EEDaPvRmT3_T4_T5_mT6_P12ihipStream_tbENKUlT_T0_E_clISt17integral_constantIbLb1EESZ_EEDaSU_SV_EUlSU_E0_NS1_11comp_targetILNS1_3genE0ELNS1_11target_archE4294967295ELNS1_3gpuE0ELNS1_3repE0EEENS1_30default_config_static_selectorELNS0_4arch9wavefront6targetE0EEEvT1_
; %bb.0:
	.section	.rodata,"a",@progbits
	.p2align	6, 0x0
	.amdhsa_kernel _ZN7rocprim17ROCPRIM_400000_NS6detail17trampoline_kernelINS0_14default_configENS1_20scan_config_selectorIN3c107complexIdEEEEZZNS1_9scan_implILNS1_25lookback_scan_determinismE0ELb0ELb0ES3_PKS7_PS7_S7_ZZZN2at6native31launch_logcumsumexp_cuda_kernelERKNSE_10TensorBaseESI_lENKUlvE_clEvENKUlvE1_clEvEUlS7_S7_E_S7_EEDaPvRmT3_T4_T5_mT6_P12ihipStream_tbENKUlT_T0_E_clISt17integral_constantIbLb1EESZ_EEDaSU_SV_EUlSU_E0_NS1_11comp_targetILNS1_3genE0ELNS1_11target_archE4294967295ELNS1_3gpuE0ELNS1_3repE0EEENS1_30default_config_static_selectorELNS0_4arch9wavefront6targetE0EEEvT1_
		.amdhsa_group_segment_fixed_size 0
		.amdhsa_private_segment_fixed_size 0
		.amdhsa_kernarg_size 48
		.amdhsa_user_sgpr_count 2
		.amdhsa_user_sgpr_dispatch_ptr 0
		.amdhsa_user_sgpr_queue_ptr 0
		.amdhsa_user_sgpr_kernarg_segment_ptr 1
		.amdhsa_user_sgpr_dispatch_id 0
		.amdhsa_user_sgpr_private_segment_size 0
		.amdhsa_wavefront_size32 1
		.amdhsa_uses_dynamic_stack 0
		.amdhsa_enable_private_segment 0
		.amdhsa_system_sgpr_workgroup_id_x 1
		.amdhsa_system_sgpr_workgroup_id_y 0
		.amdhsa_system_sgpr_workgroup_id_z 0
		.amdhsa_system_sgpr_workgroup_info 0
		.amdhsa_system_vgpr_workitem_id 0
		.amdhsa_next_free_vgpr 1
		.amdhsa_next_free_sgpr 1
		.amdhsa_reserve_vcc 0
		.amdhsa_float_round_mode_32 0
		.amdhsa_float_round_mode_16_64 0
		.amdhsa_float_denorm_mode_32 3
		.amdhsa_float_denorm_mode_16_64 3
		.amdhsa_fp16_overflow 0
		.amdhsa_workgroup_processor_mode 1
		.amdhsa_memory_ordered 1
		.amdhsa_forward_progress 1
		.amdhsa_inst_pref_size 0
		.amdhsa_round_robin_scheduling 0
		.amdhsa_exception_fp_ieee_invalid_op 0
		.amdhsa_exception_fp_denorm_src 0
		.amdhsa_exception_fp_ieee_div_zero 0
		.amdhsa_exception_fp_ieee_overflow 0
		.amdhsa_exception_fp_ieee_underflow 0
		.amdhsa_exception_fp_ieee_inexact 0
		.amdhsa_exception_int_div_zero 0
	.end_amdhsa_kernel
	.section	.text._ZN7rocprim17ROCPRIM_400000_NS6detail17trampoline_kernelINS0_14default_configENS1_20scan_config_selectorIN3c107complexIdEEEEZZNS1_9scan_implILNS1_25lookback_scan_determinismE0ELb0ELb0ES3_PKS7_PS7_S7_ZZZN2at6native31launch_logcumsumexp_cuda_kernelERKNSE_10TensorBaseESI_lENKUlvE_clEvENKUlvE1_clEvEUlS7_S7_E_S7_EEDaPvRmT3_T4_T5_mT6_P12ihipStream_tbENKUlT_T0_E_clISt17integral_constantIbLb1EESZ_EEDaSU_SV_EUlSU_E0_NS1_11comp_targetILNS1_3genE0ELNS1_11target_archE4294967295ELNS1_3gpuE0ELNS1_3repE0EEENS1_30default_config_static_selectorELNS0_4arch9wavefront6targetE0EEEvT1_,"axG",@progbits,_ZN7rocprim17ROCPRIM_400000_NS6detail17trampoline_kernelINS0_14default_configENS1_20scan_config_selectorIN3c107complexIdEEEEZZNS1_9scan_implILNS1_25lookback_scan_determinismE0ELb0ELb0ES3_PKS7_PS7_S7_ZZZN2at6native31launch_logcumsumexp_cuda_kernelERKNSE_10TensorBaseESI_lENKUlvE_clEvENKUlvE1_clEvEUlS7_S7_E_S7_EEDaPvRmT3_T4_T5_mT6_P12ihipStream_tbENKUlT_T0_E_clISt17integral_constantIbLb1EESZ_EEDaSU_SV_EUlSU_E0_NS1_11comp_targetILNS1_3genE0ELNS1_11target_archE4294967295ELNS1_3gpuE0ELNS1_3repE0EEENS1_30default_config_static_selectorELNS0_4arch9wavefront6targetE0EEEvT1_,comdat
.Lfunc_end212:
	.size	_ZN7rocprim17ROCPRIM_400000_NS6detail17trampoline_kernelINS0_14default_configENS1_20scan_config_selectorIN3c107complexIdEEEEZZNS1_9scan_implILNS1_25lookback_scan_determinismE0ELb0ELb0ES3_PKS7_PS7_S7_ZZZN2at6native31launch_logcumsumexp_cuda_kernelERKNSE_10TensorBaseESI_lENKUlvE_clEvENKUlvE1_clEvEUlS7_S7_E_S7_EEDaPvRmT3_T4_T5_mT6_P12ihipStream_tbENKUlT_T0_E_clISt17integral_constantIbLb1EESZ_EEDaSU_SV_EUlSU_E0_NS1_11comp_targetILNS1_3genE0ELNS1_11target_archE4294967295ELNS1_3gpuE0ELNS1_3repE0EEENS1_30default_config_static_selectorELNS0_4arch9wavefront6targetE0EEEvT1_, .Lfunc_end212-_ZN7rocprim17ROCPRIM_400000_NS6detail17trampoline_kernelINS0_14default_configENS1_20scan_config_selectorIN3c107complexIdEEEEZZNS1_9scan_implILNS1_25lookback_scan_determinismE0ELb0ELb0ES3_PKS7_PS7_S7_ZZZN2at6native31launch_logcumsumexp_cuda_kernelERKNSE_10TensorBaseESI_lENKUlvE_clEvENKUlvE1_clEvEUlS7_S7_E_S7_EEDaPvRmT3_T4_T5_mT6_P12ihipStream_tbENKUlT_T0_E_clISt17integral_constantIbLb1EESZ_EEDaSU_SV_EUlSU_E0_NS1_11comp_targetILNS1_3genE0ELNS1_11target_archE4294967295ELNS1_3gpuE0ELNS1_3repE0EEENS1_30default_config_static_selectorELNS0_4arch9wavefront6targetE0EEEvT1_
                                        ; -- End function
	.set _ZN7rocprim17ROCPRIM_400000_NS6detail17trampoline_kernelINS0_14default_configENS1_20scan_config_selectorIN3c107complexIdEEEEZZNS1_9scan_implILNS1_25lookback_scan_determinismE0ELb0ELb0ES3_PKS7_PS7_S7_ZZZN2at6native31launch_logcumsumexp_cuda_kernelERKNSE_10TensorBaseESI_lENKUlvE_clEvENKUlvE1_clEvEUlS7_S7_E_S7_EEDaPvRmT3_T4_T5_mT6_P12ihipStream_tbENKUlT_T0_E_clISt17integral_constantIbLb1EESZ_EEDaSU_SV_EUlSU_E0_NS1_11comp_targetILNS1_3genE0ELNS1_11target_archE4294967295ELNS1_3gpuE0ELNS1_3repE0EEENS1_30default_config_static_selectorELNS0_4arch9wavefront6targetE0EEEvT1_.num_vgpr, 0
	.set _ZN7rocprim17ROCPRIM_400000_NS6detail17trampoline_kernelINS0_14default_configENS1_20scan_config_selectorIN3c107complexIdEEEEZZNS1_9scan_implILNS1_25lookback_scan_determinismE0ELb0ELb0ES3_PKS7_PS7_S7_ZZZN2at6native31launch_logcumsumexp_cuda_kernelERKNSE_10TensorBaseESI_lENKUlvE_clEvENKUlvE1_clEvEUlS7_S7_E_S7_EEDaPvRmT3_T4_T5_mT6_P12ihipStream_tbENKUlT_T0_E_clISt17integral_constantIbLb1EESZ_EEDaSU_SV_EUlSU_E0_NS1_11comp_targetILNS1_3genE0ELNS1_11target_archE4294967295ELNS1_3gpuE0ELNS1_3repE0EEENS1_30default_config_static_selectorELNS0_4arch9wavefront6targetE0EEEvT1_.num_agpr, 0
	.set _ZN7rocprim17ROCPRIM_400000_NS6detail17trampoline_kernelINS0_14default_configENS1_20scan_config_selectorIN3c107complexIdEEEEZZNS1_9scan_implILNS1_25lookback_scan_determinismE0ELb0ELb0ES3_PKS7_PS7_S7_ZZZN2at6native31launch_logcumsumexp_cuda_kernelERKNSE_10TensorBaseESI_lENKUlvE_clEvENKUlvE1_clEvEUlS7_S7_E_S7_EEDaPvRmT3_T4_T5_mT6_P12ihipStream_tbENKUlT_T0_E_clISt17integral_constantIbLb1EESZ_EEDaSU_SV_EUlSU_E0_NS1_11comp_targetILNS1_3genE0ELNS1_11target_archE4294967295ELNS1_3gpuE0ELNS1_3repE0EEENS1_30default_config_static_selectorELNS0_4arch9wavefront6targetE0EEEvT1_.numbered_sgpr, 0
	.set _ZN7rocprim17ROCPRIM_400000_NS6detail17trampoline_kernelINS0_14default_configENS1_20scan_config_selectorIN3c107complexIdEEEEZZNS1_9scan_implILNS1_25lookback_scan_determinismE0ELb0ELb0ES3_PKS7_PS7_S7_ZZZN2at6native31launch_logcumsumexp_cuda_kernelERKNSE_10TensorBaseESI_lENKUlvE_clEvENKUlvE1_clEvEUlS7_S7_E_S7_EEDaPvRmT3_T4_T5_mT6_P12ihipStream_tbENKUlT_T0_E_clISt17integral_constantIbLb1EESZ_EEDaSU_SV_EUlSU_E0_NS1_11comp_targetILNS1_3genE0ELNS1_11target_archE4294967295ELNS1_3gpuE0ELNS1_3repE0EEENS1_30default_config_static_selectorELNS0_4arch9wavefront6targetE0EEEvT1_.num_named_barrier, 0
	.set _ZN7rocprim17ROCPRIM_400000_NS6detail17trampoline_kernelINS0_14default_configENS1_20scan_config_selectorIN3c107complexIdEEEEZZNS1_9scan_implILNS1_25lookback_scan_determinismE0ELb0ELb0ES3_PKS7_PS7_S7_ZZZN2at6native31launch_logcumsumexp_cuda_kernelERKNSE_10TensorBaseESI_lENKUlvE_clEvENKUlvE1_clEvEUlS7_S7_E_S7_EEDaPvRmT3_T4_T5_mT6_P12ihipStream_tbENKUlT_T0_E_clISt17integral_constantIbLb1EESZ_EEDaSU_SV_EUlSU_E0_NS1_11comp_targetILNS1_3genE0ELNS1_11target_archE4294967295ELNS1_3gpuE0ELNS1_3repE0EEENS1_30default_config_static_selectorELNS0_4arch9wavefront6targetE0EEEvT1_.private_seg_size, 0
	.set _ZN7rocprim17ROCPRIM_400000_NS6detail17trampoline_kernelINS0_14default_configENS1_20scan_config_selectorIN3c107complexIdEEEEZZNS1_9scan_implILNS1_25lookback_scan_determinismE0ELb0ELb0ES3_PKS7_PS7_S7_ZZZN2at6native31launch_logcumsumexp_cuda_kernelERKNSE_10TensorBaseESI_lENKUlvE_clEvENKUlvE1_clEvEUlS7_S7_E_S7_EEDaPvRmT3_T4_T5_mT6_P12ihipStream_tbENKUlT_T0_E_clISt17integral_constantIbLb1EESZ_EEDaSU_SV_EUlSU_E0_NS1_11comp_targetILNS1_3genE0ELNS1_11target_archE4294967295ELNS1_3gpuE0ELNS1_3repE0EEENS1_30default_config_static_selectorELNS0_4arch9wavefront6targetE0EEEvT1_.uses_vcc, 0
	.set _ZN7rocprim17ROCPRIM_400000_NS6detail17trampoline_kernelINS0_14default_configENS1_20scan_config_selectorIN3c107complexIdEEEEZZNS1_9scan_implILNS1_25lookback_scan_determinismE0ELb0ELb0ES3_PKS7_PS7_S7_ZZZN2at6native31launch_logcumsumexp_cuda_kernelERKNSE_10TensorBaseESI_lENKUlvE_clEvENKUlvE1_clEvEUlS7_S7_E_S7_EEDaPvRmT3_T4_T5_mT6_P12ihipStream_tbENKUlT_T0_E_clISt17integral_constantIbLb1EESZ_EEDaSU_SV_EUlSU_E0_NS1_11comp_targetILNS1_3genE0ELNS1_11target_archE4294967295ELNS1_3gpuE0ELNS1_3repE0EEENS1_30default_config_static_selectorELNS0_4arch9wavefront6targetE0EEEvT1_.uses_flat_scratch, 0
	.set _ZN7rocprim17ROCPRIM_400000_NS6detail17trampoline_kernelINS0_14default_configENS1_20scan_config_selectorIN3c107complexIdEEEEZZNS1_9scan_implILNS1_25lookback_scan_determinismE0ELb0ELb0ES3_PKS7_PS7_S7_ZZZN2at6native31launch_logcumsumexp_cuda_kernelERKNSE_10TensorBaseESI_lENKUlvE_clEvENKUlvE1_clEvEUlS7_S7_E_S7_EEDaPvRmT3_T4_T5_mT6_P12ihipStream_tbENKUlT_T0_E_clISt17integral_constantIbLb1EESZ_EEDaSU_SV_EUlSU_E0_NS1_11comp_targetILNS1_3genE0ELNS1_11target_archE4294967295ELNS1_3gpuE0ELNS1_3repE0EEENS1_30default_config_static_selectorELNS0_4arch9wavefront6targetE0EEEvT1_.has_dyn_sized_stack, 0
	.set _ZN7rocprim17ROCPRIM_400000_NS6detail17trampoline_kernelINS0_14default_configENS1_20scan_config_selectorIN3c107complexIdEEEEZZNS1_9scan_implILNS1_25lookback_scan_determinismE0ELb0ELb0ES3_PKS7_PS7_S7_ZZZN2at6native31launch_logcumsumexp_cuda_kernelERKNSE_10TensorBaseESI_lENKUlvE_clEvENKUlvE1_clEvEUlS7_S7_E_S7_EEDaPvRmT3_T4_T5_mT6_P12ihipStream_tbENKUlT_T0_E_clISt17integral_constantIbLb1EESZ_EEDaSU_SV_EUlSU_E0_NS1_11comp_targetILNS1_3genE0ELNS1_11target_archE4294967295ELNS1_3gpuE0ELNS1_3repE0EEENS1_30default_config_static_selectorELNS0_4arch9wavefront6targetE0EEEvT1_.has_recursion, 0
	.set _ZN7rocprim17ROCPRIM_400000_NS6detail17trampoline_kernelINS0_14default_configENS1_20scan_config_selectorIN3c107complexIdEEEEZZNS1_9scan_implILNS1_25lookback_scan_determinismE0ELb0ELb0ES3_PKS7_PS7_S7_ZZZN2at6native31launch_logcumsumexp_cuda_kernelERKNSE_10TensorBaseESI_lENKUlvE_clEvENKUlvE1_clEvEUlS7_S7_E_S7_EEDaPvRmT3_T4_T5_mT6_P12ihipStream_tbENKUlT_T0_E_clISt17integral_constantIbLb1EESZ_EEDaSU_SV_EUlSU_E0_NS1_11comp_targetILNS1_3genE0ELNS1_11target_archE4294967295ELNS1_3gpuE0ELNS1_3repE0EEENS1_30default_config_static_selectorELNS0_4arch9wavefront6targetE0EEEvT1_.has_indirect_call, 0
	.section	.AMDGPU.csdata,"",@progbits
; Kernel info:
; codeLenInByte = 0
; TotalNumSgprs: 0
; NumVgprs: 0
; ScratchSize: 0
; MemoryBound: 0
; FloatMode: 240
; IeeeMode: 1
; LDSByteSize: 0 bytes/workgroup (compile time only)
; SGPRBlocks: 0
; VGPRBlocks: 0
; NumSGPRsForWavesPerEU: 1
; NumVGPRsForWavesPerEU: 1
; Occupancy: 16
; WaveLimiterHint : 0
; COMPUTE_PGM_RSRC2:SCRATCH_EN: 0
; COMPUTE_PGM_RSRC2:USER_SGPR: 2
; COMPUTE_PGM_RSRC2:TRAP_HANDLER: 0
; COMPUTE_PGM_RSRC2:TGID_X_EN: 1
; COMPUTE_PGM_RSRC2:TGID_Y_EN: 0
; COMPUTE_PGM_RSRC2:TGID_Z_EN: 0
; COMPUTE_PGM_RSRC2:TIDIG_COMP_CNT: 0
	.section	.text._ZN7rocprim17ROCPRIM_400000_NS6detail17trampoline_kernelINS0_14default_configENS1_20scan_config_selectorIN3c107complexIdEEEEZZNS1_9scan_implILNS1_25lookback_scan_determinismE0ELb0ELb0ES3_PKS7_PS7_S7_ZZZN2at6native31launch_logcumsumexp_cuda_kernelERKNSE_10TensorBaseESI_lENKUlvE_clEvENKUlvE1_clEvEUlS7_S7_E_S7_EEDaPvRmT3_T4_T5_mT6_P12ihipStream_tbENKUlT_T0_E_clISt17integral_constantIbLb1EESZ_EEDaSU_SV_EUlSU_E0_NS1_11comp_targetILNS1_3genE5ELNS1_11target_archE942ELNS1_3gpuE9ELNS1_3repE0EEENS1_30default_config_static_selectorELNS0_4arch9wavefront6targetE0EEEvT1_,"axG",@progbits,_ZN7rocprim17ROCPRIM_400000_NS6detail17trampoline_kernelINS0_14default_configENS1_20scan_config_selectorIN3c107complexIdEEEEZZNS1_9scan_implILNS1_25lookback_scan_determinismE0ELb0ELb0ES3_PKS7_PS7_S7_ZZZN2at6native31launch_logcumsumexp_cuda_kernelERKNSE_10TensorBaseESI_lENKUlvE_clEvENKUlvE1_clEvEUlS7_S7_E_S7_EEDaPvRmT3_T4_T5_mT6_P12ihipStream_tbENKUlT_T0_E_clISt17integral_constantIbLb1EESZ_EEDaSU_SV_EUlSU_E0_NS1_11comp_targetILNS1_3genE5ELNS1_11target_archE942ELNS1_3gpuE9ELNS1_3repE0EEENS1_30default_config_static_selectorELNS0_4arch9wavefront6targetE0EEEvT1_,comdat
	.globl	_ZN7rocprim17ROCPRIM_400000_NS6detail17trampoline_kernelINS0_14default_configENS1_20scan_config_selectorIN3c107complexIdEEEEZZNS1_9scan_implILNS1_25lookback_scan_determinismE0ELb0ELb0ES3_PKS7_PS7_S7_ZZZN2at6native31launch_logcumsumexp_cuda_kernelERKNSE_10TensorBaseESI_lENKUlvE_clEvENKUlvE1_clEvEUlS7_S7_E_S7_EEDaPvRmT3_T4_T5_mT6_P12ihipStream_tbENKUlT_T0_E_clISt17integral_constantIbLb1EESZ_EEDaSU_SV_EUlSU_E0_NS1_11comp_targetILNS1_3genE5ELNS1_11target_archE942ELNS1_3gpuE9ELNS1_3repE0EEENS1_30default_config_static_selectorELNS0_4arch9wavefront6targetE0EEEvT1_ ; -- Begin function _ZN7rocprim17ROCPRIM_400000_NS6detail17trampoline_kernelINS0_14default_configENS1_20scan_config_selectorIN3c107complexIdEEEEZZNS1_9scan_implILNS1_25lookback_scan_determinismE0ELb0ELb0ES3_PKS7_PS7_S7_ZZZN2at6native31launch_logcumsumexp_cuda_kernelERKNSE_10TensorBaseESI_lENKUlvE_clEvENKUlvE1_clEvEUlS7_S7_E_S7_EEDaPvRmT3_T4_T5_mT6_P12ihipStream_tbENKUlT_T0_E_clISt17integral_constantIbLb1EESZ_EEDaSU_SV_EUlSU_E0_NS1_11comp_targetILNS1_3genE5ELNS1_11target_archE942ELNS1_3gpuE9ELNS1_3repE0EEENS1_30default_config_static_selectorELNS0_4arch9wavefront6targetE0EEEvT1_
	.p2align	8
	.type	_ZN7rocprim17ROCPRIM_400000_NS6detail17trampoline_kernelINS0_14default_configENS1_20scan_config_selectorIN3c107complexIdEEEEZZNS1_9scan_implILNS1_25lookback_scan_determinismE0ELb0ELb0ES3_PKS7_PS7_S7_ZZZN2at6native31launch_logcumsumexp_cuda_kernelERKNSE_10TensorBaseESI_lENKUlvE_clEvENKUlvE1_clEvEUlS7_S7_E_S7_EEDaPvRmT3_T4_T5_mT6_P12ihipStream_tbENKUlT_T0_E_clISt17integral_constantIbLb1EESZ_EEDaSU_SV_EUlSU_E0_NS1_11comp_targetILNS1_3genE5ELNS1_11target_archE942ELNS1_3gpuE9ELNS1_3repE0EEENS1_30default_config_static_selectorELNS0_4arch9wavefront6targetE0EEEvT1_,@function
_ZN7rocprim17ROCPRIM_400000_NS6detail17trampoline_kernelINS0_14default_configENS1_20scan_config_selectorIN3c107complexIdEEEEZZNS1_9scan_implILNS1_25lookback_scan_determinismE0ELb0ELb0ES3_PKS7_PS7_S7_ZZZN2at6native31launch_logcumsumexp_cuda_kernelERKNSE_10TensorBaseESI_lENKUlvE_clEvENKUlvE1_clEvEUlS7_S7_E_S7_EEDaPvRmT3_T4_T5_mT6_P12ihipStream_tbENKUlT_T0_E_clISt17integral_constantIbLb1EESZ_EEDaSU_SV_EUlSU_E0_NS1_11comp_targetILNS1_3genE5ELNS1_11target_archE942ELNS1_3gpuE9ELNS1_3repE0EEENS1_30default_config_static_selectorELNS0_4arch9wavefront6targetE0EEEvT1_: ; @_ZN7rocprim17ROCPRIM_400000_NS6detail17trampoline_kernelINS0_14default_configENS1_20scan_config_selectorIN3c107complexIdEEEEZZNS1_9scan_implILNS1_25lookback_scan_determinismE0ELb0ELb0ES3_PKS7_PS7_S7_ZZZN2at6native31launch_logcumsumexp_cuda_kernelERKNSE_10TensorBaseESI_lENKUlvE_clEvENKUlvE1_clEvEUlS7_S7_E_S7_EEDaPvRmT3_T4_T5_mT6_P12ihipStream_tbENKUlT_T0_E_clISt17integral_constantIbLb1EESZ_EEDaSU_SV_EUlSU_E0_NS1_11comp_targetILNS1_3genE5ELNS1_11target_archE942ELNS1_3gpuE9ELNS1_3repE0EEENS1_30default_config_static_selectorELNS0_4arch9wavefront6targetE0EEEvT1_
; %bb.0:
	.section	.rodata,"a",@progbits
	.p2align	6, 0x0
	.amdhsa_kernel _ZN7rocprim17ROCPRIM_400000_NS6detail17trampoline_kernelINS0_14default_configENS1_20scan_config_selectorIN3c107complexIdEEEEZZNS1_9scan_implILNS1_25lookback_scan_determinismE0ELb0ELb0ES3_PKS7_PS7_S7_ZZZN2at6native31launch_logcumsumexp_cuda_kernelERKNSE_10TensorBaseESI_lENKUlvE_clEvENKUlvE1_clEvEUlS7_S7_E_S7_EEDaPvRmT3_T4_T5_mT6_P12ihipStream_tbENKUlT_T0_E_clISt17integral_constantIbLb1EESZ_EEDaSU_SV_EUlSU_E0_NS1_11comp_targetILNS1_3genE5ELNS1_11target_archE942ELNS1_3gpuE9ELNS1_3repE0EEENS1_30default_config_static_selectorELNS0_4arch9wavefront6targetE0EEEvT1_
		.amdhsa_group_segment_fixed_size 0
		.amdhsa_private_segment_fixed_size 0
		.amdhsa_kernarg_size 48
		.amdhsa_user_sgpr_count 2
		.amdhsa_user_sgpr_dispatch_ptr 0
		.amdhsa_user_sgpr_queue_ptr 0
		.amdhsa_user_sgpr_kernarg_segment_ptr 1
		.amdhsa_user_sgpr_dispatch_id 0
		.amdhsa_user_sgpr_private_segment_size 0
		.amdhsa_wavefront_size32 1
		.amdhsa_uses_dynamic_stack 0
		.amdhsa_enable_private_segment 0
		.amdhsa_system_sgpr_workgroup_id_x 1
		.amdhsa_system_sgpr_workgroup_id_y 0
		.amdhsa_system_sgpr_workgroup_id_z 0
		.amdhsa_system_sgpr_workgroup_info 0
		.amdhsa_system_vgpr_workitem_id 0
		.amdhsa_next_free_vgpr 1
		.amdhsa_next_free_sgpr 1
		.amdhsa_reserve_vcc 0
		.amdhsa_float_round_mode_32 0
		.amdhsa_float_round_mode_16_64 0
		.amdhsa_float_denorm_mode_32 3
		.amdhsa_float_denorm_mode_16_64 3
		.amdhsa_fp16_overflow 0
		.amdhsa_workgroup_processor_mode 1
		.amdhsa_memory_ordered 1
		.amdhsa_forward_progress 1
		.amdhsa_inst_pref_size 0
		.amdhsa_round_robin_scheduling 0
		.amdhsa_exception_fp_ieee_invalid_op 0
		.amdhsa_exception_fp_denorm_src 0
		.amdhsa_exception_fp_ieee_div_zero 0
		.amdhsa_exception_fp_ieee_overflow 0
		.amdhsa_exception_fp_ieee_underflow 0
		.amdhsa_exception_fp_ieee_inexact 0
		.amdhsa_exception_int_div_zero 0
	.end_amdhsa_kernel
	.section	.text._ZN7rocprim17ROCPRIM_400000_NS6detail17trampoline_kernelINS0_14default_configENS1_20scan_config_selectorIN3c107complexIdEEEEZZNS1_9scan_implILNS1_25lookback_scan_determinismE0ELb0ELb0ES3_PKS7_PS7_S7_ZZZN2at6native31launch_logcumsumexp_cuda_kernelERKNSE_10TensorBaseESI_lENKUlvE_clEvENKUlvE1_clEvEUlS7_S7_E_S7_EEDaPvRmT3_T4_T5_mT6_P12ihipStream_tbENKUlT_T0_E_clISt17integral_constantIbLb1EESZ_EEDaSU_SV_EUlSU_E0_NS1_11comp_targetILNS1_3genE5ELNS1_11target_archE942ELNS1_3gpuE9ELNS1_3repE0EEENS1_30default_config_static_selectorELNS0_4arch9wavefront6targetE0EEEvT1_,"axG",@progbits,_ZN7rocprim17ROCPRIM_400000_NS6detail17trampoline_kernelINS0_14default_configENS1_20scan_config_selectorIN3c107complexIdEEEEZZNS1_9scan_implILNS1_25lookback_scan_determinismE0ELb0ELb0ES3_PKS7_PS7_S7_ZZZN2at6native31launch_logcumsumexp_cuda_kernelERKNSE_10TensorBaseESI_lENKUlvE_clEvENKUlvE1_clEvEUlS7_S7_E_S7_EEDaPvRmT3_T4_T5_mT6_P12ihipStream_tbENKUlT_T0_E_clISt17integral_constantIbLb1EESZ_EEDaSU_SV_EUlSU_E0_NS1_11comp_targetILNS1_3genE5ELNS1_11target_archE942ELNS1_3gpuE9ELNS1_3repE0EEENS1_30default_config_static_selectorELNS0_4arch9wavefront6targetE0EEEvT1_,comdat
.Lfunc_end213:
	.size	_ZN7rocprim17ROCPRIM_400000_NS6detail17trampoline_kernelINS0_14default_configENS1_20scan_config_selectorIN3c107complexIdEEEEZZNS1_9scan_implILNS1_25lookback_scan_determinismE0ELb0ELb0ES3_PKS7_PS7_S7_ZZZN2at6native31launch_logcumsumexp_cuda_kernelERKNSE_10TensorBaseESI_lENKUlvE_clEvENKUlvE1_clEvEUlS7_S7_E_S7_EEDaPvRmT3_T4_T5_mT6_P12ihipStream_tbENKUlT_T0_E_clISt17integral_constantIbLb1EESZ_EEDaSU_SV_EUlSU_E0_NS1_11comp_targetILNS1_3genE5ELNS1_11target_archE942ELNS1_3gpuE9ELNS1_3repE0EEENS1_30default_config_static_selectorELNS0_4arch9wavefront6targetE0EEEvT1_, .Lfunc_end213-_ZN7rocprim17ROCPRIM_400000_NS6detail17trampoline_kernelINS0_14default_configENS1_20scan_config_selectorIN3c107complexIdEEEEZZNS1_9scan_implILNS1_25lookback_scan_determinismE0ELb0ELb0ES3_PKS7_PS7_S7_ZZZN2at6native31launch_logcumsumexp_cuda_kernelERKNSE_10TensorBaseESI_lENKUlvE_clEvENKUlvE1_clEvEUlS7_S7_E_S7_EEDaPvRmT3_T4_T5_mT6_P12ihipStream_tbENKUlT_T0_E_clISt17integral_constantIbLb1EESZ_EEDaSU_SV_EUlSU_E0_NS1_11comp_targetILNS1_3genE5ELNS1_11target_archE942ELNS1_3gpuE9ELNS1_3repE0EEENS1_30default_config_static_selectorELNS0_4arch9wavefront6targetE0EEEvT1_
                                        ; -- End function
	.set _ZN7rocprim17ROCPRIM_400000_NS6detail17trampoline_kernelINS0_14default_configENS1_20scan_config_selectorIN3c107complexIdEEEEZZNS1_9scan_implILNS1_25lookback_scan_determinismE0ELb0ELb0ES3_PKS7_PS7_S7_ZZZN2at6native31launch_logcumsumexp_cuda_kernelERKNSE_10TensorBaseESI_lENKUlvE_clEvENKUlvE1_clEvEUlS7_S7_E_S7_EEDaPvRmT3_T4_T5_mT6_P12ihipStream_tbENKUlT_T0_E_clISt17integral_constantIbLb1EESZ_EEDaSU_SV_EUlSU_E0_NS1_11comp_targetILNS1_3genE5ELNS1_11target_archE942ELNS1_3gpuE9ELNS1_3repE0EEENS1_30default_config_static_selectorELNS0_4arch9wavefront6targetE0EEEvT1_.num_vgpr, 0
	.set _ZN7rocprim17ROCPRIM_400000_NS6detail17trampoline_kernelINS0_14default_configENS1_20scan_config_selectorIN3c107complexIdEEEEZZNS1_9scan_implILNS1_25lookback_scan_determinismE0ELb0ELb0ES3_PKS7_PS7_S7_ZZZN2at6native31launch_logcumsumexp_cuda_kernelERKNSE_10TensorBaseESI_lENKUlvE_clEvENKUlvE1_clEvEUlS7_S7_E_S7_EEDaPvRmT3_T4_T5_mT6_P12ihipStream_tbENKUlT_T0_E_clISt17integral_constantIbLb1EESZ_EEDaSU_SV_EUlSU_E0_NS1_11comp_targetILNS1_3genE5ELNS1_11target_archE942ELNS1_3gpuE9ELNS1_3repE0EEENS1_30default_config_static_selectorELNS0_4arch9wavefront6targetE0EEEvT1_.num_agpr, 0
	.set _ZN7rocprim17ROCPRIM_400000_NS6detail17trampoline_kernelINS0_14default_configENS1_20scan_config_selectorIN3c107complexIdEEEEZZNS1_9scan_implILNS1_25lookback_scan_determinismE0ELb0ELb0ES3_PKS7_PS7_S7_ZZZN2at6native31launch_logcumsumexp_cuda_kernelERKNSE_10TensorBaseESI_lENKUlvE_clEvENKUlvE1_clEvEUlS7_S7_E_S7_EEDaPvRmT3_T4_T5_mT6_P12ihipStream_tbENKUlT_T0_E_clISt17integral_constantIbLb1EESZ_EEDaSU_SV_EUlSU_E0_NS1_11comp_targetILNS1_3genE5ELNS1_11target_archE942ELNS1_3gpuE9ELNS1_3repE0EEENS1_30default_config_static_selectorELNS0_4arch9wavefront6targetE0EEEvT1_.numbered_sgpr, 0
	.set _ZN7rocprim17ROCPRIM_400000_NS6detail17trampoline_kernelINS0_14default_configENS1_20scan_config_selectorIN3c107complexIdEEEEZZNS1_9scan_implILNS1_25lookback_scan_determinismE0ELb0ELb0ES3_PKS7_PS7_S7_ZZZN2at6native31launch_logcumsumexp_cuda_kernelERKNSE_10TensorBaseESI_lENKUlvE_clEvENKUlvE1_clEvEUlS7_S7_E_S7_EEDaPvRmT3_T4_T5_mT6_P12ihipStream_tbENKUlT_T0_E_clISt17integral_constantIbLb1EESZ_EEDaSU_SV_EUlSU_E0_NS1_11comp_targetILNS1_3genE5ELNS1_11target_archE942ELNS1_3gpuE9ELNS1_3repE0EEENS1_30default_config_static_selectorELNS0_4arch9wavefront6targetE0EEEvT1_.num_named_barrier, 0
	.set _ZN7rocprim17ROCPRIM_400000_NS6detail17trampoline_kernelINS0_14default_configENS1_20scan_config_selectorIN3c107complexIdEEEEZZNS1_9scan_implILNS1_25lookback_scan_determinismE0ELb0ELb0ES3_PKS7_PS7_S7_ZZZN2at6native31launch_logcumsumexp_cuda_kernelERKNSE_10TensorBaseESI_lENKUlvE_clEvENKUlvE1_clEvEUlS7_S7_E_S7_EEDaPvRmT3_T4_T5_mT6_P12ihipStream_tbENKUlT_T0_E_clISt17integral_constantIbLb1EESZ_EEDaSU_SV_EUlSU_E0_NS1_11comp_targetILNS1_3genE5ELNS1_11target_archE942ELNS1_3gpuE9ELNS1_3repE0EEENS1_30default_config_static_selectorELNS0_4arch9wavefront6targetE0EEEvT1_.private_seg_size, 0
	.set _ZN7rocprim17ROCPRIM_400000_NS6detail17trampoline_kernelINS0_14default_configENS1_20scan_config_selectorIN3c107complexIdEEEEZZNS1_9scan_implILNS1_25lookback_scan_determinismE0ELb0ELb0ES3_PKS7_PS7_S7_ZZZN2at6native31launch_logcumsumexp_cuda_kernelERKNSE_10TensorBaseESI_lENKUlvE_clEvENKUlvE1_clEvEUlS7_S7_E_S7_EEDaPvRmT3_T4_T5_mT6_P12ihipStream_tbENKUlT_T0_E_clISt17integral_constantIbLb1EESZ_EEDaSU_SV_EUlSU_E0_NS1_11comp_targetILNS1_3genE5ELNS1_11target_archE942ELNS1_3gpuE9ELNS1_3repE0EEENS1_30default_config_static_selectorELNS0_4arch9wavefront6targetE0EEEvT1_.uses_vcc, 0
	.set _ZN7rocprim17ROCPRIM_400000_NS6detail17trampoline_kernelINS0_14default_configENS1_20scan_config_selectorIN3c107complexIdEEEEZZNS1_9scan_implILNS1_25lookback_scan_determinismE0ELb0ELb0ES3_PKS7_PS7_S7_ZZZN2at6native31launch_logcumsumexp_cuda_kernelERKNSE_10TensorBaseESI_lENKUlvE_clEvENKUlvE1_clEvEUlS7_S7_E_S7_EEDaPvRmT3_T4_T5_mT6_P12ihipStream_tbENKUlT_T0_E_clISt17integral_constantIbLb1EESZ_EEDaSU_SV_EUlSU_E0_NS1_11comp_targetILNS1_3genE5ELNS1_11target_archE942ELNS1_3gpuE9ELNS1_3repE0EEENS1_30default_config_static_selectorELNS0_4arch9wavefront6targetE0EEEvT1_.uses_flat_scratch, 0
	.set _ZN7rocprim17ROCPRIM_400000_NS6detail17trampoline_kernelINS0_14default_configENS1_20scan_config_selectorIN3c107complexIdEEEEZZNS1_9scan_implILNS1_25lookback_scan_determinismE0ELb0ELb0ES3_PKS7_PS7_S7_ZZZN2at6native31launch_logcumsumexp_cuda_kernelERKNSE_10TensorBaseESI_lENKUlvE_clEvENKUlvE1_clEvEUlS7_S7_E_S7_EEDaPvRmT3_T4_T5_mT6_P12ihipStream_tbENKUlT_T0_E_clISt17integral_constantIbLb1EESZ_EEDaSU_SV_EUlSU_E0_NS1_11comp_targetILNS1_3genE5ELNS1_11target_archE942ELNS1_3gpuE9ELNS1_3repE0EEENS1_30default_config_static_selectorELNS0_4arch9wavefront6targetE0EEEvT1_.has_dyn_sized_stack, 0
	.set _ZN7rocprim17ROCPRIM_400000_NS6detail17trampoline_kernelINS0_14default_configENS1_20scan_config_selectorIN3c107complexIdEEEEZZNS1_9scan_implILNS1_25lookback_scan_determinismE0ELb0ELb0ES3_PKS7_PS7_S7_ZZZN2at6native31launch_logcumsumexp_cuda_kernelERKNSE_10TensorBaseESI_lENKUlvE_clEvENKUlvE1_clEvEUlS7_S7_E_S7_EEDaPvRmT3_T4_T5_mT6_P12ihipStream_tbENKUlT_T0_E_clISt17integral_constantIbLb1EESZ_EEDaSU_SV_EUlSU_E0_NS1_11comp_targetILNS1_3genE5ELNS1_11target_archE942ELNS1_3gpuE9ELNS1_3repE0EEENS1_30default_config_static_selectorELNS0_4arch9wavefront6targetE0EEEvT1_.has_recursion, 0
	.set _ZN7rocprim17ROCPRIM_400000_NS6detail17trampoline_kernelINS0_14default_configENS1_20scan_config_selectorIN3c107complexIdEEEEZZNS1_9scan_implILNS1_25lookback_scan_determinismE0ELb0ELb0ES3_PKS7_PS7_S7_ZZZN2at6native31launch_logcumsumexp_cuda_kernelERKNSE_10TensorBaseESI_lENKUlvE_clEvENKUlvE1_clEvEUlS7_S7_E_S7_EEDaPvRmT3_T4_T5_mT6_P12ihipStream_tbENKUlT_T0_E_clISt17integral_constantIbLb1EESZ_EEDaSU_SV_EUlSU_E0_NS1_11comp_targetILNS1_3genE5ELNS1_11target_archE942ELNS1_3gpuE9ELNS1_3repE0EEENS1_30default_config_static_selectorELNS0_4arch9wavefront6targetE0EEEvT1_.has_indirect_call, 0
	.section	.AMDGPU.csdata,"",@progbits
; Kernel info:
; codeLenInByte = 0
; TotalNumSgprs: 0
; NumVgprs: 0
; ScratchSize: 0
; MemoryBound: 0
; FloatMode: 240
; IeeeMode: 1
; LDSByteSize: 0 bytes/workgroup (compile time only)
; SGPRBlocks: 0
; VGPRBlocks: 0
; NumSGPRsForWavesPerEU: 1
; NumVGPRsForWavesPerEU: 1
; Occupancy: 16
; WaveLimiterHint : 0
; COMPUTE_PGM_RSRC2:SCRATCH_EN: 0
; COMPUTE_PGM_RSRC2:USER_SGPR: 2
; COMPUTE_PGM_RSRC2:TRAP_HANDLER: 0
; COMPUTE_PGM_RSRC2:TGID_X_EN: 1
; COMPUTE_PGM_RSRC2:TGID_Y_EN: 0
; COMPUTE_PGM_RSRC2:TGID_Z_EN: 0
; COMPUTE_PGM_RSRC2:TIDIG_COMP_CNT: 0
	.section	.text._ZN7rocprim17ROCPRIM_400000_NS6detail17trampoline_kernelINS0_14default_configENS1_20scan_config_selectorIN3c107complexIdEEEEZZNS1_9scan_implILNS1_25lookback_scan_determinismE0ELb0ELb0ES3_PKS7_PS7_S7_ZZZN2at6native31launch_logcumsumexp_cuda_kernelERKNSE_10TensorBaseESI_lENKUlvE_clEvENKUlvE1_clEvEUlS7_S7_E_S7_EEDaPvRmT3_T4_T5_mT6_P12ihipStream_tbENKUlT_T0_E_clISt17integral_constantIbLb1EESZ_EEDaSU_SV_EUlSU_E0_NS1_11comp_targetILNS1_3genE4ELNS1_11target_archE910ELNS1_3gpuE8ELNS1_3repE0EEENS1_30default_config_static_selectorELNS0_4arch9wavefront6targetE0EEEvT1_,"axG",@progbits,_ZN7rocprim17ROCPRIM_400000_NS6detail17trampoline_kernelINS0_14default_configENS1_20scan_config_selectorIN3c107complexIdEEEEZZNS1_9scan_implILNS1_25lookback_scan_determinismE0ELb0ELb0ES3_PKS7_PS7_S7_ZZZN2at6native31launch_logcumsumexp_cuda_kernelERKNSE_10TensorBaseESI_lENKUlvE_clEvENKUlvE1_clEvEUlS7_S7_E_S7_EEDaPvRmT3_T4_T5_mT6_P12ihipStream_tbENKUlT_T0_E_clISt17integral_constantIbLb1EESZ_EEDaSU_SV_EUlSU_E0_NS1_11comp_targetILNS1_3genE4ELNS1_11target_archE910ELNS1_3gpuE8ELNS1_3repE0EEENS1_30default_config_static_selectorELNS0_4arch9wavefront6targetE0EEEvT1_,comdat
	.globl	_ZN7rocprim17ROCPRIM_400000_NS6detail17trampoline_kernelINS0_14default_configENS1_20scan_config_selectorIN3c107complexIdEEEEZZNS1_9scan_implILNS1_25lookback_scan_determinismE0ELb0ELb0ES3_PKS7_PS7_S7_ZZZN2at6native31launch_logcumsumexp_cuda_kernelERKNSE_10TensorBaseESI_lENKUlvE_clEvENKUlvE1_clEvEUlS7_S7_E_S7_EEDaPvRmT3_T4_T5_mT6_P12ihipStream_tbENKUlT_T0_E_clISt17integral_constantIbLb1EESZ_EEDaSU_SV_EUlSU_E0_NS1_11comp_targetILNS1_3genE4ELNS1_11target_archE910ELNS1_3gpuE8ELNS1_3repE0EEENS1_30default_config_static_selectorELNS0_4arch9wavefront6targetE0EEEvT1_ ; -- Begin function _ZN7rocprim17ROCPRIM_400000_NS6detail17trampoline_kernelINS0_14default_configENS1_20scan_config_selectorIN3c107complexIdEEEEZZNS1_9scan_implILNS1_25lookback_scan_determinismE0ELb0ELb0ES3_PKS7_PS7_S7_ZZZN2at6native31launch_logcumsumexp_cuda_kernelERKNSE_10TensorBaseESI_lENKUlvE_clEvENKUlvE1_clEvEUlS7_S7_E_S7_EEDaPvRmT3_T4_T5_mT6_P12ihipStream_tbENKUlT_T0_E_clISt17integral_constantIbLb1EESZ_EEDaSU_SV_EUlSU_E0_NS1_11comp_targetILNS1_3genE4ELNS1_11target_archE910ELNS1_3gpuE8ELNS1_3repE0EEENS1_30default_config_static_selectorELNS0_4arch9wavefront6targetE0EEEvT1_
	.p2align	8
	.type	_ZN7rocprim17ROCPRIM_400000_NS6detail17trampoline_kernelINS0_14default_configENS1_20scan_config_selectorIN3c107complexIdEEEEZZNS1_9scan_implILNS1_25lookback_scan_determinismE0ELb0ELb0ES3_PKS7_PS7_S7_ZZZN2at6native31launch_logcumsumexp_cuda_kernelERKNSE_10TensorBaseESI_lENKUlvE_clEvENKUlvE1_clEvEUlS7_S7_E_S7_EEDaPvRmT3_T4_T5_mT6_P12ihipStream_tbENKUlT_T0_E_clISt17integral_constantIbLb1EESZ_EEDaSU_SV_EUlSU_E0_NS1_11comp_targetILNS1_3genE4ELNS1_11target_archE910ELNS1_3gpuE8ELNS1_3repE0EEENS1_30default_config_static_selectorELNS0_4arch9wavefront6targetE0EEEvT1_,@function
_ZN7rocprim17ROCPRIM_400000_NS6detail17trampoline_kernelINS0_14default_configENS1_20scan_config_selectorIN3c107complexIdEEEEZZNS1_9scan_implILNS1_25lookback_scan_determinismE0ELb0ELb0ES3_PKS7_PS7_S7_ZZZN2at6native31launch_logcumsumexp_cuda_kernelERKNSE_10TensorBaseESI_lENKUlvE_clEvENKUlvE1_clEvEUlS7_S7_E_S7_EEDaPvRmT3_T4_T5_mT6_P12ihipStream_tbENKUlT_T0_E_clISt17integral_constantIbLb1EESZ_EEDaSU_SV_EUlSU_E0_NS1_11comp_targetILNS1_3genE4ELNS1_11target_archE910ELNS1_3gpuE8ELNS1_3repE0EEENS1_30default_config_static_selectorELNS0_4arch9wavefront6targetE0EEEvT1_: ; @_ZN7rocprim17ROCPRIM_400000_NS6detail17trampoline_kernelINS0_14default_configENS1_20scan_config_selectorIN3c107complexIdEEEEZZNS1_9scan_implILNS1_25lookback_scan_determinismE0ELb0ELb0ES3_PKS7_PS7_S7_ZZZN2at6native31launch_logcumsumexp_cuda_kernelERKNSE_10TensorBaseESI_lENKUlvE_clEvENKUlvE1_clEvEUlS7_S7_E_S7_EEDaPvRmT3_T4_T5_mT6_P12ihipStream_tbENKUlT_T0_E_clISt17integral_constantIbLb1EESZ_EEDaSU_SV_EUlSU_E0_NS1_11comp_targetILNS1_3genE4ELNS1_11target_archE910ELNS1_3gpuE8ELNS1_3repE0EEENS1_30default_config_static_selectorELNS0_4arch9wavefront6targetE0EEEvT1_
; %bb.0:
	.section	.rodata,"a",@progbits
	.p2align	6, 0x0
	.amdhsa_kernel _ZN7rocprim17ROCPRIM_400000_NS6detail17trampoline_kernelINS0_14default_configENS1_20scan_config_selectorIN3c107complexIdEEEEZZNS1_9scan_implILNS1_25lookback_scan_determinismE0ELb0ELb0ES3_PKS7_PS7_S7_ZZZN2at6native31launch_logcumsumexp_cuda_kernelERKNSE_10TensorBaseESI_lENKUlvE_clEvENKUlvE1_clEvEUlS7_S7_E_S7_EEDaPvRmT3_T4_T5_mT6_P12ihipStream_tbENKUlT_T0_E_clISt17integral_constantIbLb1EESZ_EEDaSU_SV_EUlSU_E0_NS1_11comp_targetILNS1_3genE4ELNS1_11target_archE910ELNS1_3gpuE8ELNS1_3repE0EEENS1_30default_config_static_selectorELNS0_4arch9wavefront6targetE0EEEvT1_
		.amdhsa_group_segment_fixed_size 0
		.amdhsa_private_segment_fixed_size 0
		.amdhsa_kernarg_size 48
		.amdhsa_user_sgpr_count 2
		.amdhsa_user_sgpr_dispatch_ptr 0
		.amdhsa_user_sgpr_queue_ptr 0
		.amdhsa_user_sgpr_kernarg_segment_ptr 1
		.amdhsa_user_sgpr_dispatch_id 0
		.amdhsa_user_sgpr_private_segment_size 0
		.amdhsa_wavefront_size32 1
		.amdhsa_uses_dynamic_stack 0
		.amdhsa_enable_private_segment 0
		.amdhsa_system_sgpr_workgroup_id_x 1
		.amdhsa_system_sgpr_workgroup_id_y 0
		.amdhsa_system_sgpr_workgroup_id_z 0
		.amdhsa_system_sgpr_workgroup_info 0
		.amdhsa_system_vgpr_workitem_id 0
		.amdhsa_next_free_vgpr 1
		.amdhsa_next_free_sgpr 1
		.amdhsa_reserve_vcc 0
		.amdhsa_float_round_mode_32 0
		.amdhsa_float_round_mode_16_64 0
		.amdhsa_float_denorm_mode_32 3
		.amdhsa_float_denorm_mode_16_64 3
		.amdhsa_fp16_overflow 0
		.amdhsa_workgroup_processor_mode 1
		.amdhsa_memory_ordered 1
		.amdhsa_forward_progress 1
		.amdhsa_inst_pref_size 0
		.amdhsa_round_robin_scheduling 0
		.amdhsa_exception_fp_ieee_invalid_op 0
		.amdhsa_exception_fp_denorm_src 0
		.amdhsa_exception_fp_ieee_div_zero 0
		.amdhsa_exception_fp_ieee_overflow 0
		.amdhsa_exception_fp_ieee_underflow 0
		.amdhsa_exception_fp_ieee_inexact 0
		.amdhsa_exception_int_div_zero 0
	.end_amdhsa_kernel
	.section	.text._ZN7rocprim17ROCPRIM_400000_NS6detail17trampoline_kernelINS0_14default_configENS1_20scan_config_selectorIN3c107complexIdEEEEZZNS1_9scan_implILNS1_25lookback_scan_determinismE0ELb0ELb0ES3_PKS7_PS7_S7_ZZZN2at6native31launch_logcumsumexp_cuda_kernelERKNSE_10TensorBaseESI_lENKUlvE_clEvENKUlvE1_clEvEUlS7_S7_E_S7_EEDaPvRmT3_T4_T5_mT6_P12ihipStream_tbENKUlT_T0_E_clISt17integral_constantIbLb1EESZ_EEDaSU_SV_EUlSU_E0_NS1_11comp_targetILNS1_3genE4ELNS1_11target_archE910ELNS1_3gpuE8ELNS1_3repE0EEENS1_30default_config_static_selectorELNS0_4arch9wavefront6targetE0EEEvT1_,"axG",@progbits,_ZN7rocprim17ROCPRIM_400000_NS6detail17trampoline_kernelINS0_14default_configENS1_20scan_config_selectorIN3c107complexIdEEEEZZNS1_9scan_implILNS1_25lookback_scan_determinismE0ELb0ELb0ES3_PKS7_PS7_S7_ZZZN2at6native31launch_logcumsumexp_cuda_kernelERKNSE_10TensorBaseESI_lENKUlvE_clEvENKUlvE1_clEvEUlS7_S7_E_S7_EEDaPvRmT3_T4_T5_mT6_P12ihipStream_tbENKUlT_T0_E_clISt17integral_constantIbLb1EESZ_EEDaSU_SV_EUlSU_E0_NS1_11comp_targetILNS1_3genE4ELNS1_11target_archE910ELNS1_3gpuE8ELNS1_3repE0EEENS1_30default_config_static_selectorELNS0_4arch9wavefront6targetE0EEEvT1_,comdat
.Lfunc_end214:
	.size	_ZN7rocprim17ROCPRIM_400000_NS6detail17trampoline_kernelINS0_14default_configENS1_20scan_config_selectorIN3c107complexIdEEEEZZNS1_9scan_implILNS1_25lookback_scan_determinismE0ELb0ELb0ES3_PKS7_PS7_S7_ZZZN2at6native31launch_logcumsumexp_cuda_kernelERKNSE_10TensorBaseESI_lENKUlvE_clEvENKUlvE1_clEvEUlS7_S7_E_S7_EEDaPvRmT3_T4_T5_mT6_P12ihipStream_tbENKUlT_T0_E_clISt17integral_constantIbLb1EESZ_EEDaSU_SV_EUlSU_E0_NS1_11comp_targetILNS1_3genE4ELNS1_11target_archE910ELNS1_3gpuE8ELNS1_3repE0EEENS1_30default_config_static_selectorELNS0_4arch9wavefront6targetE0EEEvT1_, .Lfunc_end214-_ZN7rocprim17ROCPRIM_400000_NS6detail17trampoline_kernelINS0_14default_configENS1_20scan_config_selectorIN3c107complexIdEEEEZZNS1_9scan_implILNS1_25lookback_scan_determinismE0ELb0ELb0ES3_PKS7_PS7_S7_ZZZN2at6native31launch_logcumsumexp_cuda_kernelERKNSE_10TensorBaseESI_lENKUlvE_clEvENKUlvE1_clEvEUlS7_S7_E_S7_EEDaPvRmT3_T4_T5_mT6_P12ihipStream_tbENKUlT_T0_E_clISt17integral_constantIbLb1EESZ_EEDaSU_SV_EUlSU_E0_NS1_11comp_targetILNS1_3genE4ELNS1_11target_archE910ELNS1_3gpuE8ELNS1_3repE0EEENS1_30default_config_static_selectorELNS0_4arch9wavefront6targetE0EEEvT1_
                                        ; -- End function
	.set _ZN7rocprim17ROCPRIM_400000_NS6detail17trampoline_kernelINS0_14default_configENS1_20scan_config_selectorIN3c107complexIdEEEEZZNS1_9scan_implILNS1_25lookback_scan_determinismE0ELb0ELb0ES3_PKS7_PS7_S7_ZZZN2at6native31launch_logcumsumexp_cuda_kernelERKNSE_10TensorBaseESI_lENKUlvE_clEvENKUlvE1_clEvEUlS7_S7_E_S7_EEDaPvRmT3_T4_T5_mT6_P12ihipStream_tbENKUlT_T0_E_clISt17integral_constantIbLb1EESZ_EEDaSU_SV_EUlSU_E0_NS1_11comp_targetILNS1_3genE4ELNS1_11target_archE910ELNS1_3gpuE8ELNS1_3repE0EEENS1_30default_config_static_selectorELNS0_4arch9wavefront6targetE0EEEvT1_.num_vgpr, 0
	.set _ZN7rocprim17ROCPRIM_400000_NS6detail17trampoline_kernelINS0_14default_configENS1_20scan_config_selectorIN3c107complexIdEEEEZZNS1_9scan_implILNS1_25lookback_scan_determinismE0ELb0ELb0ES3_PKS7_PS7_S7_ZZZN2at6native31launch_logcumsumexp_cuda_kernelERKNSE_10TensorBaseESI_lENKUlvE_clEvENKUlvE1_clEvEUlS7_S7_E_S7_EEDaPvRmT3_T4_T5_mT6_P12ihipStream_tbENKUlT_T0_E_clISt17integral_constantIbLb1EESZ_EEDaSU_SV_EUlSU_E0_NS1_11comp_targetILNS1_3genE4ELNS1_11target_archE910ELNS1_3gpuE8ELNS1_3repE0EEENS1_30default_config_static_selectorELNS0_4arch9wavefront6targetE0EEEvT1_.num_agpr, 0
	.set _ZN7rocprim17ROCPRIM_400000_NS6detail17trampoline_kernelINS0_14default_configENS1_20scan_config_selectorIN3c107complexIdEEEEZZNS1_9scan_implILNS1_25lookback_scan_determinismE0ELb0ELb0ES3_PKS7_PS7_S7_ZZZN2at6native31launch_logcumsumexp_cuda_kernelERKNSE_10TensorBaseESI_lENKUlvE_clEvENKUlvE1_clEvEUlS7_S7_E_S7_EEDaPvRmT3_T4_T5_mT6_P12ihipStream_tbENKUlT_T0_E_clISt17integral_constantIbLb1EESZ_EEDaSU_SV_EUlSU_E0_NS1_11comp_targetILNS1_3genE4ELNS1_11target_archE910ELNS1_3gpuE8ELNS1_3repE0EEENS1_30default_config_static_selectorELNS0_4arch9wavefront6targetE0EEEvT1_.numbered_sgpr, 0
	.set _ZN7rocprim17ROCPRIM_400000_NS6detail17trampoline_kernelINS0_14default_configENS1_20scan_config_selectorIN3c107complexIdEEEEZZNS1_9scan_implILNS1_25lookback_scan_determinismE0ELb0ELb0ES3_PKS7_PS7_S7_ZZZN2at6native31launch_logcumsumexp_cuda_kernelERKNSE_10TensorBaseESI_lENKUlvE_clEvENKUlvE1_clEvEUlS7_S7_E_S7_EEDaPvRmT3_T4_T5_mT6_P12ihipStream_tbENKUlT_T0_E_clISt17integral_constantIbLb1EESZ_EEDaSU_SV_EUlSU_E0_NS1_11comp_targetILNS1_3genE4ELNS1_11target_archE910ELNS1_3gpuE8ELNS1_3repE0EEENS1_30default_config_static_selectorELNS0_4arch9wavefront6targetE0EEEvT1_.num_named_barrier, 0
	.set _ZN7rocprim17ROCPRIM_400000_NS6detail17trampoline_kernelINS0_14default_configENS1_20scan_config_selectorIN3c107complexIdEEEEZZNS1_9scan_implILNS1_25lookback_scan_determinismE0ELb0ELb0ES3_PKS7_PS7_S7_ZZZN2at6native31launch_logcumsumexp_cuda_kernelERKNSE_10TensorBaseESI_lENKUlvE_clEvENKUlvE1_clEvEUlS7_S7_E_S7_EEDaPvRmT3_T4_T5_mT6_P12ihipStream_tbENKUlT_T0_E_clISt17integral_constantIbLb1EESZ_EEDaSU_SV_EUlSU_E0_NS1_11comp_targetILNS1_3genE4ELNS1_11target_archE910ELNS1_3gpuE8ELNS1_3repE0EEENS1_30default_config_static_selectorELNS0_4arch9wavefront6targetE0EEEvT1_.private_seg_size, 0
	.set _ZN7rocprim17ROCPRIM_400000_NS6detail17trampoline_kernelINS0_14default_configENS1_20scan_config_selectorIN3c107complexIdEEEEZZNS1_9scan_implILNS1_25lookback_scan_determinismE0ELb0ELb0ES3_PKS7_PS7_S7_ZZZN2at6native31launch_logcumsumexp_cuda_kernelERKNSE_10TensorBaseESI_lENKUlvE_clEvENKUlvE1_clEvEUlS7_S7_E_S7_EEDaPvRmT3_T4_T5_mT6_P12ihipStream_tbENKUlT_T0_E_clISt17integral_constantIbLb1EESZ_EEDaSU_SV_EUlSU_E0_NS1_11comp_targetILNS1_3genE4ELNS1_11target_archE910ELNS1_3gpuE8ELNS1_3repE0EEENS1_30default_config_static_selectorELNS0_4arch9wavefront6targetE0EEEvT1_.uses_vcc, 0
	.set _ZN7rocprim17ROCPRIM_400000_NS6detail17trampoline_kernelINS0_14default_configENS1_20scan_config_selectorIN3c107complexIdEEEEZZNS1_9scan_implILNS1_25lookback_scan_determinismE0ELb0ELb0ES3_PKS7_PS7_S7_ZZZN2at6native31launch_logcumsumexp_cuda_kernelERKNSE_10TensorBaseESI_lENKUlvE_clEvENKUlvE1_clEvEUlS7_S7_E_S7_EEDaPvRmT3_T4_T5_mT6_P12ihipStream_tbENKUlT_T0_E_clISt17integral_constantIbLb1EESZ_EEDaSU_SV_EUlSU_E0_NS1_11comp_targetILNS1_3genE4ELNS1_11target_archE910ELNS1_3gpuE8ELNS1_3repE0EEENS1_30default_config_static_selectorELNS0_4arch9wavefront6targetE0EEEvT1_.uses_flat_scratch, 0
	.set _ZN7rocprim17ROCPRIM_400000_NS6detail17trampoline_kernelINS0_14default_configENS1_20scan_config_selectorIN3c107complexIdEEEEZZNS1_9scan_implILNS1_25lookback_scan_determinismE0ELb0ELb0ES3_PKS7_PS7_S7_ZZZN2at6native31launch_logcumsumexp_cuda_kernelERKNSE_10TensorBaseESI_lENKUlvE_clEvENKUlvE1_clEvEUlS7_S7_E_S7_EEDaPvRmT3_T4_T5_mT6_P12ihipStream_tbENKUlT_T0_E_clISt17integral_constantIbLb1EESZ_EEDaSU_SV_EUlSU_E0_NS1_11comp_targetILNS1_3genE4ELNS1_11target_archE910ELNS1_3gpuE8ELNS1_3repE0EEENS1_30default_config_static_selectorELNS0_4arch9wavefront6targetE0EEEvT1_.has_dyn_sized_stack, 0
	.set _ZN7rocprim17ROCPRIM_400000_NS6detail17trampoline_kernelINS0_14default_configENS1_20scan_config_selectorIN3c107complexIdEEEEZZNS1_9scan_implILNS1_25lookback_scan_determinismE0ELb0ELb0ES3_PKS7_PS7_S7_ZZZN2at6native31launch_logcumsumexp_cuda_kernelERKNSE_10TensorBaseESI_lENKUlvE_clEvENKUlvE1_clEvEUlS7_S7_E_S7_EEDaPvRmT3_T4_T5_mT6_P12ihipStream_tbENKUlT_T0_E_clISt17integral_constantIbLb1EESZ_EEDaSU_SV_EUlSU_E0_NS1_11comp_targetILNS1_3genE4ELNS1_11target_archE910ELNS1_3gpuE8ELNS1_3repE0EEENS1_30default_config_static_selectorELNS0_4arch9wavefront6targetE0EEEvT1_.has_recursion, 0
	.set _ZN7rocprim17ROCPRIM_400000_NS6detail17trampoline_kernelINS0_14default_configENS1_20scan_config_selectorIN3c107complexIdEEEEZZNS1_9scan_implILNS1_25lookback_scan_determinismE0ELb0ELb0ES3_PKS7_PS7_S7_ZZZN2at6native31launch_logcumsumexp_cuda_kernelERKNSE_10TensorBaseESI_lENKUlvE_clEvENKUlvE1_clEvEUlS7_S7_E_S7_EEDaPvRmT3_T4_T5_mT6_P12ihipStream_tbENKUlT_T0_E_clISt17integral_constantIbLb1EESZ_EEDaSU_SV_EUlSU_E0_NS1_11comp_targetILNS1_3genE4ELNS1_11target_archE910ELNS1_3gpuE8ELNS1_3repE0EEENS1_30default_config_static_selectorELNS0_4arch9wavefront6targetE0EEEvT1_.has_indirect_call, 0
	.section	.AMDGPU.csdata,"",@progbits
; Kernel info:
; codeLenInByte = 0
; TotalNumSgprs: 0
; NumVgprs: 0
; ScratchSize: 0
; MemoryBound: 0
; FloatMode: 240
; IeeeMode: 1
; LDSByteSize: 0 bytes/workgroup (compile time only)
; SGPRBlocks: 0
; VGPRBlocks: 0
; NumSGPRsForWavesPerEU: 1
; NumVGPRsForWavesPerEU: 1
; Occupancy: 16
; WaveLimiterHint : 0
; COMPUTE_PGM_RSRC2:SCRATCH_EN: 0
; COMPUTE_PGM_RSRC2:USER_SGPR: 2
; COMPUTE_PGM_RSRC2:TRAP_HANDLER: 0
; COMPUTE_PGM_RSRC2:TGID_X_EN: 1
; COMPUTE_PGM_RSRC2:TGID_Y_EN: 0
; COMPUTE_PGM_RSRC2:TGID_Z_EN: 0
; COMPUTE_PGM_RSRC2:TIDIG_COMP_CNT: 0
	.section	.text._ZN7rocprim17ROCPRIM_400000_NS6detail17trampoline_kernelINS0_14default_configENS1_20scan_config_selectorIN3c107complexIdEEEEZZNS1_9scan_implILNS1_25lookback_scan_determinismE0ELb0ELb0ES3_PKS7_PS7_S7_ZZZN2at6native31launch_logcumsumexp_cuda_kernelERKNSE_10TensorBaseESI_lENKUlvE_clEvENKUlvE1_clEvEUlS7_S7_E_S7_EEDaPvRmT3_T4_T5_mT6_P12ihipStream_tbENKUlT_T0_E_clISt17integral_constantIbLb1EESZ_EEDaSU_SV_EUlSU_E0_NS1_11comp_targetILNS1_3genE3ELNS1_11target_archE908ELNS1_3gpuE7ELNS1_3repE0EEENS1_30default_config_static_selectorELNS0_4arch9wavefront6targetE0EEEvT1_,"axG",@progbits,_ZN7rocprim17ROCPRIM_400000_NS6detail17trampoline_kernelINS0_14default_configENS1_20scan_config_selectorIN3c107complexIdEEEEZZNS1_9scan_implILNS1_25lookback_scan_determinismE0ELb0ELb0ES3_PKS7_PS7_S7_ZZZN2at6native31launch_logcumsumexp_cuda_kernelERKNSE_10TensorBaseESI_lENKUlvE_clEvENKUlvE1_clEvEUlS7_S7_E_S7_EEDaPvRmT3_T4_T5_mT6_P12ihipStream_tbENKUlT_T0_E_clISt17integral_constantIbLb1EESZ_EEDaSU_SV_EUlSU_E0_NS1_11comp_targetILNS1_3genE3ELNS1_11target_archE908ELNS1_3gpuE7ELNS1_3repE0EEENS1_30default_config_static_selectorELNS0_4arch9wavefront6targetE0EEEvT1_,comdat
	.globl	_ZN7rocprim17ROCPRIM_400000_NS6detail17trampoline_kernelINS0_14default_configENS1_20scan_config_selectorIN3c107complexIdEEEEZZNS1_9scan_implILNS1_25lookback_scan_determinismE0ELb0ELb0ES3_PKS7_PS7_S7_ZZZN2at6native31launch_logcumsumexp_cuda_kernelERKNSE_10TensorBaseESI_lENKUlvE_clEvENKUlvE1_clEvEUlS7_S7_E_S7_EEDaPvRmT3_T4_T5_mT6_P12ihipStream_tbENKUlT_T0_E_clISt17integral_constantIbLb1EESZ_EEDaSU_SV_EUlSU_E0_NS1_11comp_targetILNS1_3genE3ELNS1_11target_archE908ELNS1_3gpuE7ELNS1_3repE0EEENS1_30default_config_static_selectorELNS0_4arch9wavefront6targetE0EEEvT1_ ; -- Begin function _ZN7rocprim17ROCPRIM_400000_NS6detail17trampoline_kernelINS0_14default_configENS1_20scan_config_selectorIN3c107complexIdEEEEZZNS1_9scan_implILNS1_25lookback_scan_determinismE0ELb0ELb0ES3_PKS7_PS7_S7_ZZZN2at6native31launch_logcumsumexp_cuda_kernelERKNSE_10TensorBaseESI_lENKUlvE_clEvENKUlvE1_clEvEUlS7_S7_E_S7_EEDaPvRmT3_T4_T5_mT6_P12ihipStream_tbENKUlT_T0_E_clISt17integral_constantIbLb1EESZ_EEDaSU_SV_EUlSU_E0_NS1_11comp_targetILNS1_3genE3ELNS1_11target_archE908ELNS1_3gpuE7ELNS1_3repE0EEENS1_30default_config_static_selectorELNS0_4arch9wavefront6targetE0EEEvT1_
	.p2align	8
	.type	_ZN7rocprim17ROCPRIM_400000_NS6detail17trampoline_kernelINS0_14default_configENS1_20scan_config_selectorIN3c107complexIdEEEEZZNS1_9scan_implILNS1_25lookback_scan_determinismE0ELb0ELb0ES3_PKS7_PS7_S7_ZZZN2at6native31launch_logcumsumexp_cuda_kernelERKNSE_10TensorBaseESI_lENKUlvE_clEvENKUlvE1_clEvEUlS7_S7_E_S7_EEDaPvRmT3_T4_T5_mT6_P12ihipStream_tbENKUlT_T0_E_clISt17integral_constantIbLb1EESZ_EEDaSU_SV_EUlSU_E0_NS1_11comp_targetILNS1_3genE3ELNS1_11target_archE908ELNS1_3gpuE7ELNS1_3repE0EEENS1_30default_config_static_selectorELNS0_4arch9wavefront6targetE0EEEvT1_,@function
_ZN7rocprim17ROCPRIM_400000_NS6detail17trampoline_kernelINS0_14default_configENS1_20scan_config_selectorIN3c107complexIdEEEEZZNS1_9scan_implILNS1_25lookback_scan_determinismE0ELb0ELb0ES3_PKS7_PS7_S7_ZZZN2at6native31launch_logcumsumexp_cuda_kernelERKNSE_10TensorBaseESI_lENKUlvE_clEvENKUlvE1_clEvEUlS7_S7_E_S7_EEDaPvRmT3_T4_T5_mT6_P12ihipStream_tbENKUlT_T0_E_clISt17integral_constantIbLb1EESZ_EEDaSU_SV_EUlSU_E0_NS1_11comp_targetILNS1_3genE3ELNS1_11target_archE908ELNS1_3gpuE7ELNS1_3repE0EEENS1_30default_config_static_selectorELNS0_4arch9wavefront6targetE0EEEvT1_: ; @_ZN7rocprim17ROCPRIM_400000_NS6detail17trampoline_kernelINS0_14default_configENS1_20scan_config_selectorIN3c107complexIdEEEEZZNS1_9scan_implILNS1_25lookback_scan_determinismE0ELb0ELb0ES3_PKS7_PS7_S7_ZZZN2at6native31launch_logcumsumexp_cuda_kernelERKNSE_10TensorBaseESI_lENKUlvE_clEvENKUlvE1_clEvEUlS7_S7_E_S7_EEDaPvRmT3_T4_T5_mT6_P12ihipStream_tbENKUlT_T0_E_clISt17integral_constantIbLb1EESZ_EEDaSU_SV_EUlSU_E0_NS1_11comp_targetILNS1_3genE3ELNS1_11target_archE908ELNS1_3gpuE7ELNS1_3repE0EEENS1_30default_config_static_selectorELNS0_4arch9wavefront6targetE0EEEvT1_
; %bb.0:
	.section	.rodata,"a",@progbits
	.p2align	6, 0x0
	.amdhsa_kernel _ZN7rocprim17ROCPRIM_400000_NS6detail17trampoline_kernelINS0_14default_configENS1_20scan_config_selectorIN3c107complexIdEEEEZZNS1_9scan_implILNS1_25lookback_scan_determinismE0ELb0ELb0ES3_PKS7_PS7_S7_ZZZN2at6native31launch_logcumsumexp_cuda_kernelERKNSE_10TensorBaseESI_lENKUlvE_clEvENKUlvE1_clEvEUlS7_S7_E_S7_EEDaPvRmT3_T4_T5_mT6_P12ihipStream_tbENKUlT_T0_E_clISt17integral_constantIbLb1EESZ_EEDaSU_SV_EUlSU_E0_NS1_11comp_targetILNS1_3genE3ELNS1_11target_archE908ELNS1_3gpuE7ELNS1_3repE0EEENS1_30default_config_static_selectorELNS0_4arch9wavefront6targetE0EEEvT1_
		.amdhsa_group_segment_fixed_size 0
		.amdhsa_private_segment_fixed_size 0
		.amdhsa_kernarg_size 48
		.amdhsa_user_sgpr_count 2
		.amdhsa_user_sgpr_dispatch_ptr 0
		.amdhsa_user_sgpr_queue_ptr 0
		.amdhsa_user_sgpr_kernarg_segment_ptr 1
		.amdhsa_user_sgpr_dispatch_id 0
		.amdhsa_user_sgpr_private_segment_size 0
		.amdhsa_wavefront_size32 1
		.amdhsa_uses_dynamic_stack 0
		.amdhsa_enable_private_segment 0
		.amdhsa_system_sgpr_workgroup_id_x 1
		.amdhsa_system_sgpr_workgroup_id_y 0
		.amdhsa_system_sgpr_workgroup_id_z 0
		.amdhsa_system_sgpr_workgroup_info 0
		.amdhsa_system_vgpr_workitem_id 0
		.amdhsa_next_free_vgpr 1
		.amdhsa_next_free_sgpr 1
		.amdhsa_reserve_vcc 0
		.amdhsa_float_round_mode_32 0
		.amdhsa_float_round_mode_16_64 0
		.amdhsa_float_denorm_mode_32 3
		.amdhsa_float_denorm_mode_16_64 3
		.amdhsa_fp16_overflow 0
		.amdhsa_workgroup_processor_mode 1
		.amdhsa_memory_ordered 1
		.amdhsa_forward_progress 1
		.amdhsa_inst_pref_size 0
		.amdhsa_round_robin_scheduling 0
		.amdhsa_exception_fp_ieee_invalid_op 0
		.amdhsa_exception_fp_denorm_src 0
		.amdhsa_exception_fp_ieee_div_zero 0
		.amdhsa_exception_fp_ieee_overflow 0
		.amdhsa_exception_fp_ieee_underflow 0
		.amdhsa_exception_fp_ieee_inexact 0
		.amdhsa_exception_int_div_zero 0
	.end_amdhsa_kernel
	.section	.text._ZN7rocprim17ROCPRIM_400000_NS6detail17trampoline_kernelINS0_14default_configENS1_20scan_config_selectorIN3c107complexIdEEEEZZNS1_9scan_implILNS1_25lookback_scan_determinismE0ELb0ELb0ES3_PKS7_PS7_S7_ZZZN2at6native31launch_logcumsumexp_cuda_kernelERKNSE_10TensorBaseESI_lENKUlvE_clEvENKUlvE1_clEvEUlS7_S7_E_S7_EEDaPvRmT3_T4_T5_mT6_P12ihipStream_tbENKUlT_T0_E_clISt17integral_constantIbLb1EESZ_EEDaSU_SV_EUlSU_E0_NS1_11comp_targetILNS1_3genE3ELNS1_11target_archE908ELNS1_3gpuE7ELNS1_3repE0EEENS1_30default_config_static_selectorELNS0_4arch9wavefront6targetE0EEEvT1_,"axG",@progbits,_ZN7rocprim17ROCPRIM_400000_NS6detail17trampoline_kernelINS0_14default_configENS1_20scan_config_selectorIN3c107complexIdEEEEZZNS1_9scan_implILNS1_25lookback_scan_determinismE0ELb0ELb0ES3_PKS7_PS7_S7_ZZZN2at6native31launch_logcumsumexp_cuda_kernelERKNSE_10TensorBaseESI_lENKUlvE_clEvENKUlvE1_clEvEUlS7_S7_E_S7_EEDaPvRmT3_T4_T5_mT6_P12ihipStream_tbENKUlT_T0_E_clISt17integral_constantIbLb1EESZ_EEDaSU_SV_EUlSU_E0_NS1_11comp_targetILNS1_3genE3ELNS1_11target_archE908ELNS1_3gpuE7ELNS1_3repE0EEENS1_30default_config_static_selectorELNS0_4arch9wavefront6targetE0EEEvT1_,comdat
.Lfunc_end215:
	.size	_ZN7rocprim17ROCPRIM_400000_NS6detail17trampoline_kernelINS0_14default_configENS1_20scan_config_selectorIN3c107complexIdEEEEZZNS1_9scan_implILNS1_25lookback_scan_determinismE0ELb0ELb0ES3_PKS7_PS7_S7_ZZZN2at6native31launch_logcumsumexp_cuda_kernelERKNSE_10TensorBaseESI_lENKUlvE_clEvENKUlvE1_clEvEUlS7_S7_E_S7_EEDaPvRmT3_T4_T5_mT6_P12ihipStream_tbENKUlT_T0_E_clISt17integral_constantIbLb1EESZ_EEDaSU_SV_EUlSU_E0_NS1_11comp_targetILNS1_3genE3ELNS1_11target_archE908ELNS1_3gpuE7ELNS1_3repE0EEENS1_30default_config_static_selectorELNS0_4arch9wavefront6targetE0EEEvT1_, .Lfunc_end215-_ZN7rocprim17ROCPRIM_400000_NS6detail17trampoline_kernelINS0_14default_configENS1_20scan_config_selectorIN3c107complexIdEEEEZZNS1_9scan_implILNS1_25lookback_scan_determinismE0ELb0ELb0ES3_PKS7_PS7_S7_ZZZN2at6native31launch_logcumsumexp_cuda_kernelERKNSE_10TensorBaseESI_lENKUlvE_clEvENKUlvE1_clEvEUlS7_S7_E_S7_EEDaPvRmT3_T4_T5_mT6_P12ihipStream_tbENKUlT_T0_E_clISt17integral_constantIbLb1EESZ_EEDaSU_SV_EUlSU_E0_NS1_11comp_targetILNS1_3genE3ELNS1_11target_archE908ELNS1_3gpuE7ELNS1_3repE0EEENS1_30default_config_static_selectorELNS0_4arch9wavefront6targetE0EEEvT1_
                                        ; -- End function
	.set _ZN7rocprim17ROCPRIM_400000_NS6detail17trampoline_kernelINS0_14default_configENS1_20scan_config_selectorIN3c107complexIdEEEEZZNS1_9scan_implILNS1_25lookback_scan_determinismE0ELb0ELb0ES3_PKS7_PS7_S7_ZZZN2at6native31launch_logcumsumexp_cuda_kernelERKNSE_10TensorBaseESI_lENKUlvE_clEvENKUlvE1_clEvEUlS7_S7_E_S7_EEDaPvRmT3_T4_T5_mT6_P12ihipStream_tbENKUlT_T0_E_clISt17integral_constantIbLb1EESZ_EEDaSU_SV_EUlSU_E0_NS1_11comp_targetILNS1_3genE3ELNS1_11target_archE908ELNS1_3gpuE7ELNS1_3repE0EEENS1_30default_config_static_selectorELNS0_4arch9wavefront6targetE0EEEvT1_.num_vgpr, 0
	.set _ZN7rocprim17ROCPRIM_400000_NS6detail17trampoline_kernelINS0_14default_configENS1_20scan_config_selectorIN3c107complexIdEEEEZZNS1_9scan_implILNS1_25lookback_scan_determinismE0ELb0ELb0ES3_PKS7_PS7_S7_ZZZN2at6native31launch_logcumsumexp_cuda_kernelERKNSE_10TensorBaseESI_lENKUlvE_clEvENKUlvE1_clEvEUlS7_S7_E_S7_EEDaPvRmT3_T4_T5_mT6_P12ihipStream_tbENKUlT_T0_E_clISt17integral_constantIbLb1EESZ_EEDaSU_SV_EUlSU_E0_NS1_11comp_targetILNS1_3genE3ELNS1_11target_archE908ELNS1_3gpuE7ELNS1_3repE0EEENS1_30default_config_static_selectorELNS0_4arch9wavefront6targetE0EEEvT1_.num_agpr, 0
	.set _ZN7rocprim17ROCPRIM_400000_NS6detail17trampoline_kernelINS0_14default_configENS1_20scan_config_selectorIN3c107complexIdEEEEZZNS1_9scan_implILNS1_25lookback_scan_determinismE0ELb0ELb0ES3_PKS7_PS7_S7_ZZZN2at6native31launch_logcumsumexp_cuda_kernelERKNSE_10TensorBaseESI_lENKUlvE_clEvENKUlvE1_clEvEUlS7_S7_E_S7_EEDaPvRmT3_T4_T5_mT6_P12ihipStream_tbENKUlT_T0_E_clISt17integral_constantIbLb1EESZ_EEDaSU_SV_EUlSU_E0_NS1_11comp_targetILNS1_3genE3ELNS1_11target_archE908ELNS1_3gpuE7ELNS1_3repE0EEENS1_30default_config_static_selectorELNS0_4arch9wavefront6targetE0EEEvT1_.numbered_sgpr, 0
	.set _ZN7rocprim17ROCPRIM_400000_NS6detail17trampoline_kernelINS0_14default_configENS1_20scan_config_selectorIN3c107complexIdEEEEZZNS1_9scan_implILNS1_25lookback_scan_determinismE0ELb0ELb0ES3_PKS7_PS7_S7_ZZZN2at6native31launch_logcumsumexp_cuda_kernelERKNSE_10TensorBaseESI_lENKUlvE_clEvENKUlvE1_clEvEUlS7_S7_E_S7_EEDaPvRmT3_T4_T5_mT6_P12ihipStream_tbENKUlT_T0_E_clISt17integral_constantIbLb1EESZ_EEDaSU_SV_EUlSU_E0_NS1_11comp_targetILNS1_3genE3ELNS1_11target_archE908ELNS1_3gpuE7ELNS1_3repE0EEENS1_30default_config_static_selectorELNS0_4arch9wavefront6targetE0EEEvT1_.num_named_barrier, 0
	.set _ZN7rocprim17ROCPRIM_400000_NS6detail17trampoline_kernelINS0_14default_configENS1_20scan_config_selectorIN3c107complexIdEEEEZZNS1_9scan_implILNS1_25lookback_scan_determinismE0ELb0ELb0ES3_PKS7_PS7_S7_ZZZN2at6native31launch_logcumsumexp_cuda_kernelERKNSE_10TensorBaseESI_lENKUlvE_clEvENKUlvE1_clEvEUlS7_S7_E_S7_EEDaPvRmT3_T4_T5_mT6_P12ihipStream_tbENKUlT_T0_E_clISt17integral_constantIbLb1EESZ_EEDaSU_SV_EUlSU_E0_NS1_11comp_targetILNS1_3genE3ELNS1_11target_archE908ELNS1_3gpuE7ELNS1_3repE0EEENS1_30default_config_static_selectorELNS0_4arch9wavefront6targetE0EEEvT1_.private_seg_size, 0
	.set _ZN7rocprim17ROCPRIM_400000_NS6detail17trampoline_kernelINS0_14default_configENS1_20scan_config_selectorIN3c107complexIdEEEEZZNS1_9scan_implILNS1_25lookback_scan_determinismE0ELb0ELb0ES3_PKS7_PS7_S7_ZZZN2at6native31launch_logcumsumexp_cuda_kernelERKNSE_10TensorBaseESI_lENKUlvE_clEvENKUlvE1_clEvEUlS7_S7_E_S7_EEDaPvRmT3_T4_T5_mT6_P12ihipStream_tbENKUlT_T0_E_clISt17integral_constantIbLb1EESZ_EEDaSU_SV_EUlSU_E0_NS1_11comp_targetILNS1_3genE3ELNS1_11target_archE908ELNS1_3gpuE7ELNS1_3repE0EEENS1_30default_config_static_selectorELNS0_4arch9wavefront6targetE0EEEvT1_.uses_vcc, 0
	.set _ZN7rocprim17ROCPRIM_400000_NS6detail17trampoline_kernelINS0_14default_configENS1_20scan_config_selectorIN3c107complexIdEEEEZZNS1_9scan_implILNS1_25lookback_scan_determinismE0ELb0ELb0ES3_PKS7_PS7_S7_ZZZN2at6native31launch_logcumsumexp_cuda_kernelERKNSE_10TensorBaseESI_lENKUlvE_clEvENKUlvE1_clEvEUlS7_S7_E_S7_EEDaPvRmT3_T4_T5_mT6_P12ihipStream_tbENKUlT_T0_E_clISt17integral_constantIbLb1EESZ_EEDaSU_SV_EUlSU_E0_NS1_11comp_targetILNS1_3genE3ELNS1_11target_archE908ELNS1_3gpuE7ELNS1_3repE0EEENS1_30default_config_static_selectorELNS0_4arch9wavefront6targetE0EEEvT1_.uses_flat_scratch, 0
	.set _ZN7rocprim17ROCPRIM_400000_NS6detail17trampoline_kernelINS0_14default_configENS1_20scan_config_selectorIN3c107complexIdEEEEZZNS1_9scan_implILNS1_25lookback_scan_determinismE0ELb0ELb0ES3_PKS7_PS7_S7_ZZZN2at6native31launch_logcumsumexp_cuda_kernelERKNSE_10TensorBaseESI_lENKUlvE_clEvENKUlvE1_clEvEUlS7_S7_E_S7_EEDaPvRmT3_T4_T5_mT6_P12ihipStream_tbENKUlT_T0_E_clISt17integral_constantIbLb1EESZ_EEDaSU_SV_EUlSU_E0_NS1_11comp_targetILNS1_3genE3ELNS1_11target_archE908ELNS1_3gpuE7ELNS1_3repE0EEENS1_30default_config_static_selectorELNS0_4arch9wavefront6targetE0EEEvT1_.has_dyn_sized_stack, 0
	.set _ZN7rocprim17ROCPRIM_400000_NS6detail17trampoline_kernelINS0_14default_configENS1_20scan_config_selectorIN3c107complexIdEEEEZZNS1_9scan_implILNS1_25lookback_scan_determinismE0ELb0ELb0ES3_PKS7_PS7_S7_ZZZN2at6native31launch_logcumsumexp_cuda_kernelERKNSE_10TensorBaseESI_lENKUlvE_clEvENKUlvE1_clEvEUlS7_S7_E_S7_EEDaPvRmT3_T4_T5_mT6_P12ihipStream_tbENKUlT_T0_E_clISt17integral_constantIbLb1EESZ_EEDaSU_SV_EUlSU_E0_NS1_11comp_targetILNS1_3genE3ELNS1_11target_archE908ELNS1_3gpuE7ELNS1_3repE0EEENS1_30default_config_static_selectorELNS0_4arch9wavefront6targetE0EEEvT1_.has_recursion, 0
	.set _ZN7rocprim17ROCPRIM_400000_NS6detail17trampoline_kernelINS0_14default_configENS1_20scan_config_selectorIN3c107complexIdEEEEZZNS1_9scan_implILNS1_25lookback_scan_determinismE0ELb0ELb0ES3_PKS7_PS7_S7_ZZZN2at6native31launch_logcumsumexp_cuda_kernelERKNSE_10TensorBaseESI_lENKUlvE_clEvENKUlvE1_clEvEUlS7_S7_E_S7_EEDaPvRmT3_T4_T5_mT6_P12ihipStream_tbENKUlT_T0_E_clISt17integral_constantIbLb1EESZ_EEDaSU_SV_EUlSU_E0_NS1_11comp_targetILNS1_3genE3ELNS1_11target_archE908ELNS1_3gpuE7ELNS1_3repE0EEENS1_30default_config_static_selectorELNS0_4arch9wavefront6targetE0EEEvT1_.has_indirect_call, 0
	.section	.AMDGPU.csdata,"",@progbits
; Kernel info:
; codeLenInByte = 0
; TotalNumSgprs: 0
; NumVgprs: 0
; ScratchSize: 0
; MemoryBound: 0
; FloatMode: 240
; IeeeMode: 1
; LDSByteSize: 0 bytes/workgroup (compile time only)
; SGPRBlocks: 0
; VGPRBlocks: 0
; NumSGPRsForWavesPerEU: 1
; NumVGPRsForWavesPerEU: 1
; Occupancy: 16
; WaveLimiterHint : 0
; COMPUTE_PGM_RSRC2:SCRATCH_EN: 0
; COMPUTE_PGM_RSRC2:USER_SGPR: 2
; COMPUTE_PGM_RSRC2:TRAP_HANDLER: 0
; COMPUTE_PGM_RSRC2:TGID_X_EN: 1
; COMPUTE_PGM_RSRC2:TGID_Y_EN: 0
; COMPUTE_PGM_RSRC2:TGID_Z_EN: 0
; COMPUTE_PGM_RSRC2:TIDIG_COMP_CNT: 0
	.section	.text._ZN7rocprim17ROCPRIM_400000_NS6detail17trampoline_kernelINS0_14default_configENS1_20scan_config_selectorIN3c107complexIdEEEEZZNS1_9scan_implILNS1_25lookback_scan_determinismE0ELb0ELb0ES3_PKS7_PS7_S7_ZZZN2at6native31launch_logcumsumexp_cuda_kernelERKNSE_10TensorBaseESI_lENKUlvE_clEvENKUlvE1_clEvEUlS7_S7_E_S7_EEDaPvRmT3_T4_T5_mT6_P12ihipStream_tbENKUlT_T0_E_clISt17integral_constantIbLb1EESZ_EEDaSU_SV_EUlSU_E0_NS1_11comp_targetILNS1_3genE2ELNS1_11target_archE906ELNS1_3gpuE6ELNS1_3repE0EEENS1_30default_config_static_selectorELNS0_4arch9wavefront6targetE0EEEvT1_,"axG",@progbits,_ZN7rocprim17ROCPRIM_400000_NS6detail17trampoline_kernelINS0_14default_configENS1_20scan_config_selectorIN3c107complexIdEEEEZZNS1_9scan_implILNS1_25lookback_scan_determinismE0ELb0ELb0ES3_PKS7_PS7_S7_ZZZN2at6native31launch_logcumsumexp_cuda_kernelERKNSE_10TensorBaseESI_lENKUlvE_clEvENKUlvE1_clEvEUlS7_S7_E_S7_EEDaPvRmT3_T4_T5_mT6_P12ihipStream_tbENKUlT_T0_E_clISt17integral_constantIbLb1EESZ_EEDaSU_SV_EUlSU_E0_NS1_11comp_targetILNS1_3genE2ELNS1_11target_archE906ELNS1_3gpuE6ELNS1_3repE0EEENS1_30default_config_static_selectorELNS0_4arch9wavefront6targetE0EEEvT1_,comdat
	.globl	_ZN7rocprim17ROCPRIM_400000_NS6detail17trampoline_kernelINS0_14default_configENS1_20scan_config_selectorIN3c107complexIdEEEEZZNS1_9scan_implILNS1_25lookback_scan_determinismE0ELb0ELb0ES3_PKS7_PS7_S7_ZZZN2at6native31launch_logcumsumexp_cuda_kernelERKNSE_10TensorBaseESI_lENKUlvE_clEvENKUlvE1_clEvEUlS7_S7_E_S7_EEDaPvRmT3_T4_T5_mT6_P12ihipStream_tbENKUlT_T0_E_clISt17integral_constantIbLb1EESZ_EEDaSU_SV_EUlSU_E0_NS1_11comp_targetILNS1_3genE2ELNS1_11target_archE906ELNS1_3gpuE6ELNS1_3repE0EEENS1_30default_config_static_selectorELNS0_4arch9wavefront6targetE0EEEvT1_ ; -- Begin function _ZN7rocprim17ROCPRIM_400000_NS6detail17trampoline_kernelINS0_14default_configENS1_20scan_config_selectorIN3c107complexIdEEEEZZNS1_9scan_implILNS1_25lookback_scan_determinismE0ELb0ELb0ES3_PKS7_PS7_S7_ZZZN2at6native31launch_logcumsumexp_cuda_kernelERKNSE_10TensorBaseESI_lENKUlvE_clEvENKUlvE1_clEvEUlS7_S7_E_S7_EEDaPvRmT3_T4_T5_mT6_P12ihipStream_tbENKUlT_T0_E_clISt17integral_constantIbLb1EESZ_EEDaSU_SV_EUlSU_E0_NS1_11comp_targetILNS1_3genE2ELNS1_11target_archE906ELNS1_3gpuE6ELNS1_3repE0EEENS1_30default_config_static_selectorELNS0_4arch9wavefront6targetE0EEEvT1_
	.p2align	8
	.type	_ZN7rocprim17ROCPRIM_400000_NS6detail17trampoline_kernelINS0_14default_configENS1_20scan_config_selectorIN3c107complexIdEEEEZZNS1_9scan_implILNS1_25lookback_scan_determinismE0ELb0ELb0ES3_PKS7_PS7_S7_ZZZN2at6native31launch_logcumsumexp_cuda_kernelERKNSE_10TensorBaseESI_lENKUlvE_clEvENKUlvE1_clEvEUlS7_S7_E_S7_EEDaPvRmT3_T4_T5_mT6_P12ihipStream_tbENKUlT_T0_E_clISt17integral_constantIbLb1EESZ_EEDaSU_SV_EUlSU_E0_NS1_11comp_targetILNS1_3genE2ELNS1_11target_archE906ELNS1_3gpuE6ELNS1_3repE0EEENS1_30default_config_static_selectorELNS0_4arch9wavefront6targetE0EEEvT1_,@function
_ZN7rocprim17ROCPRIM_400000_NS6detail17trampoline_kernelINS0_14default_configENS1_20scan_config_selectorIN3c107complexIdEEEEZZNS1_9scan_implILNS1_25lookback_scan_determinismE0ELb0ELb0ES3_PKS7_PS7_S7_ZZZN2at6native31launch_logcumsumexp_cuda_kernelERKNSE_10TensorBaseESI_lENKUlvE_clEvENKUlvE1_clEvEUlS7_S7_E_S7_EEDaPvRmT3_T4_T5_mT6_P12ihipStream_tbENKUlT_T0_E_clISt17integral_constantIbLb1EESZ_EEDaSU_SV_EUlSU_E0_NS1_11comp_targetILNS1_3genE2ELNS1_11target_archE906ELNS1_3gpuE6ELNS1_3repE0EEENS1_30default_config_static_selectorELNS0_4arch9wavefront6targetE0EEEvT1_: ; @_ZN7rocprim17ROCPRIM_400000_NS6detail17trampoline_kernelINS0_14default_configENS1_20scan_config_selectorIN3c107complexIdEEEEZZNS1_9scan_implILNS1_25lookback_scan_determinismE0ELb0ELb0ES3_PKS7_PS7_S7_ZZZN2at6native31launch_logcumsumexp_cuda_kernelERKNSE_10TensorBaseESI_lENKUlvE_clEvENKUlvE1_clEvEUlS7_S7_E_S7_EEDaPvRmT3_T4_T5_mT6_P12ihipStream_tbENKUlT_T0_E_clISt17integral_constantIbLb1EESZ_EEDaSU_SV_EUlSU_E0_NS1_11comp_targetILNS1_3genE2ELNS1_11target_archE906ELNS1_3gpuE6ELNS1_3repE0EEENS1_30default_config_static_selectorELNS0_4arch9wavefront6targetE0EEEvT1_
; %bb.0:
	.section	.rodata,"a",@progbits
	.p2align	6, 0x0
	.amdhsa_kernel _ZN7rocprim17ROCPRIM_400000_NS6detail17trampoline_kernelINS0_14default_configENS1_20scan_config_selectorIN3c107complexIdEEEEZZNS1_9scan_implILNS1_25lookback_scan_determinismE0ELb0ELb0ES3_PKS7_PS7_S7_ZZZN2at6native31launch_logcumsumexp_cuda_kernelERKNSE_10TensorBaseESI_lENKUlvE_clEvENKUlvE1_clEvEUlS7_S7_E_S7_EEDaPvRmT3_T4_T5_mT6_P12ihipStream_tbENKUlT_T0_E_clISt17integral_constantIbLb1EESZ_EEDaSU_SV_EUlSU_E0_NS1_11comp_targetILNS1_3genE2ELNS1_11target_archE906ELNS1_3gpuE6ELNS1_3repE0EEENS1_30default_config_static_selectorELNS0_4arch9wavefront6targetE0EEEvT1_
		.amdhsa_group_segment_fixed_size 0
		.amdhsa_private_segment_fixed_size 0
		.amdhsa_kernarg_size 48
		.amdhsa_user_sgpr_count 2
		.amdhsa_user_sgpr_dispatch_ptr 0
		.amdhsa_user_sgpr_queue_ptr 0
		.amdhsa_user_sgpr_kernarg_segment_ptr 1
		.amdhsa_user_sgpr_dispatch_id 0
		.amdhsa_user_sgpr_private_segment_size 0
		.amdhsa_wavefront_size32 1
		.amdhsa_uses_dynamic_stack 0
		.amdhsa_enable_private_segment 0
		.amdhsa_system_sgpr_workgroup_id_x 1
		.amdhsa_system_sgpr_workgroup_id_y 0
		.amdhsa_system_sgpr_workgroup_id_z 0
		.amdhsa_system_sgpr_workgroup_info 0
		.amdhsa_system_vgpr_workitem_id 0
		.amdhsa_next_free_vgpr 1
		.amdhsa_next_free_sgpr 1
		.amdhsa_reserve_vcc 0
		.amdhsa_float_round_mode_32 0
		.amdhsa_float_round_mode_16_64 0
		.amdhsa_float_denorm_mode_32 3
		.amdhsa_float_denorm_mode_16_64 3
		.amdhsa_fp16_overflow 0
		.amdhsa_workgroup_processor_mode 1
		.amdhsa_memory_ordered 1
		.amdhsa_forward_progress 1
		.amdhsa_inst_pref_size 0
		.amdhsa_round_robin_scheduling 0
		.amdhsa_exception_fp_ieee_invalid_op 0
		.amdhsa_exception_fp_denorm_src 0
		.amdhsa_exception_fp_ieee_div_zero 0
		.amdhsa_exception_fp_ieee_overflow 0
		.amdhsa_exception_fp_ieee_underflow 0
		.amdhsa_exception_fp_ieee_inexact 0
		.amdhsa_exception_int_div_zero 0
	.end_amdhsa_kernel
	.section	.text._ZN7rocprim17ROCPRIM_400000_NS6detail17trampoline_kernelINS0_14default_configENS1_20scan_config_selectorIN3c107complexIdEEEEZZNS1_9scan_implILNS1_25lookback_scan_determinismE0ELb0ELb0ES3_PKS7_PS7_S7_ZZZN2at6native31launch_logcumsumexp_cuda_kernelERKNSE_10TensorBaseESI_lENKUlvE_clEvENKUlvE1_clEvEUlS7_S7_E_S7_EEDaPvRmT3_T4_T5_mT6_P12ihipStream_tbENKUlT_T0_E_clISt17integral_constantIbLb1EESZ_EEDaSU_SV_EUlSU_E0_NS1_11comp_targetILNS1_3genE2ELNS1_11target_archE906ELNS1_3gpuE6ELNS1_3repE0EEENS1_30default_config_static_selectorELNS0_4arch9wavefront6targetE0EEEvT1_,"axG",@progbits,_ZN7rocprim17ROCPRIM_400000_NS6detail17trampoline_kernelINS0_14default_configENS1_20scan_config_selectorIN3c107complexIdEEEEZZNS1_9scan_implILNS1_25lookback_scan_determinismE0ELb0ELb0ES3_PKS7_PS7_S7_ZZZN2at6native31launch_logcumsumexp_cuda_kernelERKNSE_10TensorBaseESI_lENKUlvE_clEvENKUlvE1_clEvEUlS7_S7_E_S7_EEDaPvRmT3_T4_T5_mT6_P12ihipStream_tbENKUlT_T0_E_clISt17integral_constantIbLb1EESZ_EEDaSU_SV_EUlSU_E0_NS1_11comp_targetILNS1_3genE2ELNS1_11target_archE906ELNS1_3gpuE6ELNS1_3repE0EEENS1_30default_config_static_selectorELNS0_4arch9wavefront6targetE0EEEvT1_,comdat
.Lfunc_end216:
	.size	_ZN7rocprim17ROCPRIM_400000_NS6detail17trampoline_kernelINS0_14default_configENS1_20scan_config_selectorIN3c107complexIdEEEEZZNS1_9scan_implILNS1_25lookback_scan_determinismE0ELb0ELb0ES3_PKS7_PS7_S7_ZZZN2at6native31launch_logcumsumexp_cuda_kernelERKNSE_10TensorBaseESI_lENKUlvE_clEvENKUlvE1_clEvEUlS7_S7_E_S7_EEDaPvRmT3_T4_T5_mT6_P12ihipStream_tbENKUlT_T0_E_clISt17integral_constantIbLb1EESZ_EEDaSU_SV_EUlSU_E0_NS1_11comp_targetILNS1_3genE2ELNS1_11target_archE906ELNS1_3gpuE6ELNS1_3repE0EEENS1_30default_config_static_selectorELNS0_4arch9wavefront6targetE0EEEvT1_, .Lfunc_end216-_ZN7rocprim17ROCPRIM_400000_NS6detail17trampoline_kernelINS0_14default_configENS1_20scan_config_selectorIN3c107complexIdEEEEZZNS1_9scan_implILNS1_25lookback_scan_determinismE0ELb0ELb0ES3_PKS7_PS7_S7_ZZZN2at6native31launch_logcumsumexp_cuda_kernelERKNSE_10TensorBaseESI_lENKUlvE_clEvENKUlvE1_clEvEUlS7_S7_E_S7_EEDaPvRmT3_T4_T5_mT6_P12ihipStream_tbENKUlT_T0_E_clISt17integral_constantIbLb1EESZ_EEDaSU_SV_EUlSU_E0_NS1_11comp_targetILNS1_3genE2ELNS1_11target_archE906ELNS1_3gpuE6ELNS1_3repE0EEENS1_30default_config_static_selectorELNS0_4arch9wavefront6targetE0EEEvT1_
                                        ; -- End function
	.set _ZN7rocprim17ROCPRIM_400000_NS6detail17trampoline_kernelINS0_14default_configENS1_20scan_config_selectorIN3c107complexIdEEEEZZNS1_9scan_implILNS1_25lookback_scan_determinismE0ELb0ELb0ES3_PKS7_PS7_S7_ZZZN2at6native31launch_logcumsumexp_cuda_kernelERKNSE_10TensorBaseESI_lENKUlvE_clEvENKUlvE1_clEvEUlS7_S7_E_S7_EEDaPvRmT3_T4_T5_mT6_P12ihipStream_tbENKUlT_T0_E_clISt17integral_constantIbLb1EESZ_EEDaSU_SV_EUlSU_E0_NS1_11comp_targetILNS1_3genE2ELNS1_11target_archE906ELNS1_3gpuE6ELNS1_3repE0EEENS1_30default_config_static_selectorELNS0_4arch9wavefront6targetE0EEEvT1_.num_vgpr, 0
	.set _ZN7rocprim17ROCPRIM_400000_NS6detail17trampoline_kernelINS0_14default_configENS1_20scan_config_selectorIN3c107complexIdEEEEZZNS1_9scan_implILNS1_25lookback_scan_determinismE0ELb0ELb0ES3_PKS7_PS7_S7_ZZZN2at6native31launch_logcumsumexp_cuda_kernelERKNSE_10TensorBaseESI_lENKUlvE_clEvENKUlvE1_clEvEUlS7_S7_E_S7_EEDaPvRmT3_T4_T5_mT6_P12ihipStream_tbENKUlT_T0_E_clISt17integral_constantIbLb1EESZ_EEDaSU_SV_EUlSU_E0_NS1_11comp_targetILNS1_3genE2ELNS1_11target_archE906ELNS1_3gpuE6ELNS1_3repE0EEENS1_30default_config_static_selectorELNS0_4arch9wavefront6targetE0EEEvT1_.num_agpr, 0
	.set _ZN7rocprim17ROCPRIM_400000_NS6detail17trampoline_kernelINS0_14default_configENS1_20scan_config_selectorIN3c107complexIdEEEEZZNS1_9scan_implILNS1_25lookback_scan_determinismE0ELb0ELb0ES3_PKS7_PS7_S7_ZZZN2at6native31launch_logcumsumexp_cuda_kernelERKNSE_10TensorBaseESI_lENKUlvE_clEvENKUlvE1_clEvEUlS7_S7_E_S7_EEDaPvRmT3_T4_T5_mT6_P12ihipStream_tbENKUlT_T0_E_clISt17integral_constantIbLb1EESZ_EEDaSU_SV_EUlSU_E0_NS1_11comp_targetILNS1_3genE2ELNS1_11target_archE906ELNS1_3gpuE6ELNS1_3repE0EEENS1_30default_config_static_selectorELNS0_4arch9wavefront6targetE0EEEvT1_.numbered_sgpr, 0
	.set _ZN7rocprim17ROCPRIM_400000_NS6detail17trampoline_kernelINS0_14default_configENS1_20scan_config_selectorIN3c107complexIdEEEEZZNS1_9scan_implILNS1_25lookback_scan_determinismE0ELb0ELb0ES3_PKS7_PS7_S7_ZZZN2at6native31launch_logcumsumexp_cuda_kernelERKNSE_10TensorBaseESI_lENKUlvE_clEvENKUlvE1_clEvEUlS7_S7_E_S7_EEDaPvRmT3_T4_T5_mT6_P12ihipStream_tbENKUlT_T0_E_clISt17integral_constantIbLb1EESZ_EEDaSU_SV_EUlSU_E0_NS1_11comp_targetILNS1_3genE2ELNS1_11target_archE906ELNS1_3gpuE6ELNS1_3repE0EEENS1_30default_config_static_selectorELNS0_4arch9wavefront6targetE0EEEvT1_.num_named_barrier, 0
	.set _ZN7rocprim17ROCPRIM_400000_NS6detail17trampoline_kernelINS0_14default_configENS1_20scan_config_selectorIN3c107complexIdEEEEZZNS1_9scan_implILNS1_25lookback_scan_determinismE0ELb0ELb0ES3_PKS7_PS7_S7_ZZZN2at6native31launch_logcumsumexp_cuda_kernelERKNSE_10TensorBaseESI_lENKUlvE_clEvENKUlvE1_clEvEUlS7_S7_E_S7_EEDaPvRmT3_T4_T5_mT6_P12ihipStream_tbENKUlT_T0_E_clISt17integral_constantIbLb1EESZ_EEDaSU_SV_EUlSU_E0_NS1_11comp_targetILNS1_3genE2ELNS1_11target_archE906ELNS1_3gpuE6ELNS1_3repE0EEENS1_30default_config_static_selectorELNS0_4arch9wavefront6targetE0EEEvT1_.private_seg_size, 0
	.set _ZN7rocprim17ROCPRIM_400000_NS6detail17trampoline_kernelINS0_14default_configENS1_20scan_config_selectorIN3c107complexIdEEEEZZNS1_9scan_implILNS1_25lookback_scan_determinismE0ELb0ELb0ES3_PKS7_PS7_S7_ZZZN2at6native31launch_logcumsumexp_cuda_kernelERKNSE_10TensorBaseESI_lENKUlvE_clEvENKUlvE1_clEvEUlS7_S7_E_S7_EEDaPvRmT3_T4_T5_mT6_P12ihipStream_tbENKUlT_T0_E_clISt17integral_constantIbLb1EESZ_EEDaSU_SV_EUlSU_E0_NS1_11comp_targetILNS1_3genE2ELNS1_11target_archE906ELNS1_3gpuE6ELNS1_3repE0EEENS1_30default_config_static_selectorELNS0_4arch9wavefront6targetE0EEEvT1_.uses_vcc, 0
	.set _ZN7rocprim17ROCPRIM_400000_NS6detail17trampoline_kernelINS0_14default_configENS1_20scan_config_selectorIN3c107complexIdEEEEZZNS1_9scan_implILNS1_25lookback_scan_determinismE0ELb0ELb0ES3_PKS7_PS7_S7_ZZZN2at6native31launch_logcumsumexp_cuda_kernelERKNSE_10TensorBaseESI_lENKUlvE_clEvENKUlvE1_clEvEUlS7_S7_E_S7_EEDaPvRmT3_T4_T5_mT6_P12ihipStream_tbENKUlT_T0_E_clISt17integral_constantIbLb1EESZ_EEDaSU_SV_EUlSU_E0_NS1_11comp_targetILNS1_3genE2ELNS1_11target_archE906ELNS1_3gpuE6ELNS1_3repE0EEENS1_30default_config_static_selectorELNS0_4arch9wavefront6targetE0EEEvT1_.uses_flat_scratch, 0
	.set _ZN7rocprim17ROCPRIM_400000_NS6detail17trampoline_kernelINS0_14default_configENS1_20scan_config_selectorIN3c107complexIdEEEEZZNS1_9scan_implILNS1_25lookback_scan_determinismE0ELb0ELb0ES3_PKS7_PS7_S7_ZZZN2at6native31launch_logcumsumexp_cuda_kernelERKNSE_10TensorBaseESI_lENKUlvE_clEvENKUlvE1_clEvEUlS7_S7_E_S7_EEDaPvRmT3_T4_T5_mT6_P12ihipStream_tbENKUlT_T0_E_clISt17integral_constantIbLb1EESZ_EEDaSU_SV_EUlSU_E0_NS1_11comp_targetILNS1_3genE2ELNS1_11target_archE906ELNS1_3gpuE6ELNS1_3repE0EEENS1_30default_config_static_selectorELNS0_4arch9wavefront6targetE0EEEvT1_.has_dyn_sized_stack, 0
	.set _ZN7rocprim17ROCPRIM_400000_NS6detail17trampoline_kernelINS0_14default_configENS1_20scan_config_selectorIN3c107complexIdEEEEZZNS1_9scan_implILNS1_25lookback_scan_determinismE0ELb0ELb0ES3_PKS7_PS7_S7_ZZZN2at6native31launch_logcumsumexp_cuda_kernelERKNSE_10TensorBaseESI_lENKUlvE_clEvENKUlvE1_clEvEUlS7_S7_E_S7_EEDaPvRmT3_T4_T5_mT6_P12ihipStream_tbENKUlT_T0_E_clISt17integral_constantIbLb1EESZ_EEDaSU_SV_EUlSU_E0_NS1_11comp_targetILNS1_3genE2ELNS1_11target_archE906ELNS1_3gpuE6ELNS1_3repE0EEENS1_30default_config_static_selectorELNS0_4arch9wavefront6targetE0EEEvT1_.has_recursion, 0
	.set _ZN7rocprim17ROCPRIM_400000_NS6detail17trampoline_kernelINS0_14default_configENS1_20scan_config_selectorIN3c107complexIdEEEEZZNS1_9scan_implILNS1_25lookback_scan_determinismE0ELb0ELb0ES3_PKS7_PS7_S7_ZZZN2at6native31launch_logcumsumexp_cuda_kernelERKNSE_10TensorBaseESI_lENKUlvE_clEvENKUlvE1_clEvEUlS7_S7_E_S7_EEDaPvRmT3_T4_T5_mT6_P12ihipStream_tbENKUlT_T0_E_clISt17integral_constantIbLb1EESZ_EEDaSU_SV_EUlSU_E0_NS1_11comp_targetILNS1_3genE2ELNS1_11target_archE906ELNS1_3gpuE6ELNS1_3repE0EEENS1_30default_config_static_selectorELNS0_4arch9wavefront6targetE0EEEvT1_.has_indirect_call, 0
	.section	.AMDGPU.csdata,"",@progbits
; Kernel info:
; codeLenInByte = 0
; TotalNumSgprs: 0
; NumVgprs: 0
; ScratchSize: 0
; MemoryBound: 0
; FloatMode: 240
; IeeeMode: 1
; LDSByteSize: 0 bytes/workgroup (compile time only)
; SGPRBlocks: 0
; VGPRBlocks: 0
; NumSGPRsForWavesPerEU: 1
; NumVGPRsForWavesPerEU: 1
; Occupancy: 16
; WaveLimiterHint : 0
; COMPUTE_PGM_RSRC2:SCRATCH_EN: 0
; COMPUTE_PGM_RSRC2:USER_SGPR: 2
; COMPUTE_PGM_RSRC2:TRAP_HANDLER: 0
; COMPUTE_PGM_RSRC2:TGID_X_EN: 1
; COMPUTE_PGM_RSRC2:TGID_Y_EN: 0
; COMPUTE_PGM_RSRC2:TGID_Z_EN: 0
; COMPUTE_PGM_RSRC2:TIDIG_COMP_CNT: 0
	.section	.text._ZN7rocprim17ROCPRIM_400000_NS6detail17trampoline_kernelINS0_14default_configENS1_20scan_config_selectorIN3c107complexIdEEEEZZNS1_9scan_implILNS1_25lookback_scan_determinismE0ELb0ELb0ES3_PKS7_PS7_S7_ZZZN2at6native31launch_logcumsumexp_cuda_kernelERKNSE_10TensorBaseESI_lENKUlvE_clEvENKUlvE1_clEvEUlS7_S7_E_S7_EEDaPvRmT3_T4_T5_mT6_P12ihipStream_tbENKUlT_T0_E_clISt17integral_constantIbLb1EESZ_EEDaSU_SV_EUlSU_E0_NS1_11comp_targetILNS1_3genE10ELNS1_11target_archE1201ELNS1_3gpuE5ELNS1_3repE0EEENS1_30default_config_static_selectorELNS0_4arch9wavefront6targetE0EEEvT1_,"axG",@progbits,_ZN7rocprim17ROCPRIM_400000_NS6detail17trampoline_kernelINS0_14default_configENS1_20scan_config_selectorIN3c107complexIdEEEEZZNS1_9scan_implILNS1_25lookback_scan_determinismE0ELb0ELb0ES3_PKS7_PS7_S7_ZZZN2at6native31launch_logcumsumexp_cuda_kernelERKNSE_10TensorBaseESI_lENKUlvE_clEvENKUlvE1_clEvEUlS7_S7_E_S7_EEDaPvRmT3_T4_T5_mT6_P12ihipStream_tbENKUlT_T0_E_clISt17integral_constantIbLb1EESZ_EEDaSU_SV_EUlSU_E0_NS1_11comp_targetILNS1_3genE10ELNS1_11target_archE1201ELNS1_3gpuE5ELNS1_3repE0EEENS1_30default_config_static_selectorELNS0_4arch9wavefront6targetE0EEEvT1_,comdat
	.globl	_ZN7rocprim17ROCPRIM_400000_NS6detail17trampoline_kernelINS0_14default_configENS1_20scan_config_selectorIN3c107complexIdEEEEZZNS1_9scan_implILNS1_25lookback_scan_determinismE0ELb0ELb0ES3_PKS7_PS7_S7_ZZZN2at6native31launch_logcumsumexp_cuda_kernelERKNSE_10TensorBaseESI_lENKUlvE_clEvENKUlvE1_clEvEUlS7_S7_E_S7_EEDaPvRmT3_T4_T5_mT6_P12ihipStream_tbENKUlT_T0_E_clISt17integral_constantIbLb1EESZ_EEDaSU_SV_EUlSU_E0_NS1_11comp_targetILNS1_3genE10ELNS1_11target_archE1201ELNS1_3gpuE5ELNS1_3repE0EEENS1_30default_config_static_selectorELNS0_4arch9wavefront6targetE0EEEvT1_ ; -- Begin function _ZN7rocprim17ROCPRIM_400000_NS6detail17trampoline_kernelINS0_14default_configENS1_20scan_config_selectorIN3c107complexIdEEEEZZNS1_9scan_implILNS1_25lookback_scan_determinismE0ELb0ELb0ES3_PKS7_PS7_S7_ZZZN2at6native31launch_logcumsumexp_cuda_kernelERKNSE_10TensorBaseESI_lENKUlvE_clEvENKUlvE1_clEvEUlS7_S7_E_S7_EEDaPvRmT3_T4_T5_mT6_P12ihipStream_tbENKUlT_T0_E_clISt17integral_constantIbLb1EESZ_EEDaSU_SV_EUlSU_E0_NS1_11comp_targetILNS1_3genE10ELNS1_11target_archE1201ELNS1_3gpuE5ELNS1_3repE0EEENS1_30default_config_static_selectorELNS0_4arch9wavefront6targetE0EEEvT1_
	.p2align	8
	.type	_ZN7rocprim17ROCPRIM_400000_NS6detail17trampoline_kernelINS0_14default_configENS1_20scan_config_selectorIN3c107complexIdEEEEZZNS1_9scan_implILNS1_25lookback_scan_determinismE0ELb0ELb0ES3_PKS7_PS7_S7_ZZZN2at6native31launch_logcumsumexp_cuda_kernelERKNSE_10TensorBaseESI_lENKUlvE_clEvENKUlvE1_clEvEUlS7_S7_E_S7_EEDaPvRmT3_T4_T5_mT6_P12ihipStream_tbENKUlT_T0_E_clISt17integral_constantIbLb1EESZ_EEDaSU_SV_EUlSU_E0_NS1_11comp_targetILNS1_3genE10ELNS1_11target_archE1201ELNS1_3gpuE5ELNS1_3repE0EEENS1_30default_config_static_selectorELNS0_4arch9wavefront6targetE0EEEvT1_,@function
_ZN7rocprim17ROCPRIM_400000_NS6detail17trampoline_kernelINS0_14default_configENS1_20scan_config_selectorIN3c107complexIdEEEEZZNS1_9scan_implILNS1_25lookback_scan_determinismE0ELb0ELb0ES3_PKS7_PS7_S7_ZZZN2at6native31launch_logcumsumexp_cuda_kernelERKNSE_10TensorBaseESI_lENKUlvE_clEvENKUlvE1_clEvEUlS7_S7_E_S7_EEDaPvRmT3_T4_T5_mT6_P12ihipStream_tbENKUlT_T0_E_clISt17integral_constantIbLb1EESZ_EEDaSU_SV_EUlSU_E0_NS1_11comp_targetILNS1_3genE10ELNS1_11target_archE1201ELNS1_3gpuE5ELNS1_3repE0EEENS1_30default_config_static_selectorELNS0_4arch9wavefront6targetE0EEEvT1_: ; @_ZN7rocprim17ROCPRIM_400000_NS6detail17trampoline_kernelINS0_14default_configENS1_20scan_config_selectorIN3c107complexIdEEEEZZNS1_9scan_implILNS1_25lookback_scan_determinismE0ELb0ELb0ES3_PKS7_PS7_S7_ZZZN2at6native31launch_logcumsumexp_cuda_kernelERKNSE_10TensorBaseESI_lENKUlvE_clEvENKUlvE1_clEvEUlS7_S7_E_S7_EEDaPvRmT3_T4_T5_mT6_P12ihipStream_tbENKUlT_T0_E_clISt17integral_constantIbLb1EESZ_EEDaSU_SV_EUlSU_E0_NS1_11comp_targetILNS1_3genE10ELNS1_11target_archE1201ELNS1_3gpuE5ELNS1_3repE0EEENS1_30default_config_static_selectorELNS0_4arch9wavefront6targetE0EEEvT1_
; %bb.0:
	s_mov_b64 s[18:19], s[0:1]
	s_load_b128 s[0:3], s[0:1], 0x0
	s_mov_b32 s32, 0
	s_wait_kmcnt 0x0
	s_load_b128 s[4:7], s[0:1], 0x0
	v_mov_b32_e32 v180, v0
	s_wait_kmcnt 0x0
	v_dual_mov_b32 v2, s6 :: v_dual_mov_b32 v3, s7
	s_delay_alu instid0(VALU_DEP_2)
	v_dual_mov_b32 v0, s4 :: v_dual_lshlrev_b32 v181, 4, v180
	v_cmp_gt_u32_e64 s20, s2, v180
	v_mov_b32_e32 v1, s5
	s_and_saveexec_b32 s3, s20
	s_cbranch_execz .LBB217_2
; %bb.1:
	global_load_b128 v[0:3], v181, s[0:1]
.LBB217_2:
	s_wait_alu 0xfffe
	s_or_b32 exec_lo, exec_lo, s3
	v_or_b32_e32 v4, 0x100, v180
	v_dual_mov_b32 v6, s6 :: v_dual_mov_b32 v7, s7
	s_delay_alu instid0(VALU_DEP_2)
	v_cmp_gt_u32_e64 s21, s2, v4
	v_dual_mov_b32 v4, s4 :: v_dual_mov_b32 v5, s5
	s_and_saveexec_b32 s3, s21
	s_cbranch_execz .LBB217_4
; %bb.3:
	global_load_b128 v[4:7], v181, s[0:1] offset:4096
.LBB217_4:
	s_wait_alu 0xfffe
	s_or_b32 exec_lo, exec_lo, s3
	v_or_b32_e32 v8, 0x200, v180
	v_dual_mov_b32 v11, s7 :: v_dual_mov_b32 v10, s6
	s_delay_alu instid0(VALU_DEP_2)
	v_cmp_gt_u32_e64 s22, s2, v8
	v_dual_mov_b32 v9, s5 :: v_dual_mov_b32 v8, s4
	s_and_saveexec_b32 s3, s22
	s_cbranch_execz .LBB217_6
; %bb.5:
	global_load_b128 v[8:11], v181, s[0:1] offset:8192
.LBB217_6:
	;; [unrolled: 12-line block ×9, first 2 shown]
	s_wait_alu 0xfffe
	s_or_b32 exec_lo, exec_lo, s3
	v_or_b32_e32 v40, 0xa00, v180
	s_delay_alu instid0(VALU_DEP_1)
	v_cmp_gt_u32_e64 s33, s2, v40
	v_cmp_le_u32_e32 vcc_lo, s2, v40
	s_and_saveexec_b32 s2, vcc_lo
	s_wait_alu 0xfffe
	s_xor_b32 s2, exec_lo, s2
	s_wait_alu 0xfffe
	s_or_saveexec_b32 s2, s2
	v_dual_mov_b32 v43, s7 :: v_dual_mov_b32 v42, s6
	v_dual_mov_b32 v41, s5 :: v_dual_mov_b32 v40, s4
	s_wait_alu 0xfffe
	s_xor_b32 exec_lo, exec_lo, s2
	s_cbranch_execz .LBB217_22
; %bb.21:
	v_lshlrev_b32_e32 v40, 4, v180
	global_load_b128 v[40:43], v40, s[0:1] offset:40960
.LBB217_22:
	s_or_b32 exec_lo, exec_lo, s2
	s_wait_loadcnt 0x0
	ds_store_b128 v181, v[4:7] offset:4096
	ds_store_b128 v181, v[8:11] offset:8192
	;; [unrolled: 1-line block ×9, first 2 shown]
	ds_store_b128 v181, v[0:3]
	ds_store_b128 v181, v[40:43] offset:40960
	v_mad_u32_u24 v0, 0xa0, v180, v181
	s_wait_dscnt 0x0
	s_barrier_signal -1
	s_barrier_wait -1
	global_inv scope:SCOPE_SE
	ds_load_b128 v[40:43], v0
	ds_load_b128 v[148:151], v0 offset:16
	ds_load_b128 v[140:143], v0 offset:32
	;; [unrolled: 1-line block ×10, first 2 shown]
	s_getpc_b64 s[34:35]
	s_sext_i32_i16 s35, s35
	s_add_co_u32 s34, s34, _ZZZZN2at6native31launch_logcumsumexp_cuda_kernelERKNS_10TensorBaseES3_lENKUlvE_clEvENKUlvE1_clEvENKUlN3c107complexIdEES8_E_clES8_S8_@rel32@lo+8
	s_add_co_ci_u32 s35, s35, _ZZZZN2at6native31launch_logcumsumexp_cuda_kernelERKNS_10TensorBaseES3_lENKUlvE_clEvENKUlvE1_clEvENKUlN3c107complexIdEES8_E_clES8_S8_@rel32@hi+16
	s_wait_loadcnt_dscnt 0x0
	s_barrier_signal -1
	s_barrier_wait -1
	global_inv scope:SCOPE_SE
	v_dual_mov_b32 v0, v40 :: v_dual_mov_b32 v1, v41
	v_dual_mov_b32 v2, v42 :: v_dual_mov_b32 v3, v43
	;; [unrolled: 1-line block ×4, first 2 shown]
	s_swappc_b64 s[30:31], s[34:35]
	v_dual_mov_b32 v4, v140 :: v_dual_mov_b32 v5, v141
	v_dual_mov_b32 v6, v142 :: v_dual_mov_b32 v7, v143
	v_dual_mov_b32 v44, v0 :: v_dual_mov_b32 v45, v1
	v_dual_mov_b32 v46, v2 :: v_dual_mov_b32 v47, v3
	s_wait_alu 0xfffe
	s_swappc_b64 s[30:31], s[34:35]
	v_dual_mov_b32 v4, v136 :: v_dual_mov_b32 v5, v137
	v_dual_mov_b32 v6, v138 :: v_dual_mov_b32 v7, v139
	v_dual_mov_b32 v72, v0 :: v_dual_mov_b32 v73, v1
	v_dual_mov_b32 v74, v2 :: v_dual_mov_b32 v75, v3
	s_wait_alu 0xfffe
	;; [unrolled: 6-line block ×9, first 2 shown]
	s_swappc_b64 s[30:31], s[34:35]
	v_dual_mov_b32 v170, v2 :: v_dual_mov_b32 v171, v3
	v_mbcnt_lo_u32_b32 v182, -1, 0
	v_dual_mov_b32 v168, v0 :: v_dual_mov_b32 v169, v1
	s_delay_alu instid0(VALU_DEP_3) | instskip(NEXT) | instid1(VALU_DEP_3)
	v_mov_b32_dpp v6, v170 row_shr:1 row_mask:0xf bank_mask:0xf
	v_dual_mov_b32 v175, v171 :: v_dual_and_b32 v176, 15, v182
	s_delay_alu instid0(VALU_DEP_3) | instskip(NEXT) | instid1(VALU_DEP_4)
	v_dual_mov_b32 v174, v170 :: v_dual_mov_b32 v173, v169
	v_mov_b32_dpp v4, v168 row_shr:1 row_mask:0xf bank_mask:0xf
	v_mov_b32_dpp v5, v169 row_shr:1 row_mask:0xf bank_mask:0xf
	;; [unrolled: 1-line block ×3, first 2 shown]
	v_mov_b32_e32 v172, v168
	s_mov_b32 s36, exec_lo
	v_cmpx_ne_u32_e32 0, v176
	s_cbranch_execz .LBB217_24
; %bb.23:
	v_dual_mov_b32 v0, v4 :: v_dual_mov_b32 v1, v5
	v_dual_mov_b32 v2, v6 :: v_dual_mov_b32 v3, v7
	;; [unrolled: 1-line block ×4, first 2 shown]
	s_wait_alu 0xfffe
	s_swappc_b64 s[30:31], s[34:35]
	v_dual_mov_b32 v172, v0 :: v_dual_mov_b32 v173, v1
	v_dual_mov_b32 v174, v2 :: v_dual_mov_b32 v175, v3
.LBB217_24:
	s_wait_alu 0xfffe
	s_or_b32 exec_lo, exec_lo, s36
	v_mov_b32_dpp v4, v0 row_shr:2 row_mask:0xf bank_mask:0xf
	v_mov_b32_dpp v5, v1 row_shr:2 row_mask:0xf bank_mask:0xf
	v_mov_b32_dpp v6, v2 row_shr:2 row_mask:0xf bank_mask:0xf
	v_mov_b32_dpp v7, v3 row_shr:2 row_mask:0xf bank_mask:0xf
	s_mov_b32 s34, exec_lo
	v_cmpx_lt_u32_e32 1, v176
	s_cbranch_execz .LBB217_26
; %bb.25:
	v_dual_mov_b32 v0, v4 :: v_dual_mov_b32 v1, v5
	v_dual_mov_b32 v2, v6 :: v_dual_mov_b32 v3, v7
	v_dual_mov_b32 v4, v172 :: v_dual_mov_b32 v5, v173
	v_dual_mov_b32 v6, v174 :: v_dual_mov_b32 v7, v175
	s_getpc_b64 s[0:1]
	s_wait_alu 0xfffe
	s_sext_i32_i16 s1, s1
	s_add_co_u32 s0, s0, _ZZZZN2at6native31launch_logcumsumexp_cuda_kernelERKNS_10TensorBaseES3_lENKUlvE_clEvENKUlvE1_clEvENKUlN3c107complexIdEES8_E_clES8_S8_@rel32@lo+12
	s_wait_alu 0xfffe
	s_add_co_ci_u32 s1, s1, _ZZZZN2at6native31launch_logcumsumexp_cuda_kernelERKNS_10TensorBaseES3_lENKUlvE_clEvENKUlvE1_clEvENKUlN3c107complexIdEES8_E_clES8_S8_@rel32@hi+24
	s_wait_alu 0xfffe
	s_swappc_b64 s[30:31], s[0:1]
	v_dual_mov_b32 v175, v3 :: v_dual_mov_b32 v174, v2
	v_dual_mov_b32 v173, v1 :: v_dual_mov_b32 v172, v0
.LBB217_26:
	s_wait_alu 0xfffe
	s_or_b32 exec_lo, exec_lo, s34
	v_mov_b32_dpp v4, v0 row_shr:4 row_mask:0xf bank_mask:0xf
	v_mov_b32_dpp v5, v1 row_shr:4 row_mask:0xf bank_mask:0xf
	v_mov_b32_dpp v6, v2 row_shr:4 row_mask:0xf bank_mask:0xf
	v_mov_b32_dpp v7, v3 row_shr:4 row_mask:0xf bank_mask:0xf
	s_mov_b32 s34, exec_lo
	v_cmpx_lt_u32_e32 3, v176
	s_cbranch_execz .LBB217_28
; %bb.27:
	v_dual_mov_b32 v0, v4 :: v_dual_mov_b32 v1, v5
	v_dual_mov_b32 v2, v6 :: v_dual_mov_b32 v3, v7
	v_dual_mov_b32 v4, v172 :: v_dual_mov_b32 v5, v173
	v_dual_mov_b32 v6, v174 :: v_dual_mov_b32 v7, v175
	s_getpc_b64 s[0:1]
	s_wait_alu 0xfffe
	s_sext_i32_i16 s1, s1
	s_add_co_u32 s0, s0, _ZZZZN2at6native31launch_logcumsumexp_cuda_kernelERKNS_10TensorBaseES3_lENKUlvE_clEvENKUlvE1_clEvENKUlN3c107complexIdEES8_E_clES8_S8_@rel32@lo+12
	s_wait_alu 0xfffe
	s_add_co_ci_u32 s1, s1, _ZZZZN2at6native31launch_logcumsumexp_cuda_kernelERKNS_10TensorBaseES3_lENKUlvE_clEvENKUlvE1_clEvENKUlN3c107complexIdEES8_E_clES8_S8_@rel32@hi+24
	s_wait_alu 0xfffe
	s_swappc_b64 s[30:31], s[0:1]
	v_dual_mov_b32 v175, v3 :: v_dual_mov_b32 v174, v2
	v_dual_mov_b32 v173, v1 :: v_dual_mov_b32 v172, v0
.LBB217_28:
	;; [unrolled: 25-line block ×3, first 2 shown]
	s_wait_alu 0xfffe
	s_or_b32 exec_lo, exec_lo, s34
	ds_swizzle_b32 v0, v0 offset:swizzle(BROADCAST,32,15)
	ds_swizzle_b32 v1, v1 offset:swizzle(BROADCAST,32,15)
	;; [unrolled: 1-line block ×4, first 2 shown]
	v_and_b32_e32 v4, 16, v182
	s_mov_b32 s34, exec_lo
	s_delay_alu instid0(VALU_DEP_1)
	v_cmpx_ne_u32_e32 0, v4
	s_cbranch_execz .LBB217_32
; %bb.31:
	v_dual_mov_b32 v4, v172 :: v_dual_mov_b32 v5, v173
	v_dual_mov_b32 v6, v174 :: v_dual_mov_b32 v7, v175
	s_getpc_b64 s[0:1]
	s_wait_alu 0xfffe
	s_sext_i32_i16 s1, s1
	s_add_co_u32 s0, s0, _ZZZZN2at6native31launch_logcumsumexp_cuda_kernelERKNS_10TensorBaseES3_lENKUlvE_clEvENKUlvE1_clEvENKUlN3c107complexIdEES8_E_clES8_S8_@rel32@lo+12
	s_wait_alu 0xfffe
	s_add_co_ci_u32 s1, s1, _ZZZZN2at6native31launch_logcumsumexp_cuda_kernelERKNS_10TensorBaseES3_lENKUlvE_clEvENKUlvE1_clEvENKUlN3c107complexIdEES8_E_clES8_S8_@rel32@hi+24
	s_wait_alu 0xfffe
	s_swappc_b64 s[30:31], s[0:1]
	v_dual_mov_b32 v172, v0 :: v_dual_mov_b32 v173, v1
	v_dual_mov_b32 v174, v2 :: v_dual_mov_b32 v175, v3
.LBB217_32:
	s_wait_alu 0xfffe
	s_or_b32 exec_lo, exec_lo, s34
	s_wait_dscnt 0x3
	v_or_b32_e32 v0, 31, v180
	v_lshrrev_b32_e32 v184, 5, v180
	s_mov_b32 s0, exec_lo
	s_delay_alu instid0(VALU_DEP_2)
	v_cmpx_eq_u32_e64 v180, v0
; %bb.33:
	s_delay_alu instid0(VALU_DEP_2)
	v_lshlrev_b32_e32 v0, 4, v184
	ds_store_b128 v0, v[172:175]
; %bb.34:
	s_wait_alu 0xfffe
	s_or_b32 exec_lo, exec_lo, s0
	s_load_b64 s[18:19], s[18:19], 0x28
	s_mov_b32 s34, exec_lo
	s_wait_storecnt_dscnt 0x0
	s_barrier_signal -1
	s_barrier_wait -1
	global_inv scope:SCOPE_SE
	v_cmpx_gt_u32_e32 8, v180
	s_cbranch_execz .LBB217_42
; %bb.35:
	ds_load_b128 v[4:7], v181
	v_and_b32_e32 v176, 7, v182
	s_mov_b32 s35, exec_lo
	s_wait_dscnt 0x0
	v_mov_b32_dpp v0, v4 row_shr:1 row_mask:0xf bank_mask:0xf
	v_mov_b32_dpp v1, v5 row_shr:1 row_mask:0xf bank_mask:0xf
	;; [unrolled: 1-line block ×4, first 2 shown]
	v_cmpx_ne_u32_e32 0, v176
	s_cbranch_execz .LBB217_37
; %bb.36:
	s_getpc_b64 s[0:1]
	s_wait_alu 0xfffe
	s_sext_i32_i16 s1, s1
	s_add_co_u32 s0, s0, _ZZZZN2at6native31launch_logcumsumexp_cuda_kernelERKNS_10TensorBaseES3_lENKUlvE_clEvENKUlvE1_clEvENKUlN3c107complexIdEES8_E_clES8_S8_@rel32@lo+12
	s_wait_alu 0xfffe
	s_add_co_ci_u32 s1, s1, _ZZZZN2at6native31launch_logcumsumexp_cuda_kernelERKNS_10TensorBaseES3_lENKUlvE_clEvENKUlvE1_clEvENKUlN3c107complexIdEES8_E_clES8_S8_@rel32@hi+24
	s_wait_alu 0xfffe
	s_swappc_b64 s[30:31], s[0:1]
	v_dual_mov_b32 v4, v0 :: v_dual_mov_b32 v5, v1
	v_dual_mov_b32 v6, v2 :: v_dual_mov_b32 v7, v3
.LBB217_37:
	s_wait_alu 0xfffe
	s_or_b32 exec_lo, exec_lo, s35
	s_delay_alu instid0(VALU_DEP_2)
	v_mov_b32_dpp v0, v4 row_shr:2 row_mask:0xf bank_mask:0xf
	v_mov_b32_dpp v1, v5 row_shr:2 row_mask:0xf bank_mask:0xf
	;; [unrolled: 1-line block ×4, first 2 shown]
	s_mov_b32 s35, exec_lo
	v_cmpx_lt_u32_e32 1, v176
	s_cbranch_execz .LBB217_39
; %bb.38:
	s_getpc_b64 s[0:1]
	s_wait_alu 0xfffe
	s_sext_i32_i16 s1, s1
	s_add_co_u32 s0, s0, _ZZZZN2at6native31launch_logcumsumexp_cuda_kernelERKNS_10TensorBaseES3_lENKUlvE_clEvENKUlvE1_clEvENKUlN3c107complexIdEES8_E_clES8_S8_@rel32@lo+12
	s_wait_alu 0xfffe
	s_add_co_ci_u32 s1, s1, _ZZZZN2at6native31launch_logcumsumexp_cuda_kernelERKNS_10TensorBaseES3_lENKUlvE_clEvENKUlvE1_clEvENKUlN3c107complexIdEES8_E_clES8_S8_@rel32@hi+24
	s_wait_alu 0xfffe
	s_swappc_b64 s[30:31], s[0:1]
	v_dual_mov_b32 v4, v0 :: v_dual_mov_b32 v5, v1
	v_dual_mov_b32 v6, v2 :: v_dual_mov_b32 v7, v3
.LBB217_39:
	s_wait_alu 0xfffe
	s_or_b32 exec_lo, exec_lo, s35
	s_delay_alu instid0(VALU_DEP_2)
	v_mov_b32_dpp v0, v4 row_shr:4 row_mask:0xf bank_mask:0xf
	v_mov_b32_dpp v1, v5 row_shr:4 row_mask:0xf bank_mask:0xf
	;; [unrolled: 1-line block ×4, first 2 shown]
	s_mov_b32 s35, exec_lo
	v_cmpx_lt_u32_e32 3, v176
	s_cbranch_execz .LBB217_41
; %bb.40:
	s_getpc_b64 s[0:1]
	s_wait_alu 0xfffe
	s_sext_i32_i16 s1, s1
	s_add_co_u32 s0, s0, _ZZZZN2at6native31launch_logcumsumexp_cuda_kernelERKNS_10TensorBaseES3_lENKUlvE_clEvENKUlvE1_clEvENKUlN3c107complexIdEES8_E_clES8_S8_@rel32@lo+12
	s_wait_alu 0xfffe
	s_add_co_ci_u32 s1, s1, _ZZZZN2at6native31launch_logcumsumexp_cuda_kernelERKNS_10TensorBaseES3_lENKUlvE_clEvENKUlvE1_clEvENKUlN3c107complexIdEES8_E_clES8_S8_@rel32@hi+24
	s_wait_alu 0xfffe
	s_swappc_b64 s[30:31], s[0:1]
	v_dual_mov_b32 v4, v0 :: v_dual_mov_b32 v5, v1
	v_dual_mov_b32 v6, v2 :: v_dual_mov_b32 v7, v3
.LBB217_41:
	s_wait_alu 0xfffe
	s_or_b32 exec_lo, exec_lo, s35
	ds_store_b128 v181, v[4:7]
.LBB217_42:
	s_wait_alu 0xfffe
	s_or_b32 exec_lo, exec_lo, s34
	v_mov_b32_e32 v178, 0
	v_dual_mov_b32 v179, 0 :: v_dual_mov_b32 v176, 0
	v_mul_u32_u24_e32 v183, 0xa0, v180
	v_mov_b32_e32 v177, 0
	s_mov_b32 s34, exec_lo
	s_wait_storecnt 0x0
	s_wait_loadcnt_dscnt 0x0
	s_barrier_signal -1
	s_barrier_wait -1
	global_inv scope:SCOPE_SE
	v_cmpx_lt_u32_e32 31, v180
	s_cbranch_execz .LBB217_44
; %bb.43:
	v_lshl_add_u32 v0, v184, 4, -16
	v_dual_mov_b32 v4, v172 :: v_dual_mov_b32 v5, v173
	s_getpc_b64 s[0:1]
	s_wait_alu 0xfffe
	s_sext_i32_i16 s1, s1
	s_add_co_u32 s0, s0, _ZZZZN2at6native31launch_logcumsumexp_cuda_kernelERKNS_10TensorBaseES3_lENKUlvE_clEvENKUlvE1_clEvENKUlN3c107complexIdEES8_E_clES8_S8_@rel32@lo+12
	s_wait_alu 0xfffe
	s_add_co_ci_u32 s1, s1, _ZZZZN2at6native31launch_logcumsumexp_cuda_kernelERKNS_10TensorBaseES3_lENKUlvE_clEvENKUlvE1_clEvENKUlN3c107complexIdEES8_E_clES8_S8_@rel32@hi+24
	v_mov_b32_e32 v7, v175
	ds_load_b128 v[176:179], v0
	s_wait_dscnt 0x0
	v_dual_mov_b32 v6, v174 :: v_dual_mov_b32 v1, v177
	v_dual_mov_b32 v0, v176 :: v_dual_mov_b32 v3, v179
	v_mov_b32_e32 v2, v178
	s_wait_alu 0xfffe
	s_swappc_b64 s[30:31], s[0:1]
	s_delay_alu instid0(VALU_DEP_2) | instskip(NEXT) | instid1(VALU_DEP_2)
	v_dual_mov_b32 v172, v0 :: v_dual_mov_b32 v173, v1
	v_dual_mov_b32 v174, v2 :: v_dual_mov_b32 v175, v3
.LBB217_44:
	s_wait_alu 0xfffe
	s_or_b32 exec_lo, exec_lo, s34
	v_add_nc_u32_e32 v0, -1, v182
	s_mov_b32 s36, exec_lo
	s_delay_alu instid0(VALU_DEP_1) | instskip(SKIP_2) | instid1(VALU_DEP_1)
	v_cmp_gt_i32_e32 vcc_lo, 0, v0
	s_wait_alu 0xfffd
	v_cndmask_b32_e32 v0, v0, v182, vcc_lo
	v_lshlrev_b32_e32 v3, 2, v0
	ds_bpermute_b32 v0, v3, v172
	ds_bpermute_b32 v1, v3, v173
	;; [unrolled: 1-line block ×4, first 2 shown]
	v_cmpx_ne_u32_e32 0, v180
	s_cbranch_execz .LBB217_46
; %bb.45:
	v_cmp_eq_u32_e32 vcc_lo, 0, v182
	v_dual_mov_b32 v4, v40 :: v_dual_mov_b32 v5, v41
	v_dual_mov_b32 v6, v42 :: v_dual_mov_b32 v7, v43
	s_wait_dscnt 0x2
	s_wait_alu 0xfffd
	v_dual_cndmask_b32 v0, v0, v176 :: v_dual_cndmask_b32 v1, v1, v177
	s_wait_dscnt 0x0
	v_dual_cndmask_b32 v2, v2, v178 :: v_dual_cndmask_b32 v3, v3, v179
	s_getpc_b64 s[34:35]
	s_wait_alu 0xfffe
	s_sext_i32_i16 s35, s35
	s_add_co_u32 s34, s34, _ZZZZN2at6native31launch_logcumsumexp_cuda_kernelERKNS_10TensorBaseES3_lENKUlvE_clEvENKUlvE1_clEvENKUlN3c107complexIdEES8_E_clES8_S8_@rel32@lo+12
	s_wait_alu 0xfffe
	s_add_co_ci_u32 s35, s35, _ZZZZN2at6native31launch_logcumsumexp_cuda_kernelERKNS_10TensorBaseES3_lENKUlvE_clEvENKUlvE1_clEvENKUlN3c107complexIdEES8_E_clES8_S8_@rel32@hi+24
	s_wait_alu 0xfffe
	s_swappc_b64 s[30:31], s[34:35]
	v_dual_mov_b32 v4, v148 :: v_dual_mov_b32 v5, v149
	v_dual_mov_b32 v6, v150 :: v_dual_mov_b32 v7, v151
	;; [unrolled: 1-line block ×4, first 2 shown]
	;;#ASMSTART
	;;#ASMEND
	s_wait_alu 0xfffe
	s_swappc_b64 s[30:31], s[34:35]
	v_dual_mov_b32 v4, v140 :: v_dual_mov_b32 v5, v141
	v_dual_mov_b32 v6, v142 :: v_dual_mov_b32 v7, v143
	v_dual_mov_b32 v44, v0 :: v_dual_mov_b32 v45, v1
	v_dual_mov_b32 v46, v2 :: v_dual_mov_b32 v47, v3
	s_wait_alu 0xfffe
	s_swappc_b64 s[30:31], s[34:35]
	v_dual_mov_b32 v4, v136 :: v_dual_mov_b32 v5, v137
	v_dual_mov_b32 v6, v138 :: v_dual_mov_b32 v7, v139
	v_dual_mov_b32 v72, v0 :: v_dual_mov_b32 v73, v1
	v_dual_mov_b32 v74, v2 :: v_dual_mov_b32 v75, v3
	;; [unrolled: 6-line block ×9, first 2 shown]
	s_wait_alu 0xfffe
	s_swappc_b64 s[30:31], s[34:35]
	v_dual_mov_b32 v168, v0 :: v_dual_mov_b32 v169, v1
	v_dual_mov_b32 v170, v2 :: v_dual_mov_b32 v171, v3
.LBB217_46:
	s_wait_alu 0xfffe
	s_or_b32 exec_lo, exec_lo, s36
	s_wait_dscnt 0x3
	v_add_nc_u32_e32 v0, v181, v183
	s_wait_storecnt 0x0
	s_wait_loadcnt_dscnt 0x0
	s_barrier_signal -1
	s_barrier_wait -1
	global_inv scope:SCOPE_SE
	ds_store_b128 v0, v[40:43]
	ds_store_b128 v0, v[44:47] offset:16
	ds_store_b128 v0, v[72:75] offset:32
	;; [unrolled: 1-line block ×10, first 2 shown]
	s_wait_loadcnt_dscnt 0x0
	s_barrier_signal -1
	s_barrier_wait -1
	global_inv scope:SCOPE_SE
	ds_load_b128 v[32:35], v181 offset:8192
	ds_load_b128 v[28:31], v181 offset:12288
	;; [unrolled: 1-line block ×10, first 2 shown]
	v_lshlrev_b32_e32 v40, 4, v180
	s_wait_kmcnt 0x0
	s_delay_alu instid0(VALU_DEP_1)
	v_add_co_u32 v40, s0, s18, v40
	s_wait_alu 0xf1ff
	v_add_co_ci_u32_e64 v41, null, s19, 0, s0
	s_and_saveexec_b32 s0, s20
	s_cbranch_execnz .LBB217_58
; %bb.47:
	s_wait_alu 0xfffe
	s_or_b32 exec_lo, exec_lo, s0
	s_and_saveexec_b32 s0, s21
	s_cbranch_execnz .LBB217_59
.LBB217_48:
	s_wait_alu 0xfffe
	s_or_b32 exec_lo, exec_lo, s0
	s_and_saveexec_b32 s0, s22
	s_cbranch_execnz .LBB217_60
.LBB217_49:
	s_wait_alu 0xfffe
	s_or_b32 exec_lo, exec_lo, s0
	s_and_saveexec_b32 s0, s23
	s_cbranch_execnz .LBB217_61
.LBB217_50:
	s_wait_alu 0xfffe
	s_or_b32 exec_lo, exec_lo, s0
	s_and_saveexec_b32 s0, s24
	s_cbranch_execnz .LBB217_62
.LBB217_51:
	s_wait_alu 0xfffe
	s_or_b32 exec_lo, exec_lo, s0
	s_and_saveexec_b32 s0, s25
	s_cbranch_execnz .LBB217_63
.LBB217_52:
	s_wait_alu 0xfffe
	s_or_b32 exec_lo, exec_lo, s0
	s_and_saveexec_b32 s0, s26
	s_cbranch_execnz .LBB217_64
.LBB217_53:
	s_wait_alu 0xfffe
	s_or_b32 exec_lo, exec_lo, s0
	s_and_saveexec_b32 s0, s27
	s_cbranch_execnz .LBB217_65
.LBB217_54:
	s_wait_alu 0xfffe
	s_or_b32 exec_lo, exec_lo, s0
	s_and_saveexec_b32 s0, s28
	s_cbranch_execnz .LBB217_66
.LBB217_55:
	s_wait_alu 0xfffe
	s_or_b32 exec_lo, exec_lo, s0
	s_and_saveexec_b32 s0, s29
	s_cbranch_execnz .LBB217_67
.LBB217_56:
	s_wait_alu 0xfffe
	s_or_b32 exec_lo, exec_lo, s0
	s_and_saveexec_b32 s0, s33
	s_cbranch_execnz .LBB217_68
.LBB217_57:
	s_nop 0
	s_sendmsg sendmsg(MSG_DEALLOC_VGPRS)
	s_endpgm
.LBB217_58:
	ds_load_b128 v[42:45], v181
	s_wait_dscnt 0x0
	global_store_b128 v[40:41], v[42:45], off
	s_wait_alu 0xfffe
	s_or_b32 exec_lo, exec_lo, s0
	s_and_saveexec_b32 s0, s21
	s_cbranch_execz .LBB217_48
.LBB217_59:
	s_wait_dscnt 0x1
	global_store_b128 v[40:41], v[36:39], off offset:4096
	s_wait_alu 0xfffe
	s_or_b32 exec_lo, exec_lo, s0
	s_and_saveexec_b32 s0, s22
	s_cbranch_execz .LBB217_49
.LBB217_60:
	s_wait_dscnt 0x9
	global_store_b128 v[40:41], v[32:35], off offset:8192
	s_wait_alu 0xfffe
	s_or_b32 exec_lo, exec_lo, s0
	s_and_saveexec_b32 s0, s23
	s_cbranch_execz .LBB217_50
.LBB217_61:
	s_wait_dscnt 0x8
	global_store_b128 v[40:41], v[28:31], off offset:12288
	s_wait_alu 0xfffe
	s_or_b32 exec_lo, exec_lo, s0
	s_and_saveexec_b32 s0, s24
	s_cbranch_execz .LBB217_51
.LBB217_62:
	s_wait_dscnt 0x7
	global_store_b128 v[40:41], v[24:27], off offset:16384
	s_wait_alu 0xfffe
	s_or_b32 exec_lo, exec_lo, s0
	s_and_saveexec_b32 s0, s25
	s_cbranch_execz .LBB217_52
.LBB217_63:
	s_wait_dscnt 0x6
	global_store_b128 v[40:41], v[20:23], off offset:20480
	s_wait_alu 0xfffe
	s_or_b32 exec_lo, exec_lo, s0
	s_and_saveexec_b32 s0, s26
	s_cbranch_execz .LBB217_53
.LBB217_64:
	s_wait_dscnt 0x5
	global_store_b128 v[40:41], v[16:19], off offset:24576
	s_wait_alu 0xfffe
	s_or_b32 exec_lo, exec_lo, s0
	s_and_saveexec_b32 s0, s27
	s_cbranch_execz .LBB217_54
.LBB217_65:
	s_wait_dscnt 0x4
	global_store_b128 v[40:41], v[12:15], off offset:28672
	s_wait_alu 0xfffe
	s_or_b32 exec_lo, exec_lo, s0
	s_and_saveexec_b32 s0, s28
	s_cbranch_execz .LBB217_55
.LBB217_66:
	s_wait_dscnt 0x3
	global_store_b128 v[40:41], v[8:11], off offset:32768
	s_wait_alu 0xfffe
	s_or_b32 exec_lo, exec_lo, s0
	s_and_saveexec_b32 s0, s29
	s_cbranch_execz .LBB217_56
.LBB217_67:
	s_wait_dscnt 0x2
	global_store_b128 v[40:41], v[4:7], off offset:36864
	s_wait_alu 0xfffe
	s_or_b32 exec_lo, exec_lo, s0
	s_and_saveexec_b32 s0, s33
	s_cbranch_execz .LBB217_57
.LBB217_68:
	s_wait_dscnt 0x0
	global_store_b128 v[40:41], v[0:3], off offset:40960
	s_nop 0
	s_sendmsg sendmsg(MSG_DEALLOC_VGPRS)
	s_endpgm
	.section	.rodata,"a",@progbits
	.p2align	6, 0x0
	.amdhsa_kernel _ZN7rocprim17ROCPRIM_400000_NS6detail17trampoline_kernelINS0_14default_configENS1_20scan_config_selectorIN3c107complexIdEEEEZZNS1_9scan_implILNS1_25lookback_scan_determinismE0ELb0ELb0ES3_PKS7_PS7_S7_ZZZN2at6native31launch_logcumsumexp_cuda_kernelERKNSE_10TensorBaseESI_lENKUlvE_clEvENKUlvE1_clEvEUlS7_S7_E_S7_EEDaPvRmT3_T4_T5_mT6_P12ihipStream_tbENKUlT_T0_E_clISt17integral_constantIbLb1EESZ_EEDaSU_SV_EUlSU_E0_NS1_11comp_targetILNS1_3genE10ELNS1_11target_archE1201ELNS1_3gpuE5ELNS1_3repE0EEENS1_30default_config_static_selectorELNS0_4arch9wavefront6targetE0EEEvT1_
		.amdhsa_group_segment_fixed_size 45056
		.amdhsa_private_segment_fixed_size 0
		.amdhsa_kernarg_size 48
		.amdhsa_user_sgpr_count 2
		.amdhsa_user_sgpr_dispatch_ptr 0
		.amdhsa_user_sgpr_queue_ptr 0
		.amdhsa_user_sgpr_kernarg_segment_ptr 1
		.amdhsa_user_sgpr_dispatch_id 0
		.amdhsa_user_sgpr_private_segment_size 0
		.amdhsa_wavefront_size32 1
		.amdhsa_uses_dynamic_stack 0
		.amdhsa_enable_private_segment 0
		.amdhsa_system_sgpr_workgroup_id_x 1
		.amdhsa_system_sgpr_workgroup_id_y 0
		.amdhsa_system_sgpr_workgroup_id_z 0
		.amdhsa_system_sgpr_workgroup_info 0
		.amdhsa_system_vgpr_workitem_id 0
		.amdhsa_next_free_vgpr 241
		.amdhsa_next_free_sgpr 37
		.amdhsa_reserve_vcc 1
		.amdhsa_float_round_mode_32 0
		.amdhsa_float_round_mode_16_64 0
		.amdhsa_float_denorm_mode_32 3
		.amdhsa_float_denorm_mode_16_64 3
		.amdhsa_fp16_overflow 0
		.amdhsa_workgroup_processor_mode 1
		.amdhsa_memory_ordered 1
		.amdhsa_forward_progress 1
		.amdhsa_inst_pref_size 33
		.amdhsa_round_robin_scheduling 0
		.amdhsa_exception_fp_ieee_invalid_op 0
		.amdhsa_exception_fp_denorm_src 0
		.amdhsa_exception_fp_ieee_div_zero 0
		.amdhsa_exception_fp_ieee_overflow 0
		.amdhsa_exception_fp_ieee_underflow 0
		.amdhsa_exception_fp_ieee_inexact 0
		.amdhsa_exception_int_div_zero 0
	.end_amdhsa_kernel
	.section	.text._ZN7rocprim17ROCPRIM_400000_NS6detail17trampoline_kernelINS0_14default_configENS1_20scan_config_selectorIN3c107complexIdEEEEZZNS1_9scan_implILNS1_25lookback_scan_determinismE0ELb0ELb0ES3_PKS7_PS7_S7_ZZZN2at6native31launch_logcumsumexp_cuda_kernelERKNSE_10TensorBaseESI_lENKUlvE_clEvENKUlvE1_clEvEUlS7_S7_E_S7_EEDaPvRmT3_T4_T5_mT6_P12ihipStream_tbENKUlT_T0_E_clISt17integral_constantIbLb1EESZ_EEDaSU_SV_EUlSU_E0_NS1_11comp_targetILNS1_3genE10ELNS1_11target_archE1201ELNS1_3gpuE5ELNS1_3repE0EEENS1_30default_config_static_selectorELNS0_4arch9wavefront6targetE0EEEvT1_,"axG",@progbits,_ZN7rocprim17ROCPRIM_400000_NS6detail17trampoline_kernelINS0_14default_configENS1_20scan_config_selectorIN3c107complexIdEEEEZZNS1_9scan_implILNS1_25lookback_scan_determinismE0ELb0ELb0ES3_PKS7_PS7_S7_ZZZN2at6native31launch_logcumsumexp_cuda_kernelERKNSE_10TensorBaseESI_lENKUlvE_clEvENKUlvE1_clEvEUlS7_S7_E_S7_EEDaPvRmT3_T4_T5_mT6_P12ihipStream_tbENKUlT_T0_E_clISt17integral_constantIbLb1EESZ_EEDaSU_SV_EUlSU_E0_NS1_11comp_targetILNS1_3genE10ELNS1_11target_archE1201ELNS1_3gpuE5ELNS1_3repE0EEENS1_30default_config_static_selectorELNS0_4arch9wavefront6targetE0EEEvT1_,comdat
.Lfunc_end217:
	.size	_ZN7rocprim17ROCPRIM_400000_NS6detail17trampoline_kernelINS0_14default_configENS1_20scan_config_selectorIN3c107complexIdEEEEZZNS1_9scan_implILNS1_25lookback_scan_determinismE0ELb0ELb0ES3_PKS7_PS7_S7_ZZZN2at6native31launch_logcumsumexp_cuda_kernelERKNSE_10TensorBaseESI_lENKUlvE_clEvENKUlvE1_clEvEUlS7_S7_E_S7_EEDaPvRmT3_T4_T5_mT6_P12ihipStream_tbENKUlT_T0_E_clISt17integral_constantIbLb1EESZ_EEDaSU_SV_EUlSU_E0_NS1_11comp_targetILNS1_3genE10ELNS1_11target_archE1201ELNS1_3gpuE5ELNS1_3repE0EEENS1_30default_config_static_selectorELNS0_4arch9wavefront6targetE0EEEvT1_, .Lfunc_end217-_ZN7rocprim17ROCPRIM_400000_NS6detail17trampoline_kernelINS0_14default_configENS1_20scan_config_selectorIN3c107complexIdEEEEZZNS1_9scan_implILNS1_25lookback_scan_determinismE0ELb0ELb0ES3_PKS7_PS7_S7_ZZZN2at6native31launch_logcumsumexp_cuda_kernelERKNSE_10TensorBaseESI_lENKUlvE_clEvENKUlvE1_clEvEUlS7_S7_E_S7_EEDaPvRmT3_T4_T5_mT6_P12ihipStream_tbENKUlT_T0_E_clISt17integral_constantIbLb1EESZ_EEDaSU_SV_EUlSU_E0_NS1_11comp_targetILNS1_3genE10ELNS1_11target_archE1201ELNS1_3gpuE5ELNS1_3repE0EEENS1_30default_config_static_selectorELNS0_4arch9wavefront6targetE0EEEvT1_
                                        ; -- End function
	.set _ZN7rocprim17ROCPRIM_400000_NS6detail17trampoline_kernelINS0_14default_configENS1_20scan_config_selectorIN3c107complexIdEEEEZZNS1_9scan_implILNS1_25lookback_scan_determinismE0ELb0ELb0ES3_PKS7_PS7_S7_ZZZN2at6native31launch_logcumsumexp_cuda_kernelERKNSE_10TensorBaseESI_lENKUlvE_clEvENKUlvE1_clEvEUlS7_S7_E_S7_EEDaPvRmT3_T4_T5_mT6_P12ihipStream_tbENKUlT_T0_E_clISt17integral_constantIbLb1EESZ_EEDaSU_SV_EUlSU_E0_NS1_11comp_targetILNS1_3genE10ELNS1_11target_archE1201ELNS1_3gpuE5ELNS1_3repE0EEENS1_30default_config_static_selectorELNS0_4arch9wavefront6targetE0EEEvT1_.num_vgpr, max(185, .L_ZZZZN2at6native31launch_logcumsumexp_cuda_kernelERKNS_10TensorBaseES3_lENKUlvE_clEvENKUlvE1_clEvENKUlN3c107complexIdEES8_E_clES8_S8_.num_vgpr)
	.set _ZN7rocprim17ROCPRIM_400000_NS6detail17trampoline_kernelINS0_14default_configENS1_20scan_config_selectorIN3c107complexIdEEEEZZNS1_9scan_implILNS1_25lookback_scan_determinismE0ELb0ELb0ES3_PKS7_PS7_S7_ZZZN2at6native31launch_logcumsumexp_cuda_kernelERKNSE_10TensorBaseESI_lENKUlvE_clEvENKUlvE1_clEvEUlS7_S7_E_S7_EEDaPvRmT3_T4_T5_mT6_P12ihipStream_tbENKUlT_T0_E_clISt17integral_constantIbLb1EESZ_EEDaSU_SV_EUlSU_E0_NS1_11comp_targetILNS1_3genE10ELNS1_11target_archE1201ELNS1_3gpuE5ELNS1_3repE0EEENS1_30default_config_static_selectorELNS0_4arch9wavefront6targetE0EEEvT1_.num_agpr, max(0, .L_ZZZZN2at6native31launch_logcumsumexp_cuda_kernelERKNS_10TensorBaseES3_lENKUlvE_clEvENKUlvE1_clEvENKUlN3c107complexIdEES8_E_clES8_S8_.num_agpr)
	.set _ZN7rocprim17ROCPRIM_400000_NS6detail17trampoline_kernelINS0_14default_configENS1_20scan_config_selectorIN3c107complexIdEEEEZZNS1_9scan_implILNS1_25lookback_scan_determinismE0ELb0ELb0ES3_PKS7_PS7_S7_ZZZN2at6native31launch_logcumsumexp_cuda_kernelERKNSE_10TensorBaseESI_lENKUlvE_clEvENKUlvE1_clEvEUlS7_S7_E_S7_EEDaPvRmT3_T4_T5_mT6_P12ihipStream_tbENKUlT_T0_E_clISt17integral_constantIbLb1EESZ_EEDaSU_SV_EUlSU_E0_NS1_11comp_targetILNS1_3genE10ELNS1_11target_archE1201ELNS1_3gpuE5ELNS1_3repE0EEENS1_30default_config_static_selectorELNS0_4arch9wavefront6targetE0EEEvT1_.numbered_sgpr, max(37, .L_ZZZZN2at6native31launch_logcumsumexp_cuda_kernelERKNS_10TensorBaseES3_lENKUlvE_clEvENKUlvE1_clEvENKUlN3c107complexIdEES8_E_clES8_S8_.numbered_sgpr)
	.set _ZN7rocprim17ROCPRIM_400000_NS6detail17trampoline_kernelINS0_14default_configENS1_20scan_config_selectorIN3c107complexIdEEEEZZNS1_9scan_implILNS1_25lookback_scan_determinismE0ELb0ELb0ES3_PKS7_PS7_S7_ZZZN2at6native31launch_logcumsumexp_cuda_kernelERKNSE_10TensorBaseESI_lENKUlvE_clEvENKUlvE1_clEvEUlS7_S7_E_S7_EEDaPvRmT3_T4_T5_mT6_P12ihipStream_tbENKUlT_T0_E_clISt17integral_constantIbLb1EESZ_EEDaSU_SV_EUlSU_E0_NS1_11comp_targetILNS1_3genE10ELNS1_11target_archE1201ELNS1_3gpuE5ELNS1_3repE0EEENS1_30default_config_static_selectorELNS0_4arch9wavefront6targetE0EEEvT1_.num_named_barrier, max(0, .L_ZZZZN2at6native31launch_logcumsumexp_cuda_kernelERKNS_10TensorBaseES3_lENKUlvE_clEvENKUlvE1_clEvENKUlN3c107complexIdEES8_E_clES8_S8_.num_named_barrier)
	.set _ZN7rocprim17ROCPRIM_400000_NS6detail17trampoline_kernelINS0_14default_configENS1_20scan_config_selectorIN3c107complexIdEEEEZZNS1_9scan_implILNS1_25lookback_scan_determinismE0ELb0ELb0ES3_PKS7_PS7_S7_ZZZN2at6native31launch_logcumsumexp_cuda_kernelERKNSE_10TensorBaseESI_lENKUlvE_clEvENKUlvE1_clEvEUlS7_S7_E_S7_EEDaPvRmT3_T4_T5_mT6_P12ihipStream_tbENKUlT_T0_E_clISt17integral_constantIbLb1EESZ_EEDaSU_SV_EUlSU_E0_NS1_11comp_targetILNS1_3genE10ELNS1_11target_archE1201ELNS1_3gpuE5ELNS1_3repE0EEENS1_30default_config_static_selectorELNS0_4arch9wavefront6targetE0EEEvT1_.private_seg_size, 0+max(.L_ZZZZN2at6native31launch_logcumsumexp_cuda_kernelERKNS_10TensorBaseES3_lENKUlvE_clEvENKUlvE1_clEvENKUlN3c107complexIdEES8_E_clES8_S8_.private_seg_size)
	.set _ZN7rocprim17ROCPRIM_400000_NS6detail17trampoline_kernelINS0_14default_configENS1_20scan_config_selectorIN3c107complexIdEEEEZZNS1_9scan_implILNS1_25lookback_scan_determinismE0ELb0ELb0ES3_PKS7_PS7_S7_ZZZN2at6native31launch_logcumsumexp_cuda_kernelERKNSE_10TensorBaseESI_lENKUlvE_clEvENKUlvE1_clEvEUlS7_S7_E_S7_EEDaPvRmT3_T4_T5_mT6_P12ihipStream_tbENKUlT_T0_E_clISt17integral_constantIbLb1EESZ_EEDaSU_SV_EUlSU_E0_NS1_11comp_targetILNS1_3genE10ELNS1_11target_archE1201ELNS1_3gpuE5ELNS1_3repE0EEENS1_30default_config_static_selectorELNS0_4arch9wavefront6targetE0EEEvT1_.uses_vcc, or(1, .L_ZZZZN2at6native31launch_logcumsumexp_cuda_kernelERKNS_10TensorBaseES3_lENKUlvE_clEvENKUlvE1_clEvENKUlN3c107complexIdEES8_E_clES8_S8_.uses_vcc)
	.set _ZN7rocprim17ROCPRIM_400000_NS6detail17trampoline_kernelINS0_14default_configENS1_20scan_config_selectorIN3c107complexIdEEEEZZNS1_9scan_implILNS1_25lookback_scan_determinismE0ELb0ELb0ES3_PKS7_PS7_S7_ZZZN2at6native31launch_logcumsumexp_cuda_kernelERKNSE_10TensorBaseESI_lENKUlvE_clEvENKUlvE1_clEvEUlS7_S7_E_S7_EEDaPvRmT3_T4_T5_mT6_P12ihipStream_tbENKUlT_T0_E_clISt17integral_constantIbLb1EESZ_EEDaSU_SV_EUlSU_E0_NS1_11comp_targetILNS1_3genE10ELNS1_11target_archE1201ELNS1_3gpuE5ELNS1_3repE0EEENS1_30default_config_static_selectorELNS0_4arch9wavefront6targetE0EEEvT1_.uses_flat_scratch, or(0, .L_ZZZZN2at6native31launch_logcumsumexp_cuda_kernelERKNS_10TensorBaseES3_lENKUlvE_clEvENKUlvE1_clEvENKUlN3c107complexIdEES8_E_clES8_S8_.uses_flat_scratch)
	.set _ZN7rocprim17ROCPRIM_400000_NS6detail17trampoline_kernelINS0_14default_configENS1_20scan_config_selectorIN3c107complexIdEEEEZZNS1_9scan_implILNS1_25lookback_scan_determinismE0ELb0ELb0ES3_PKS7_PS7_S7_ZZZN2at6native31launch_logcumsumexp_cuda_kernelERKNSE_10TensorBaseESI_lENKUlvE_clEvENKUlvE1_clEvEUlS7_S7_E_S7_EEDaPvRmT3_T4_T5_mT6_P12ihipStream_tbENKUlT_T0_E_clISt17integral_constantIbLb1EESZ_EEDaSU_SV_EUlSU_E0_NS1_11comp_targetILNS1_3genE10ELNS1_11target_archE1201ELNS1_3gpuE5ELNS1_3repE0EEENS1_30default_config_static_selectorELNS0_4arch9wavefront6targetE0EEEvT1_.has_dyn_sized_stack, or(0, .L_ZZZZN2at6native31launch_logcumsumexp_cuda_kernelERKNS_10TensorBaseES3_lENKUlvE_clEvENKUlvE1_clEvENKUlN3c107complexIdEES8_E_clES8_S8_.has_dyn_sized_stack)
	.set _ZN7rocprim17ROCPRIM_400000_NS6detail17trampoline_kernelINS0_14default_configENS1_20scan_config_selectorIN3c107complexIdEEEEZZNS1_9scan_implILNS1_25lookback_scan_determinismE0ELb0ELb0ES3_PKS7_PS7_S7_ZZZN2at6native31launch_logcumsumexp_cuda_kernelERKNSE_10TensorBaseESI_lENKUlvE_clEvENKUlvE1_clEvEUlS7_S7_E_S7_EEDaPvRmT3_T4_T5_mT6_P12ihipStream_tbENKUlT_T0_E_clISt17integral_constantIbLb1EESZ_EEDaSU_SV_EUlSU_E0_NS1_11comp_targetILNS1_3genE10ELNS1_11target_archE1201ELNS1_3gpuE5ELNS1_3repE0EEENS1_30default_config_static_selectorELNS0_4arch9wavefront6targetE0EEEvT1_.has_recursion, or(0, .L_ZZZZN2at6native31launch_logcumsumexp_cuda_kernelERKNS_10TensorBaseES3_lENKUlvE_clEvENKUlvE1_clEvENKUlN3c107complexIdEES8_E_clES8_S8_.has_recursion)
	.set _ZN7rocprim17ROCPRIM_400000_NS6detail17trampoline_kernelINS0_14default_configENS1_20scan_config_selectorIN3c107complexIdEEEEZZNS1_9scan_implILNS1_25lookback_scan_determinismE0ELb0ELb0ES3_PKS7_PS7_S7_ZZZN2at6native31launch_logcumsumexp_cuda_kernelERKNSE_10TensorBaseESI_lENKUlvE_clEvENKUlvE1_clEvEUlS7_S7_E_S7_EEDaPvRmT3_T4_T5_mT6_P12ihipStream_tbENKUlT_T0_E_clISt17integral_constantIbLb1EESZ_EEDaSU_SV_EUlSU_E0_NS1_11comp_targetILNS1_3genE10ELNS1_11target_archE1201ELNS1_3gpuE5ELNS1_3repE0EEENS1_30default_config_static_selectorELNS0_4arch9wavefront6targetE0EEEvT1_.has_indirect_call, or(0, .L_ZZZZN2at6native31launch_logcumsumexp_cuda_kernelERKNS_10TensorBaseES3_lENKUlvE_clEvENKUlvE1_clEvENKUlN3c107complexIdEES8_E_clES8_S8_.has_indirect_call)
	.section	.AMDGPU.csdata,"",@progbits
; Kernel info:
; codeLenInByte = 4156
; TotalNumSgprs: 39
; NumVgprs: 185
; ScratchSize: 0
; MemoryBound: 1
; FloatMode: 240
; IeeeMode: 1
; LDSByteSize: 45056 bytes/workgroup (compile time only)
; SGPRBlocks: 0
; VGPRBlocks: 30
; NumSGPRsForWavesPerEU: 39
; NumVGPRsForWavesPerEU: 241
; Occupancy: 4
; WaveLimiterHint : 0
; COMPUTE_PGM_RSRC2:SCRATCH_EN: 0
; COMPUTE_PGM_RSRC2:USER_SGPR: 2
; COMPUTE_PGM_RSRC2:TRAP_HANDLER: 0
; COMPUTE_PGM_RSRC2:TGID_X_EN: 1
; COMPUTE_PGM_RSRC2:TGID_Y_EN: 0
; COMPUTE_PGM_RSRC2:TGID_Z_EN: 0
; COMPUTE_PGM_RSRC2:TIDIG_COMP_CNT: 0
	.section	.text._ZN7rocprim17ROCPRIM_400000_NS6detail17trampoline_kernelINS0_14default_configENS1_20scan_config_selectorIN3c107complexIdEEEEZZNS1_9scan_implILNS1_25lookback_scan_determinismE0ELb0ELb0ES3_PKS7_PS7_S7_ZZZN2at6native31launch_logcumsumexp_cuda_kernelERKNSE_10TensorBaseESI_lENKUlvE_clEvENKUlvE1_clEvEUlS7_S7_E_S7_EEDaPvRmT3_T4_T5_mT6_P12ihipStream_tbENKUlT_T0_E_clISt17integral_constantIbLb1EESZ_EEDaSU_SV_EUlSU_E0_NS1_11comp_targetILNS1_3genE10ELNS1_11target_archE1200ELNS1_3gpuE4ELNS1_3repE0EEENS1_30default_config_static_selectorELNS0_4arch9wavefront6targetE0EEEvT1_,"axG",@progbits,_ZN7rocprim17ROCPRIM_400000_NS6detail17trampoline_kernelINS0_14default_configENS1_20scan_config_selectorIN3c107complexIdEEEEZZNS1_9scan_implILNS1_25lookback_scan_determinismE0ELb0ELb0ES3_PKS7_PS7_S7_ZZZN2at6native31launch_logcumsumexp_cuda_kernelERKNSE_10TensorBaseESI_lENKUlvE_clEvENKUlvE1_clEvEUlS7_S7_E_S7_EEDaPvRmT3_T4_T5_mT6_P12ihipStream_tbENKUlT_T0_E_clISt17integral_constantIbLb1EESZ_EEDaSU_SV_EUlSU_E0_NS1_11comp_targetILNS1_3genE10ELNS1_11target_archE1200ELNS1_3gpuE4ELNS1_3repE0EEENS1_30default_config_static_selectorELNS0_4arch9wavefront6targetE0EEEvT1_,comdat
	.globl	_ZN7rocprim17ROCPRIM_400000_NS6detail17trampoline_kernelINS0_14default_configENS1_20scan_config_selectorIN3c107complexIdEEEEZZNS1_9scan_implILNS1_25lookback_scan_determinismE0ELb0ELb0ES3_PKS7_PS7_S7_ZZZN2at6native31launch_logcumsumexp_cuda_kernelERKNSE_10TensorBaseESI_lENKUlvE_clEvENKUlvE1_clEvEUlS7_S7_E_S7_EEDaPvRmT3_T4_T5_mT6_P12ihipStream_tbENKUlT_T0_E_clISt17integral_constantIbLb1EESZ_EEDaSU_SV_EUlSU_E0_NS1_11comp_targetILNS1_3genE10ELNS1_11target_archE1200ELNS1_3gpuE4ELNS1_3repE0EEENS1_30default_config_static_selectorELNS0_4arch9wavefront6targetE0EEEvT1_ ; -- Begin function _ZN7rocprim17ROCPRIM_400000_NS6detail17trampoline_kernelINS0_14default_configENS1_20scan_config_selectorIN3c107complexIdEEEEZZNS1_9scan_implILNS1_25lookback_scan_determinismE0ELb0ELb0ES3_PKS7_PS7_S7_ZZZN2at6native31launch_logcumsumexp_cuda_kernelERKNSE_10TensorBaseESI_lENKUlvE_clEvENKUlvE1_clEvEUlS7_S7_E_S7_EEDaPvRmT3_T4_T5_mT6_P12ihipStream_tbENKUlT_T0_E_clISt17integral_constantIbLb1EESZ_EEDaSU_SV_EUlSU_E0_NS1_11comp_targetILNS1_3genE10ELNS1_11target_archE1200ELNS1_3gpuE4ELNS1_3repE0EEENS1_30default_config_static_selectorELNS0_4arch9wavefront6targetE0EEEvT1_
	.p2align	8
	.type	_ZN7rocprim17ROCPRIM_400000_NS6detail17trampoline_kernelINS0_14default_configENS1_20scan_config_selectorIN3c107complexIdEEEEZZNS1_9scan_implILNS1_25lookback_scan_determinismE0ELb0ELb0ES3_PKS7_PS7_S7_ZZZN2at6native31launch_logcumsumexp_cuda_kernelERKNSE_10TensorBaseESI_lENKUlvE_clEvENKUlvE1_clEvEUlS7_S7_E_S7_EEDaPvRmT3_T4_T5_mT6_P12ihipStream_tbENKUlT_T0_E_clISt17integral_constantIbLb1EESZ_EEDaSU_SV_EUlSU_E0_NS1_11comp_targetILNS1_3genE10ELNS1_11target_archE1200ELNS1_3gpuE4ELNS1_3repE0EEENS1_30default_config_static_selectorELNS0_4arch9wavefront6targetE0EEEvT1_,@function
_ZN7rocprim17ROCPRIM_400000_NS6detail17trampoline_kernelINS0_14default_configENS1_20scan_config_selectorIN3c107complexIdEEEEZZNS1_9scan_implILNS1_25lookback_scan_determinismE0ELb0ELb0ES3_PKS7_PS7_S7_ZZZN2at6native31launch_logcumsumexp_cuda_kernelERKNSE_10TensorBaseESI_lENKUlvE_clEvENKUlvE1_clEvEUlS7_S7_E_S7_EEDaPvRmT3_T4_T5_mT6_P12ihipStream_tbENKUlT_T0_E_clISt17integral_constantIbLb1EESZ_EEDaSU_SV_EUlSU_E0_NS1_11comp_targetILNS1_3genE10ELNS1_11target_archE1200ELNS1_3gpuE4ELNS1_3repE0EEENS1_30default_config_static_selectorELNS0_4arch9wavefront6targetE0EEEvT1_: ; @_ZN7rocprim17ROCPRIM_400000_NS6detail17trampoline_kernelINS0_14default_configENS1_20scan_config_selectorIN3c107complexIdEEEEZZNS1_9scan_implILNS1_25lookback_scan_determinismE0ELb0ELb0ES3_PKS7_PS7_S7_ZZZN2at6native31launch_logcumsumexp_cuda_kernelERKNSE_10TensorBaseESI_lENKUlvE_clEvENKUlvE1_clEvEUlS7_S7_E_S7_EEDaPvRmT3_T4_T5_mT6_P12ihipStream_tbENKUlT_T0_E_clISt17integral_constantIbLb1EESZ_EEDaSU_SV_EUlSU_E0_NS1_11comp_targetILNS1_3genE10ELNS1_11target_archE1200ELNS1_3gpuE4ELNS1_3repE0EEENS1_30default_config_static_selectorELNS0_4arch9wavefront6targetE0EEEvT1_
; %bb.0:
	.section	.rodata,"a",@progbits
	.p2align	6, 0x0
	.amdhsa_kernel _ZN7rocprim17ROCPRIM_400000_NS6detail17trampoline_kernelINS0_14default_configENS1_20scan_config_selectorIN3c107complexIdEEEEZZNS1_9scan_implILNS1_25lookback_scan_determinismE0ELb0ELb0ES3_PKS7_PS7_S7_ZZZN2at6native31launch_logcumsumexp_cuda_kernelERKNSE_10TensorBaseESI_lENKUlvE_clEvENKUlvE1_clEvEUlS7_S7_E_S7_EEDaPvRmT3_T4_T5_mT6_P12ihipStream_tbENKUlT_T0_E_clISt17integral_constantIbLb1EESZ_EEDaSU_SV_EUlSU_E0_NS1_11comp_targetILNS1_3genE10ELNS1_11target_archE1200ELNS1_3gpuE4ELNS1_3repE0EEENS1_30default_config_static_selectorELNS0_4arch9wavefront6targetE0EEEvT1_
		.amdhsa_group_segment_fixed_size 0
		.amdhsa_private_segment_fixed_size 0
		.amdhsa_kernarg_size 48
		.amdhsa_user_sgpr_count 2
		.amdhsa_user_sgpr_dispatch_ptr 0
		.amdhsa_user_sgpr_queue_ptr 0
		.amdhsa_user_sgpr_kernarg_segment_ptr 1
		.amdhsa_user_sgpr_dispatch_id 0
		.amdhsa_user_sgpr_private_segment_size 0
		.amdhsa_wavefront_size32 1
		.amdhsa_uses_dynamic_stack 0
		.amdhsa_enable_private_segment 0
		.amdhsa_system_sgpr_workgroup_id_x 1
		.amdhsa_system_sgpr_workgroup_id_y 0
		.amdhsa_system_sgpr_workgroup_id_z 0
		.amdhsa_system_sgpr_workgroup_info 0
		.amdhsa_system_vgpr_workitem_id 0
		.amdhsa_next_free_vgpr 1
		.amdhsa_next_free_sgpr 1
		.amdhsa_reserve_vcc 0
		.amdhsa_float_round_mode_32 0
		.amdhsa_float_round_mode_16_64 0
		.amdhsa_float_denorm_mode_32 3
		.amdhsa_float_denorm_mode_16_64 3
		.amdhsa_fp16_overflow 0
		.amdhsa_workgroup_processor_mode 1
		.amdhsa_memory_ordered 1
		.amdhsa_forward_progress 1
		.amdhsa_inst_pref_size 0
		.amdhsa_round_robin_scheduling 0
		.amdhsa_exception_fp_ieee_invalid_op 0
		.amdhsa_exception_fp_denorm_src 0
		.amdhsa_exception_fp_ieee_div_zero 0
		.amdhsa_exception_fp_ieee_overflow 0
		.amdhsa_exception_fp_ieee_underflow 0
		.amdhsa_exception_fp_ieee_inexact 0
		.amdhsa_exception_int_div_zero 0
	.end_amdhsa_kernel
	.section	.text._ZN7rocprim17ROCPRIM_400000_NS6detail17trampoline_kernelINS0_14default_configENS1_20scan_config_selectorIN3c107complexIdEEEEZZNS1_9scan_implILNS1_25lookback_scan_determinismE0ELb0ELb0ES3_PKS7_PS7_S7_ZZZN2at6native31launch_logcumsumexp_cuda_kernelERKNSE_10TensorBaseESI_lENKUlvE_clEvENKUlvE1_clEvEUlS7_S7_E_S7_EEDaPvRmT3_T4_T5_mT6_P12ihipStream_tbENKUlT_T0_E_clISt17integral_constantIbLb1EESZ_EEDaSU_SV_EUlSU_E0_NS1_11comp_targetILNS1_3genE10ELNS1_11target_archE1200ELNS1_3gpuE4ELNS1_3repE0EEENS1_30default_config_static_selectorELNS0_4arch9wavefront6targetE0EEEvT1_,"axG",@progbits,_ZN7rocprim17ROCPRIM_400000_NS6detail17trampoline_kernelINS0_14default_configENS1_20scan_config_selectorIN3c107complexIdEEEEZZNS1_9scan_implILNS1_25lookback_scan_determinismE0ELb0ELb0ES3_PKS7_PS7_S7_ZZZN2at6native31launch_logcumsumexp_cuda_kernelERKNSE_10TensorBaseESI_lENKUlvE_clEvENKUlvE1_clEvEUlS7_S7_E_S7_EEDaPvRmT3_T4_T5_mT6_P12ihipStream_tbENKUlT_T0_E_clISt17integral_constantIbLb1EESZ_EEDaSU_SV_EUlSU_E0_NS1_11comp_targetILNS1_3genE10ELNS1_11target_archE1200ELNS1_3gpuE4ELNS1_3repE0EEENS1_30default_config_static_selectorELNS0_4arch9wavefront6targetE0EEEvT1_,comdat
.Lfunc_end218:
	.size	_ZN7rocprim17ROCPRIM_400000_NS6detail17trampoline_kernelINS0_14default_configENS1_20scan_config_selectorIN3c107complexIdEEEEZZNS1_9scan_implILNS1_25lookback_scan_determinismE0ELb0ELb0ES3_PKS7_PS7_S7_ZZZN2at6native31launch_logcumsumexp_cuda_kernelERKNSE_10TensorBaseESI_lENKUlvE_clEvENKUlvE1_clEvEUlS7_S7_E_S7_EEDaPvRmT3_T4_T5_mT6_P12ihipStream_tbENKUlT_T0_E_clISt17integral_constantIbLb1EESZ_EEDaSU_SV_EUlSU_E0_NS1_11comp_targetILNS1_3genE10ELNS1_11target_archE1200ELNS1_3gpuE4ELNS1_3repE0EEENS1_30default_config_static_selectorELNS0_4arch9wavefront6targetE0EEEvT1_, .Lfunc_end218-_ZN7rocprim17ROCPRIM_400000_NS6detail17trampoline_kernelINS0_14default_configENS1_20scan_config_selectorIN3c107complexIdEEEEZZNS1_9scan_implILNS1_25lookback_scan_determinismE0ELb0ELb0ES3_PKS7_PS7_S7_ZZZN2at6native31launch_logcumsumexp_cuda_kernelERKNSE_10TensorBaseESI_lENKUlvE_clEvENKUlvE1_clEvEUlS7_S7_E_S7_EEDaPvRmT3_T4_T5_mT6_P12ihipStream_tbENKUlT_T0_E_clISt17integral_constantIbLb1EESZ_EEDaSU_SV_EUlSU_E0_NS1_11comp_targetILNS1_3genE10ELNS1_11target_archE1200ELNS1_3gpuE4ELNS1_3repE0EEENS1_30default_config_static_selectorELNS0_4arch9wavefront6targetE0EEEvT1_
                                        ; -- End function
	.set _ZN7rocprim17ROCPRIM_400000_NS6detail17trampoline_kernelINS0_14default_configENS1_20scan_config_selectorIN3c107complexIdEEEEZZNS1_9scan_implILNS1_25lookback_scan_determinismE0ELb0ELb0ES3_PKS7_PS7_S7_ZZZN2at6native31launch_logcumsumexp_cuda_kernelERKNSE_10TensorBaseESI_lENKUlvE_clEvENKUlvE1_clEvEUlS7_S7_E_S7_EEDaPvRmT3_T4_T5_mT6_P12ihipStream_tbENKUlT_T0_E_clISt17integral_constantIbLb1EESZ_EEDaSU_SV_EUlSU_E0_NS1_11comp_targetILNS1_3genE10ELNS1_11target_archE1200ELNS1_3gpuE4ELNS1_3repE0EEENS1_30default_config_static_selectorELNS0_4arch9wavefront6targetE0EEEvT1_.num_vgpr, 0
	.set _ZN7rocprim17ROCPRIM_400000_NS6detail17trampoline_kernelINS0_14default_configENS1_20scan_config_selectorIN3c107complexIdEEEEZZNS1_9scan_implILNS1_25lookback_scan_determinismE0ELb0ELb0ES3_PKS7_PS7_S7_ZZZN2at6native31launch_logcumsumexp_cuda_kernelERKNSE_10TensorBaseESI_lENKUlvE_clEvENKUlvE1_clEvEUlS7_S7_E_S7_EEDaPvRmT3_T4_T5_mT6_P12ihipStream_tbENKUlT_T0_E_clISt17integral_constantIbLb1EESZ_EEDaSU_SV_EUlSU_E0_NS1_11comp_targetILNS1_3genE10ELNS1_11target_archE1200ELNS1_3gpuE4ELNS1_3repE0EEENS1_30default_config_static_selectorELNS0_4arch9wavefront6targetE0EEEvT1_.num_agpr, 0
	.set _ZN7rocprim17ROCPRIM_400000_NS6detail17trampoline_kernelINS0_14default_configENS1_20scan_config_selectorIN3c107complexIdEEEEZZNS1_9scan_implILNS1_25lookback_scan_determinismE0ELb0ELb0ES3_PKS7_PS7_S7_ZZZN2at6native31launch_logcumsumexp_cuda_kernelERKNSE_10TensorBaseESI_lENKUlvE_clEvENKUlvE1_clEvEUlS7_S7_E_S7_EEDaPvRmT3_T4_T5_mT6_P12ihipStream_tbENKUlT_T0_E_clISt17integral_constantIbLb1EESZ_EEDaSU_SV_EUlSU_E0_NS1_11comp_targetILNS1_3genE10ELNS1_11target_archE1200ELNS1_3gpuE4ELNS1_3repE0EEENS1_30default_config_static_selectorELNS0_4arch9wavefront6targetE0EEEvT1_.numbered_sgpr, 0
	.set _ZN7rocprim17ROCPRIM_400000_NS6detail17trampoline_kernelINS0_14default_configENS1_20scan_config_selectorIN3c107complexIdEEEEZZNS1_9scan_implILNS1_25lookback_scan_determinismE0ELb0ELb0ES3_PKS7_PS7_S7_ZZZN2at6native31launch_logcumsumexp_cuda_kernelERKNSE_10TensorBaseESI_lENKUlvE_clEvENKUlvE1_clEvEUlS7_S7_E_S7_EEDaPvRmT3_T4_T5_mT6_P12ihipStream_tbENKUlT_T0_E_clISt17integral_constantIbLb1EESZ_EEDaSU_SV_EUlSU_E0_NS1_11comp_targetILNS1_3genE10ELNS1_11target_archE1200ELNS1_3gpuE4ELNS1_3repE0EEENS1_30default_config_static_selectorELNS0_4arch9wavefront6targetE0EEEvT1_.num_named_barrier, 0
	.set _ZN7rocprim17ROCPRIM_400000_NS6detail17trampoline_kernelINS0_14default_configENS1_20scan_config_selectorIN3c107complexIdEEEEZZNS1_9scan_implILNS1_25lookback_scan_determinismE0ELb0ELb0ES3_PKS7_PS7_S7_ZZZN2at6native31launch_logcumsumexp_cuda_kernelERKNSE_10TensorBaseESI_lENKUlvE_clEvENKUlvE1_clEvEUlS7_S7_E_S7_EEDaPvRmT3_T4_T5_mT6_P12ihipStream_tbENKUlT_T0_E_clISt17integral_constantIbLb1EESZ_EEDaSU_SV_EUlSU_E0_NS1_11comp_targetILNS1_3genE10ELNS1_11target_archE1200ELNS1_3gpuE4ELNS1_3repE0EEENS1_30default_config_static_selectorELNS0_4arch9wavefront6targetE0EEEvT1_.private_seg_size, 0
	.set _ZN7rocprim17ROCPRIM_400000_NS6detail17trampoline_kernelINS0_14default_configENS1_20scan_config_selectorIN3c107complexIdEEEEZZNS1_9scan_implILNS1_25lookback_scan_determinismE0ELb0ELb0ES3_PKS7_PS7_S7_ZZZN2at6native31launch_logcumsumexp_cuda_kernelERKNSE_10TensorBaseESI_lENKUlvE_clEvENKUlvE1_clEvEUlS7_S7_E_S7_EEDaPvRmT3_T4_T5_mT6_P12ihipStream_tbENKUlT_T0_E_clISt17integral_constantIbLb1EESZ_EEDaSU_SV_EUlSU_E0_NS1_11comp_targetILNS1_3genE10ELNS1_11target_archE1200ELNS1_3gpuE4ELNS1_3repE0EEENS1_30default_config_static_selectorELNS0_4arch9wavefront6targetE0EEEvT1_.uses_vcc, 0
	.set _ZN7rocprim17ROCPRIM_400000_NS6detail17trampoline_kernelINS0_14default_configENS1_20scan_config_selectorIN3c107complexIdEEEEZZNS1_9scan_implILNS1_25lookback_scan_determinismE0ELb0ELb0ES3_PKS7_PS7_S7_ZZZN2at6native31launch_logcumsumexp_cuda_kernelERKNSE_10TensorBaseESI_lENKUlvE_clEvENKUlvE1_clEvEUlS7_S7_E_S7_EEDaPvRmT3_T4_T5_mT6_P12ihipStream_tbENKUlT_T0_E_clISt17integral_constantIbLb1EESZ_EEDaSU_SV_EUlSU_E0_NS1_11comp_targetILNS1_3genE10ELNS1_11target_archE1200ELNS1_3gpuE4ELNS1_3repE0EEENS1_30default_config_static_selectorELNS0_4arch9wavefront6targetE0EEEvT1_.uses_flat_scratch, 0
	.set _ZN7rocprim17ROCPRIM_400000_NS6detail17trampoline_kernelINS0_14default_configENS1_20scan_config_selectorIN3c107complexIdEEEEZZNS1_9scan_implILNS1_25lookback_scan_determinismE0ELb0ELb0ES3_PKS7_PS7_S7_ZZZN2at6native31launch_logcumsumexp_cuda_kernelERKNSE_10TensorBaseESI_lENKUlvE_clEvENKUlvE1_clEvEUlS7_S7_E_S7_EEDaPvRmT3_T4_T5_mT6_P12ihipStream_tbENKUlT_T0_E_clISt17integral_constantIbLb1EESZ_EEDaSU_SV_EUlSU_E0_NS1_11comp_targetILNS1_3genE10ELNS1_11target_archE1200ELNS1_3gpuE4ELNS1_3repE0EEENS1_30default_config_static_selectorELNS0_4arch9wavefront6targetE0EEEvT1_.has_dyn_sized_stack, 0
	.set _ZN7rocprim17ROCPRIM_400000_NS6detail17trampoline_kernelINS0_14default_configENS1_20scan_config_selectorIN3c107complexIdEEEEZZNS1_9scan_implILNS1_25lookback_scan_determinismE0ELb0ELb0ES3_PKS7_PS7_S7_ZZZN2at6native31launch_logcumsumexp_cuda_kernelERKNSE_10TensorBaseESI_lENKUlvE_clEvENKUlvE1_clEvEUlS7_S7_E_S7_EEDaPvRmT3_T4_T5_mT6_P12ihipStream_tbENKUlT_T0_E_clISt17integral_constantIbLb1EESZ_EEDaSU_SV_EUlSU_E0_NS1_11comp_targetILNS1_3genE10ELNS1_11target_archE1200ELNS1_3gpuE4ELNS1_3repE0EEENS1_30default_config_static_selectorELNS0_4arch9wavefront6targetE0EEEvT1_.has_recursion, 0
	.set _ZN7rocprim17ROCPRIM_400000_NS6detail17trampoline_kernelINS0_14default_configENS1_20scan_config_selectorIN3c107complexIdEEEEZZNS1_9scan_implILNS1_25lookback_scan_determinismE0ELb0ELb0ES3_PKS7_PS7_S7_ZZZN2at6native31launch_logcumsumexp_cuda_kernelERKNSE_10TensorBaseESI_lENKUlvE_clEvENKUlvE1_clEvEUlS7_S7_E_S7_EEDaPvRmT3_T4_T5_mT6_P12ihipStream_tbENKUlT_T0_E_clISt17integral_constantIbLb1EESZ_EEDaSU_SV_EUlSU_E0_NS1_11comp_targetILNS1_3genE10ELNS1_11target_archE1200ELNS1_3gpuE4ELNS1_3repE0EEENS1_30default_config_static_selectorELNS0_4arch9wavefront6targetE0EEEvT1_.has_indirect_call, 0
	.section	.AMDGPU.csdata,"",@progbits
; Kernel info:
; codeLenInByte = 0
; TotalNumSgprs: 0
; NumVgprs: 0
; ScratchSize: 0
; MemoryBound: 0
; FloatMode: 240
; IeeeMode: 1
; LDSByteSize: 0 bytes/workgroup (compile time only)
; SGPRBlocks: 0
; VGPRBlocks: 0
; NumSGPRsForWavesPerEU: 1
; NumVGPRsForWavesPerEU: 1
; Occupancy: 16
; WaveLimiterHint : 0
; COMPUTE_PGM_RSRC2:SCRATCH_EN: 0
; COMPUTE_PGM_RSRC2:USER_SGPR: 2
; COMPUTE_PGM_RSRC2:TRAP_HANDLER: 0
; COMPUTE_PGM_RSRC2:TGID_X_EN: 1
; COMPUTE_PGM_RSRC2:TGID_Y_EN: 0
; COMPUTE_PGM_RSRC2:TGID_Z_EN: 0
; COMPUTE_PGM_RSRC2:TIDIG_COMP_CNT: 0
	.section	.text._ZN7rocprim17ROCPRIM_400000_NS6detail17trampoline_kernelINS0_14default_configENS1_20scan_config_selectorIN3c107complexIdEEEEZZNS1_9scan_implILNS1_25lookback_scan_determinismE0ELb0ELb0ES3_PKS7_PS7_S7_ZZZN2at6native31launch_logcumsumexp_cuda_kernelERKNSE_10TensorBaseESI_lENKUlvE_clEvENKUlvE1_clEvEUlS7_S7_E_S7_EEDaPvRmT3_T4_T5_mT6_P12ihipStream_tbENKUlT_T0_E_clISt17integral_constantIbLb1EESZ_EEDaSU_SV_EUlSU_E0_NS1_11comp_targetILNS1_3genE9ELNS1_11target_archE1100ELNS1_3gpuE3ELNS1_3repE0EEENS1_30default_config_static_selectorELNS0_4arch9wavefront6targetE0EEEvT1_,"axG",@progbits,_ZN7rocprim17ROCPRIM_400000_NS6detail17trampoline_kernelINS0_14default_configENS1_20scan_config_selectorIN3c107complexIdEEEEZZNS1_9scan_implILNS1_25lookback_scan_determinismE0ELb0ELb0ES3_PKS7_PS7_S7_ZZZN2at6native31launch_logcumsumexp_cuda_kernelERKNSE_10TensorBaseESI_lENKUlvE_clEvENKUlvE1_clEvEUlS7_S7_E_S7_EEDaPvRmT3_T4_T5_mT6_P12ihipStream_tbENKUlT_T0_E_clISt17integral_constantIbLb1EESZ_EEDaSU_SV_EUlSU_E0_NS1_11comp_targetILNS1_3genE9ELNS1_11target_archE1100ELNS1_3gpuE3ELNS1_3repE0EEENS1_30default_config_static_selectorELNS0_4arch9wavefront6targetE0EEEvT1_,comdat
	.globl	_ZN7rocprim17ROCPRIM_400000_NS6detail17trampoline_kernelINS0_14default_configENS1_20scan_config_selectorIN3c107complexIdEEEEZZNS1_9scan_implILNS1_25lookback_scan_determinismE0ELb0ELb0ES3_PKS7_PS7_S7_ZZZN2at6native31launch_logcumsumexp_cuda_kernelERKNSE_10TensorBaseESI_lENKUlvE_clEvENKUlvE1_clEvEUlS7_S7_E_S7_EEDaPvRmT3_T4_T5_mT6_P12ihipStream_tbENKUlT_T0_E_clISt17integral_constantIbLb1EESZ_EEDaSU_SV_EUlSU_E0_NS1_11comp_targetILNS1_3genE9ELNS1_11target_archE1100ELNS1_3gpuE3ELNS1_3repE0EEENS1_30default_config_static_selectorELNS0_4arch9wavefront6targetE0EEEvT1_ ; -- Begin function _ZN7rocprim17ROCPRIM_400000_NS6detail17trampoline_kernelINS0_14default_configENS1_20scan_config_selectorIN3c107complexIdEEEEZZNS1_9scan_implILNS1_25lookback_scan_determinismE0ELb0ELb0ES3_PKS7_PS7_S7_ZZZN2at6native31launch_logcumsumexp_cuda_kernelERKNSE_10TensorBaseESI_lENKUlvE_clEvENKUlvE1_clEvEUlS7_S7_E_S7_EEDaPvRmT3_T4_T5_mT6_P12ihipStream_tbENKUlT_T0_E_clISt17integral_constantIbLb1EESZ_EEDaSU_SV_EUlSU_E0_NS1_11comp_targetILNS1_3genE9ELNS1_11target_archE1100ELNS1_3gpuE3ELNS1_3repE0EEENS1_30default_config_static_selectorELNS0_4arch9wavefront6targetE0EEEvT1_
	.p2align	8
	.type	_ZN7rocprim17ROCPRIM_400000_NS6detail17trampoline_kernelINS0_14default_configENS1_20scan_config_selectorIN3c107complexIdEEEEZZNS1_9scan_implILNS1_25lookback_scan_determinismE0ELb0ELb0ES3_PKS7_PS7_S7_ZZZN2at6native31launch_logcumsumexp_cuda_kernelERKNSE_10TensorBaseESI_lENKUlvE_clEvENKUlvE1_clEvEUlS7_S7_E_S7_EEDaPvRmT3_T4_T5_mT6_P12ihipStream_tbENKUlT_T0_E_clISt17integral_constantIbLb1EESZ_EEDaSU_SV_EUlSU_E0_NS1_11comp_targetILNS1_3genE9ELNS1_11target_archE1100ELNS1_3gpuE3ELNS1_3repE0EEENS1_30default_config_static_selectorELNS0_4arch9wavefront6targetE0EEEvT1_,@function
_ZN7rocprim17ROCPRIM_400000_NS6detail17trampoline_kernelINS0_14default_configENS1_20scan_config_selectorIN3c107complexIdEEEEZZNS1_9scan_implILNS1_25lookback_scan_determinismE0ELb0ELb0ES3_PKS7_PS7_S7_ZZZN2at6native31launch_logcumsumexp_cuda_kernelERKNSE_10TensorBaseESI_lENKUlvE_clEvENKUlvE1_clEvEUlS7_S7_E_S7_EEDaPvRmT3_T4_T5_mT6_P12ihipStream_tbENKUlT_T0_E_clISt17integral_constantIbLb1EESZ_EEDaSU_SV_EUlSU_E0_NS1_11comp_targetILNS1_3genE9ELNS1_11target_archE1100ELNS1_3gpuE3ELNS1_3repE0EEENS1_30default_config_static_selectorELNS0_4arch9wavefront6targetE0EEEvT1_: ; @_ZN7rocprim17ROCPRIM_400000_NS6detail17trampoline_kernelINS0_14default_configENS1_20scan_config_selectorIN3c107complexIdEEEEZZNS1_9scan_implILNS1_25lookback_scan_determinismE0ELb0ELb0ES3_PKS7_PS7_S7_ZZZN2at6native31launch_logcumsumexp_cuda_kernelERKNSE_10TensorBaseESI_lENKUlvE_clEvENKUlvE1_clEvEUlS7_S7_E_S7_EEDaPvRmT3_T4_T5_mT6_P12ihipStream_tbENKUlT_T0_E_clISt17integral_constantIbLb1EESZ_EEDaSU_SV_EUlSU_E0_NS1_11comp_targetILNS1_3genE9ELNS1_11target_archE1100ELNS1_3gpuE3ELNS1_3repE0EEENS1_30default_config_static_selectorELNS0_4arch9wavefront6targetE0EEEvT1_
; %bb.0:
	.section	.rodata,"a",@progbits
	.p2align	6, 0x0
	.amdhsa_kernel _ZN7rocprim17ROCPRIM_400000_NS6detail17trampoline_kernelINS0_14default_configENS1_20scan_config_selectorIN3c107complexIdEEEEZZNS1_9scan_implILNS1_25lookback_scan_determinismE0ELb0ELb0ES3_PKS7_PS7_S7_ZZZN2at6native31launch_logcumsumexp_cuda_kernelERKNSE_10TensorBaseESI_lENKUlvE_clEvENKUlvE1_clEvEUlS7_S7_E_S7_EEDaPvRmT3_T4_T5_mT6_P12ihipStream_tbENKUlT_T0_E_clISt17integral_constantIbLb1EESZ_EEDaSU_SV_EUlSU_E0_NS1_11comp_targetILNS1_3genE9ELNS1_11target_archE1100ELNS1_3gpuE3ELNS1_3repE0EEENS1_30default_config_static_selectorELNS0_4arch9wavefront6targetE0EEEvT1_
		.amdhsa_group_segment_fixed_size 0
		.amdhsa_private_segment_fixed_size 0
		.amdhsa_kernarg_size 48
		.amdhsa_user_sgpr_count 2
		.amdhsa_user_sgpr_dispatch_ptr 0
		.amdhsa_user_sgpr_queue_ptr 0
		.amdhsa_user_sgpr_kernarg_segment_ptr 1
		.amdhsa_user_sgpr_dispatch_id 0
		.amdhsa_user_sgpr_private_segment_size 0
		.amdhsa_wavefront_size32 1
		.amdhsa_uses_dynamic_stack 0
		.amdhsa_enable_private_segment 0
		.amdhsa_system_sgpr_workgroup_id_x 1
		.amdhsa_system_sgpr_workgroup_id_y 0
		.amdhsa_system_sgpr_workgroup_id_z 0
		.amdhsa_system_sgpr_workgroup_info 0
		.amdhsa_system_vgpr_workitem_id 0
		.amdhsa_next_free_vgpr 1
		.amdhsa_next_free_sgpr 1
		.amdhsa_reserve_vcc 0
		.amdhsa_float_round_mode_32 0
		.amdhsa_float_round_mode_16_64 0
		.amdhsa_float_denorm_mode_32 3
		.amdhsa_float_denorm_mode_16_64 3
		.amdhsa_fp16_overflow 0
		.amdhsa_workgroup_processor_mode 1
		.amdhsa_memory_ordered 1
		.amdhsa_forward_progress 1
		.amdhsa_inst_pref_size 0
		.amdhsa_round_robin_scheduling 0
		.amdhsa_exception_fp_ieee_invalid_op 0
		.amdhsa_exception_fp_denorm_src 0
		.amdhsa_exception_fp_ieee_div_zero 0
		.amdhsa_exception_fp_ieee_overflow 0
		.amdhsa_exception_fp_ieee_underflow 0
		.amdhsa_exception_fp_ieee_inexact 0
		.amdhsa_exception_int_div_zero 0
	.end_amdhsa_kernel
	.section	.text._ZN7rocprim17ROCPRIM_400000_NS6detail17trampoline_kernelINS0_14default_configENS1_20scan_config_selectorIN3c107complexIdEEEEZZNS1_9scan_implILNS1_25lookback_scan_determinismE0ELb0ELb0ES3_PKS7_PS7_S7_ZZZN2at6native31launch_logcumsumexp_cuda_kernelERKNSE_10TensorBaseESI_lENKUlvE_clEvENKUlvE1_clEvEUlS7_S7_E_S7_EEDaPvRmT3_T4_T5_mT6_P12ihipStream_tbENKUlT_T0_E_clISt17integral_constantIbLb1EESZ_EEDaSU_SV_EUlSU_E0_NS1_11comp_targetILNS1_3genE9ELNS1_11target_archE1100ELNS1_3gpuE3ELNS1_3repE0EEENS1_30default_config_static_selectorELNS0_4arch9wavefront6targetE0EEEvT1_,"axG",@progbits,_ZN7rocprim17ROCPRIM_400000_NS6detail17trampoline_kernelINS0_14default_configENS1_20scan_config_selectorIN3c107complexIdEEEEZZNS1_9scan_implILNS1_25lookback_scan_determinismE0ELb0ELb0ES3_PKS7_PS7_S7_ZZZN2at6native31launch_logcumsumexp_cuda_kernelERKNSE_10TensorBaseESI_lENKUlvE_clEvENKUlvE1_clEvEUlS7_S7_E_S7_EEDaPvRmT3_T4_T5_mT6_P12ihipStream_tbENKUlT_T0_E_clISt17integral_constantIbLb1EESZ_EEDaSU_SV_EUlSU_E0_NS1_11comp_targetILNS1_3genE9ELNS1_11target_archE1100ELNS1_3gpuE3ELNS1_3repE0EEENS1_30default_config_static_selectorELNS0_4arch9wavefront6targetE0EEEvT1_,comdat
.Lfunc_end219:
	.size	_ZN7rocprim17ROCPRIM_400000_NS6detail17trampoline_kernelINS0_14default_configENS1_20scan_config_selectorIN3c107complexIdEEEEZZNS1_9scan_implILNS1_25lookback_scan_determinismE0ELb0ELb0ES3_PKS7_PS7_S7_ZZZN2at6native31launch_logcumsumexp_cuda_kernelERKNSE_10TensorBaseESI_lENKUlvE_clEvENKUlvE1_clEvEUlS7_S7_E_S7_EEDaPvRmT3_T4_T5_mT6_P12ihipStream_tbENKUlT_T0_E_clISt17integral_constantIbLb1EESZ_EEDaSU_SV_EUlSU_E0_NS1_11comp_targetILNS1_3genE9ELNS1_11target_archE1100ELNS1_3gpuE3ELNS1_3repE0EEENS1_30default_config_static_selectorELNS0_4arch9wavefront6targetE0EEEvT1_, .Lfunc_end219-_ZN7rocprim17ROCPRIM_400000_NS6detail17trampoline_kernelINS0_14default_configENS1_20scan_config_selectorIN3c107complexIdEEEEZZNS1_9scan_implILNS1_25lookback_scan_determinismE0ELb0ELb0ES3_PKS7_PS7_S7_ZZZN2at6native31launch_logcumsumexp_cuda_kernelERKNSE_10TensorBaseESI_lENKUlvE_clEvENKUlvE1_clEvEUlS7_S7_E_S7_EEDaPvRmT3_T4_T5_mT6_P12ihipStream_tbENKUlT_T0_E_clISt17integral_constantIbLb1EESZ_EEDaSU_SV_EUlSU_E0_NS1_11comp_targetILNS1_3genE9ELNS1_11target_archE1100ELNS1_3gpuE3ELNS1_3repE0EEENS1_30default_config_static_selectorELNS0_4arch9wavefront6targetE0EEEvT1_
                                        ; -- End function
	.set _ZN7rocprim17ROCPRIM_400000_NS6detail17trampoline_kernelINS0_14default_configENS1_20scan_config_selectorIN3c107complexIdEEEEZZNS1_9scan_implILNS1_25lookback_scan_determinismE0ELb0ELb0ES3_PKS7_PS7_S7_ZZZN2at6native31launch_logcumsumexp_cuda_kernelERKNSE_10TensorBaseESI_lENKUlvE_clEvENKUlvE1_clEvEUlS7_S7_E_S7_EEDaPvRmT3_T4_T5_mT6_P12ihipStream_tbENKUlT_T0_E_clISt17integral_constantIbLb1EESZ_EEDaSU_SV_EUlSU_E0_NS1_11comp_targetILNS1_3genE9ELNS1_11target_archE1100ELNS1_3gpuE3ELNS1_3repE0EEENS1_30default_config_static_selectorELNS0_4arch9wavefront6targetE0EEEvT1_.num_vgpr, 0
	.set _ZN7rocprim17ROCPRIM_400000_NS6detail17trampoline_kernelINS0_14default_configENS1_20scan_config_selectorIN3c107complexIdEEEEZZNS1_9scan_implILNS1_25lookback_scan_determinismE0ELb0ELb0ES3_PKS7_PS7_S7_ZZZN2at6native31launch_logcumsumexp_cuda_kernelERKNSE_10TensorBaseESI_lENKUlvE_clEvENKUlvE1_clEvEUlS7_S7_E_S7_EEDaPvRmT3_T4_T5_mT6_P12ihipStream_tbENKUlT_T0_E_clISt17integral_constantIbLb1EESZ_EEDaSU_SV_EUlSU_E0_NS1_11comp_targetILNS1_3genE9ELNS1_11target_archE1100ELNS1_3gpuE3ELNS1_3repE0EEENS1_30default_config_static_selectorELNS0_4arch9wavefront6targetE0EEEvT1_.num_agpr, 0
	.set _ZN7rocprim17ROCPRIM_400000_NS6detail17trampoline_kernelINS0_14default_configENS1_20scan_config_selectorIN3c107complexIdEEEEZZNS1_9scan_implILNS1_25lookback_scan_determinismE0ELb0ELb0ES3_PKS7_PS7_S7_ZZZN2at6native31launch_logcumsumexp_cuda_kernelERKNSE_10TensorBaseESI_lENKUlvE_clEvENKUlvE1_clEvEUlS7_S7_E_S7_EEDaPvRmT3_T4_T5_mT6_P12ihipStream_tbENKUlT_T0_E_clISt17integral_constantIbLb1EESZ_EEDaSU_SV_EUlSU_E0_NS1_11comp_targetILNS1_3genE9ELNS1_11target_archE1100ELNS1_3gpuE3ELNS1_3repE0EEENS1_30default_config_static_selectorELNS0_4arch9wavefront6targetE0EEEvT1_.numbered_sgpr, 0
	.set _ZN7rocprim17ROCPRIM_400000_NS6detail17trampoline_kernelINS0_14default_configENS1_20scan_config_selectorIN3c107complexIdEEEEZZNS1_9scan_implILNS1_25lookback_scan_determinismE0ELb0ELb0ES3_PKS7_PS7_S7_ZZZN2at6native31launch_logcumsumexp_cuda_kernelERKNSE_10TensorBaseESI_lENKUlvE_clEvENKUlvE1_clEvEUlS7_S7_E_S7_EEDaPvRmT3_T4_T5_mT6_P12ihipStream_tbENKUlT_T0_E_clISt17integral_constantIbLb1EESZ_EEDaSU_SV_EUlSU_E0_NS1_11comp_targetILNS1_3genE9ELNS1_11target_archE1100ELNS1_3gpuE3ELNS1_3repE0EEENS1_30default_config_static_selectorELNS0_4arch9wavefront6targetE0EEEvT1_.num_named_barrier, 0
	.set _ZN7rocprim17ROCPRIM_400000_NS6detail17trampoline_kernelINS0_14default_configENS1_20scan_config_selectorIN3c107complexIdEEEEZZNS1_9scan_implILNS1_25lookback_scan_determinismE0ELb0ELb0ES3_PKS7_PS7_S7_ZZZN2at6native31launch_logcumsumexp_cuda_kernelERKNSE_10TensorBaseESI_lENKUlvE_clEvENKUlvE1_clEvEUlS7_S7_E_S7_EEDaPvRmT3_T4_T5_mT6_P12ihipStream_tbENKUlT_T0_E_clISt17integral_constantIbLb1EESZ_EEDaSU_SV_EUlSU_E0_NS1_11comp_targetILNS1_3genE9ELNS1_11target_archE1100ELNS1_3gpuE3ELNS1_3repE0EEENS1_30default_config_static_selectorELNS0_4arch9wavefront6targetE0EEEvT1_.private_seg_size, 0
	.set _ZN7rocprim17ROCPRIM_400000_NS6detail17trampoline_kernelINS0_14default_configENS1_20scan_config_selectorIN3c107complexIdEEEEZZNS1_9scan_implILNS1_25lookback_scan_determinismE0ELb0ELb0ES3_PKS7_PS7_S7_ZZZN2at6native31launch_logcumsumexp_cuda_kernelERKNSE_10TensorBaseESI_lENKUlvE_clEvENKUlvE1_clEvEUlS7_S7_E_S7_EEDaPvRmT3_T4_T5_mT6_P12ihipStream_tbENKUlT_T0_E_clISt17integral_constantIbLb1EESZ_EEDaSU_SV_EUlSU_E0_NS1_11comp_targetILNS1_3genE9ELNS1_11target_archE1100ELNS1_3gpuE3ELNS1_3repE0EEENS1_30default_config_static_selectorELNS0_4arch9wavefront6targetE0EEEvT1_.uses_vcc, 0
	.set _ZN7rocprim17ROCPRIM_400000_NS6detail17trampoline_kernelINS0_14default_configENS1_20scan_config_selectorIN3c107complexIdEEEEZZNS1_9scan_implILNS1_25lookback_scan_determinismE0ELb0ELb0ES3_PKS7_PS7_S7_ZZZN2at6native31launch_logcumsumexp_cuda_kernelERKNSE_10TensorBaseESI_lENKUlvE_clEvENKUlvE1_clEvEUlS7_S7_E_S7_EEDaPvRmT3_T4_T5_mT6_P12ihipStream_tbENKUlT_T0_E_clISt17integral_constantIbLb1EESZ_EEDaSU_SV_EUlSU_E0_NS1_11comp_targetILNS1_3genE9ELNS1_11target_archE1100ELNS1_3gpuE3ELNS1_3repE0EEENS1_30default_config_static_selectorELNS0_4arch9wavefront6targetE0EEEvT1_.uses_flat_scratch, 0
	.set _ZN7rocprim17ROCPRIM_400000_NS6detail17trampoline_kernelINS0_14default_configENS1_20scan_config_selectorIN3c107complexIdEEEEZZNS1_9scan_implILNS1_25lookback_scan_determinismE0ELb0ELb0ES3_PKS7_PS7_S7_ZZZN2at6native31launch_logcumsumexp_cuda_kernelERKNSE_10TensorBaseESI_lENKUlvE_clEvENKUlvE1_clEvEUlS7_S7_E_S7_EEDaPvRmT3_T4_T5_mT6_P12ihipStream_tbENKUlT_T0_E_clISt17integral_constantIbLb1EESZ_EEDaSU_SV_EUlSU_E0_NS1_11comp_targetILNS1_3genE9ELNS1_11target_archE1100ELNS1_3gpuE3ELNS1_3repE0EEENS1_30default_config_static_selectorELNS0_4arch9wavefront6targetE0EEEvT1_.has_dyn_sized_stack, 0
	.set _ZN7rocprim17ROCPRIM_400000_NS6detail17trampoline_kernelINS0_14default_configENS1_20scan_config_selectorIN3c107complexIdEEEEZZNS1_9scan_implILNS1_25lookback_scan_determinismE0ELb0ELb0ES3_PKS7_PS7_S7_ZZZN2at6native31launch_logcumsumexp_cuda_kernelERKNSE_10TensorBaseESI_lENKUlvE_clEvENKUlvE1_clEvEUlS7_S7_E_S7_EEDaPvRmT3_T4_T5_mT6_P12ihipStream_tbENKUlT_T0_E_clISt17integral_constantIbLb1EESZ_EEDaSU_SV_EUlSU_E0_NS1_11comp_targetILNS1_3genE9ELNS1_11target_archE1100ELNS1_3gpuE3ELNS1_3repE0EEENS1_30default_config_static_selectorELNS0_4arch9wavefront6targetE0EEEvT1_.has_recursion, 0
	.set _ZN7rocprim17ROCPRIM_400000_NS6detail17trampoline_kernelINS0_14default_configENS1_20scan_config_selectorIN3c107complexIdEEEEZZNS1_9scan_implILNS1_25lookback_scan_determinismE0ELb0ELb0ES3_PKS7_PS7_S7_ZZZN2at6native31launch_logcumsumexp_cuda_kernelERKNSE_10TensorBaseESI_lENKUlvE_clEvENKUlvE1_clEvEUlS7_S7_E_S7_EEDaPvRmT3_T4_T5_mT6_P12ihipStream_tbENKUlT_T0_E_clISt17integral_constantIbLb1EESZ_EEDaSU_SV_EUlSU_E0_NS1_11comp_targetILNS1_3genE9ELNS1_11target_archE1100ELNS1_3gpuE3ELNS1_3repE0EEENS1_30default_config_static_selectorELNS0_4arch9wavefront6targetE0EEEvT1_.has_indirect_call, 0
	.section	.AMDGPU.csdata,"",@progbits
; Kernel info:
; codeLenInByte = 0
; TotalNumSgprs: 0
; NumVgprs: 0
; ScratchSize: 0
; MemoryBound: 0
; FloatMode: 240
; IeeeMode: 1
; LDSByteSize: 0 bytes/workgroup (compile time only)
; SGPRBlocks: 0
; VGPRBlocks: 0
; NumSGPRsForWavesPerEU: 1
; NumVGPRsForWavesPerEU: 1
; Occupancy: 16
; WaveLimiterHint : 0
; COMPUTE_PGM_RSRC2:SCRATCH_EN: 0
; COMPUTE_PGM_RSRC2:USER_SGPR: 2
; COMPUTE_PGM_RSRC2:TRAP_HANDLER: 0
; COMPUTE_PGM_RSRC2:TGID_X_EN: 1
; COMPUTE_PGM_RSRC2:TGID_Y_EN: 0
; COMPUTE_PGM_RSRC2:TGID_Z_EN: 0
; COMPUTE_PGM_RSRC2:TIDIG_COMP_CNT: 0
	.section	.text._ZN7rocprim17ROCPRIM_400000_NS6detail17trampoline_kernelINS0_14default_configENS1_20scan_config_selectorIN3c107complexIdEEEEZZNS1_9scan_implILNS1_25lookback_scan_determinismE0ELb0ELb0ES3_PKS7_PS7_S7_ZZZN2at6native31launch_logcumsumexp_cuda_kernelERKNSE_10TensorBaseESI_lENKUlvE_clEvENKUlvE1_clEvEUlS7_S7_E_S7_EEDaPvRmT3_T4_T5_mT6_P12ihipStream_tbENKUlT_T0_E_clISt17integral_constantIbLb1EESZ_EEDaSU_SV_EUlSU_E0_NS1_11comp_targetILNS1_3genE8ELNS1_11target_archE1030ELNS1_3gpuE2ELNS1_3repE0EEENS1_30default_config_static_selectorELNS0_4arch9wavefront6targetE0EEEvT1_,"axG",@progbits,_ZN7rocprim17ROCPRIM_400000_NS6detail17trampoline_kernelINS0_14default_configENS1_20scan_config_selectorIN3c107complexIdEEEEZZNS1_9scan_implILNS1_25lookback_scan_determinismE0ELb0ELb0ES3_PKS7_PS7_S7_ZZZN2at6native31launch_logcumsumexp_cuda_kernelERKNSE_10TensorBaseESI_lENKUlvE_clEvENKUlvE1_clEvEUlS7_S7_E_S7_EEDaPvRmT3_T4_T5_mT6_P12ihipStream_tbENKUlT_T0_E_clISt17integral_constantIbLb1EESZ_EEDaSU_SV_EUlSU_E0_NS1_11comp_targetILNS1_3genE8ELNS1_11target_archE1030ELNS1_3gpuE2ELNS1_3repE0EEENS1_30default_config_static_selectorELNS0_4arch9wavefront6targetE0EEEvT1_,comdat
	.globl	_ZN7rocprim17ROCPRIM_400000_NS6detail17trampoline_kernelINS0_14default_configENS1_20scan_config_selectorIN3c107complexIdEEEEZZNS1_9scan_implILNS1_25lookback_scan_determinismE0ELb0ELb0ES3_PKS7_PS7_S7_ZZZN2at6native31launch_logcumsumexp_cuda_kernelERKNSE_10TensorBaseESI_lENKUlvE_clEvENKUlvE1_clEvEUlS7_S7_E_S7_EEDaPvRmT3_T4_T5_mT6_P12ihipStream_tbENKUlT_T0_E_clISt17integral_constantIbLb1EESZ_EEDaSU_SV_EUlSU_E0_NS1_11comp_targetILNS1_3genE8ELNS1_11target_archE1030ELNS1_3gpuE2ELNS1_3repE0EEENS1_30default_config_static_selectorELNS0_4arch9wavefront6targetE0EEEvT1_ ; -- Begin function _ZN7rocprim17ROCPRIM_400000_NS6detail17trampoline_kernelINS0_14default_configENS1_20scan_config_selectorIN3c107complexIdEEEEZZNS1_9scan_implILNS1_25lookback_scan_determinismE0ELb0ELb0ES3_PKS7_PS7_S7_ZZZN2at6native31launch_logcumsumexp_cuda_kernelERKNSE_10TensorBaseESI_lENKUlvE_clEvENKUlvE1_clEvEUlS7_S7_E_S7_EEDaPvRmT3_T4_T5_mT6_P12ihipStream_tbENKUlT_T0_E_clISt17integral_constantIbLb1EESZ_EEDaSU_SV_EUlSU_E0_NS1_11comp_targetILNS1_3genE8ELNS1_11target_archE1030ELNS1_3gpuE2ELNS1_3repE0EEENS1_30default_config_static_selectorELNS0_4arch9wavefront6targetE0EEEvT1_
	.p2align	8
	.type	_ZN7rocprim17ROCPRIM_400000_NS6detail17trampoline_kernelINS0_14default_configENS1_20scan_config_selectorIN3c107complexIdEEEEZZNS1_9scan_implILNS1_25lookback_scan_determinismE0ELb0ELb0ES3_PKS7_PS7_S7_ZZZN2at6native31launch_logcumsumexp_cuda_kernelERKNSE_10TensorBaseESI_lENKUlvE_clEvENKUlvE1_clEvEUlS7_S7_E_S7_EEDaPvRmT3_T4_T5_mT6_P12ihipStream_tbENKUlT_T0_E_clISt17integral_constantIbLb1EESZ_EEDaSU_SV_EUlSU_E0_NS1_11comp_targetILNS1_3genE8ELNS1_11target_archE1030ELNS1_3gpuE2ELNS1_3repE0EEENS1_30default_config_static_selectorELNS0_4arch9wavefront6targetE0EEEvT1_,@function
_ZN7rocprim17ROCPRIM_400000_NS6detail17trampoline_kernelINS0_14default_configENS1_20scan_config_selectorIN3c107complexIdEEEEZZNS1_9scan_implILNS1_25lookback_scan_determinismE0ELb0ELb0ES3_PKS7_PS7_S7_ZZZN2at6native31launch_logcumsumexp_cuda_kernelERKNSE_10TensorBaseESI_lENKUlvE_clEvENKUlvE1_clEvEUlS7_S7_E_S7_EEDaPvRmT3_T4_T5_mT6_P12ihipStream_tbENKUlT_T0_E_clISt17integral_constantIbLb1EESZ_EEDaSU_SV_EUlSU_E0_NS1_11comp_targetILNS1_3genE8ELNS1_11target_archE1030ELNS1_3gpuE2ELNS1_3repE0EEENS1_30default_config_static_selectorELNS0_4arch9wavefront6targetE0EEEvT1_: ; @_ZN7rocprim17ROCPRIM_400000_NS6detail17trampoline_kernelINS0_14default_configENS1_20scan_config_selectorIN3c107complexIdEEEEZZNS1_9scan_implILNS1_25lookback_scan_determinismE0ELb0ELb0ES3_PKS7_PS7_S7_ZZZN2at6native31launch_logcumsumexp_cuda_kernelERKNSE_10TensorBaseESI_lENKUlvE_clEvENKUlvE1_clEvEUlS7_S7_E_S7_EEDaPvRmT3_T4_T5_mT6_P12ihipStream_tbENKUlT_T0_E_clISt17integral_constantIbLb1EESZ_EEDaSU_SV_EUlSU_E0_NS1_11comp_targetILNS1_3genE8ELNS1_11target_archE1030ELNS1_3gpuE2ELNS1_3repE0EEENS1_30default_config_static_selectorELNS0_4arch9wavefront6targetE0EEEvT1_
; %bb.0:
	.section	.rodata,"a",@progbits
	.p2align	6, 0x0
	.amdhsa_kernel _ZN7rocprim17ROCPRIM_400000_NS6detail17trampoline_kernelINS0_14default_configENS1_20scan_config_selectorIN3c107complexIdEEEEZZNS1_9scan_implILNS1_25lookback_scan_determinismE0ELb0ELb0ES3_PKS7_PS7_S7_ZZZN2at6native31launch_logcumsumexp_cuda_kernelERKNSE_10TensorBaseESI_lENKUlvE_clEvENKUlvE1_clEvEUlS7_S7_E_S7_EEDaPvRmT3_T4_T5_mT6_P12ihipStream_tbENKUlT_T0_E_clISt17integral_constantIbLb1EESZ_EEDaSU_SV_EUlSU_E0_NS1_11comp_targetILNS1_3genE8ELNS1_11target_archE1030ELNS1_3gpuE2ELNS1_3repE0EEENS1_30default_config_static_selectorELNS0_4arch9wavefront6targetE0EEEvT1_
		.amdhsa_group_segment_fixed_size 0
		.amdhsa_private_segment_fixed_size 0
		.amdhsa_kernarg_size 48
		.amdhsa_user_sgpr_count 2
		.amdhsa_user_sgpr_dispatch_ptr 0
		.amdhsa_user_sgpr_queue_ptr 0
		.amdhsa_user_sgpr_kernarg_segment_ptr 1
		.amdhsa_user_sgpr_dispatch_id 0
		.amdhsa_user_sgpr_private_segment_size 0
		.amdhsa_wavefront_size32 1
		.amdhsa_uses_dynamic_stack 0
		.amdhsa_enable_private_segment 0
		.amdhsa_system_sgpr_workgroup_id_x 1
		.amdhsa_system_sgpr_workgroup_id_y 0
		.amdhsa_system_sgpr_workgroup_id_z 0
		.amdhsa_system_sgpr_workgroup_info 0
		.amdhsa_system_vgpr_workitem_id 0
		.amdhsa_next_free_vgpr 1
		.amdhsa_next_free_sgpr 1
		.amdhsa_reserve_vcc 0
		.amdhsa_float_round_mode_32 0
		.amdhsa_float_round_mode_16_64 0
		.amdhsa_float_denorm_mode_32 3
		.amdhsa_float_denorm_mode_16_64 3
		.amdhsa_fp16_overflow 0
		.amdhsa_workgroup_processor_mode 1
		.amdhsa_memory_ordered 1
		.amdhsa_forward_progress 1
		.amdhsa_inst_pref_size 0
		.amdhsa_round_robin_scheduling 0
		.amdhsa_exception_fp_ieee_invalid_op 0
		.amdhsa_exception_fp_denorm_src 0
		.amdhsa_exception_fp_ieee_div_zero 0
		.amdhsa_exception_fp_ieee_overflow 0
		.amdhsa_exception_fp_ieee_underflow 0
		.amdhsa_exception_fp_ieee_inexact 0
		.amdhsa_exception_int_div_zero 0
	.end_amdhsa_kernel
	.section	.text._ZN7rocprim17ROCPRIM_400000_NS6detail17trampoline_kernelINS0_14default_configENS1_20scan_config_selectorIN3c107complexIdEEEEZZNS1_9scan_implILNS1_25lookback_scan_determinismE0ELb0ELb0ES3_PKS7_PS7_S7_ZZZN2at6native31launch_logcumsumexp_cuda_kernelERKNSE_10TensorBaseESI_lENKUlvE_clEvENKUlvE1_clEvEUlS7_S7_E_S7_EEDaPvRmT3_T4_T5_mT6_P12ihipStream_tbENKUlT_T0_E_clISt17integral_constantIbLb1EESZ_EEDaSU_SV_EUlSU_E0_NS1_11comp_targetILNS1_3genE8ELNS1_11target_archE1030ELNS1_3gpuE2ELNS1_3repE0EEENS1_30default_config_static_selectorELNS0_4arch9wavefront6targetE0EEEvT1_,"axG",@progbits,_ZN7rocprim17ROCPRIM_400000_NS6detail17trampoline_kernelINS0_14default_configENS1_20scan_config_selectorIN3c107complexIdEEEEZZNS1_9scan_implILNS1_25lookback_scan_determinismE0ELb0ELb0ES3_PKS7_PS7_S7_ZZZN2at6native31launch_logcumsumexp_cuda_kernelERKNSE_10TensorBaseESI_lENKUlvE_clEvENKUlvE1_clEvEUlS7_S7_E_S7_EEDaPvRmT3_T4_T5_mT6_P12ihipStream_tbENKUlT_T0_E_clISt17integral_constantIbLb1EESZ_EEDaSU_SV_EUlSU_E0_NS1_11comp_targetILNS1_3genE8ELNS1_11target_archE1030ELNS1_3gpuE2ELNS1_3repE0EEENS1_30default_config_static_selectorELNS0_4arch9wavefront6targetE0EEEvT1_,comdat
.Lfunc_end220:
	.size	_ZN7rocprim17ROCPRIM_400000_NS6detail17trampoline_kernelINS0_14default_configENS1_20scan_config_selectorIN3c107complexIdEEEEZZNS1_9scan_implILNS1_25lookback_scan_determinismE0ELb0ELb0ES3_PKS7_PS7_S7_ZZZN2at6native31launch_logcumsumexp_cuda_kernelERKNSE_10TensorBaseESI_lENKUlvE_clEvENKUlvE1_clEvEUlS7_S7_E_S7_EEDaPvRmT3_T4_T5_mT6_P12ihipStream_tbENKUlT_T0_E_clISt17integral_constantIbLb1EESZ_EEDaSU_SV_EUlSU_E0_NS1_11comp_targetILNS1_3genE8ELNS1_11target_archE1030ELNS1_3gpuE2ELNS1_3repE0EEENS1_30default_config_static_selectorELNS0_4arch9wavefront6targetE0EEEvT1_, .Lfunc_end220-_ZN7rocprim17ROCPRIM_400000_NS6detail17trampoline_kernelINS0_14default_configENS1_20scan_config_selectorIN3c107complexIdEEEEZZNS1_9scan_implILNS1_25lookback_scan_determinismE0ELb0ELb0ES3_PKS7_PS7_S7_ZZZN2at6native31launch_logcumsumexp_cuda_kernelERKNSE_10TensorBaseESI_lENKUlvE_clEvENKUlvE1_clEvEUlS7_S7_E_S7_EEDaPvRmT3_T4_T5_mT6_P12ihipStream_tbENKUlT_T0_E_clISt17integral_constantIbLb1EESZ_EEDaSU_SV_EUlSU_E0_NS1_11comp_targetILNS1_3genE8ELNS1_11target_archE1030ELNS1_3gpuE2ELNS1_3repE0EEENS1_30default_config_static_selectorELNS0_4arch9wavefront6targetE0EEEvT1_
                                        ; -- End function
	.set _ZN7rocprim17ROCPRIM_400000_NS6detail17trampoline_kernelINS0_14default_configENS1_20scan_config_selectorIN3c107complexIdEEEEZZNS1_9scan_implILNS1_25lookback_scan_determinismE0ELb0ELb0ES3_PKS7_PS7_S7_ZZZN2at6native31launch_logcumsumexp_cuda_kernelERKNSE_10TensorBaseESI_lENKUlvE_clEvENKUlvE1_clEvEUlS7_S7_E_S7_EEDaPvRmT3_T4_T5_mT6_P12ihipStream_tbENKUlT_T0_E_clISt17integral_constantIbLb1EESZ_EEDaSU_SV_EUlSU_E0_NS1_11comp_targetILNS1_3genE8ELNS1_11target_archE1030ELNS1_3gpuE2ELNS1_3repE0EEENS1_30default_config_static_selectorELNS0_4arch9wavefront6targetE0EEEvT1_.num_vgpr, 0
	.set _ZN7rocprim17ROCPRIM_400000_NS6detail17trampoline_kernelINS0_14default_configENS1_20scan_config_selectorIN3c107complexIdEEEEZZNS1_9scan_implILNS1_25lookback_scan_determinismE0ELb0ELb0ES3_PKS7_PS7_S7_ZZZN2at6native31launch_logcumsumexp_cuda_kernelERKNSE_10TensorBaseESI_lENKUlvE_clEvENKUlvE1_clEvEUlS7_S7_E_S7_EEDaPvRmT3_T4_T5_mT6_P12ihipStream_tbENKUlT_T0_E_clISt17integral_constantIbLb1EESZ_EEDaSU_SV_EUlSU_E0_NS1_11comp_targetILNS1_3genE8ELNS1_11target_archE1030ELNS1_3gpuE2ELNS1_3repE0EEENS1_30default_config_static_selectorELNS0_4arch9wavefront6targetE0EEEvT1_.num_agpr, 0
	.set _ZN7rocprim17ROCPRIM_400000_NS6detail17trampoline_kernelINS0_14default_configENS1_20scan_config_selectorIN3c107complexIdEEEEZZNS1_9scan_implILNS1_25lookback_scan_determinismE0ELb0ELb0ES3_PKS7_PS7_S7_ZZZN2at6native31launch_logcumsumexp_cuda_kernelERKNSE_10TensorBaseESI_lENKUlvE_clEvENKUlvE1_clEvEUlS7_S7_E_S7_EEDaPvRmT3_T4_T5_mT6_P12ihipStream_tbENKUlT_T0_E_clISt17integral_constantIbLb1EESZ_EEDaSU_SV_EUlSU_E0_NS1_11comp_targetILNS1_3genE8ELNS1_11target_archE1030ELNS1_3gpuE2ELNS1_3repE0EEENS1_30default_config_static_selectorELNS0_4arch9wavefront6targetE0EEEvT1_.numbered_sgpr, 0
	.set _ZN7rocprim17ROCPRIM_400000_NS6detail17trampoline_kernelINS0_14default_configENS1_20scan_config_selectorIN3c107complexIdEEEEZZNS1_9scan_implILNS1_25lookback_scan_determinismE0ELb0ELb0ES3_PKS7_PS7_S7_ZZZN2at6native31launch_logcumsumexp_cuda_kernelERKNSE_10TensorBaseESI_lENKUlvE_clEvENKUlvE1_clEvEUlS7_S7_E_S7_EEDaPvRmT3_T4_T5_mT6_P12ihipStream_tbENKUlT_T0_E_clISt17integral_constantIbLb1EESZ_EEDaSU_SV_EUlSU_E0_NS1_11comp_targetILNS1_3genE8ELNS1_11target_archE1030ELNS1_3gpuE2ELNS1_3repE0EEENS1_30default_config_static_selectorELNS0_4arch9wavefront6targetE0EEEvT1_.num_named_barrier, 0
	.set _ZN7rocprim17ROCPRIM_400000_NS6detail17trampoline_kernelINS0_14default_configENS1_20scan_config_selectorIN3c107complexIdEEEEZZNS1_9scan_implILNS1_25lookback_scan_determinismE0ELb0ELb0ES3_PKS7_PS7_S7_ZZZN2at6native31launch_logcumsumexp_cuda_kernelERKNSE_10TensorBaseESI_lENKUlvE_clEvENKUlvE1_clEvEUlS7_S7_E_S7_EEDaPvRmT3_T4_T5_mT6_P12ihipStream_tbENKUlT_T0_E_clISt17integral_constantIbLb1EESZ_EEDaSU_SV_EUlSU_E0_NS1_11comp_targetILNS1_3genE8ELNS1_11target_archE1030ELNS1_3gpuE2ELNS1_3repE0EEENS1_30default_config_static_selectorELNS0_4arch9wavefront6targetE0EEEvT1_.private_seg_size, 0
	.set _ZN7rocprim17ROCPRIM_400000_NS6detail17trampoline_kernelINS0_14default_configENS1_20scan_config_selectorIN3c107complexIdEEEEZZNS1_9scan_implILNS1_25lookback_scan_determinismE0ELb0ELb0ES3_PKS7_PS7_S7_ZZZN2at6native31launch_logcumsumexp_cuda_kernelERKNSE_10TensorBaseESI_lENKUlvE_clEvENKUlvE1_clEvEUlS7_S7_E_S7_EEDaPvRmT3_T4_T5_mT6_P12ihipStream_tbENKUlT_T0_E_clISt17integral_constantIbLb1EESZ_EEDaSU_SV_EUlSU_E0_NS1_11comp_targetILNS1_3genE8ELNS1_11target_archE1030ELNS1_3gpuE2ELNS1_3repE0EEENS1_30default_config_static_selectorELNS0_4arch9wavefront6targetE0EEEvT1_.uses_vcc, 0
	.set _ZN7rocprim17ROCPRIM_400000_NS6detail17trampoline_kernelINS0_14default_configENS1_20scan_config_selectorIN3c107complexIdEEEEZZNS1_9scan_implILNS1_25lookback_scan_determinismE0ELb0ELb0ES3_PKS7_PS7_S7_ZZZN2at6native31launch_logcumsumexp_cuda_kernelERKNSE_10TensorBaseESI_lENKUlvE_clEvENKUlvE1_clEvEUlS7_S7_E_S7_EEDaPvRmT3_T4_T5_mT6_P12ihipStream_tbENKUlT_T0_E_clISt17integral_constantIbLb1EESZ_EEDaSU_SV_EUlSU_E0_NS1_11comp_targetILNS1_3genE8ELNS1_11target_archE1030ELNS1_3gpuE2ELNS1_3repE0EEENS1_30default_config_static_selectorELNS0_4arch9wavefront6targetE0EEEvT1_.uses_flat_scratch, 0
	.set _ZN7rocprim17ROCPRIM_400000_NS6detail17trampoline_kernelINS0_14default_configENS1_20scan_config_selectorIN3c107complexIdEEEEZZNS1_9scan_implILNS1_25lookback_scan_determinismE0ELb0ELb0ES3_PKS7_PS7_S7_ZZZN2at6native31launch_logcumsumexp_cuda_kernelERKNSE_10TensorBaseESI_lENKUlvE_clEvENKUlvE1_clEvEUlS7_S7_E_S7_EEDaPvRmT3_T4_T5_mT6_P12ihipStream_tbENKUlT_T0_E_clISt17integral_constantIbLb1EESZ_EEDaSU_SV_EUlSU_E0_NS1_11comp_targetILNS1_3genE8ELNS1_11target_archE1030ELNS1_3gpuE2ELNS1_3repE0EEENS1_30default_config_static_selectorELNS0_4arch9wavefront6targetE0EEEvT1_.has_dyn_sized_stack, 0
	.set _ZN7rocprim17ROCPRIM_400000_NS6detail17trampoline_kernelINS0_14default_configENS1_20scan_config_selectorIN3c107complexIdEEEEZZNS1_9scan_implILNS1_25lookback_scan_determinismE0ELb0ELb0ES3_PKS7_PS7_S7_ZZZN2at6native31launch_logcumsumexp_cuda_kernelERKNSE_10TensorBaseESI_lENKUlvE_clEvENKUlvE1_clEvEUlS7_S7_E_S7_EEDaPvRmT3_T4_T5_mT6_P12ihipStream_tbENKUlT_T0_E_clISt17integral_constantIbLb1EESZ_EEDaSU_SV_EUlSU_E0_NS1_11comp_targetILNS1_3genE8ELNS1_11target_archE1030ELNS1_3gpuE2ELNS1_3repE0EEENS1_30default_config_static_selectorELNS0_4arch9wavefront6targetE0EEEvT1_.has_recursion, 0
	.set _ZN7rocprim17ROCPRIM_400000_NS6detail17trampoline_kernelINS0_14default_configENS1_20scan_config_selectorIN3c107complexIdEEEEZZNS1_9scan_implILNS1_25lookback_scan_determinismE0ELb0ELb0ES3_PKS7_PS7_S7_ZZZN2at6native31launch_logcumsumexp_cuda_kernelERKNSE_10TensorBaseESI_lENKUlvE_clEvENKUlvE1_clEvEUlS7_S7_E_S7_EEDaPvRmT3_T4_T5_mT6_P12ihipStream_tbENKUlT_T0_E_clISt17integral_constantIbLb1EESZ_EEDaSU_SV_EUlSU_E0_NS1_11comp_targetILNS1_3genE8ELNS1_11target_archE1030ELNS1_3gpuE2ELNS1_3repE0EEENS1_30default_config_static_selectorELNS0_4arch9wavefront6targetE0EEEvT1_.has_indirect_call, 0
	.section	.AMDGPU.csdata,"",@progbits
; Kernel info:
; codeLenInByte = 0
; TotalNumSgprs: 0
; NumVgprs: 0
; ScratchSize: 0
; MemoryBound: 0
; FloatMode: 240
; IeeeMode: 1
; LDSByteSize: 0 bytes/workgroup (compile time only)
; SGPRBlocks: 0
; VGPRBlocks: 0
; NumSGPRsForWavesPerEU: 1
; NumVGPRsForWavesPerEU: 1
; Occupancy: 16
; WaveLimiterHint : 0
; COMPUTE_PGM_RSRC2:SCRATCH_EN: 0
; COMPUTE_PGM_RSRC2:USER_SGPR: 2
; COMPUTE_PGM_RSRC2:TRAP_HANDLER: 0
; COMPUTE_PGM_RSRC2:TGID_X_EN: 1
; COMPUTE_PGM_RSRC2:TGID_Y_EN: 0
; COMPUTE_PGM_RSRC2:TGID_Z_EN: 0
; COMPUTE_PGM_RSRC2:TIDIG_COMP_CNT: 0
	.section	.text._ZN7rocprim17ROCPRIM_400000_NS6detail31init_lookback_scan_state_kernelINS1_19lookback_scan_stateIN3c107complexIdEELb1ELb0EEENS1_16block_id_wrapperIjLb0EEEEEvT_jT0_jPNSA_10value_typeE,"axG",@progbits,_ZN7rocprim17ROCPRIM_400000_NS6detail31init_lookback_scan_state_kernelINS1_19lookback_scan_stateIN3c107complexIdEELb1ELb0EEENS1_16block_id_wrapperIjLb0EEEEEvT_jT0_jPNSA_10value_typeE,comdat
	.protected	_ZN7rocprim17ROCPRIM_400000_NS6detail31init_lookback_scan_state_kernelINS1_19lookback_scan_stateIN3c107complexIdEELb1ELb0EEENS1_16block_id_wrapperIjLb0EEEEEvT_jT0_jPNSA_10value_typeE ; -- Begin function _ZN7rocprim17ROCPRIM_400000_NS6detail31init_lookback_scan_state_kernelINS1_19lookback_scan_stateIN3c107complexIdEELb1ELb0EEENS1_16block_id_wrapperIjLb0EEEEEvT_jT0_jPNSA_10value_typeE
	.globl	_ZN7rocprim17ROCPRIM_400000_NS6detail31init_lookback_scan_state_kernelINS1_19lookback_scan_stateIN3c107complexIdEELb1ELb0EEENS1_16block_id_wrapperIjLb0EEEEEvT_jT0_jPNSA_10value_typeE
	.p2align	8
	.type	_ZN7rocprim17ROCPRIM_400000_NS6detail31init_lookback_scan_state_kernelINS1_19lookback_scan_stateIN3c107complexIdEELb1ELb0EEENS1_16block_id_wrapperIjLb0EEEEEvT_jT0_jPNSA_10value_typeE,@function
_ZN7rocprim17ROCPRIM_400000_NS6detail31init_lookback_scan_state_kernelINS1_19lookback_scan_stateIN3c107complexIdEELb1ELb0EEENS1_16block_id_wrapperIjLb0EEEEEvT_jT0_jPNSA_10value_typeE: ; @_ZN7rocprim17ROCPRIM_400000_NS6detail31init_lookback_scan_state_kernelINS1_19lookback_scan_stateIN3c107complexIdEELb1ELb0EEENS1_16block_id_wrapperIjLb0EEEEEvT_jT0_jPNSA_10value_typeE
; %bb.0:
	s_clause 0x2
	s_load_b32 s2, s[0:1], 0x3c
	s_load_b64 s[8:9], s[0:1], 0x28
	s_load_b96 s[4:6], s[0:1], 0x10
	s_wait_kmcnt 0x0
	s_and_b32 s2, s2, 0xffff
	s_cmp_eq_u64 s[8:9], 0
	v_mad_co_u64_u32 v[0:1], null, ttmp9, s2, v[0:1]
	s_cbranch_scc1 .LBB221_9
; %bb.1:
	s_load_b32 s2, s[0:1], 0x20
	s_mov_b32 s11, 0
	s_mov_b32 s7, exec_lo
	s_wait_kmcnt 0x0
	s_cmp_lt_u32 s2, s6
	s_cselect_b32 s3, s2, 0
	s_wait_alu 0xfffe
	v_cmpx_eq_u32_e64 s3, v0
	s_cbranch_execz .LBB221_8
; %bb.2:
	s_add_co_i32 s10, s2, 32
	s_load_b128 s[0:3], s[0:1], 0x0
	v_mov_b32_e32 v1, s10
	global_load_u8 v1, v1, s[4:5] scope:SCOPE_DEV
	s_wait_loadcnt 0x0
	v_and_b32_e32 v2, 0xffff, v1
	v_readfirstlane_b32 s15, v1
	s_delay_alu instid0(VALU_DEP_2)
	v_cmp_ne_u32_e32 vcc_lo, 0, v2
	s_cbranch_vccnz .LBB221_7
; %bb.3:
	v_mov_b32_e32 v1, 0
	s_add_nc_u64 s[12:13], s[4:5], s[10:11]
	s_mov_b32 s14, 1
.LBB221_4:                              ; =>This Loop Header: Depth=1
                                        ;     Child Loop BB221_5 Depth 2
	s_delay_alu instid0(SALU_CYCLE_1)
	s_mov_b32 s15, s14
.LBB221_5:                              ;   Parent Loop BB221_4 Depth=1
                                        ; =>  This Inner Loop Header: Depth=2
	s_delay_alu instid0(SALU_CYCLE_1)
	s_add_co_i32 s15, s15, -1
	s_sleep 1
	s_cmp_eq_u32 s15, 0
	s_cbranch_scc0 .LBB221_5
; %bb.6:                                ;   in Loop: Header=BB221_4 Depth=1
	global_load_u8 v2, v1, s[12:13] scope:SCOPE_DEV
	s_cmp_lt_u32 s14, 32
	s_cselect_b32 s15, -1, 0
	s_delay_alu instid0(SALU_CYCLE_1) | instskip(SKIP_4) | instid1(VALU_DEP_2)
	s_cmp_lg_u32 s15, 0
	s_add_co_ci_u32 s14, s14, 0
	s_wait_loadcnt 0x0
	v_and_b32_e32 v3, 0xffff, v2
	v_readfirstlane_b32 s15, v2
	v_cmp_ne_u32_e32 vcc_lo, 0, v3
	s_cbranch_vccz .LBB221_4
.LBB221_7:
	s_and_b32 s12, 0xffff, s15
	v_mov_b32_e32 v5, 0
	s_cmp_eq_u32 s12, 1
	global_inv scope:SCOPE_DEV
	s_wait_kmcnt 0x0
	s_cselect_b32 s1, s1, s3
	s_cselect_b32 s0, s0, s2
	s_lshl_b64 s[2:3], s[10:11], 4
	s_wait_alu 0xfffe
	s_add_nc_u64 s[0:1], s[0:1], s[2:3]
	global_load_b128 v[1:4], v5, s[0:1]
	s_wait_loadcnt 0x0
	global_store_b128 v5, v[1:4], s[8:9]
.LBB221_8:
	s_or_b32 exec_lo, exec_lo, s7
.LBB221_9:
	s_delay_alu instid0(SALU_CYCLE_1)
	s_mov_b32 s0, exec_lo
	v_cmpx_gt_u32_e64 s6, v0
	s_cbranch_execz .LBB221_11
; %bb.10:
	v_dual_mov_b32 v2, 0 :: v_dual_add_nc_u32 v1, 32, v0
	global_store_b8 v1, v2, s[4:5]
.LBB221_11:
	s_wait_alu 0xfffe
	s_or_b32 exec_lo, exec_lo, s0
	s_delay_alu instid0(SALU_CYCLE_1)
	s_mov_b32 s0, exec_lo
	v_cmpx_gt_u32_e32 32, v0
	s_cbranch_execz .LBB221_13
; %bb.12:
	v_mov_b32_e32 v1, 0xff
	global_store_b8 v0, v1, s[4:5]
.LBB221_13:
	s_endpgm
	.section	.rodata,"a",@progbits
	.p2align	6, 0x0
	.amdhsa_kernel _ZN7rocprim17ROCPRIM_400000_NS6detail31init_lookback_scan_state_kernelINS1_19lookback_scan_stateIN3c107complexIdEELb1ELb0EEENS1_16block_id_wrapperIjLb0EEEEEvT_jT0_jPNSA_10value_typeE
		.amdhsa_group_segment_fixed_size 0
		.amdhsa_private_segment_fixed_size 0
		.amdhsa_kernarg_size 304
		.amdhsa_user_sgpr_count 2
		.amdhsa_user_sgpr_dispatch_ptr 0
		.amdhsa_user_sgpr_queue_ptr 0
		.amdhsa_user_sgpr_kernarg_segment_ptr 1
		.amdhsa_user_sgpr_dispatch_id 0
		.amdhsa_user_sgpr_private_segment_size 0
		.amdhsa_wavefront_size32 1
		.amdhsa_uses_dynamic_stack 0
		.amdhsa_enable_private_segment 0
		.amdhsa_system_sgpr_workgroup_id_x 1
		.amdhsa_system_sgpr_workgroup_id_y 0
		.amdhsa_system_sgpr_workgroup_id_z 0
		.amdhsa_system_sgpr_workgroup_info 0
		.amdhsa_system_vgpr_workitem_id 0
		.amdhsa_next_free_vgpr 6
		.amdhsa_next_free_sgpr 16
		.amdhsa_reserve_vcc 1
		.amdhsa_float_round_mode_32 0
		.amdhsa_float_round_mode_16_64 0
		.amdhsa_float_denorm_mode_32 3
		.amdhsa_float_denorm_mode_16_64 3
		.amdhsa_fp16_overflow 0
		.amdhsa_workgroup_processor_mode 1
		.amdhsa_memory_ordered 1
		.amdhsa_forward_progress 1
		.amdhsa_inst_pref_size 4
		.amdhsa_round_robin_scheduling 0
		.amdhsa_exception_fp_ieee_invalid_op 0
		.amdhsa_exception_fp_denorm_src 0
		.amdhsa_exception_fp_ieee_div_zero 0
		.amdhsa_exception_fp_ieee_overflow 0
		.amdhsa_exception_fp_ieee_underflow 0
		.amdhsa_exception_fp_ieee_inexact 0
		.amdhsa_exception_int_div_zero 0
	.end_amdhsa_kernel
	.section	.text._ZN7rocprim17ROCPRIM_400000_NS6detail31init_lookback_scan_state_kernelINS1_19lookback_scan_stateIN3c107complexIdEELb1ELb0EEENS1_16block_id_wrapperIjLb0EEEEEvT_jT0_jPNSA_10value_typeE,"axG",@progbits,_ZN7rocprim17ROCPRIM_400000_NS6detail31init_lookback_scan_state_kernelINS1_19lookback_scan_stateIN3c107complexIdEELb1ELb0EEENS1_16block_id_wrapperIjLb0EEEEEvT_jT0_jPNSA_10value_typeE,comdat
.Lfunc_end221:
	.size	_ZN7rocprim17ROCPRIM_400000_NS6detail31init_lookback_scan_state_kernelINS1_19lookback_scan_stateIN3c107complexIdEELb1ELb0EEENS1_16block_id_wrapperIjLb0EEEEEvT_jT0_jPNSA_10value_typeE, .Lfunc_end221-_ZN7rocprim17ROCPRIM_400000_NS6detail31init_lookback_scan_state_kernelINS1_19lookback_scan_stateIN3c107complexIdEELb1ELb0EEENS1_16block_id_wrapperIjLb0EEEEEvT_jT0_jPNSA_10value_typeE
                                        ; -- End function
	.set _ZN7rocprim17ROCPRIM_400000_NS6detail31init_lookback_scan_state_kernelINS1_19lookback_scan_stateIN3c107complexIdEELb1ELb0EEENS1_16block_id_wrapperIjLb0EEEEEvT_jT0_jPNSA_10value_typeE.num_vgpr, 6
	.set _ZN7rocprim17ROCPRIM_400000_NS6detail31init_lookback_scan_state_kernelINS1_19lookback_scan_stateIN3c107complexIdEELb1ELb0EEENS1_16block_id_wrapperIjLb0EEEEEvT_jT0_jPNSA_10value_typeE.num_agpr, 0
	.set _ZN7rocprim17ROCPRIM_400000_NS6detail31init_lookback_scan_state_kernelINS1_19lookback_scan_stateIN3c107complexIdEELb1ELb0EEENS1_16block_id_wrapperIjLb0EEEEEvT_jT0_jPNSA_10value_typeE.numbered_sgpr, 16
	.set _ZN7rocprim17ROCPRIM_400000_NS6detail31init_lookback_scan_state_kernelINS1_19lookback_scan_stateIN3c107complexIdEELb1ELb0EEENS1_16block_id_wrapperIjLb0EEEEEvT_jT0_jPNSA_10value_typeE.num_named_barrier, 0
	.set _ZN7rocprim17ROCPRIM_400000_NS6detail31init_lookback_scan_state_kernelINS1_19lookback_scan_stateIN3c107complexIdEELb1ELb0EEENS1_16block_id_wrapperIjLb0EEEEEvT_jT0_jPNSA_10value_typeE.private_seg_size, 0
	.set _ZN7rocprim17ROCPRIM_400000_NS6detail31init_lookback_scan_state_kernelINS1_19lookback_scan_stateIN3c107complexIdEELb1ELb0EEENS1_16block_id_wrapperIjLb0EEEEEvT_jT0_jPNSA_10value_typeE.uses_vcc, 1
	.set _ZN7rocprim17ROCPRIM_400000_NS6detail31init_lookback_scan_state_kernelINS1_19lookback_scan_stateIN3c107complexIdEELb1ELb0EEENS1_16block_id_wrapperIjLb0EEEEEvT_jT0_jPNSA_10value_typeE.uses_flat_scratch, 0
	.set _ZN7rocprim17ROCPRIM_400000_NS6detail31init_lookback_scan_state_kernelINS1_19lookback_scan_stateIN3c107complexIdEELb1ELb0EEENS1_16block_id_wrapperIjLb0EEEEEvT_jT0_jPNSA_10value_typeE.has_dyn_sized_stack, 0
	.set _ZN7rocprim17ROCPRIM_400000_NS6detail31init_lookback_scan_state_kernelINS1_19lookback_scan_stateIN3c107complexIdEELb1ELb0EEENS1_16block_id_wrapperIjLb0EEEEEvT_jT0_jPNSA_10value_typeE.has_recursion, 0
	.set _ZN7rocprim17ROCPRIM_400000_NS6detail31init_lookback_scan_state_kernelINS1_19lookback_scan_stateIN3c107complexIdEELb1ELb0EEENS1_16block_id_wrapperIjLb0EEEEEvT_jT0_jPNSA_10value_typeE.has_indirect_call, 0
	.section	.AMDGPU.csdata,"",@progbits
; Kernel info:
; codeLenInByte = 424
; TotalNumSgprs: 18
; NumVgprs: 6
; ScratchSize: 0
; MemoryBound: 0
; FloatMode: 240
; IeeeMode: 1
; LDSByteSize: 0 bytes/workgroup (compile time only)
; SGPRBlocks: 0
; VGPRBlocks: 0
; NumSGPRsForWavesPerEU: 18
; NumVGPRsForWavesPerEU: 6
; Occupancy: 16
; WaveLimiterHint : 0
; COMPUTE_PGM_RSRC2:SCRATCH_EN: 0
; COMPUTE_PGM_RSRC2:USER_SGPR: 2
; COMPUTE_PGM_RSRC2:TRAP_HANDLER: 0
; COMPUTE_PGM_RSRC2:TGID_X_EN: 1
; COMPUTE_PGM_RSRC2:TGID_Y_EN: 0
; COMPUTE_PGM_RSRC2:TGID_Z_EN: 0
; COMPUTE_PGM_RSRC2:TIDIG_COMP_CNT: 0
	.section	.text._ZN7rocprim17ROCPRIM_400000_NS6detail17trampoline_kernelINS0_14default_configENS1_20scan_config_selectorIN3c107complexIdEEEEZZNS1_9scan_implILNS1_25lookback_scan_determinismE0ELb0ELb0ES3_PKS7_PS7_S7_ZZZN2at6native31launch_logcumsumexp_cuda_kernelERKNSE_10TensorBaseESI_lENKUlvE_clEvENKUlvE1_clEvEUlS7_S7_E_S7_EEDaPvRmT3_T4_T5_mT6_P12ihipStream_tbENKUlT_T0_E_clISt17integral_constantIbLb1EESY_IbLb0EEEEDaSU_SV_EUlSU_E_NS1_11comp_targetILNS1_3genE0ELNS1_11target_archE4294967295ELNS1_3gpuE0ELNS1_3repE0EEENS1_30default_config_static_selectorELNS0_4arch9wavefront6targetE0EEEvT1_,"axG",@progbits,_ZN7rocprim17ROCPRIM_400000_NS6detail17trampoline_kernelINS0_14default_configENS1_20scan_config_selectorIN3c107complexIdEEEEZZNS1_9scan_implILNS1_25lookback_scan_determinismE0ELb0ELb0ES3_PKS7_PS7_S7_ZZZN2at6native31launch_logcumsumexp_cuda_kernelERKNSE_10TensorBaseESI_lENKUlvE_clEvENKUlvE1_clEvEUlS7_S7_E_S7_EEDaPvRmT3_T4_T5_mT6_P12ihipStream_tbENKUlT_T0_E_clISt17integral_constantIbLb1EESY_IbLb0EEEEDaSU_SV_EUlSU_E_NS1_11comp_targetILNS1_3genE0ELNS1_11target_archE4294967295ELNS1_3gpuE0ELNS1_3repE0EEENS1_30default_config_static_selectorELNS0_4arch9wavefront6targetE0EEEvT1_,comdat
	.globl	_ZN7rocprim17ROCPRIM_400000_NS6detail17trampoline_kernelINS0_14default_configENS1_20scan_config_selectorIN3c107complexIdEEEEZZNS1_9scan_implILNS1_25lookback_scan_determinismE0ELb0ELb0ES3_PKS7_PS7_S7_ZZZN2at6native31launch_logcumsumexp_cuda_kernelERKNSE_10TensorBaseESI_lENKUlvE_clEvENKUlvE1_clEvEUlS7_S7_E_S7_EEDaPvRmT3_T4_T5_mT6_P12ihipStream_tbENKUlT_T0_E_clISt17integral_constantIbLb1EESY_IbLb0EEEEDaSU_SV_EUlSU_E_NS1_11comp_targetILNS1_3genE0ELNS1_11target_archE4294967295ELNS1_3gpuE0ELNS1_3repE0EEENS1_30default_config_static_selectorELNS0_4arch9wavefront6targetE0EEEvT1_ ; -- Begin function _ZN7rocprim17ROCPRIM_400000_NS6detail17trampoline_kernelINS0_14default_configENS1_20scan_config_selectorIN3c107complexIdEEEEZZNS1_9scan_implILNS1_25lookback_scan_determinismE0ELb0ELb0ES3_PKS7_PS7_S7_ZZZN2at6native31launch_logcumsumexp_cuda_kernelERKNSE_10TensorBaseESI_lENKUlvE_clEvENKUlvE1_clEvEUlS7_S7_E_S7_EEDaPvRmT3_T4_T5_mT6_P12ihipStream_tbENKUlT_T0_E_clISt17integral_constantIbLb1EESY_IbLb0EEEEDaSU_SV_EUlSU_E_NS1_11comp_targetILNS1_3genE0ELNS1_11target_archE4294967295ELNS1_3gpuE0ELNS1_3repE0EEENS1_30default_config_static_selectorELNS0_4arch9wavefront6targetE0EEEvT1_
	.p2align	8
	.type	_ZN7rocprim17ROCPRIM_400000_NS6detail17trampoline_kernelINS0_14default_configENS1_20scan_config_selectorIN3c107complexIdEEEEZZNS1_9scan_implILNS1_25lookback_scan_determinismE0ELb0ELb0ES3_PKS7_PS7_S7_ZZZN2at6native31launch_logcumsumexp_cuda_kernelERKNSE_10TensorBaseESI_lENKUlvE_clEvENKUlvE1_clEvEUlS7_S7_E_S7_EEDaPvRmT3_T4_T5_mT6_P12ihipStream_tbENKUlT_T0_E_clISt17integral_constantIbLb1EESY_IbLb0EEEEDaSU_SV_EUlSU_E_NS1_11comp_targetILNS1_3genE0ELNS1_11target_archE4294967295ELNS1_3gpuE0ELNS1_3repE0EEENS1_30default_config_static_selectorELNS0_4arch9wavefront6targetE0EEEvT1_,@function
_ZN7rocprim17ROCPRIM_400000_NS6detail17trampoline_kernelINS0_14default_configENS1_20scan_config_selectorIN3c107complexIdEEEEZZNS1_9scan_implILNS1_25lookback_scan_determinismE0ELb0ELb0ES3_PKS7_PS7_S7_ZZZN2at6native31launch_logcumsumexp_cuda_kernelERKNSE_10TensorBaseESI_lENKUlvE_clEvENKUlvE1_clEvEUlS7_S7_E_S7_EEDaPvRmT3_T4_T5_mT6_P12ihipStream_tbENKUlT_T0_E_clISt17integral_constantIbLb1EESY_IbLb0EEEEDaSU_SV_EUlSU_E_NS1_11comp_targetILNS1_3genE0ELNS1_11target_archE4294967295ELNS1_3gpuE0ELNS1_3repE0EEENS1_30default_config_static_selectorELNS0_4arch9wavefront6targetE0EEEvT1_: ; @_ZN7rocprim17ROCPRIM_400000_NS6detail17trampoline_kernelINS0_14default_configENS1_20scan_config_selectorIN3c107complexIdEEEEZZNS1_9scan_implILNS1_25lookback_scan_determinismE0ELb0ELb0ES3_PKS7_PS7_S7_ZZZN2at6native31launch_logcumsumexp_cuda_kernelERKNSE_10TensorBaseESI_lENKUlvE_clEvENKUlvE1_clEvEUlS7_S7_E_S7_EEDaPvRmT3_T4_T5_mT6_P12ihipStream_tbENKUlT_T0_E_clISt17integral_constantIbLb1EESY_IbLb0EEEEDaSU_SV_EUlSU_E_NS1_11comp_targetILNS1_3genE0ELNS1_11target_archE4294967295ELNS1_3gpuE0ELNS1_3repE0EEENS1_30default_config_static_selectorELNS0_4arch9wavefront6targetE0EEEvT1_
; %bb.0:
	.section	.rodata,"a",@progbits
	.p2align	6, 0x0
	.amdhsa_kernel _ZN7rocprim17ROCPRIM_400000_NS6detail17trampoline_kernelINS0_14default_configENS1_20scan_config_selectorIN3c107complexIdEEEEZZNS1_9scan_implILNS1_25lookback_scan_determinismE0ELb0ELb0ES3_PKS7_PS7_S7_ZZZN2at6native31launch_logcumsumexp_cuda_kernelERKNSE_10TensorBaseESI_lENKUlvE_clEvENKUlvE1_clEvEUlS7_S7_E_S7_EEDaPvRmT3_T4_T5_mT6_P12ihipStream_tbENKUlT_T0_E_clISt17integral_constantIbLb1EESY_IbLb0EEEEDaSU_SV_EUlSU_E_NS1_11comp_targetILNS1_3genE0ELNS1_11target_archE4294967295ELNS1_3gpuE0ELNS1_3repE0EEENS1_30default_config_static_selectorELNS0_4arch9wavefront6targetE0EEEvT1_
		.amdhsa_group_segment_fixed_size 0
		.amdhsa_private_segment_fixed_size 0
		.amdhsa_kernarg_size 128
		.amdhsa_user_sgpr_count 2
		.amdhsa_user_sgpr_dispatch_ptr 0
		.amdhsa_user_sgpr_queue_ptr 0
		.amdhsa_user_sgpr_kernarg_segment_ptr 1
		.amdhsa_user_sgpr_dispatch_id 0
		.amdhsa_user_sgpr_private_segment_size 0
		.amdhsa_wavefront_size32 1
		.amdhsa_uses_dynamic_stack 0
		.amdhsa_enable_private_segment 0
		.amdhsa_system_sgpr_workgroup_id_x 1
		.amdhsa_system_sgpr_workgroup_id_y 0
		.amdhsa_system_sgpr_workgroup_id_z 0
		.amdhsa_system_sgpr_workgroup_info 0
		.amdhsa_system_vgpr_workitem_id 0
		.amdhsa_next_free_vgpr 1
		.amdhsa_next_free_sgpr 1
		.amdhsa_reserve_vcc 0
		.amdhsa_float_round_mode_32 0
		.amdhsa_float_round_mode_16_64 0
		.amdhsa_float_denorm_mode_32 3
		.amdhsa_float_denorm_mode_16_64 3
		.amdhsa_fp16_overflow 0
		.amdhsa_workgroup_processor_mode 1
		.amdhsa_memory_ordered 1
		.amdhsa_forward_progress 1
		.amdhsa_inst_pref_size 0
		.amdhsa_round_robin_scheduling 0
		.amdhsa_exception_fp_ieee_invalid_op 0
		.amdhsa_exception_fp_denorm_src 0
		.amdhsa_exception_fp_ieee_div_zero 0
		.amdhsa_exception_fp_ieee_overflow 0
		.amdhsa_exception_fp_ieee_underflow 0
		.amdhsa_exception_fp_ieee_inexact 0
		.amdhsa_exception_int_div_zero 0
	.end_amdhsa_kernel
	.section	.text._ZN7rocprim17ROCPRIM_400000_NS6detail17trampoline_kernelINS0_14default_configENS1_20scan_config_selectorIN3c107complexIdEEEEZZNS1_9scan_implILNS1_25lookback_scan_determinismE0ELb0ELb0ES3_PKS7_PS7_S7_ZZZN2at6native31launch_logcumsumexp_cuda_kernelERKNSE_10TensorBaseESI_lENKUlvE_clEvENKUlvE1_clEvEUlS7_S7_E_S7_EEDaPvRmT3_T4_T5_mT6_P12ihipStream_tbENKUlT_T0_E_clISt17integral_constantIbLb1EESY_IbLb0EEEEDaSU_SV_EUlSU_E_NS1_11comp_targetILNS1_3genE0ELNS1_11target_archE4294967295ELNS1_3gpuE0ELNS1_3repE0EEENS1_30default_config_static_selectorELNS0_4arch9wavefront6targetE0EEEvT1_,"axG",@progbits,_ZN7rocprim17ROCPRIM_400000_NS6detail17trampoline_kernelINS0_14default_configENS1_20scan_config_selectorIN3c107complexIdEEEEZZNS1_9scan_implILNS1_25lookback_scan_determinismE0ELb0ELb0ES3_PKS7_PS7_S7_ZZZN2at6native31launch_logcumsumexp_cuda_kernelERKNSE_10TensorBaseESI_lENKUlvE_clEvENKUlvE1_clEvEUlS7_S7_E_S7_EEDaPvRmT3_T4_T5_mT6_P12ihipStream_tbENKUlT_T0_E_clISt17integral_constantIbLb1EESY_IbLb0EEEEDaSU_SV_EUlSU_E_NS1_11comp_targetILNS1_3genE0ELNS1_11target_archE4294967295ELNS1_3gpuE0ELNS1_3repE0EEENS1_30default_config_static_selectorELNS0_4arch9wavefront6targetE0EEEvT1_,comdat
.Lfunc_end222:
	.size	_ZN7rocprim17ROCPRIM_400000_NS6detail17trampoline_kernelINS0_14default_configENS1_20scan_config_selectorIN3c107complexIdEEEEZZNS1_9scan_implILNS1_25lookback_scan_determinismE0ELb0ELb0ES3_PKS7_PS7_S7_ZZZN2at6native31launch_logcumsumexp_cuda_kernelERKNSE_10TensorBaseESI_lENKUlvE_clEvENKUlvE1_clEvEUlS7_S7_E_S7_EEDaPvRmT3_T4_T5_mT6_P12ihipStream_tbENKUlT_T0_E_clISt17integral_constantIbLb1EESY_IbLb0EEEEDaSU_SV_EUlSU_E_NS1_11comp_targetILNS1_3genE0ELNS1_11target_archE4294967295ELNS1_3gpuE0ELNS1_3repE0EEENS1_30default_config_static_selectorELNS0_4arch9wavefront6targetE0EEEvT1_, .Lfunc_end222-_ZN7rocprim17ROCPRIM_400000_NS6detail17trampoline_kernelINS0_14default_configENS1_20scan_config_selectorIN3c107complexIdEEEEZZNS1_9scan_implILNS1_25lookback_scan_determinismE0ELb0ELb0ES3_PKS7_PS7_S7_ZZZN2at6native31launch_logcumsumexp_cuda_kernelERKNSE_10TensorBaseESI_lENKUlvE_clEvENKUlvE1_clEvEUlS7_S7_E_S7_EEDaPvRmT3_T4_T5_mT6_P12ihipStream_tbENKUlT_T0_E_clISt17integral_constantIbLb1EESY_IbLb0EEEEDaSU_SV_EUlSU_E_NS1_11comp_targetILNS1_3genE0ELNS1_11target_archE4294967295ELNS1_3gpuE0ELNS1_3repE0EEENS1_30default_config_static_selectorELNS0_4arch9wavefront6targetE0EEEvT1_
                                        ; -- End function
	.set _ZN7rocprim17ROCPRIM_400000_NS6detail17trampoline_kernelINS0_14default_configENS1_20scan_config_selectorIN3c107complexIdEEEEZZNS1_9scan_implILNS1_25lookback_scan_determinismE0ELb0ELb0ES3_PKS7_PS7_S7_ZZZN2at6native31launch_logcumsumexp_cuda_kernelERKNSE_10TensorBaseESI_lENKUlvE_clEvENKUlvE1_clEvEUlS7_S7_E_S7_EEDaPvRmT3_T4_T5_mT6_P12ihipStream_tbENKUlT_T0_E_clISt17integral_constantIbLb1EESY_IbLb0EEEEDaSU_SV_EUlSU_E_NS1_11comp_targetILNS1_3genE0ELNS1_11target_archE4294967295ELNS1_3gpuE0ELNS1_3repE0EEENS1_30default_config_static_selectorELNS0_4arch9wavefront6targetE0EEEvT1_.num_vgpr, 0
	.set _ZN7rocprim17ROCPRIM_400000_NS6detail17trampoline_kernelINS0_14default_configENS1_20scan_config_selectorIN3c107complexIdEEEEZZNS1_9scan_implILNS1_25lookback_scan_determinismE0ELb0ELb0ES3_PKS7_PS7_S7_ZZZN2at6native31launch_logcumsumexp_cuda_kernelERKNSE_10TensorBaseESI_lENKUlvE_clEvENKUlvE1_clEvEUlS7_S7_E_S7_EEDaPvRmT3_T4_T5_mT6_P12ihipStream_tbENKUlT_T0_E_clISt17integral_constantIbLb1EESY_IbLb0EEEEDaSU_SV_EUlSU_E_NS1_11comp_targetILNS1_3genE0ELNS1_11target_archE4294967295ELNS1_3gpuE0ELNS1_3repE0EEENS1_30default_config_static_selectorELNS0_4arch9wavefront6targetE0EEEvT1_.num_agpr, 0
	.set _ZN7rocprim17ROCPRIM_400000_NS6detail17trampoline_kernelINS0_14default_configENS1_20scan_config_selectorIN3c107complexIdEEEEZZNS1_9scan_implILNS1_25lookback_scan_determinismE0ELb0ELb0ES3_PKS7_PS7_S7_ZZZN2at6native31launch_logcumsumexp_cuda_kernelERKNSE_10TensorBaseESI_lENKUlvE_clEvENKUlvE1_clEvEUlS7_S7_E_S7_EEDaPvRmT3_T4_T5_mT6_P12ihipStream_tbENKUlT_T0_E_clISt17integral_constantIbLb1EESY_IbLb0EEEEDaSU_SV_EUlSU_E_NS1_11comp_targetILNS1_3genE0ELNS1_11target_archE4294967295ELNS1_3gpuE0ELNS1_3repE0EEENS1_30default_config_static_selectorELNS0_4arch9wavefront6targetE0EEEvT1_.numbered_sgpr, 0
	.set _ZN7rocprim17ROCPRIM_400000_NS6detail17trampoline_kernelINS0_14default_configENS1_20scan_config_selectorIN3c107complexIdEEEEZZNS1_9scan_implILNS1_25lookback_scan_determinismE0ELb0ELb0ES3_PKS7_PS7_S7_ZZZN2at6native31launch_logcumsumexp_cuda_kernelERKNSE_10TensorBaseESI_lENKUlvE_clEvENKUlvE1_clEvEUlS7_S7_E_S7_EEDaPvRmT3_T4_T5_mT6_P12ihipStream_tbENKUlT_T0_E_clISt17integral_constantIbLb1EESY_IbLb0EEEEDaSU_SV_EUlSU_E_NS1_11comp_targetILNS1_3genE0ELNS1_11target_archE4294967295ELNS1_3gpuE0ELNS1_3repE0EEENS1_30default_config_static_selectorELNS0_4arch9wavefront6targetE0EEEvT1_.num_named_barrier, 0
	.set _ZN7rocprim17ROCPRIM_400000_NS6detail17trampoline_kernelINS0_14default_configENS1_20scan_config_selectorIN3c107complexIdEEEEZZNS1_9scan_implILNS1_25lookback_scan_determinismE0ELb0ELb0ES3_PKS7_PS7_S7_ZZZN2at6native31launch_logcumsumexp_cuda_kernelERKNSE_10TensorBaseESI_lENKUlvE_clEvENKUlvE1_clEvEUlS7_S7_E_S7_EEDaPvRmT3_T4_T5_mT6_P12ihipStream_tbENKUlT_T0_E_clISt17integral_constantIbLb1EESY_IbLb0EEEEDaSU_SV_EUlSU_E_NS1_11comp_targetILNS1_3genE0ELNS1_11target_archE4294967295ELNS1_3gpuE0ELNS1_3repE0EEENS1_30default_config_static_selectorELNS0_4arch9wavefront6targetE0EEEvT1_.private_seg_size, 0
	.set _ZN7rocprim17ROCPRIM_400000_NS6detail17trampoline_kernelINS0_14default_configENS1_20scan_config_selectorIN3c107complexIdEEEEZZNS1_9scan_implILNS1_25lookback_scan_determinismE0ELb0ELb0ES3_PKS7_PS7_S7_ZZZN2at6native31launch_logcumsumexp_cuda_kernelERKNSE_10TensorBaseESI_lENKUlvE_clEvENKUlvE1_clEvEUlS7_S7_E_S7_EEDaPvRmT3_T4_T5_mT6_P12ihipStream_tbENKUlT_T0_E_clISt17integral_constantIbLb1EESY_IbLb0EEEEDaSU_SV_EUlSU_E_NS1_11comp_targetILNS1_3genE0ELNS1_11target_archE4294967295ELNS1_3gpuE0ELNS1_3repE0EEENS1_30default_config_static_selectorELNS0_4arch9wavefront6targetE0EEEvT1_.uses_vcc, 0
	.set _ZN7rocprim17ROCPRIM_400000_NS6detail17trampoline_kernelINS0_14default_configENS1_20scan_config_selectorIN3c107complexIdEEEEZZNS1_9scan_implILNS1_25lookback_scan_determinismE0ELb0ELb0ES3_PKS7_PS7_S7_ZZZN2at6native31launch_logcumsumexp_cuda_kernelERKNSE_10TensorBaseESI_lENKUlvE_clEvENKUlvE1_clEvEUlS7_S7_E_S7_EEDaPvRmT3_T4_T5_mT6_P12ihipStream_tbENKUlT_T0_E_clISt17integral_constantIbLb1EESY_IbLb0EEEEDaSU_SV_EUlSU_E_NS1_11comp_targetILNS1_3genE0ELNS1_11target_archE4294967295ELNS1_3gpuE0ELNS1_3repE0EEENS1_30default_config_static_selectorELNS0_4arch9wavefront6targetE0EEEvT1_.uses_flat_scratch, 0
	.set _ZN7rocprim17ROCPRIM_400000_NS6detail17trampoline_kernelINS0_14default_configENS1_20scan_config_selectorIN3c107complexIdEEEEZZNS1_9scan_implILNS1_25lookback_scan_determinismE0ELb0ELb0ES3_PKS7_PS7_S7_ZZZN2at6native31launch_logcumsumexp_cuda_kernelERKNSE_10TensorBaseESI_lENKUlvE_clEvENKUlvE1_clEvEUlS7_S7_E_S7_EEDaPvRmT3_T4_T5_mT6_P12ihipStream_tbENKUlT_T0_E_clISt17integral_constantIbLb1EESY_IbLb0EEEEDaSU_SV_EUlSU_E_NS1_11comp_targetILNS1_3genE0ELNS1_11target_archE4294967295ELNS1_3gpuE0ELNS1_3repE0EEENS1_30default_config_static_selectorELNS0_4arch9wavefront6targetE0EEEvT1_.has_dyn_sized_stack, 0
	.set _ZN7rocprim17ROCPRIM_400000_NS6detail17trampoline_kernelINS0_14default_configENS1_20scan_config_selectorIN3c107complexIdEEEEZZNS1_9scan_implILNS1_25lookback_scan_determinismE0ELb0ELb0ES3_PKS7_PS7_S7_ZZZN2at6native31launch_logcumsumexp_cuda_kernelERKNSE_10TensorBaseESI_lENKUlvE_clEvENKUlvE1_clEvEUlS7_S7_E_S7_EEDaPvRmT3_T4_T5_mT6_P12ihipStream_tbENKUlT_T0_E_clISt17integral_constantIbLb1EESY_IbLb0EEEEDaSU_SV_EUlSU_E_NS1_11comp_targetILNS1_3genE0ELNS1_11target_archE4294967295ELNS1_3gpuE0ELNS1_3repE0EEENS1_30default_config_static_selectorELNS0_4arch9wavefront6targetE0EEEvT1_.has_recursion, 0
	.set _ZN7rocprim17ROCPRIM_400000_NS6detail17trampoline_kernelINS0_14default_configENS1_20scan_config_selectorIN3c107complexIdEEEEZZNS1_9scan_implILNS1_25lookback_scan_determinismE0ELb0ELb0ES3_PKS7_PS7_S7_ZZZN2at6native31launch_logcumsumexp_cuda_kernelERKNSE_10TensorBaseESI_lENKUlvE_clEvENKUlvE1_clEvEUlS7_S7_E_S7_EEDaPvRmT3_T4_T5_mT6_P12ihipStream_tbENKUlT_T0_E_clISt17integral_constantIbLb1EESY_IbLb0EEEEDaSU_SV_EUlSU_E_NS1_11comp_targetILNS1_3genE0ELNS1_11target_archE4294967295ELNS1_3gpuE0ELNS1_3repE0EEENS1_30default_config_static_selectorELNS0_4arch9wavefront6targetE0EEEvT1_.has_indirect_call, 0
	.section	.AMDGPU.csdata,"",@progbits
; Kernel info:
; codeLenInByte = 0
; TotalNumSgprs: 0
; NumVgprs: 0
; ScratchSize: 0
; MemoryBound: 0
; FloatMode: 240
; IeeeMode: 1
; LDSByteSize: 0 bytes/workgroup (compile time only)
; SGPRBlocks: 0
; VGPRBlocks: 0
; NumSGPRsForWavesPerEU: 1
; NumVGPRsForWavesPerEU: 1
; Occupancy: 16
; WaveLimiterHint : 0
; COMPUTE_PGM_RSRC2:SCRATCH_EN: 0
; COMPUTE_PGM_RSRC2:USER_SGPR: 2
; COMPUTE_PGM_RSRC2:TRAP_HANDLER: 0
; COMPUTE_PGM_RSRC2:TGID_X_EN: 1
; COMPUTE_PGM_RSRC2:TGID_Y_EN: 0
; COMPUTE_PGM_RSRC2:TGID_Z_EN: 0
; COMPUTE_PGM_RSRC2:TIDIG_COMP_CNT: 0
	.section	.text._ZN7rocprim17ROCPRIM_400000_NS6detail17trampoline_kernelINS0_14default_configENS1_20scan_config_selectorIN3c107complexIdEEEEZZNS1_9scan_implILNS1_25lookback_scan_determinismE0ELb0ELb0ES3_PKS7_PS7_S7_ZZZN2at6native31launch_logcumsumexp_cuda_kernelERKNSE_10TensorBaseESI_lENKUlvE_clEvENKUlvE1_clEvEUlS7_S7_E_S7_EEDaPvRmT3_T4_T5_mT6_P12ihipStream_tbENKUlT_T0_E_clISt17integral_constantIbLb1EESY_IbLb0EEEEDaSU_SV_EUlSU_E_NS1_11comp_targetILNS1_3genE5ELNS1_11target_archE942ELNS1_3gpuE9ELNS1_3repE0EEENS1_30default_config_static_selectorELNS0_4arch9wavefront6targetE0EEEvT1_,"axG",@progbits,_ZN7rocprim17ROCPRIM_400000_NS6detail17trampoline_kernelINS0_14default_configENS1_20scan_config_selectorIN3c107complexIdEEEEZZNS1_9scan_implILNS1_25lookback_scan_determinismE0ELb0ELb0ES3_PKS7_PS7_S7_ZZZN2at6native31launch_logcumsumexp_cuda_kernelERKNSE_10TensorBaseESI_lENKUlvE_clEvENKUlvE1_clEvEUlS7_S7_E_S7_EEDaPvRmT3_T4_T5_mT6_P12ihipStream_tbENKUlT_T0_E_clISt17integral_constantIbLb1EESY_IbLb0EEEEDaSU_SV_EUlSU_E_NS1_11comp_targetILNS1_3genE5ELNS1_11target_archE942ELNS1_3gpuE9ELNS1_3repE0EEENS1_30default_config_static_selectorELNS0_4arch9wavefront6targetE0EEEvT1_,comdat
	.globl	_ZN7rocprim17ROCPRIM_400000_NS6detail17trampoline_kernelINS0_14default_configENS1_20scan_config_selectorIN3c107complexIdEEEEZZNS1_9scan_implILNS1_25lookback_scan_determinismE0ELb0ELb0ES3_PKS7_PS7_S7_ZZZN2at6native31launch_logcumsumexp_cuda_kernelERKNSE_10TensorBaseESI_lENKUlvE_clEvENKUlvE1_clEvEUlS7_S7_E_S7_EEDaPvRmT3_T4_T5_mT6_P12ihipStream_tbENKUlT_T0_E_clISt17integral_constantIbLb1EESY_IbLb0EEEEDaSU_SV_EUlSU_E_NS1_11comp_targetILNS1_3genE5ELNS1_11target_archE942ELNS1_3gpuE9ELNS1_3repE0EEENS1_30default_config_static_selectorELNS0_4arch9wavefront6targetE0EEEvT1_ ; -- Begin function _ZN7rocprim17ROCPRIM_400000_NS6detail17trampoline_kernelINS0_14default_configENS1_20scan_config_selectorIN3c107complexIdEEEEZZNS1_9scan_implILNS1_25lookback_scan_determinismE0ELb0ELb0ES3_PKS7_PS7_S7_ZZZN2at6native31launch_logcumsumexp_cuda_kernelERKNSE_10TensorBaseESI_lENKUlvE_clEvENKUlvE1_clEvEUlS7_S7_E_S7_EEDaPvRmT3_T4_T5_mT6_P12ihipStream_tbENKUlT_T0_E_clISt17integral_constantIbLb1EESY_IbLb0EEEEDaSU_SV_EUlSU_E_NS1_11comp_targetILNS1_3genE5ELNS1_11target_archE942ELNS1_3gpuE9ELNS1_3repE0EEENS1_30default_config_static_selectorELNS0_4arch9wavefront6targetE0EEEvT1_
	.p2align	8
	.type	_ZN7rocprim17ROCPRIM_400000_NS6detail17trampoline_kernelINS0_14default_configENS1_20scan_config_selectorIN3c107complexIdEEEEZZNS1_9scan_implILNS1_25lookback_scan_determinismE0ELb0ELb0ES3_PKS7_PS7_S7_ZZZN2at6native31launch_logcumsumexp_cuda_kernelERKNSE_10TensorBaseESI_lENKUlvE_clEvENKUlvE1_clEvEUlS7_S7_E_S7_EEDaPvRmT3_T4_T5_mT6_P12ihipStream_tbENKUlT_T0_E_clISt17integral_constantIbLb1EESY_IbLb0EEEEDaSU_SV_EUlSU_E_NS1_11comp_targetILNS1_3genE5ELNS1_11target_archE942ELNS1_3gpuE9ELNS1_3repE0EEENS1_30default_config_static_selectorELNS0_4arch9wavefront6targetE0EEEvT1_,@function
_ZN7rocprim17ROCPRIM_400000_NS6detail17trampoline_kernelINS0_14default_configENS1_20scan_config_selectorIN3c107complexIdEEEEZZNS1_9scan_implILNS1_25lookback_scan_determinismE0ELb0ELb0ES3_PKS7_PS7_S7_ZZZN2at6native31launch_logcumsumexp_cuda_kernelERKNSE_10TensorBaseESI_lENKUlvE_clEvENKUlvE1_clEvEUlS7_S7_E_S7_EEDaPvRmT3_T4_T5_mT6_P12ihipStream_tbENKUlT_T0_E_clISt17integral_constantIbLb1EESY_IbLb0EEEEDaSU_SV_EUlSU_E_NS1_11comp_targetILNS1_3genE5ELNS1_11target_archE942ELNS1_3gpuE9ELNS1_3repE0EEENS1_30default_config_static_selectorELNS0_4arch9wavefront6targetE0EEEvT1_: ; @_ZN7rocprim17ROCPRIM_400000_NS6detail17trampoline_kernelINS0_14default_configENS1_20scan_config_selectorIN3c107complexIdEEEEZZNS1_9scan_implILNS1_25lookback_scan_determinismE0ELb0ELb0ES3_PKS7_PS7_S7_ZZZN2at6native31launch_logcumsumexp_cuda_kernelERKNSE_10TensorBaseESI_lENKUlvE_clEvENKUlvE1_clEvEUlS7_S7_E_S7_EEDaPvRmT3_T4_T5_mT6_P12ihipStream_tbENKUlT_T0_E_clISt17integral_constantIbLb1EESY_IbLb0EEEEDaSU_SV_EUlSU_E_NS1_11comp_targetILNS1_3genE5ELNS1_11target_archE942ELNS1_3gpuE9ELNS1_3repE0EEENS1_30default_config_static_selectorELNS0_4arch9wavefront6targetE0EEEvT1_
; %bb.0:
	.section	.rodata,"a",@progbits
	.p2align	6, 0x0
	.amdhsa_kernel _ZN7rocprim17ROCPRIM_400000_NS6detail17trampoline_kernelINS0_14default_configENS1_20scan_config_selectorIN3c107complexIdEEEEZZNS1_9scan_implILNS1_25lookback_scan_determinismE0ELb0ELb0ES3_PKS7_PS7_S7_ZZZN2at6native31launch_logcumsumexp_cuda_kernelERKNSE_10TensorBaseESI_lENKUlvE_clEvENKUlvE1_clEvEUlS7_S7_E_S7_EEDaPvRmT3_T4_T5_mT6_P12ihipStream_tbENKUlT_T0_E_clISt17integral_constantIbLb1EESY_IbLb0EEEEDaSU_SV_EUlSU_E_NS1_11comp_targetILNS1_3genE5ELNS1_11target_archE942ELNS1_3gpuE9ELNS1_3repE0EEENS1_30default_config_static_selectorELNS0_4arch9wavefront6targetE0EEEvT1_
		.amdhsa_group_segment_fixed_size 0
		.amdhsa_private_segment_fixed_size 0
		.amdhsa_kernarg_size 128
		.amdhsa_user_sgpr_count 2
		.amdhsa_user_sgpr_dispatch_ptr 0
		.amdhsa_user_sgpr_queue_ptr 0
		.amdhsa_user_sgpr_kernarg_segment_ptr 1
		.amdhsa_user_sgpr_dispatch_id 0
		.amdhsa_user_sgpr_private_segment_size 0
		.amdhsa_wavefront_size32 1
		.amdhsa_uses_dynamic_stack 0
		.amdhsa_enable_private_segment 0
		.amdhsa_system_sgpr_workgroup_id_x 1
		.amdhsa_system_sgpr_workgroup_id_y 0
		.amdhsa_system_sgpr_workgroup_id_z 0
		.amdhsa_system_sgpr_workgroup_info 0
		.amdhsa_system_vgpr_workitem_id 0
		.amdhsa_next_free_vgpr 1
		.amdhsa_next_free_sgpr 1
		.amdhsa_reserve_vcc 0
		.amdhsa_float_round_mode_32 0
		.amdhsa_float_round_mode_16_64 0
		.amdhsa_float_denorm_mode_32 3
		.amdhsa_float_denorm_mode_16_64 3
		.amdhsa_fp16_overflow 0
		.amdhsa_workgroup_processor_mode 1
		.amdhsa_memory_ordered 1
		.amdhsa_forward_progress 1
		.amdhsa_inst_pref_size 0
		.amdhsa_round_robin_scheduling 0
		.amdhsa_exception_fp_ieee_invalid_op 0
		.amdhsa_exception_fp_denorm_src 0
		.amdhsa_exception_fp_ieee_div_zero 0
		.amdhsa_exception_fp_ieee_overflow 0
		.amdhsa_exception_fp_ieee_underflow 0
		.amdhsa_exception_fp_ieee_inexact 0
		.amdhsa_exception_int_div_zero 0
	.end_amdhsa_kernel
	.section	.text._ZN7rocprim17ROCPRIM_400000_NS6detail17trampoline_kernelINS0_14default_configENS1_20scan_config_selectorIN3c107complexIdEEEEZZNS1_9scan_implILNS1_25lookback_scan_determinismE0ELb0ELb0ES3_PKS7_PS7_S7_ZZZN2at6native31launch_logcumsumexp_cuda_kernelERKNSE_10TensorBaseESI_lENKUlvE_clEvENKUlvE1_clEvEUlS7_S7_E_S7_EEDaPvRmT3_T4_T5_mT6_P12ihipStream_tbENKUlT_T0_E_clISt17integral_constantIbLb1EESY_IbLb0EEEEDaSU_SV_EUlSU_E_NS1_11comp_targetILNS1_3genE5ELNS1_11target_archE942ELNS1_3gpuE9ELNS1_3repE0EEENS1_30default_config_static_selectorELNS0_4arch9wavefront6targetE0EEEvT1_,"axG",@progbits,_ZN7rocprim17ROCPRIM_400000_NS6detail17trampoline_kernelINS0_14default_configENS1_20scan_config_selectorIN3c107complexIdEEEEZZNS1_9scan_implILNS1_25lookback_scan_determinismE0ELb0ELb0ES3_PKS7_PS7_S7_ZZZN2at6native31launch_logcumsumexp_cuda_kernelERKNSE_10TensorBaseESI_lENKUlvE_clEvENKUlvE1_clEvEUlS7_S7_E_S7_EEDaPvRmT3_T4_T5_mT6_P12ihipStream_tbENKUlT_T0_E_clISt17integral_constantIbLb1EESY_IbLb0EEEEDaSU_SV_EUlSU_E_NS1_11comp_targetILNS1_3genE5ELNS1_11target_archE942ELNS1_3gpuE9ELNS1_3repE0EEENS1_30default_config_static_selectorELNS0_4arch9wavefront6targetE0EEEvT1_,comdat
.Lfunc_end223:
	.size	_ZN7rocprim17ROCPRIM_400000_NS6detail17trampoline_kernelINS0_14default_configENS1_20scan_config_selectorIN3c107complexIdEEEEZZNS1_9scan_implILNS1_25lookback_scan_determinismE0ELb0ELb0ES3_PKS7_PS7_S7_ZZZN2at6native31launch_logcumsumexp_cuda_kernelERKNSE_10TensorBaseESI_lENKUlvE_clEvENKUlvE1_clEvEUlS7_S7_E_S7_EEDaPvRmT3_T4_T5_mT6_P12ihipStream_tbENKUlT_T0_E_clISt17integral_constantIbLb1EESY_IbLb0EEEEDaSU_SV_EUlSU_E_NS1_11comp_targetILNS1_3genE5ELNS1_11target_archE942ELNS1_3gpuE9ELNS1_3repE0EEENS1_30default_config_static_selectorELNS0_4arch9wavefront6targetE0EEEvT1_, .Lfunc_end223-_ZN7rocprim17ROCPRIM_400000_NS6detail17trampoline_kernelINS0_14default_configENS1_20scan_config_selectorIN3c107complexIdEEEEZZNS1_9scan_implILNS1_25lookback_scan_determinismE0ELb0ELb0ES3_PKS7_PS7_S7_ZZZN2at6native31launch_logcumsumexp_cuda_kernelERKNSE_10TensorBaseESI_lENKUlvE_clEvENKUlvE1_clEvEUlS7_S7_E_S7_EEDaPvRmT3_T4_T5_mT6_P12ihipStream_tbENKUlT_T0_E_clISt17integral_constantIbLb1EESY_IbLb0EEEEDaSU_SV_EUlSU_E_NS1_11comp_targetILNS1_3genE5ELNS1_11target_archE942ELNS1_3gpuE9ELNS1_3repE0EEENS1_30default_config_static_selectorELNS0_4arch9wavefront6targetE0EEEvT1_
                                        ; -- End function
	.set _ZN7rocprim17ROCPRIM_400000_NS6detail17trampoline_kernelINS0_14default_configENS1_20scan_config_selectorIN3c107complexIdEEEEZZNS1_9scan_implILNS1_25lookback_scan_determinismE0ELb0ELb0ES3_PKS7_PS7_S7_ZZZN2at6native31launch_logcumsumexp_cuda_kernelERKNSE_10TensorBaseESI_lENKUlvE_clEvENKUlvE1_clEvEUlS7_S7_E_S7_EEDaPvRmT3_T4_T5_mT6_P12ihipStream_tbENKUlT_T0_E_clISt17integral_constantIbLb1EESY_IbLb0EEEEDaSU_SV_EUlSU_E_NS1_11comp_targetILNS1_3genE5ELNS1_11target_archE942ELNS1_3gpuE9ELNS1_3repE0EEENS1_30default_config_static_selectorELNS0_4arch9wavefront6targetE0EEEvT1_.num_vgpr, 0
	.set _ZN7rocprim17ROCPRIM_400000_NS6detail17trampoline_kernelINS0_14default_configENS1_20scan_config_selectorIN3c107complexIdEEEEZZNS1_9scan_implILNS1_25lookback_scan_determinismE0ELb0ELb0ES3_PKS7_PS7_S7_ZZZN2at6native31launch_logcumsumexp_cuda_kernelERKNSE_10TensorBaseESI_lENKUlvE_clEvENKUlvE1_clEvEUlS7_S7_E_S7_EEDaPvRmT3_T4_T5_mT6_P12ihipStream_tbENKUlT_T0_E_clISt17integral_constantIbLb1EESY_IbLb0EEEEDaSU_SV_EUlSU_E_NS1_11comp_targetILNS1_3genE5ELNS1_11target_archE942ELNS1_3gpuE9ELNS1_3repE0EEENS1_30default_config_static_selectorELNS0_4arch9wavefront6targetE0EEEvT1_.num_agpr, 0
	.set _ZN7rocprim17ROCPRIM_400000_NS6detail17trampoline_kernelINS0_14default_configENS1_20scan_config_selectorIN3c107complexIdEEEEZZNS1_9scan_implILNS1_25lookback_scan_determinismE0ELb0ELb0ES3_PKS7_PS7_S7_ZZZN2at6native31launch_logcumsumexp_cuda_kernelERKNSE_10TensorBaseESI_lENKUlvE_clEvENKUlvE1_clEvEUlS7_S7_E_S7_EEDaPvRmT3_T4_T5_mT6_P12ihipStream_tbENKUlT_T0_E_clISt17integral_constantIbLb1EESY_IbLb0EEEEDaSU_SV_EUlSU_E_NS1_11comp_targetILNS1_3genE5ELNS1_11target_archE942ELNS1_3gpuE9ELNS1_3repE0EEENS1_30default_config_static_selectorELNS0_4arch9wavefront6targetE0EEEvT1_.numbered_sgpr, 0
	.set _ZN7rocprim17ROCPRIM_400000_NS6detail17trampoline_kernelINS0_14default_configENS1_20scan_config_selectorIN3c107complexIdEEEEZZNS1_9scan_implILNS1_25lookback_scan_determinismE0ELb0ELb0ES3_PKS7_PS7_S7_ZZZN2at6native31launch_logcumsumexp_cuda_kernelERKNSE_10TensorBaseESI_lENKUlvE_clEvENKUlvE1_clEvEUlS7_S7_E_S7_EEDaPvRmT3_T4_T5_mT6_P12ihipStream_tbENKUlT_T0_E_clISt17integral_constantIbLb1EESY_IbLb0EEEEDaSU_SV_EUlSU_E_NS1_11comp_targetILNS1_3genE5ELNS1_11target_archE942ELNS1_3gpuE9ELNS1_3repE0EEENS1_30default_config_static_selectorELNS0_4arch9wavefront6targetE0EEEvT1_.num_named_barrier, 0
	.set _ZN7rocprim17ROCPRIM_400000_NS6detail17trampoline_kernelINS0_14default_configENS1_20scan_config_selectorIN3c107complexIdEEEEZZNS1_9scan_implILNS1_25lookback_scan_determinismE0ELb0ELb0ES3_PKS7_PS7_S7_ZZZN2at6native31launch_logcumsumexp_cuda_kernelERKNSE_10TensorBaseESI_lENKUlvE_clEvENKUlvE1_clEvEUlS7_S7_E_S7_EEDaPvRmT3_T4_T5_mT6_P12ihipStream_tbENKUlT_T0_E_clISt17integral_constantIbLb1EESY_IbLb0EEEEDaSU_SV_EUlSU_E_NS1_11comp_targetILNS1_3genE5ELNS1_11target_archE942ELNS1_3gpuE9ELNS1_3repE0EEENS1_30default_config_static_selectorELNS0_4arch9wavefront6targetE0EEEvT1_.private_seg_size, 0
	.set _ZN7rocprim17ROCPRIM_400000_NS6detail17trampoline_kernelINS0_14default_configENS1_20scan_config_selectorIN3c107complexIdEEEEZZNS1_9scan_implILNS1_25lookback_scan_determinismE0ELb0ELb0ES3_PKS7_PS7_S7_ZZZN2at6native31launch_logcumsumexp_cuda_kernelERKNSE_10TensorBaseESI_lENKUlvE_clEvENKUlvE1_clEvEUlS7_S7_E_S7_EEDaPvRmT3_T4_T5_mT6_P12ihipStream_tbENKUlT_T0_E_clISt17integral_constantIbLb1EESY_IbLb0EEEEDaSU_SV_EUlSU_E_NS1_11comp_targetILNS1_3genE5ELNS1_11target_archE942ELNS1_3gpuE9ELNS1_3repE0EEENS1_30default_config_static_selectorELNS0_4arch9wavefront6targetE0EEEvT1_.uses_vcc, 0
	.set _ZN7rocprim17ROCPRIM_400000_NS6detail17trampoline_kernelINS0_14default_configENS1_20scan_config_selectorIN3c107complexIdEEEEZZNS1_9scan_implILNS1_25lookback_scan_determinismE0ELb0ELb0ES3_PKS7_PS7_S7_ZZZN2at6native31launch_logcumsumexp_cuda_kernelERKNSE_10TensorBaseESI_lENKUlvE_clEvENKUlvE1_clEvEUlS7_S7_E_S7_EEDaPvRmT3_T4_T5_mT6_P12ihipStream_tbENKUlT_T0_E_clISt17integral_constantIbLb1EESY_IbLb0EEEEDaSU_SV_EUlSU_E_NS1_11comp_targetILNS1_3genE5ELNS1_11target_archE942ELNS1_3gpuE9ELNS1_3repE0EEENS1_30default_config_static_selectorELNS0_4arch9wavefront6targetE0EEEvT1_.uses_flat_scratch, 0
	.set _ZN7rocprim17ROCPRIM_400000_NS6detail17trampoline_kernelINS0_14default_configENS1_20scan_config_selectorIN3c107complexIdEEEEZZNS1_9scan_implILNS1_25lookback_scan_determinismE0ELb0ELb0ES3_PKS7_PS7_S7_ZZZN2at6native31launch_logcumsumexp_cuda_kernelERKNSE_10TensorBaseESI_lENKUlvE_clEvENKUlvE1_clEvEUlS7_S7_E_S7_EEDaPvRmT3_T4_T5_mT6_P12ihipStream_tbENKUlT_T0_E_clISt17integral_constantIbLb1EESY_IbLb0EEEEDaSU_SV_EUlSU_E_NS1_11comp_targetILNS1_3genE5ELNS1_11target_archE942ELNS1_3gpuE9ELNS1_3repE0EEENS1_30default_config_static_selectorELNS0_4arch9wavefront6targetE0EEEvT1_.has_dyn_sized_stack, 0
	.set _ZN7rocprim17ROCPRIM_400000_NS6detail17trampoline_kernelINS0_14default_configENS1_20scan_config_selectorIN3c107complexIdEEEEZZNS1_9scan_implILNS1_25lookback_scan_determinismE0ELb0ELb0ES3_PKS7_PS7_S7_ZZZN2at6native31launch_logcumsumexp_cuda_kernelERKNSE_10TensorBaseESI_lENKUlvE_clEvENKUlvE1_clEvEUlS7_S7_E_S7_EEDaPvRmT3_T4_T5_mT6_P12ihipStream_tbENKUlT_T0_E_clISt17integral_constantIbLb1EESY_IbLb0EEEEDaSU_SV_EUlSU_E_NS1_11comp_targetILNS1_3genE5ELNS1_11target_archE942ELNS1_3gpuE9ELNS1_3repE0EEENS1_30default_config_static_selectorELNS0_4arch9wavefront6targetE0EEEvT1_.has_recursion, 0
	.set _ZN7rocprim17ROCPRIM_400000_NS6detail17trampoline_kernelINS0_14default_configENS1_20scan_config_selectorIN3c107complexIdEEEEZZNS1_9scan_implILNS1_25lookback_scan_determinismE0ELb0ELb0ES3_PKS7_PS7_S7_ZZZN2at6native31launch_logcumsumexp_cuda_kernelERKNSE_10TensorBaseESI_lENKUlvE_clEvENKUlvE1_clEvEUlS7_S7_E_S7_EEDaPvRmT3_T4_T5_mT6_P12ihipStream_tbENKUlT_T0_E_clISt17integral_constantIbLb1EESY_IbLb0EEEEDaSU_SV_EUlSU_E_NS1_11comp_targetILNS1_3genE5ELNS1_11target_archE942ELNS1_3gpuE9ELNS1_3repE0EEENS1_30default_config_static_selectorELNS0_4arch9wavefront6targetE0EEEvT1_.has_indirect_call, 0
	.section	.AMDGPU.csdata,"",@progbits
; Kernel info:
; codeLenInByte = 0
; TotalNumSgprs: 0
; NumVgprs: 0
; ScratchSize: 0
; MemoryBound: 0
; FloatMode: 240
; IeeeMode: 1
; LDSByteSize: 0 bytes/workgroup (compile time only)
; SGPRBlocks: 0
; VGPRBlocks: 0
; NumSGPRsForWavesPerEU: 1
; NumVGPRsForWavesPerEU: 1
; Occupancy: 16
; WaveLimiterHint : 0
; COMPUTE_PGM_RSRC2:SCRATCH_EN: 0
; COMPUTE_PGM_RSRC2:USER_SGPR: 2
; COMPUTE_PGM_RSRC2:TRAP_HANDLER: 0
; COMPUTE_PGM_RSRC2:TGID_X_EN: 1
; COMPUTE_PGM_RSRC2:TGID_Y_EN: 0
; COMPUTE_PGM_RSRC2:TGID_Z_EN: 0
; COMPUTE_PGM_RSRC2:TIDIG_COMP_CNT: 0
	.section	.text._ZN7rocprim17ROCPRIM_400000_NS6detail17trampoline_kernelINS0_14default_configENS1_20scan_config_selectorIN3c107complexIdEEEEZZNS1_9scan_implILNS1_25lookback_scan_determinismE0ELb0ELb0ES3_PKS7_PS7_S7_ZZZN2at6native31launch_logcumsumexp_cuda_kernelERKNSE_10TensorBaseESI_lENKUlvE_clEvENKUlvE1_clEvEUlS7_S7_E_S7_EEDaPvRmT3_T4_T5_mT6_P12ihipStream_tbENKUlT_T0_E_clISt17integral_constantIbLb1EESY_IbLb0EEEEDaSU_SV_EUlSU_E_NS1_11comp_targetILNS1_3genE4ELNS1_11target_archE910ELNS1_3gpuE8ELNS1_3repE0EEENS1_30default_config_static_selectorELNS0_4arch9wavefront6targetE0EEEvT1_,"axG",@progbits,_ZN7rocprim17ROCPRIM_400000_NS6detail17trampoline_kernelINS0_14default_configENS1_20scan_config_selectorIN3c107complexIdEEEEZZNS1_9scan_implILNS1_25lookback_scan_determinismE0ELb0ELb0ES3_PKS7_PS7_S7_ZZZN2at6native31launch_logcumsumexp_cuda_kernelERKNSE_10TensorBaseESI_lENKUlvE_clEvENKUlvE1_clEvEUlS7_S7_E_S7_EEDaPvRmT3_T4_T5_mT6_P12ihipStream_tbENKUlT_T0_E_clISt17integral_constantIbLb1EESY_IbLb0EEEEDaSU_SV_EUlSU_E_NS1_11comp_targetILNS1_3genE4ELNS1_11target_archE910ELNS1_3gpuE8ELNS1_3repE0EEENS1_30default_config_static_selectorELNS0_4arch9wavefront6targetE0EEEvT1_,comdat
	.globl	_ZN7rocprim17ROCPRIM_400000_NS6detail17trampoline_kernelINS0_14default_configENS1_20scan_config_selectorIN3c107complexIdEEEEZZNS1_9scan_implILNS1_25lookback_scan_determinismE0ELb0ELb0ES3_PKS7_PS7_S7_ZZZN2at6native31launch_logcumsumexp_cuda_kernelERKNSE_10TensorBaseESI_lENKUlvE_clEvENKUlvE1_clEvEUlS7_S7_E_S7_EEDaPvRmT3_T4_T5_mT6_P12ihipStream_tbENKUlT_T0_E_clISt17integral_constantIbLb1EESY_IbLb0EEEEDaSU_SV_EUlSU_E_NS1_11comp_targetILNS1_3genE4ELNS1_11target_archE910ELNS1_3gpuE8ELNS1_3repE0EEENS1_30default_config_static_selectorELNS0_4arch9wavefront6targetE0EEEvT1_ ; -- Begin function _ZN7rocprim17ROCPRIM_400000_NS6detail17trampoline_kernelINS0_14default_configENS1_20scan_config_selectorIN3c107complexIdEEEEZZNS1_9scan_implILNS1_25lookback_scan_determinismE0ELb0ELb0ES3_PKS7_PS7_S7_ZZZN2at6native31launch_logcumsumexp_cuda_kernelERKNSE_10TensorBaseESI_lENKUlvE_clEvENKUlvE1_clEvEUlS7_S7_E_S7_EEDaPvRmT3_T4_T5_mT6_P12ihipStream_tbENKUlT_T0_E_clISt17integral_constantIbLb1EESY_IbLb0EEEEDaSU_SV_EUlSU_E_NS1_11comp_targetILNS1_3genE4ELNS1_11target_archE910ELNS1_3gpuE8ELNS1_3repE0EEENS1_30default_config_static_selectorELNS0_4arch9wavefront6targetE0EEEvT1_
	.p2align	8
	.type	_ZN7rocprim17ROCPRIM_400000_NS6detail17trampoline_kernelINS0_14default_configENS1_20scan_config_selectorIN3c107complexIdEEEEZZNS1_9scan_implILNS1_25lookback_scan_determinismE0ELb0ELb0ES3_PKS7_PS7_S7_ZZZN2at6native31launch_logcumsumexp_cuda_kernelERKNSE_10TensorBaseESI_lENKUlvE_clEvENKUlvE1_clEvEUlS7_S7_E_S7_EEDaPvRmT3_T4_T5_mT6_P12ihipStream_tbENKUlT_T0_E_clISt17integral_constantIbLb1EESY_IbLb0EEEEDaSU_SV_EUlSU_E_NS1_11comp_targetILNS1_3genE4ELNS1_11target_archE910ELNS1_3gpuE8ELNS1_3repE0EEENS1_30default_config_static_selectorELNS0_4arch9wavefront6targetE0EEEvT1_,@function
_ZN7rocprim17ROCPRIM_400000_NS6detail17trampoline_kernelINS0_14default_configENS1_20scan_config_selectorIN3c107complexIdEEEEZZNS1_9scan_implILNS1_25lookback_scan_determinismE0ELb0ELb0ES3_PKS7_PS7_S7_ZZZN2at6native31launch_logcumsumexp_cuda_kernelERKNSE_10TensorBaseESI_lENKUlvE_clEvENKUlvE1_clEvEUlS7_S7_E_S7_EEDaPvRmT3_T4_T5_mT6_P12ihipStream_tbENKUlT_T0_E_clISt17integral_constantIbLb1EESY_IbLb0EEEEDaSU_SV_EUlSU_E_NS1_11comp_targetILNS1_3genE4ELNS1_11target_archE910ELNS1_3gpuE8ELNS1_3repE0EEENS1_30default_config_static_selectorELNS0_4arch9wavefront6targetE0EEEvT1_: ; @_ZN7rocprim17ROCPRIM_400000_NS6detail17trampoline_kernelINS0_14default_configENS1_20scan_config_selectorIN3c107complexIdEEEEZZNS1_9scan_implILNS1_25lookback_scan_determinismE0ELb0ELb0ES3_PKS7_PS7_S7_ZZZN2at6native31launch_logcumsumexp_cuda_kernelERKNSE_10TensorBaseESI_lENKUlvE_clEvENKUlvE1_clEvEUlS7_S7_E_S7_EEDaPvRmT3_T4_T5_mT6_P12ihipStream_tbENKUlT_T0_E_clISt17integral_constantIbLb1EESY_IbLb0EEEEDaSU_SV_EUlSU_E_NS1_11comp_targetILNS1_3genE4ELNS1_11target_archE910ELNS1_3gpuE8ELNS1_3repE0EEENS1_30default_config_static_selectorELNS0_4arch9wavefront6targetE0EEEvT1_
; %bb.0:
	.section	.rodata,"a",@progbits
	.p2align	6, 0x0
	.amdhsa_kernel _ZN7rocprim17ROCPRIM_400000_NS6detail17trampoline_kernelINS0_14default_configENS1_20scan_config_selectorIN3c107complexIdEEEEZZNS1_9scan_implILNS1_25lookback_scan_determinismE0ELb0ELb0ES3_PKS7_PS7_S7_ZZZN2at6native31launch_logcumsumexp_cuda_kernelERKNSE_10TensorBaseESI_lENKUlvE_clEvENKUlvE1_clEvEUlS7_S7_E_S7_EEDaPvRmT3_T4_T5_mT6_P12ihipStream_tbENKUlT_T0_E_clISt17integral_constantIbLb1EESY_IbLb0EEEEDaSU_SV_EUlSU_E_NS1_11comp_targetILNS1_3genE4ELNS1_11target_archE910ELNS1_3gpuE8ELNS1_3repE0EEENS1_30default_config_static_selectorELNS0_4arch9wavefront6targetE0EEEvT1_
		.amdhsa_group_segment_fixed_size 0
		.amdhsa_private_segment_fixed_size 0
		.amdhsa_kernarg_size 128
		.amdhsa_user_sgpr_count 2
		.amdhsa_user_sgpr_dispatch_ptr 0
		.amdhsa_user_sgpr_queue_ptr 0
		.amdhsa_user_sgpr_kernarg_segment_ptr 1
		.amdhsa_user_sgpr_dispatch_id 0
		.amdhsa_user_sgpr_private_segment_size 0
		.amdhsa_wavefront_size32 1
		.amdhsa_uses_dynamic_stack 0
		.amdhsa_enable_private_segment 0
		.amdhsa_system_sgpr_workgroup_id_x 1
		.amdhsa_system_sgpr_workgroup_id_y 0
		.amdhsa_system_sgpr_workgroup_id_z 0
		.amdhsa_system_sgpr_workgroup_info 0
		.amdhsa_system_vgpr_workitem_id 0
		.amdhsa_next_free_vgpr 1
		.amdhsa_next_free_sgpr 1
		.amdhsa_reserve_vcc 0
		.amdhsa_float_round_mode_32 0
		.amdhsa_float_round_mode_16_64 0
		.amdhsa_float_denorm_mode_32 3
		.amdhsa_float_denorm_mode_16_64 3
		.amdhsa_fp16_overflow 0
		.amdhsa_workgroup_processor_mode 1
		.amdhsa_memory_ordered 1
		.amdhsa_forward_progress 1
		.amdhsa_inst_pref_size 0
		.amdhsa_round_robin_scheduling 0
		.amdhsa_exception_fp_ieee_invalid_op 0
		.amdhsa_exception_fp_denorm_src 0
		.amdhsa_exception_fp_ieee_div_zero 0
		.amdhsa_exception_fp_ieee_overflow 0
		.amdhsa_exception_fp_ieee_underflow 0
		.amdhsa_exception_fp_ieee_inexact 0
		.amdhsa_exception_int_div_zero 0
	.end_amdhsa_kernel
	.section	.text._ZN7rocprim17ROCPRIM_400000_NS6detail17trampoline_kernelINS0_14default_configENS1_20scan_config_selectorIN3c107complexIdEEEEZZNS1_9scan_implILNS1_25lookback_scan_determinismE0ELb0ELb0ES3_PKS7_PS7_S7_ZZZN2at6native31launch_logcumsumexp_cuda_kernelERKNSE_10TensorBaseESI_lENKUlvE_clEvENKUlvE1_clEvEUlS7_S7_E_S7_EEDaPvRmT3_T4_T5_mT6_P12ihipStream_tbENKUlT_T0_E_clISt17integral_constantIbLb1EESY_IbLb0EEEEDaSU_SV_EUlSU_E_NS1_11comp_targetILNS1_3genE4ELNS1_11target_archE910ELNS1_3gpuE8ELNS1_3repE0EEENS1_30default_config_static_selectorELNS0_4arch9wavefront6targetE0EEEvT1_,"axG",@progbits,_ZN7rocprim17ROCPRIM_400000_NS6detail17trampoline_kernelINS0_14default_configENS1_20scan_config_selectorIN3c107complexIdEEEEZZNS1_9scan_implILNS1_25lookback_scan_determinismE0ELb0ELb0ES3_PKS7_PS7_S7_ZZZN2at6native31launch_logcumsumexp_cuda_kernelERKNSE_10TensorBaseESI_lENKUlvE_clEvENKUlvE1_clEvEUlS7_S7_E_S7_EEDaPvRmT3_T4_T5_mT6_P12ihipStream_tbENKUlT_T0_E_clISt17integral_constantIbLb1EESY_IbLb0EEEEDaSU_SV_EUlSU_E_NS1_11comp_targetILNS1_3genE4ELNS1_11target_archE910ELNS1_3gpuE8ELNS1_3repE0EEENS1_30default_config_static_selectorELNS0_4arch9wavefront6targetE0EEEvT1_,comdat
.Lfunc_end224:
	.size	_ZN7rocprim17ROCPRIM_400000_NS6detail17trampoline_kernelINS0_14default_configENS1_20scan_config_selectorIN3c107complexIdEEEEZZNS1_9scan_implILNS1_25lookback_scan_determinismE0ELb0ELb0ES3_PKS7_PS7_S7_ZZZN2at6native31launch_logcumsumexp_cuda_kernelERKNSE_10TensorBaseESI_lENKUlvE_clEvENKUlvE1_clEvEUlS7_S7_E_S7_EEDaPvRmT3_T4_T5_mT6_P12ihipStream_tbENKUlT_T0_E_clISt17integral_constantIbLb1EESY_IbLb0EEEEDaSU_SV_EUlSU_E_NS1_11comp_targetILNS1_3genE4ELNS1_11target_archE910ELNS1_3gpuE8ELNS1_3repE0EEENS1_30default_config_static_selectorELNS0_4arch9wavefront6targetE0EEEvT1_, .Lfunc_end224-_ZN7rocprim17ROCPRIM_400000_NS6detail17trampoline_kernelINS0_14default_configENS1_20scan_config_selectorIN3c107complexIdEEEEZZNS1_9scan_implILNS1_25lookback_scan_determinismE0ELb0ELb0ES3_PKS7_PS7_S7_ZZZN2at6native31launch_logcumsumexp_cuda_kernelERKNSE_10TensorBaseESI_lENKUlvE_clEvENKUlvE1_clEvEUlS7_S7_E_S7_EEDaPvRmT3_T4_T5_mT6_P12ihipStream_tbENKUlT_T0_E_clISt17integral_constantIbLb1EESY_IbLb0EEEEDaSU_SV_EUlSU_E_NS1_11comp_targetILNS1_3genE4ELNS1_11target_archE910ELNS1_3gpuE8ELNS1_3repE0EEENS1_30default_config_static_selectorELNS0_4arch9wavefront6targetE0EEEvT1_
                                        ; -- End function
	.set _ZN7rocprim17ROCPRIM_400000_NS6detail17trampoline_kernelINS0_14default_configENS1_20scan_config_selectorIN3c107complexIdEEEEZZNS1_9scan_implILNS1_25lookback_scan_determinismE0ELb0ELb0ES3_PKS7_PS7_S7_ZZZN2at6native31launch_logcumsumexp_cuda_kernelERKNSE_10TensorBaseESI_lENKUlvE_clEvENKUlvE1_clEvEUlS7_S7_E_S7_EEDaPvRmT3_T4_T5_mT6_P12ihipStream_tbENKUlT_T0_E_clISt17integral_constantIbLb1EESY_IbLb0EEEEDaSU_SV_EUlSU_E_NS1_11comp_targetILNS1_3genE4ELNS1_11target_archE910ELNS1_3gpuE8ELNS1_3repE0EEENS1_30default_config_static_selectorELNS0_4arch9wavefront6targetE0EEEvT1_.num_vgpr, 0
	.set _ZN7rocprim17ROCPRIM_400000_NS6detail17trampoline_kernelINS0_14default_configENS1_20scan_config_selectorIN3c107complexIdEEEEZZNS1_9scan_implILNS1_25lookback_scan_determinismE0ELb0ELb0ES3_PKS7_PS7_S7_ZZZN2at6native31launch_logcumsumexp_cuda_kernelERKNSE_10TensorBaseESI_lENKUlvE_clEvENKUlvE1_clEvEUlS7_S7_E_S7_EEDaPvRmT3_T4_T5_mT6_P12ihipStream_tbENKUlT_T0_E_clISt17integral_constantIbLb1EESY_IbLb0EEEEDaSU_SV_EUlSU_E_NS1_11comp_targetILNS1_3genE4ELNS1_11target_archE910ELNS1_3gpuE8ELNS1_3repE0EEENS1_30default_config_static_selectorELNS0_4arch9wavefront6targetE0EEEvT1_.num_agpr, 0
	.set _ZN7rocprim17ROCPRIM_400000_NS6detail17trampoline_kernelINS0_14default_configENS1_20scan_config_selectorIN3c107complexIdEEEEZZNS1_9scan_implILNS1_25lookback_scan_determinismE0ELb0ELb0ES3_PKS7_PS7_S7_ZZZN2at6native31launch_logcumsumexp_cuda_kernelERKNSE_10TensorBaseESI_lENKUlvE_clEvENKUlvE1_clEvEUlS7_S7_E_S7_EEDaPvRmT3_T4_T5_mT6_P12ihipStream_tbENKUlT_T0_E_clISt17integral_constantIbLb1EESY_IbLb0EEEEDaSU_SV_EUlSU_E_NS1_11comp_targetILNS1_3genE4ELNS1_11target_archE910ELNS1_3gpuE8ELNS1_3repE0EEENS1_30default_config_static_selectorELNS0_4arch9wavefront6targetE0EEEvT1_.numbered_sgpr, 0
	.set _ZN7rocprim17ROCPRIM_400000_NS6detail17trampoline_kernelINS0_14default_configENS1_20scan_config_selectorIN3c107complexIdEEEEZZNS1_9scan_implILNS1_25lookback_scan_determinismE0ELb0ELb0ES3_PKS7_PS7_S7_ZZZN2at6native31launch_logcumsumexp_cuda_kernelERKNSE_10TensorBaseESI_lENKUlvE_clEvENKUlvE1_clEvEUlS7_S7_E_S7_EEDaPvRmT3_T4_T5_mT6_P12ihipStream_tbENKUlT_T0_E_clISt17integral_constantIbLb1EESY_IbLb0EEEEDaSU_SV_EUlSU_E_NS1_11comp_targetILNS1_3genE4ELNS1_11target_archE910ELNS1_3gpuE8ELNS1_3repE0EEENS1_30default_config_static_selectorELNS0_4arch9wavefront6targetE0EEEvT1_.num_named_barrier, 0
	.set _ZN7rocprim17ROCPRIM_400000_NS6detail17trampoline_kernelINS0_14default_configENS1_20scan_config_selectorIN3c107complexIdEEEEZZNS1_9scan_implILNS1_25lookback_scan_determinismE0ELb0ELb0ES3_PKS7_PS7_S7_ZZZN2at6native31launch_logcumsumexp_cuda_kernelERKNSE_10TensorBaseESI_lENKUlvE_clEvENKUlvE1_clEvEUlS7_S7_E_S7_EEDaPvRmT3_T4_T5_mT6_P12ihipStream_tbENKUlT_T0_E_clISt17integral_constantIbLb1EESY_IbLb0EEEEDaSU_SV_EUlSU_E_NS1_11comp_targetILNS1_3genE4ELNS1_11target_archE910ELNS1_3gpuE8ELNS1_3repE0EEENS1_30default_config_static_selectorELNS0_4arch9wavefront6targetE0EEEvT1_.private_seg_size, 0
	.set _ZN7rocprim17ROCPRIM_400000_NS6detail17trampoline_kernelINS0_14default_configENS1_20scan_config_selectorIN3c107complexIdEEEEZZNS1_9scan_implILNS1_25lookback_scan_determinismE0ELb0ELb0ES3_PKS7_PS7_S7_ZZZN2at6native31launch_logcumsumexp_cuda_kernelERKNSE_10TensorBaseESI_lENKUlvE_clEvENKUlvE1_clEvEUlS7_S7_E_S7_EEDaPvRmT3_T4_T5_mT6_P12ihipStream_tbENKUlT_T0_E_clISt17integral_constantIbLb1EESY_IbLb0EEEEDaSU_SV_EUlSU_E_NS1_11comp_targetILNS1_3genE4ELNS1_11target_archE910ELNS1_3gpuE8ELNS1_3repE0EEENS1_30default_config_static_selectorELNS0_4arch9wavefront6targetE0EEEvT1_.uses_vcc, 0
	.set _ZN7rocprim17ROCPRIM_400000_NS6detail17trampoline_kernelINS0_14default_configENS1_20scan_config_selectorIN3c107complexIdEEEEZZNS1_9scan_implILNS1_25lookback_scan_determinismE0ELb0ELb0ES3_PKS7_PS7_S7_ZZZN2at6native31launch_logcumsumexp_cuda_kernelERKNSE_10TensorBaseESI_lENKUlvE_clEvENKUlvE1_clEvEUlS7_S7_E_S7_EEDaPvRmT3_T4_T5_mT6_P12ihipStream_tbENKUlT_T0_E_clISt17integral_constantIbLb1EESY_IbLb0EEEEDaSU_SV_EUlSU_E_NS1_11comp_targetILNS1_3genE4ELNS1_11target_archE910ELNS1_3gpuE8ELNS1_3repE0EEENS1_30default_config_static_selectorELNS0_4arch9wavefront6targetE0EEEvT1_.uses_flat_scratch, 0
	.set _ZN7rocprim17ROCPRIM_400000_NS6detail17trampoline_kernelINS0_14default_configENS1_20scan_config_selectorIN3c107complexIdEEEEZZNS1_9scan_implILNS1_25lookback_scan_determinismE0ELb0ELb0ES3_PKS7_PS7_S7_ZZZN2at6native31launch_logcumsumexp_cuda_kernelERKNSE_10TensorBaseESI_lENKUlvE_clEvENKUlvE1_clEvEUlS7_S7_E_S7_EEDaPvRmT3_T4_T5_mT6_P12ihipStream_tbENKUlT_T0_E_clISt17integral_constantIbLb1EESY_IbLb0EEEEDaSU_SV_EUlSU_E_NS1_11comp_targetILNS1_3genE4ELNS1_11target_archE910ELNS1_3gpuE8ELNS1_3repE0EEENS1_30default_config_static_selectorELNS0_4arch9wavefront6targetE0EEEvT1_.has_dyn_sized_stack, 0
	.set _ZN7rocprim17ROCPRIM_400000_NS6detail17trampoline_kernelINS0_14default_configENS1_20scan_config_selectorIN3c107complexIdEEEEZZNS1_9scan_implILNS1_25lookback_scan_determinismE0ELb0ELb0ES3_PKS7_PS7_S7_ZZZN2at6native31launch_logcumsumexp_cuda_kernelERKNSE_10TensorBaseESI_lENKUlvE_clEvENKUlvE1_clEvEUlS7_S7_E_S7_EEDaPvRmT3_T4_T5_mT6_P12ihipStream_tbENKUlT_T0_E_clISt17integral_constantIbLb1EESY_IbLb0EEEEDaSU_SV_EUlSU_E_NS1_11comp_targetILNS1_3genE4ELNS1_11target_archE910ELNS1_3gpuE8ELNS1_3repE0EEENS1_30default_config_static_selectorELNS0_4arch9wavefront6targetE0EEEvT1_.has_recursion, 0
	.set _ZN7rocprim17ROCPRIM_400000_NS6detail17trampoline_kernelINS0_14default_configENS1_20scan_config_selectorIN3c107complexIdEEEEZZNS1_9scan_implILNS1_25lookback_scan_determinismE0ELb0ELb0ES3_PKS7_PS7_S7_ZZZN2at6native31launch_logcumsumexp_cuda_kernelERKNSE_10TensorBaseESI_lENKUlvE_clEvENKUlvE1_clEvEUlS7_S7_E_S7_EEDaPvRmT3_T4_T5_mT6_P12ihipStream_tbENKUlT_T0_E_clISt17integral_constantIbLb1EESY_IbLb0EEEEDaSU_SV_EUlSU_E_NS1_11comp_targetILNS1_3genE4ELNS1_11target_archE910ELNS1_3gpuE8ELNS1_3repE0EEENS1_30default_config_static_selectorELNS0_4arch9wavefront6targetE0EEEvT1_.has_indirect_call, 0
	.section	.AMDGPU.csdata,"",@progbits
; Kernel info:
; codeLenInByte = 0
; TotalNumSgprs: 0
; NumVgprs: 0
; ScratchSize: 0
; MemoryBound: 0
; FloatMode: 240
; IeeeMode: 1
; LDSByteSize: 0 bytes/workgroup (compile time only)
; SGPRBlocks: 0
; VGPRBlocks: 0
; NumSGPRsForWavesPerEU: 1
; NumVGPRsForWavesPerEU: 1
; Occupancy: 16
; WaveLimiterHint : 0
; COMPUTE_PGM_RSRC2:SCRATCH_EN: 0
; COMPUTE_PGM_RSRC2:USER_SGPR: 2
; COMPUTE_PGM_RSRC2:TRAP_HANDLER: 0
; COMPUTE_PGM_RSRC2:TGID_X_EN: 1
; COMPUTE_PGM_RSRC2:TGID_Y_EN: 0
; COMPUTE_PGM_RSRC2:TGID_Z_EN: 0
; COMPUTE_PGM_RSRC2:TIDIG_COMP_CNT: 0
	.section	.text._ZN7rocprim17ROCPRIM_400000_NS6detail17trampoline_kernelINS0_14default_configENS1_20scan_config_selectorIN3c107complexIdEEEEZZNS1_9scan_implILNS1_25lookback_scan_determinismE0ELb0ELb0ES3_PKS7_PS7_S7_ZZZN2at6native31launch_logcumsumexp_cuda_kernelERKNSE_10TensorBaseESI_lENKUlvE_clEvENKUlvE1_clEvEUlS7_S7_E_S7_EEDaPvRmT3_T4_T5_mT6_P12ihipStream_tbENKUlT_T0_E_clISt17integral_constantIbLb1EESY_IbLb0EEEEDaSU_SV_EUlSU_E_NS1_11comp_targetILNS1_3genE3ELNS1_11target_archE908ELNS1_3gpuE7ELNS1_3repE0EEENS1_30default_config_static_selectorELNS0_4arch9wavefront6targetE0EEEvT1_,"axG",@progbits,_ZN7rocprim17ROCPRIM_400000_NS6detail17trampoline_kernelINS0_14default_configENS1_20scan_config_selectorIN3c107complexIdEEEEZZNS1_9scan_implILNS1_25lookback_scan_determinismE0ELb0ELb0ES3_PKS7_PS7_S7_ZZZN2at6native31launch_logcumsumexp_cuda_kernelERKNSE_10TensorBaseESI_lENKUlvE_clEvENKUlvE1_clEvEUlS7_S7_E_S7_EEDaPvRmT3_T4_T5_mT6_P12ihipStream_tbENKUlT_T0_E_clISt17integral_constantIbLb1EESY_IbLb0EEEEDaSU_SV_EUlSU_E_NS1_11comp_targetILNS1_3genE3ELNS1_11target_archE908ELNS1_3gpuE7ELNS1_3repE0EEENS1_30default_config_static_selectorELNS0_4arch9wavefront6targetE0EEEvT1_,comdat
	.globl	_ZN7rocprim17ROCPRIM_400000_NS6detail17trampoline_kernelINS0_14default_configENS1_20scan_config_selectorIN3c107complexIdEEEEZZNS1_9scan_implILNS1_25lookback_scan_determinismE0ELb0ELb0ES3_PKS7_PS7_S7_ZZZN2at6native31launch_logcumsumexp_cuda_kernelERKNSE_10TensorBaseESI_lENKUlvE_clEvENKUlvE1_clEvEUlS7_S7_E_S7_EEDaPvRmT3_T4_T5_mT6_P12ihipStream_tbENKUlT_T0_E_clISt17integral_constantIbLb1EESY_IbLb0EEEEDaSU_SV_EUlSU_E_NS1_11comp_targetILNS1_3genE3ELNS1_11target_archE908ELNS1_3gpuE7ELNS1_3repE0EEENS1_30default_config_static_selectorELNS0_4arch9wavefront6targetE0EEEvT1_ ; -- Begin function _ZN7rocprim17ROCPRIM_400000_NS6detail17trampoline_kernelINS0_14default_configENS1_20scan_config_selectorIN3c107complexIdEEEEZZNS1_9scan_implILNS1_25lookback_scan_determinismE0ELb0ELb0ES3_PKS7_PS7_S7_ZZZN2at6native31launch_logcumsumexp_cuda_kernelERKNSE_10TensorBaseESI_lENKUlvE_clEvENKUlvE1_clEvEUlS7_S7_E_S7_EEDaPvRmT3_T4_T5_mT6_P12ihipStream_tbENKUlT_T0_E_clISt17integral_constantIbLb1EESY_IbLb0EEEEDaSU_SV_EUlSU_E_NS1_11comp_targetILNS1_3genE3ELNS1_11target_archE908ELNS1_3gpuE7ELNS1_3repE0EEENS1_30default_config_static_selectorELNS0_4arch9wavefront6targetE0EEEvT1_
	.p2align	8
	.type	_ZN7rocprim17ROCPRIM_400000_NS6detail17trampoline_kernelINS0_14default_configENS1_20scan_config_selectorIN3c107complexIdEEEEZZNS1_9scan_implILNS1_25lookback_scan_determinismE0ELb0ELb0ES3_PKS7_PS7_S7_ZZZN2at6native31launch_logcumsumexp_cuda_kernelERKNSE_10TensorBaseESI_lENKUlvE_clEvENKUlvE1_clEvEUlS7_S7_E_S7_EEDaPvRmT3_T4_T5_mT6_P12ihipStream_tbENKUlT_T0_E_clISt17integral_constantIbLb1EESY_IbLb0EEEEDaSU_SV_EUlSU_E_NS1_11comp_targetILNS1_3genE3ELNS1_11target_archE908ELNS1_3gpuE7ELNS1_3repE0EEENS1_30default_config_static_selectorELNS0_4arch9wavefront6targetE0EEEvT1_,@function
_ZN7rocprim17ROCPRIM_400000_NS6detail17trampoline_kernelINS0_14default_configENS1_20scan_config_selectorIN3c107complexIdEEEEZZNS1_9scan_implILNS1_25lookback_scan_determinismE0ELb0ELb0ES3_PKS7_PS7_S7_ZZZN2at6native31launch_logcumsumexp_cuda_kernelERKNSE_10TensorBaseESI_lENKUlvE_clEvENKUlvE1_clEvEUlS7_S7_E_S7_EEDaPvRmT3_T4_T5_mT6_P12ihipStream_tbENKUlT_T0_E_clISt17integral_constantIbLb1EESY_IbLb0EEEEDaSU_SV_EUlSU_E_NS1_11comp_targetILNS1_3genE3ELNS1_11target_archE908ELNS1_3gpuE7ELNS1_3repE0EEENS1_30default_config_static_selectorELNS0_4arch9wavefront6targetE0EEEvT1_: ; @_ZN7rocprim17ROCPRIM_400000_NS6detail17trampoline_kernelINS0_14default_configENS1_20scan_config_selectorIN3c107complexIdEEEEZZNS1_9scan_implILNS1_25lookback_scan_determinismE0ELb0ELb0ES3_PKS7_PS7_S7_ZZZN2at6native31launch_logcumsumexp_cuda_kernelERKNSE_10TensorBaseESI_lENKUlvE_clEvENKUlvE1_clEvEUlS7_S7_E_S7_EEDaPvRmT3_T4_T5_mT6_P12ihipStream_tbENKUlT_T0_E_clISt17integral_constantIbLb1EESY_IbLb0EEEEDaSU_SV_EUlSU_E_NS1_11comp_targetILNS1_3genE3ELNS1_11target_archE908ELNS1_3gpuE7ELNS1_3repE0EEENS1_30default_config_static_selectorELNS0_4arch9wavefront6targetE0EEEvT1_
; %bb.0:
	.section	.rodata,"a",@progbits
	.p2align	6, 0x0
	.amdhsa_kernel _ZN7rocprim17ROCPRIM_400000_NS6detail17trampoline_kernelINS0_14default_configENS1_20scan_config_selectorIN3c107complexIdEEEEZZNS1_9scan_implILNS1_25lookback_scan_determinismE0ELb0ELb0ES3_PKS7_PS7_S7_ZZZN2at6native31launch_logcumsumexp_cuda_kernelERKNSE_10TensorBaseESI_lENKUlvE_clEvENKUlvE1_clEvEUlS7_S7_E_S7_EEDaPvRmT3_T4_T5_mT6_P12ihipStream_tbENKUlT_T0_E_clISt17integral_constantIbLb1EESY_IbLb0EEEEDaSU_SV_EUlSU_E_NS1_11comp_targetILNS1_3genE3ELNS1_11target_archE908ELNS1_3gpuE7ELNS1_3repE0EEENS1_30default_config_static_selectorELNS0_4arch9wavefront6targetE0EEEvT1_
		.amdhsa_group_segment_fixed_size 0
		.amdhsa_private_segment_fixed_size 0
		.amdhsa_kernarg_size 128
		.amdhsa_user_sgpr_count 2
		.amdhsa_user_sgpr_dispatch_ptr 0
		.amdhsa_user_sgpr_queue_ptr 0
		.amdhsa_user_sgpr_kernarg_segment_ptr 1
		.amdhsa_user_sgpr_dispatch_id 0
		.amdhsa_user_sgpr_private_segment_size 0
		.amdhsa_wavefront_size32 1
		.amdhsa_uses_dynamic_stack 0
		.amdhsa_enable_private_segment 0
		.amdhsa_system_sgpr_workgroup_id_x 1
		.amdhsa_system_sgpr_workgroup_id_y 0
		.amdhsa_system_sgpr_workgroup_id_z 0
		.amdhsa_system_sgpr_workgroup_info 0
		.amdhsa_system_vgpr_workitem_id 0
		.amdhsa_next_free_vgpr 1
		.amdhsa_next_free_sgpr 1
		.amdhsa_reserve_vcc 0
		.amdhsa_float_round_mode_32 0
		.amdhsa_float_round_mode_16_64 0
		.amdhsa_float_denorm_mode_32 3
		.amdhsa_float_denorm_mode_16_64 3
		.amdhsa_fp16_overflow 0
		.amdhsa_workgroup_processor_mode 1
		.amdhsa_memory_ordered 1
		.amdhsa_forward_progress 1
		.amdhsa_inst_pref_size 0
		.amdhsa_round_robin_scheduling 0
		.amdhsa_exception_fp_ieee_invalid_op 0
		.amdhsa_exception_fp_denorm_src 0
		.amdhsa_exception_fp_ieee_div_zero 0
		.amdhsa_exception_fp_ieee_overflow 0
		.amdhsa_exception_fp_ieee_underflow 0
		.amdhsa_exception_fp_ieee_inexact 0
		.amdhsa_exception_int_div_zero 0
	.end_amdhsa_kernel
	.section	.text._ZN7rocprim17ROCPRIM_400000_NS6detail17trampoline_kernelINS0_14default_configENS1_20scan_config_selectorIN3c107complexIdEEEEZZNS1_9scan_implILNS1_25lookback_scan_determinismE0ELb0ELb0ES3_PKS7_PS7_S7_ZZZN2at6native31launch_logcumsumexp_cuda_kernelERKNSE_10TensorBaseESI_lENKUlvE_clEvENKUlvE1_clEvEUlS7_S7_E_S7_EEDaPvRmT3_T4_T5_mT6_P12ihipStream_tbENKUlT_T0_E_clISt17integral_constantIbLb1EESY_IbLb0EEEEDaSU_SV_EUlSU_E_NS1_11comp_targetILNS1_3genE3ELNS1_11target_archE908ELNS1_3gpuE7ELNS1_3repE0EEENS1_30default_config_static_selectorELNS0_4arch9wavefront6targetE0EEEvT1_,"axG",@progbits,_ZN7rocprim17ROCPRIM_400000_NS6detail17trampoline_kernelINS0_14default_configENS1_20scan_config_selectorIN3c107complexIdEEEEZZNS1_9scan_implILNS1_25lookback_scan_determinismE0ELb0ELb0ES3_PKS7_PS7_S7_ZZZN2at6native31launch_logcumsumexp_cuda_kernelERKNSE_10TensorBaseESI_lENKUlvE_clEvENKUlvE1_clEvEUlS7_S7_E_S7_EEDaPvRmT3_T4_T5_mT6_P12ihipStream_tbENKUlT_T0_E_clISt17integral_constantIbLb1EESY_IbLb0EEEEDaSU_SV_EUlSU_E_NS1_11comp_targetILNS1_3genE3ELNS1_11target_archE908ELNS1_3gpuE7ELNS1_3repE0EEENS1_30default_config_static_selectorELNS0_4arch9wavefront6targetE0EEEvT1_,comdat
.Lfunc_end225:
	.size	_ZN7rocprim17ROCPRIM_400000_NS6detail17trampoline_kernelINS0_14default_configENS1_20scan_config_selectorIN3c107complexIdEEEEZZNS1_9scan_implILNS1_25lookback_scan_determinismE0ELb0ELb0ES3_PKS7_PS7_S7_ZZZN2at6native31launch_logcumsumexp_cuda_kernelERKNSE_10TensorBaseESI_lENKUlvE_clEvENKUlvE1_clEvEUlS7_S7_E_S7_EEDaPvRmT3_T4_T5_mT6_P12ihipStream_tbENKUlT_T0_E_clISt17integral_constantIbLb1EESY_IbLb0EEEEDaSU_SV_EUlSU_E_NS1_11comp_targetILNS1_3genE3ELNS1_11target_archE908ELNS1_3gpuE7ELNS1_3repE0EEENS1_30default_config_static_selectorELNS0_4arch9wavefront6targetE0EEEvT1_, .Lfunc_end225-_ZN7rocprim17ROCPRIM_400000_NS6detail17trampoline_kernelINS0_14default_configENS1_20scan_config_selectorIN3c107complexIdEEEEZZNS1_9scan_implILNS1_25lookback_scan_determinismE0ELb0ELb0ES3_PKS7_PS7_S7_ZZZN2at6native31launch_logcumsumexp_cuda_kernelERKNSE_10TensorBaseESI_lENKUlvE_clEvENKUlvE1_clEvEUlS7_S7_E_S7_EEDaPvRmT3_T4_T5_mT6_P12ihipStream_tbENKUlT_T0_E_clISt17integral_constantIbLb1EESY_IbLb0EEEEDaSU_SV_EUlSU_E_NS1_11comp_targetILNS1_3genE3ELNS1_11target_archE908ELNS1_3gpuE7ELNS1_3repE0EEENS1_30default_config_static_selectorELNS0_4arch9wavefront6targetE0EEEvT1_
                                        ; -- End function
	.set _ZN7rocprim17ROCPRIM_400000_NS6detail17trampoline_kernelINS0_14default_configENS1_20scan_config_selectorIN3c107complexIdEEEEZZNS1_9scan_implILNS1_25lookback_scan_determinismE0ELb0ELb0ES3_PKS7_PS7_S7_ZZZN2at6native31launch_logcumsumexp_cuda_kernelERKNSE_10TensorBaseESI_lENKUlvE_clEvENKUlvE1_clEvEUlS7_S7_E_S7_EEDaPvRmT3_T4_T5_mT6_P12ihipStream_tbENKUlT_T0_E_clISt17integral_constantIbLb1EESY_IbLb0EEEEDaSU_SV_EUlSU_E_NS1_11comp_targetILNS1_3genE3ELNS1_11target_archE908ELNS1_3gpuE7ELNS1_3repE0EEENS1_30default_config_static_selectorELNS0_4arch9wavefront6targetE0EEEvT1_.num_vgpr, 0
	.set _ZN7rocprim17ROCPRIM_400000_NS6detail17trampoline_kernelINS0_14default_configENS1_20scan_config_selectorIN3c107complexIdEEEEZZNS1_9scan_implILNS1_25lookback_scan_determinismE0ELb0ELb0ES3_PKS7_PS7_S7_ZZZN2at6native31launch_logcumsumexp_cuda_kernelERKNSE_10TensorBaseESI_lENKUlvE_clEvENKUlvE1_clEvEUlS7_S7_E_S7_EEDaPvRmT3_T4_T5_mT6_P12ihipStream_tbENKUlT_T0_E_clISt17integral_constantIbLb1EESY_IbLb0EEEEDaSU_SV_EUlSU_E_NS1_11comp_targetILNS1_3genE3ELNS1_11target_archE908ELNS1_3gpuE7ELNS1_3repE0EEENS1_30default_config_static_selectorELNS0_4arch9wavefront6targetE0EEEvT1_.num_agpr, 0
	.set _ZN7rocprim17ROCPRIM_400000_NS6detail17trampoline_kernelINS0_14default_configENS1_20scan_config_selectorIN3c107complexIdEEEEZZNS1_9scan_implILNS1_25lookback_scan_determinismE0ELb0ELb0ES3_PKS7_PS7_S7_ZZZN2at6native31launch_logcumsumexp_cuda_kernelERKNSE_10TensorBaseESI_lENKUlvE_clEvENKUlvE1_clEvEUlS7_S7_E_S7_EEDaPvRmT3_T4_T5_mT6_P12ihipStream_tbENKUlT_T0_E_clISt17integral_constantIbLb1EESY_IbLb0EEEEDaSU_SV_EUlSU_E_NS1_11comp_targetILNS1_3genE3ELNS1_11target_archE908ELNS1_3gpuE7ELNS1_3repE0EEENS1_30default_config_static_selectorELNS0_4arch9wavefront6targetE0EEEvT1_.numbered_sgpr, 0
	.set _ZN7rocprim17ROCPRIM_400000_NS6detail17trampoline_kernelINS0_14default_configENS1_20scan_config_selectorIN3c107complexIdEEEEZZNS1_9scan_implILNS1_25lookback_scan_determinismE0ELb0ELb0ES3_PKS7_PS7_S7_ZZZN2at6native31launch_logcumsumexp_cuda_kernelERKNSE_10TensorBaseESI_lENKUlvE_clEvENKUlvE1_clEvEUlS7_S7_E_S7_EEDaPvRmT3_T4_T5_mT6_P12ihipStream_tbENKUlT_T0_E_clISt17integral_constantIbLb1EESY_IbLb0EEEEDaSU_SV_EUlSU_E_NS1_11comp_targetILNS1_3genE3ELNS1_11target_archE908ELNS1_3gpuE7ELNS1_3repE0EEENS1_30default_config_static_selectorELNS0_4arch9wavefront6targetE0EEEvT1_.num_named_barrier, 0
	.set _ZN7rocprim17ROCPRIM_400000_NS6detail17trampoline_kernelINS0_14default_configENS1_20scan_config_selectorIN3c107complexIdEEEEZZNS1_9scan_implILNS1_25lookback_scan_determinismE0ELb0ELb0ES3_PKS7_PS7_S7_ZZZN2at6native31launch_logcumsumexp_cuda_kernelERKNSE_10TensorBaseESI_lENKUlvE_clEvENKUlvE1_clEvEUlS7_S7_E_S7_EEDaPvRmT3_T4_T5_mT6_P12ihipStream_tbENKUlT_T0_E_clISt17integral_constantIbLb1EESY_IbLb0EEEEDaSU_SV_EUlSU_E_NS1_11comp_targetILNS1_3genE3ELNS1_11target_archE908ELNS1_3gpuE7ELNS1_3repE0EEENS1_30default_config_static_selectorELNS0_4arch9wavefront6targetE0EEEvT1_.private_seg_size, 0
	.set _ZN7rocprim17ROCPRIM_400000_NS6detail17trampoline_kernelINS0_14default_configENS1_20scan_config_selectorIN3c107complexIdEEEEZZNS1_9scan_implILNS1_25lookback_scan_determinismE0ELb0ELb0ES3_PKS7_PS7_S7_ZZZN2at6native31launch_logcumsumexp_cuda_kernelERKNSE_10TensorBaseESI_lENKUlvE_clEvENKUlvE1_clEvEUlS7_S7_E_S7_EEDaPvRmT3_T4_T5_mT6_P12ihipStream_tbENKUlT_T0_E_clISt17integral_constantIbLb1EESY_IbLb0EEEEDaSU_SV_EUlSU_E_NS1_11comp_targetILNS1_3genE3ELNS1_11target_archE908ELNS1_3gpuE7ELNS1_3repE0EEENS1_30default_config_static_selectorELNS0_4arch9wavefront6targetE0EEEvT1_.uses_vcc, 0
	.set _ZN7rocprim17ROCPRIM_400000_NS6detail17trampoline_kernelINS0_14default_configENS1_20scan_config_selectorIN3c107complexIdEEEEZZNS1_9scan_implILNS1_25lookback_scan_determinismE0ELb0ELb0ES3_PKS7_PS7_S7_ZZZN2at6native31launch_logcumsumexp_cuda_kernelERKNSE_10TensorBaseESI_lENKUlvE_clEvENKUlvE1_clEvEUlS7_S7_E_S7_EEDaPvRmT3_T4_T5_mT6_P12ihipStream_tbENKUlT_T0_E_clISt17integral_constantIbLb1EESY_IbLb0EEEEDaSU_SV_EUlSU_E_NS1_11comp_targetILNS1_3genE3ELNS1_11target_archE908ELNS1_3gpuE7ELNS1_3repE0EEENS1_30default_config_static_selectorELNS0_4arch9wavefront6targetE0EEEvT1_.uses_flat_scratch, 0
	.set _ZN7rocprim17ROCPRIM_400000_NS6detail17trampoline_kernelINS0_14default_configENS1_20scan_config_selectorIN3c107complexIdEEEEZZNS1_9scan_implILNS1_25lookback_scan_determinismE0ELb0ELb0ES3_PKS7_PS7_S7_ZZZN2at6native31launch_logcumsumexp_cuda_kernelERKNSE_10TensorBaseESI_lENKUlvE_clEvENKUlvE1_clEvEUlS7_S7_E_S7_EEDaPvRmT3_T4_T5_mT6_P12ihipStream_tbENKUlT_T0_E_clISt17integral_constantIbLb1EESY_IbLb0EEEEDaSU_SV_EUlSU_E_NS1_11comp_targetILNS1_3genE3ELNS1_11target_archE908ELNS1_3gpuE7ELNS1_3repE0EEENS1_30default_config_static_selectorELNS0_4arch9wavefront6targetE0EEEvT1_.has_dyn_sized_stack, 0
	.set _ZN7rocprim17ROCPRIM_400000_NS6detail17trampoline_kernelINS0_14default_configENS1_20scan_config_selectorIN3c107complexIdEEEEZZNS1_9scan_implILNS1_25lookback_scan_determinismE0ELb0ELb0ES3_PKS7_PS7_S7_ZZZN2at6native31launch_logcumsumexp_cuda_kernelERKNSE_10TensorBaseESI_lENKUlvE_clEvENKUlvE1_clEvEUlS7_S7_E_S7_EEDaPvRmT3_T4_T5_mT6_P12ihipStream_tbENKUlT_T0_E_clISt17integral_constantIbLb1EESY_IbLb0EEEEDaSU_SV_EUlSU_E_NS1_11comp_targetILNS1_3genE3ELNS1_11target_archE908ELNS1_3gpuE7ELNS1_3repE0EEENS1_30default_config_static_selectorELNS0_4arch9wavefront6targetE0EEEvT1_.has_recursion, 0
	.set _ZN7rocprim17ROCPRIM_400000_NS6detail17trampoline_kernelINS0_14default_configENS1_20scan_config_selectorIN3c107complexIdEEEEZZNS1_9scan_implILNS1_25lookback_scan_determinismE0ELb0ELb0ES3_PKS7_PS7_S7_ZZZN2at6native31launch_logcumsumexp_cuda_kernelERKNSE_10TensorBaseESI_lENKUlvE_clEvENKUlvE1_clEvEUlS7_S7_E_S7_EEDaPvRmT3_T4_T5_mT6_P12ihipStream_tbENKUlT_T0_E_clISt17integral_constantIbLb1EESY_IbLb0EEEEDaSU_SV_EUlSU_E_NS1_11comp_targetILNS1_3genE3ELNS1_11target_archE908ELNS1_3gpuE7ELNS1_3repE0EEENS1_30default_config_static_selectorELNS0_4arch9wavefront6targetE0EEEvT1_.has_indirect_call, 0
	.section	.AMDGPU.csdata,"",@progbits
; Kernel info:
; codeLenInByte = 0
; TotalNumSgprs: 0
; NumVgprs: 0
; ScratchSize: 0
; MemoryBound: 0
; FloatMode: 240
; IeeeMode: 1
; LDSByteSize: 0 bytes/workgroup (compile time only)
; SGPRBlocks: 0
; VGPRBlocks: 0
; NumSGPRsForWavesPerEU: 1
; NumVGPRsForWavesPerEU: 1
; Occupancy: 16
; WaveLimiterHint : 0
; COMPUTE_PGM_RSRC2:SCRATCH_EN: 0
; COMPUTE_PGM_RSRC2:USER_SGPR: 2
; COMPUTE_PGM_RSRC2:TRAP_HANDLER: 0
; COMPUTE_PGM_RSRC2:TGID_X_EN: 1
; COMPUTE_PGM_RSRC2:TGID_Y_EN: 0
; COMPUTE_PGM_RSRC2:TGID_Z_EN: 0
; COMPUTE_PGM_RSRC2:TIDIG_COMP_CNT: 0
	.section	.text._ZN7rocprim17ROCPRIM_400000_NS6detail17trampoline_kernelINS0_14default_configENS1_20scan_config_selectorIN3c107complexIdEEEEZZNS1_9scan_implILNS1_25lookback_scan_determinismE0ELb0ELb0ES3_PKS7_PS7_S7_ZZZN2at6native31launch_logcumsumexp_cuda_kernelERKNSE_10TensorBaseESI_lENKUlvE_clEvENKUlvE1_clEvEUlS7_S7_E_S7_EEDaPvRmT3_T4_T5_mT6_P12ihipStream_tbENKUlT_T0_E_clISt17integral_constantIbLb1EESY_IbLb0EEEEDaSU_SV_EUlSU_E_NS1_11comp_targetILNS1_3genE2ELNS1_11target_archE906ELNS1_3gpuE6ELNS1_3repE0EEENS1_30default_config_static_selectorELNS0_4arch9wavefront6targetE0EEEvT1_,"axG",@progbits,_ZN7rocprim17ROCPRIM_400000_NS6detail17trampoline_kernelINS0_14default_configENS1_20scan_config_selectorIN3c107complexIdEEEEZZNS1_9scan_implILNS1_25lookback_scan_determinismE0ELb0ELb0ES3_PKS7_PS7_S7_ZZZN2at6native31launch_logcumsumexp_cuda_kernelERKNSE_10TensorBaseESI_lENKUlvE_clEvENKUlvE1_clEvEUlS7_S7_E_S7_EEDaPvRmT3_T4_T5_mT6_P12ihipStream_tbENKUlT_T0_E_clISt17integral_constantIbLb1EESY_IbLb0EEEEDaSU_SV_EUlSU_E_NS1_11comp_targetILNS1_3genE2ELNS1_11target_archE906ELNS1_3gpuE6ELNS1_3repE0EEENS1_30default_config_static_selectorELNS0_4arch9wavefront6targetE0EEEvT1_,comdat
	.globl	_ZN7rocprim17ROCPRIM_400000_NS6detail17trampoline_kernelINS0_14default_configENS1_20scan_config_selectorIN3c107complexIdEEEEZZNS1_9scan_implILNS1_25lookback_scan_determinismE0ELb0ELb0ES3_PKS7_PS7_S7_ZZZN2at6native31launch_logcumsumexp_cuda_kernelERKNSE_10TensorBaseESI_lENKUlvE_clEvENKUlvE1_clEvEUlS7_S7_E_S7_EEDaPvRmT3_T4_T5_mT6_P12ihipStream_tbENKUlT_T0_E_clISt17integral_constantIbLb1EESY_IbLb0EEEEDaSU_SV_EUlSU_E_NS1_11comp_targetILNS1_3genE2ELNS1_11target_archE906ELNS1_3gpuE6ELNS1_3repE0EEENS1_30default_config_static_selectorELNS0_4arch9wavefront6targetE0EEEvT1_ ; -- Begin function _ZN7rocprim17ROCPRIM_400000_NS6detail17trampoline_kernelINS0_14default_configENS1_20scan_config_selectorIN3c107complexIdEEEEZZNS1_9scan_implILNS1_25lookback_scan_determinismE0ELb0ELb0ES3_PKS7_PS7_S7_ZZZN2at6native31launch_logcumsumexp_cuda_kernelERKNSE_10TensorBaseESI_lENKUlvE_clEvENKUlvE1_clEvEUlS7_S7_E_S7_EEDaPvRmT3_T4_T5_mT6_P12ihipStream_tbENKUlT_T0_E_clISt17integral_constantIbLb1EESY_IbLb0EEEEDaSU_SV_EUlSU_E_NS1_11comp_targetILNS1_3genE2ELNS1_11target_archE906ELNS1_3gpuE6ELNS1_3repE0EEENS1_30default_config_static_selectorELNS0_4arch9wavefront6targetE0EEEvT1_
	.p2align	8
	.type	_ZN7rocprim17ROCPRIM_400000_NS6detail17trampoline_kernelINS0_14default_configENS1_20scan_config_selectorIN3c107complexIdEEEEZZNS1_9scan_implILNS1_25lookback_scan_determinismE0ELb0ELb0ES3_PKS7_PS7_S7_ZZZN2at6native31launch_logcumsumexp_cuda_kernelERKNSE_10TensorBaseESI_lENKUlvE_clEvENKUlvE1_clEvEUlS7_S7_E_S7_EEDaPvRmT3_T4_T5_mT6_P12ihipStream_tbENKUlT_T0_E_clISt17integral_constantIbLb1EESY_IbLb0EEEEDaSU_SV_EUlSU_E_NS1_11comp_targetILNS1_3genE2ELNS1_11target_archE906ELNS1_3gpuE6ELNS1_3repE0EEENS1_30default_config_static_selectorELNS0_4arch9wavefront6targetE0EEEvT1_,@function
_ZN7rocprim17ROCPRIM_400000_NS6detail17trampoline_kernelINS0_14default_configENS1_20scan_config_selectorIN3c107complexIdEEEEZZNS1_9scan_implILNS1_25lookback_scan_determinismE0ELb0ELb0ES3_PKS7_PS7_S7_ZZZN2at6native31launch_logcumsumexp_cuda_kernelERKNSE_10TensorBaseESI_lENKUlvE_clEvENKUlvE1_clEvEUlS7_S7_E_S7_EEDaPvRmT3_T4_T5_mT6_P12ihipStream_tbENKUlT_T0_E_clISt17integral_constantIbLb1EESY_IbLb0EEEEDaSU_SV_EUlSU_E_NS1_11comp_targetILNS1_3genE2ELNS1_11target_archE906ELNS1_3gpuE6ELNS1_3repE0EEENS1_30default_config_static_selectorELNS0_4arch9wavefront6targetE0EEEvT1_: ; @_ZN7rocprim17ROCPRIM_400000_NS6detail17trampoline_kernelINS0_14default_configENS1_20scan_config_selectorIN3c107complexIdEEEEZZNS1_9scan_implILNS1_25lookback_scan_determinismE0ELb0ELb0ES3_PKS7_PS7_S7_ZZZN2at6native31launch_logcumsumexp_cuda_kernelERKNSE_10TensorBaseESI_lENKUlvE_clEvENKUlvE1_clEvEUlS7_S7_E_S7_EEDaPvRmT3_T4_T5_mT6_P12ihipStream_tbENKUlT_T0_E_clISt17integral_constantIbLb1EESY_IbLb0EEEEDaSU_SV_EUlSU_E_NS1_11comp_targetILNS1_3genE2ELNS1_11target_archE906ELNS1_3gpuE6ELNS1_3repE0EEENS1_30default_config_static_selectorELNS0_4arch9wavefront6targetE0EEEvT1_
; %bb.0:
	.section	.rodata,"a",@progbits
	.p2align	6, 0x0
	.amdhsa_kernel _ZN7rocprim17ROCPRIM_400000_NS6detail17trampoline_kernelINS0_14default_configENS1_20scan_config_selectorIN3c107complexIdEEEEZZNS1_9scan_implILNS1_25lookback_scan_determinismE0ELb0ELb0ES3_PKS7_PS7_S7_ZZZN2at6native31launch_logcumsumexp_cuda_kernelERKNSE_10TensorBaseESI_lENKUlvE_clEvENKUlvE1_clEvEUlS7_S7_E_S7_EEDaPvRmT3_T4_T5_mT6_P12ihipStream_tbENKUlT_T0_E_clISt17integral_constantIbLb1EESY_IbLb0EEEEDaSU_SV_EUlSU_E_NS1_11comp_targetILNS1_3genE2ELNS1_11target_archE906ELNS1_3gpuE6ELNS1_3repE0EEENS1_30default_config_static_selectorELNS0_4arch9wavefront6targetE0EEEvT1_
		.amdhsa_group_segment_fixed_size 0
		.amdhsa_private_segment_fixed_size 0
		.amdhsa_kernarg_size 128
		.amdhsa_user_sgpr_count 2
		.amdhsa_user_sgpr_dispatch_ptr 0
		.amdhsa_user_sgpr_queue_ptr 0
		.amdhsa_user_sgpr_kernarg_segment_ptr 1
		.amdhsa_user_sgpr_dispatch_id 0
		.amdhsa_user_sgpr_private_segment_size 0
		.amdhsa_wavefront_size32 1
		.amdhsa_uses_dynamic_stack 0
		.amdhsa_enable_private_segment 0
		.amdhsa_system_sgpr_workgroup_id_x 1
		.amdhsa_system_sgpr_workgroup_id_y 0
		.amdhsa_system_sgpr_workgroup_id_z 0
		.amdhsa_system_sgpr_workgroup_info 0
		.amdhsa_system_vgpr_workitem_id 0
		.amdhsa_next_free_vgpr 1
		.amdhsa_next_free_sgpr 1
		.amdhsa_reserve_vcc 0
		.amdhsa_float_round_mode_32 0
		.amdhsa_float_round_mode_16_64 0
		.amdhsa_float_denorm_mode_32 3
		.amdhsa_float_denorm_mode_16_64 3
		.amdhsa_fp16_overflow 0
		.amdhsa_workgroup_processor_mode 1
		.amdhsa_memory_ordered 1
		.amdhsa_forward_progress 1
		.amdhsa_inst_pref_size 0
		.amdhsa_round_robin_scheduling 0
		.amdhsa_exception_fp_ieee_invalid_op 0
		.amdhsa_exception_fp_denorm_src 0
		.amdhsa_exception_fp_ieee_div_zero 0
		.amdhsa_exception_fp_ieee_overflow 0
		.amdhsa_exception_fp_ieee_underflow 0
		.amdhsa_exception_fp_ieee_inexact 0
		.amdhsa_exception_int_div_zero 0
	.end_amdhsa_kernel
	.section	.text._ZN7rocprim17ROCPRIM_400000_NS6detail17trampoline_kernelINS0_14default_configENS1_20scan_config_selectorIN3c107complexIdEEEEZZNS1_9scan_implILNS1_25lookback_scan_determinismE0ELb0ELb0ES3_PKS7_PS7_S7_ZZZN2at6native31launch_logcumsumexp_cuda_kernelERKNSE_10TensorBaseESI_lENKUlvE_clEvENKUlvE1_clEvEUlS7_S7_E_S7_EEDaPvRmT3_T4_T5_mT6_P12ihipStream_tbENKUlT_T0_E_clISt17integral_constantIbLb1EESY_IbLb0EEEEDaSU_SV_EUlSU_E_NS1_11comp_targetILNS1_3genE2ELNS1_11target_archE906ELNS1_3gpuE6ELNS1_3repE0EEENS1_30default_config_static_selectorELNS0_4arch9wavefront6targetE0EEEvT1_,"axG",@progbits,_ZN7rocprim17ROCPRIM_400000_NS6detail17trampoline_kernelINS0_14default_configENS1_20scan_config_selectorIN3c107complexIdEEEEZZNS1_9scan_implILNS1_25lookback_scan_determinismE0ELb0ELb0ES3_PKS7_PS7_S7_ZZZN2at6native31launch_logcumsumexp_cuda_kernelERKNSE_10TensorBaseESI_lENKUlvE_clEvENKUlvE1_clEvEUlS7_S7_E_S7_EEDaPvRmT3_T4_T5_mT6_P12ihipStream_tbENKUlT_T0_E_clISt17integral_constantIbLb1EESY_IbLb0EEEEDaSU_SV_EUlSU_E_NS1_11comp_targetILNS1_3genE2ELNS1_11target_archE906ELNS1_3gpuE6ELNS1_3repE0EEENS1_30default_config_static_selectorELNS0_4arch9wavefront6targetE0EEEvT1_,comdat
.Lfunc_end226:
	.size	_ZN7rocprim17ROCPRIM_400000_NS6detail17trampoline_kernelINS0_14default_configENS1_20scan_config_selectorIN3c107complexIdEEEEZZNS1_9scan_implILNS1_25lookback_scan_determinismE0ELb0ELb0ES3_PKS7_PS7_S7_ZZZN2at6native31launch_logcumsumexp_cuda_kernelERKNSE_10TensorBaseESI_lENKUlvE_clEvENKUlvE1_clEvEUlS7_S7_E_S7_EEDaPvRmT3_T4_T5_mT6_P12ihipStream_tbENKUlT_T0_E_clISt17integral_constantIbLb1EESY_IbLb0EEEEDaSU_SV_EUlSU_E_NS1_11comp_targetILNS1_3genE2ELNS1_11target_archE906ELNS1_3gpuE6ELNS1_3repE0EEENS1_30default_config_static_selectorELNS0_4arch9wavefront6targetE0EEEvT1_, .Lfunc_end226-_ZN7rocprim17ROCPRIM_400000_NS6detail17trampoline_kernelINS0_14default_configENS1_20scan_config_selectorIN3c107complexIdEEEEZZNS1_9scan_implILNS1_25lookback_scan_determinismE0ELb0ELb0ES3_PKS7_PS7_S7_ZZZN2at6native31launch_logcumsumexp_cuda_kernelERKNSE_10TensorBaseESI_lENKUlvE_clEvENKUlvE1_clEvEUlS7_S7_E_S7_EEDaPvRmT3_T4_T5_mT6_P12ihipStream_tbENKUlT_T0_E_clISt17integral_constantIbLb1EESY_IbLb0EEEEDaSU_SV_EUlSU_E_NS1_11comp_targetILNS1_3genE2ELNS1_11target_archE906ELNS1_3gpuE6ELNS1_3repE0EEENS1_30default_config_static_selectorELNS0_4arch9wavefront6targetE0EEEvT1_
                                        ; -- End function
	.set _ZN7rocprim17ROCPRIM_400000_NS6detail17trampoline_kernelINS0_14default_configENS1_20scan_config_selectorIN3c107complexIdEEEEZZNS1_9scan_implILNS1_25lookback_scan_determinismE0ELb0ELb0ES3_PKS7_PS7_S7_ZZZN2at6native31launch_logcumsumexp_cuda_kernelERKNSE_10TensorBaseESI_lENKUlvE_clEvENKUlvE1_clEvEUlS7_S7_E_S7_EEDaPvRmT3_T4_T5_mT6_P12ihipStream_tbENKUlT_T0_E_clISt17integral_constantIbLb1EESY_IbLb0EEEEDaSU_SV_EUlSU_E_NS1_11comp_targetILNS1_3genE2ELNS1_11target_archE906ELNS1_3gpuE6ELNS1_3repE0EEENS1_30default_config_static_selectorELNS0_4arch9wavefront6targetE0EEEvT1_.num_vgpr, 0
	.set _ZN7rocprim17ROCPRIM_400000_NS6detail17trampoline_kernelINS0_14default_configENS1_20scan_config_selectorIN3c107complexIdEEEEZZNS1_9scan_implILNS1_25lookback_scan_determinismE0ELb0ELb0ES3_PKS7_PS7_S7_ZZZN2at6native31launch_logcumsumexp_cuda_kernelERKNSE_10TensorBaseESI_lENKUlvE_clEvENKUlvE1_clEvEUlS7_S7_E_S7_EEDaPvRmT3_T4_T5_mT6_P12ihipStream_tbENKUlT_T0_E_clISt17integral_constantIbLb1EESY_IbLb0EEEEDaSU_SV_EUlSU_E_NS1_11comp_targetILNS1_3genE2ELNS1_11target_archE906ELNS1_3gpuE6ELNS1_3repE0EEENS1_30default_config_static_selectorELNS0_4arch9wavefront6targetE0EEEvT1_.num_agpr, 0
	.set _ZN7rocprim17ROCPRIM_400000_NS6detail17trampoline_kernelINS0_14default_configENS1_20scan_config_selectorIN3c107complexIdEEEEZZNS1_9scan_implILNS1_25lookback_scan_determinismE0ELb0ELb0ES3_PKS7_PS7_S7_ZZZN2at6native31launch_logcumsumexp_cuda_kernelERKNSE_10TensorBaseESI_lENKUlvE_clEvENKUlvE1_clEvEUlS7_S7_E_S7_EEDaPvRmT3_T4_T5_mT6_P12ihipStream_tbENKUlT_T0_E_clISt17integral_constantIbLb1EESY_IbLb0EEEEDaSU_SV_EUlSU_E_NS1_11comp_targetILNS1_3genE2ELNS1_11target_archE906ELNS1_3gpuE6ELNS1_3repE0EEENS1_30default_config_static_selectorELNS0_4arch9wavefront6targetE0EEEvT1_.numbered_sgpr, 0
	.set _ZN7rocprim17ROCPRIM_400000_NS6detail17trampoline_kernelINS0_14default_configENS1_20scan_config_selectorIN3c107complexIdEEEEZZNS1_9scan_implILNS1_25lookback_scan_determinismE0ELb0ELb0ES3_PKS7_PS7_S7_ZZZN2at6native31launch_logcumsumexp_cuda_kernelERKNSE_10TensorBaseESI_lENKUlvE_clEvENKUlvE1_clEvEUlS7_S7_E_S7_EEDaPvRmT3_T4_T5_mT6_P12ihipStream_tbENKUlT_T0_E_clISt17integral_constantIbLb1EESY_IbLb0EEEEDaSU_SV_EUlSU_E_NS1_11comp_targetILNS1_3genE2ELNS1_11target_archE906ELNS1_3gpuE6ELNS1_3repE0EEENS1_30default_config_static_selectorELNS0_4arch9wavefront6targetE0EEEvT1_.num_named_barrier, 0
	.set _ZN7rocprim17ROCPRIM_400000_NS6detail17trampoline_kernelINS0_14default_configENS1_20scan_config_selectorIN3c107complexIdEEEEZZNS1_9scan_implILNS1_25lookback_scan_determinismE0ELb0ELb0ES3_PKS7_PS7_S7_ZZZN2at6native31launch_logcumsumexp_cuda_kernelERKNSE_10TensorBaseESI_lENKUlvE_clEvENKUlvE1_clEvEUlS7_S7_E_S7_EEDaPvRmT3_T4_T5_mT6_P12ihipStream_tbENKUlT_T0_E_clISt17integral_constantIbLb1EESY_IbLb0EEEEDaSU_SV_EUlSU_E_NS1_11comp_targetILNS1_3genE2ELNS1_11target_archE906ELNS1_3gpuE6ELNS1_3repE0EEENS1_30default_config_static_selectorELNS0_4arch9wavefront6targetE0EEEvT1_.private_seg_size, 0
	.set _ZN7rocprim17ROCPRIM_400000_NS6detail17trampoline_kernelINS0_14default_configENS1_20scan_config_selectorIN3c107complexIdEEEEZZNS1_9scan_implILNS1_25lookback_scan_determinismE0ELb0ELb0ES3_PKS7_PS7_S7_ZZZN2at6native31launch_logcumsumexp_cuda_kernelERKNSE_10TensorBaseESI_lENKUlvE_clEvENKUlvE1_clEvEUlS7_S7_E_S7_EEDaPvRmT3_T4_T5_mT6_P12ihipStream_tbENKUlT_T0_E_clISt17integral_constantIbLb1EESY_IbLb0EEEEDaSU_SV_EUlSU_E_NS1_11comp_targetILNS1_3genE2ELNS1_11target_archE906ELNS1_3gpuE6ELNS1_3repE0EEENS1_30default_config_static_selectorELNS0_4arch9wavefront6targetE0EEEvT1_.uses_vcc, 0
	.set _ZN7rocprim17ROCPRIM_400000_NS6detail17trampoline_kernelINS0_14default_configENS1_20scan_config_selectorIN3c107complexIdEEEEZZNS1_9scan_implILNS1_25lookback_scan_determinismE0ELb0ELb0ES3_PKS7_PS7_S7_ZZZN2at6native31launch_logcumsumexp_cuda_kernelERKNSE_10TensorBaseESI_lENKUlvE_clEvENKUlvE1_clEvEUlS7_S7_E_S7_EEDaPvRmT3_T4_T5_mT6_P12ihipStream_tbENKUlT_T0_E_clISt17integral_constantIbLb1EESY_IbLb0EEEEDaSU_SV_EUlSU_E_NS1_11comp_targetILNS1_3genE2ELNS1_11target_archE906ELNS1_3gpuE6ELNS1_3repE0EEENS1_30default_config_static_selectorELNS0_4arch9wavefront6targetE0EEEvT1_.uses_flat_scratch, 0
	.set _ZN7rocprim17ROCPRIM_400000_NS6detail17trampoline_kernelINS0_14default_configENS1_20scan_config_selectorIN3c107complexIdEEEEZZNS1_9scan_implILNS1_25lookback_scan_determinismE0ELb0ELb0ES3_PKS7_PS7_S7_ZZZN2at6native31launch_logcumsumexp_cuda_kernelERKNSE_10TensorBaseESI_lENKUlvE_clEvENKUlvE1_clEvEUlS7_S7_E_S7_EEDaPvRmT3_T4_T5_mT6_P12ihipStream_tbENKUlT_T0_E_clISt17integral_constantIbLb1EESY_IbLb0EEEEDaSU_SV_EUlSU_E_NS1_11comp_targetILNS1_3genE2ELNS1_11target_archE906ELNS1_3gpuE6ELNS1_3repE0EEENS1_30default_config_static_selectorELNS0_4arch9wavefront6targetE0EEEvT1_.has_dyn_sized_stack, 0
	.set _ZN7rocprim17ROCPRIM_400000_NS6detail17trampoline_kernelINS0_14default_configENS1_20scan_config_selectorIN3c107complexIdEEEEZZNS1_9scan_implILNS1_25lookback_scan_determinismE0ELb0ELb0ES3_PKS7_PS7_S7_ZZZN2at6native31launch_logcumsumexp_cuda_kernelERKNSE_10TensorBaseESI_lENKUlvE_clEvENKUlvE1_clEvEUlS7_S7_E_S7_EEDaPvRmT3_T4_T5_mT6_P12ihipStream_tbENKUlT_T0_E_clISt17integral_constantIbLb1EESY_IbLb0EEEEDaSU_SV_EUlSU_E_NS1_11comp_targetILNS1_3genE2ELNS1_11target_archE906ELNS1_3gpuE6ELNS1_3repE0EEENS1_30default_config_static_selectorELNS0_4arch9wavefront6targetE0EEEvT1_.has_recursion, 0
	.set _ZN7rocprim17ROCPRIM_400000_NS6detail17trampoline_kernelINS0_14default_configENS1_20scan_config_selectorIN3c107complexIdEEEEZZNS1_9scan_implILNS1_25lookback_scan_determinismE0ELb0ELb0ES3_PKS7_PS7_S7_ZZZN2at6native31launch_logcumsumexp_cuda_kernelERKNSE_10TensorBaseESI_lENKUlvE_clEvENKUlvE1_clEvEUlS7_S7_E_S7_EEDaPvRmT3_T4_T5_mT6_P12ihipStream_tbENKUlT_T0_E_clISt17integral_constantIbLb1EESY_IbLb0EEEEDaSU_SV_EUlSU_E_NS1_11comp_targetILNS1_3genE2ELNS1_11target_archE906ELNS1_3gpuE6ELNS1_3repE0EEENS1_30default_config_static_selectorELNS0_4arch9wavefront6targetE0EEEvT1_.has_indirect_call, 0
	.section	.AMDGPU.csdata,"",@progbits
; Kernel info:
; codeLenInByte = 0
; TotalNumSgprs: 0
; NumVgprs: 0
; ScratchSize: 0
; MemoryBound: 0
; FloatMode: 240
; IeeeMode: 1
; LDSByteSize: 0 bytes/workgroup (compile time only)
; SGPRBlocks: 0
; VGPRBlocks: 0
; NumSGPRsForWavesPerEU: 1
; NumVGPRsForWavesPerEU: 1
; Occupancy: 16
; WaveLimiterHint : 0
; COMPUTE_PGM_RSRC2:SCRATCH_EN: 0
; COMPUTE_PGM_RSRC2:USER_SGPR: 2
; COMPUTE_PGM_RSRC2:TRAP_HANDLER: 0
; COMPUTE_PGM_RSRC2:TGID_X_EN: 1
; COMPUTE_PGM_RSRC2:TGID_Y_EN: 0
; COMPUTE_PGM_RSRC2:TGID_Z_EN: 0
; COMPUTE_PGM_RSRC2:TIDIG_COMP_CNT: 0
	.section	.text._ZN7rocprim17ROCPRIM_400000_NS6detail17trampoline_kernelINS0_14default_configENS1_20scan_config_selectorIN3c107complexIdEEEEZZNS1_9scan_implILNS1_25lookback_scan_determinismE0ELb0ELb0ES3_PKS7_PS7_S7_ZZZN2at6native31launch_logcumsumexp_cuda_kernelERKNSE_10TensorBaseESI_lENKUlvE_clEvENKUlvE1_clEvEUlS7_S7_E_S7_EEDaPvRmT3_T4_T5_mT6_P12ihipStream_tbENKUlT_T0_E_clISt17integral_constantIbLb1EESY_IbLb0EEEEDaSU_SV_EUlSU_E_NS1_11comp_targetILNS1_3genE10ELNS1_11target_archE1201ELNS1_3gpuE5ELNS1_3repE0EEENS1_30default_config_static_selectorELNS0_4arch9wavefront6targetE0EEEvT1_,"axG",@progbits,_ZN7rocprim17ROCPRIM_400000_NS6detail17trampoline_kernelINS0_14default_configENS1_20scan_config_selectorIN3c107complexIdEEEEZZNS1_9scan_implILNS1_25lookback_scan_determinismE0ELb0ELb0ES3_PKS7_PS7_S7_ZZZN2at6native31launch_logcumsumexp_cuda_kernelERKNSE_10TensorBaseESI_lENKUlvE_clEvENKUlvE1_clEvEUlS7_S7_E_S7_EEDaPvRmT3_T4_T5_mT6_P12ihipStream_tbENKUlT_T0_E_clISt17integral_constantIbLb1EESY_IbLb0EEEEDaSU_SV_EUlSU_E_NS1_11comp_targetILNS1_3genE10ELNS1_11target_archE1201ELNS1_3gpuE5ELNS1_3repE0EEENS1_30default_config_static_selectorELNS0_4arch9wavefront6targetE0EEEvT1_,comdat
	.globl	_ZN7rocprim17ROCPRIM_400000_NS6detail17trampoline_kernelINS0_14default_configENS1_20scan_config_selectorIN3c107complexIdEEEEZZNS1_9scan_implILNS1_25lookback_scan_determinismE0ELb0ELb0ES3_PKS7_PS7_S7_ZZZN2at6native31launch_logcumsumexp_cuda_kernelERKNSE_10TensorBaseESI_lENKUlvE_clEvENKUlvE1_clEvEUlS7_S7_E_S7_EEDaPvRmT3_T4_T5_mT6_P12ihipStream_tbENKUlT_T0_E_clISt17integral_constantIbLb1EESY_IbLb0EEEEDaSU_SV_EUlSU_E_NS1_11comp_targetILNS1_3genE10ELNS1_11target_archE1201ELNS1_3gpuE5ELNS1_3repE0EEENS1_30default_config_static_selectorELNS0_4arch9wavefront6targetE0EEEvT1_ ; -- Begin function _ZN7rocprim17ROCPRIM_400000_NS6detail17trampoline_kernelINS0_14default_configENS1_20scan_config_selectorIN3c107complexIdEEEEZZNS1_9scan_implILNS1_25lookback_scan_determinismE0ELb0ELb0ES3_PKS7_PS7_S7_ZZZN2at6native31launch_logcumsumexp_cuda_kernelERKNSE_10TensorBaseESI_lENKUlvE_clEvENKUlvE1_clEvEUlS7_S7_E_S7_EEDaPvRmT3_T4_T5_mT6_P12ihipStream_tbENKUlT_T0_E_clISt17integral_constantIbLb1EESY_IbLb0EEEEDaSU_SV_EUlSU_E_NS1_11comp_targetILNS1_3genE10ELNS1_11target_archE1201ELNS1_3gpuE5ELNS1_3repE0EEENS1_30default_config_static_selectorELNS0_4arch9wavefront6targetE0EEEvT1_
	.p2align	8
	.type	_ZN7rocprim17ROCPRIM_400000_NS6detail17trampoline_kernelINS0_14default_configENS1_20scan_config_selectorIN3c107complexIdEEEEZZNS1_9scan_implILNS1_25lookback_scan_determinismE0ELb0ELb0ES3_PKS7_PS7_S7_ZZZN2at6native31launch_logcumsumexp_cuda_kernelERKNSE_10TensorBaseESI_lENKUlvE_clEvENKUlvE1_clEvEUlS7_S7_E_S7_EEDaPvRmT3_T4_T5_mT6_P12ihipStream_tbENKUlT_T0_E_clISt17integral_constantIbLb1EESY_IbLb0EEEEDaSU_SV_EUlSU_E_NS1_11comp_targetILNS1_3genE10ELNS1_11target_archE1201ELNS1_3gpuE5ELNS1_3repE0EEENS1_30default_config_static_selectorELNS0_4arch9wavefront6targetE0EEEvT1_,@function
_ZN7rocprim17ROCPRIM_400000_NS6detail17trampoline_kernelINS0_14default_configENS1_20scan_config_selectorIN3c107complexIdEEEEZZNS1_9scan_implILNS1_25lookback_scan_determinismE0ELb0ELb0ES3_PKS7_PS7_S7_ZZZN2at6native31launch_logcumsumexp_cuda_kernelERKNSE_10TensorBaseESI_lENKUlvE_clEvENKUlvE1_clEvEUlS7_S7_E_S7_EEDaPvRmT3_T4_T5_mT6_P12ihipStream_tbENKUlT_T0_E_clISt17integral_constantIbLb1EESY_IbLb0EEEEDaSU_SV_EUlSU_E_NS1_11comp_targetILNS1_3genE10ELNS1_11target_archE1201ELNS1_3gpuE5ELNS1_3repE0EEENS1_30default_config_static_selectorELNS0_4arch9wavefront6targetE0EEEvT1_: ; @_ZN7rocprim17ROCPRIM_400000_NS6detail17trampoline_kernelINS0_14default_configENS1_20scan_config_selectorIN3c107complexIdEEEEZZNS1_9scan_implILNS1_25lookback_scan_determinismE0ELb0ELb0ES3_PKS7_PS7_S7_ZZZN2at6native31launch_logcumsumexp_cuda_kernelERKNSE_10TensorBaseESI_lENKUlvE_clEvENKUlvE1_clEvEUlS7_S7_E_S7_EEDaPvRmT3_T4_T5_mT6_P12ihipStream_tbENKUlT_T0_E_clISt17integral_constantIbLb1EESY_IbLb0EEEEDaSU_SV_EUlSU_E_NS1_11comp_targetILNS1_3genE10ELNS1_11target_archE1201ELNS1_3gpuE5ELNS1_3repE0EEENS1_30default_config_static_selectorELNS0_4arch9wavefront6targetE0EEEvT1_
; %bb.0:
	s_endpgm
	.section	.rodata,"a",@progbits
	.p2align	6, 0x0
	.amdhsa_kernel _ZN7rocprim17ROCPRIM_400000_NS6detail17trampoline_kernelINS0_14default_configENS1_20scan_config_selectorIN3c107complexIdEEEEZZNS1_9scan_implILNS1_25lookback_scan_determinismE0ELb0ELb0ES3_PKS7_PS7_S7_ZZZN2at6native31launch_logcumsumexp_cuda_kernelERKNSE_10TensorBaseESI_lENKUlvE_clEvENKUlvE1_clEvEUlS7_S7_E_S7_EEDaPvRmT3_T4_T5_mT6_P12ihipStream_tbENKUlT_T0_E_clISt17integral_constantIbLb1EESY_IbLb0EEEEDaSU_SV_EUlSU_E_NS1_11comp_targetILNS1_3genE10ELNS1_11target_archE1201ELNS1_3gpuE5ELNS1_3repE0EEENS1_30default_config_static_selectorELNS0_4arch9wavefront6targetE0EEEvT1_
		.amdhsa_group_segment_fixed_size 0
		.amdhsa_private_segment_fixed_size 0
		.amdhsa_kernarg_size 128
		.amdhsa_user_sgpr_count 2
		.amdhsa_user_sgpr_dispatch_ptr 0
		.amdhsa_user_sgpr_queue_ptr 0
		.amdhsa_user_sgpr_kernarg_segment_ptr 1
		.amdhsa_user_sgpr_dispatch_id 0
		.amdhsa_user_sgpr_private_segment_size 0
		.amdhsa_wavefront_size32 1
		.amdhsa_uses_dynamic_stack 0
		.amdhsa_enable_private_segment 0
		.amdhsa_system_sgpr_workgroup_id_x 1
		.amdhsa_system_sgpr_workgroup_id_y 0
		.amdhsa_system_sgpr_workgroup_id_z 0
		.amdhsa_system_sgpr_workgroup_info 0
		.amdhsa_system_vgpr_workitem_id 0
		.amdhsa_next_free_vgpr 1
		.amdhsa_next_free_sgpr 1
		.amdhsa_reserve_vcc 0
		.amdhsa_float_round_mode_32 0
		.amdhsa_float_round_mode_16_64 0
		.amdhsa_float_denorm_mode_32 3
		.amdhsa_float_denorm_mode_16_64 3
		.amdhsa_fp16_overflow 0
		.amdhsa_workgroup_processor_mode 1
		.amdhsa_memory_ordered 1
		.amdhsa_forward_progress 1
		.amdhsa_inst_pref_size 1
		.amdhsa_round_robin_scheduling 0
		.amdhsa_exception_fp_ieee_invalid_op 0
		.amdhsa_exception_fp_denorm_src 0
		.amdhsa_exception_fp_ieee_div_zero 0
		.amdhsa_exception_fp_ieee_overflow 0
		.amdhsa_exception_fp_ieee_underflow 0
		.amdhsa_exception_fp_ieee_inexact 0
		.amdhsa_exception_int_div_zero 0
	.end_amdhsa_kernel
	.section	.text._ZN7rocprim17ROCPRIM_400000_NS6detail17trampoline_kernelINS0_14default_configENS1_20scan_config_selectorIN3c107complexIdEEEEZZNS1_9scan_implILNS1_25lookback_scan_determinismE0ELb0ELb0ES3_PKS7_PS7_S7_ZZZN2at6native31launch_logcumsumexp_cuda_kernelERKNSE_10TensorBaseESI_lENKUlvE_clEvENKUlvE1_clEvEUlS7_S7_E_S7_EEDaPvRmT3_T4_T5_mT6_P12ihipStream_tbENKUlT_T0_E_clISt17integral_constantIbLb1EESY_IbLb0EEEEDaSU_SV_EUlSU_E_NS1_11comp_targetILNS1_3genE10ELNS1_11target_archE1201ELNS1_3gpuE5ELNS1_3repE0EEENS1_30default_config_static_selectorELNS0_4arch9wavefront6targetE0EEEvT1_,"axG",@progbits,_ZN7rocprim17ROCPRIM_400000_NS6detail17trampoline_kernelINS0_14default_configENS1_20scan_config_selectorIN3c107complexIdEEEEZZNS1_9scan_implILNS1_25lookback_scan_determinismE0ELb0ELb0ES3_PKS7_PS7_S7_ZZZN2at6native31launch_logcumsumexp_cuda_kernelERKNSE_10TensorBaseESI_lENKUlvE_clEvENKUlvE1_clEvEUlS7_S7_E_S7_EEDaPvRmT3_T4_T5_mT6_P12ihipStream_tbENKUlT_T0_E_clISt17integral_constantIbLb1EESY_IbLb0EEEEDaSU_SV_EUlSU_E_NS1_11comp_targetILNS1_3genE10ELNS1_11target_archE1201ELNS1_3gpuE5ELNS1_3repE0EEENS1_30default_config_static_selectorELNS0_4arch9wavefront6targetE0EEEvT1_,comdat
.Lfunc_end227:
	.size	_ZN7rocprim17ROCPRIM_400000_NS6detail17trampoline_kernelINS0_14default_configENS1_20scan_config_selectorIN3c107complexIdEEEEZZNS1_9scan_implILNS1_25lookback_scan_determinismE0ELb0ELb0ES3_PKS7_PS7_S7_ZZZN2at6native31launch_logcumsumexp_cuda_kernelERKNSE_10TensorBaseESI_lENKUlvE_clEvENKUlvE1_clEvEUlS7_S7_E_S7_EEDaPvRmT3_T4_T5_mT6_P12ihipStream_tbENKUlT_T0_E_clISt17integral_constantIbLb1EESY_IbLb0EEEEDaSU_SV_EUlSU_E_NS1_11comp_targetILNS1_3genE10ELNS1_11target_archE1201ELNS1_3gpuE5ELNS1_3repE0EEENS1_30default_config_static_selectorELNS0_4arch9wavefront6targetE0EEEvT1_, .Lfunc_end227-_ZN7rocprim17ROCPRIM_400000_NS6detail17trampoline_kernelINS0_14default_configENS1_20scan_config_selectorIN3c107complexIdEEEEZZNS1_9scan_implILNS1_25lookback_scan_determinismE0ELb0ELb0ES3_PKS7_PS7_S7_ZZZN2at6native31launch_logcumsumexp_cuda_kernelERKNSE_10TensorBaseESI_lENKUlvE_clEvENKUlvE1_clEvEUlS7_S7_E_S7_EEDaPvRmT3_T4_T5_mT6_P12ihipStream_tbENKUlT_T0_E_clISt17integral_constantIbLb1EESY_IbLb0EEEEDaSU_SV_EUlSU_E_NS1_11comp_targetILNS1_3genE10ELNS1_11target_archE1201ELNS1_3gpuE5ELNS1_3repE0EEENS1_30default_config_static_selectorELNS0_4arch9wavefront6targetE0EEEvT1_
                                        ; -- End function
	.set _ZN7rocprim17ROCPRIM_400000_NS6detail17trampoline_kernelINS0_14default_configENS1_20scan_config_selectorIN3c107complexIdEEEEZZNS1_9scan_implILNS1_25lookback_scan_determinismE0ELb0ELb0ES3_PKS7_PS7_S7_ZZZN2at6native31launch_logcumsumexp_cuda_kernelERKNSE_10TensorBaseESI_lENKUlvE_clEvENKUlvE1_clEvEUlS7_S7_E_S7_EEDaPvRmT3_T4_T5_mT6_P12ihipStream_tbENKUlT_T0_E_clISt17integral_constantIbLb1EESY_IbLb0EEEEDaSU_SV_EUlSU_E_NS1_11comp_targetILNS1_3genE10ELNS1_11target_archE1201ELNS1_3gpuE5ELNS1_3repE0EEENS1_30default_config_static_selectorELNS0_4arch9wavefront6targetE0EEEvT1_.num_vgpr, 0
	.set _ZN7rocprim17ROCPRIM_400000_NS6detail17trampoline_kernelINS0_14default_configENS1_20scan_config_selectorIN3c107complexIdEEEEZZNS1_9scan_implILNS1_25lookback_scan_determinismE0ELb0ELb0ES3_PKS7_PS7_S7_ZZZN2at6native31launch_logcumsumexp_cuda_kernelERKNSE_10TensorBaseESI_lENKUlvE_clEvENKUlvE1_clEvEUlS7_S7_E_S7_EEDaPvRmT3_T4_T5_mT6_P12ihipStream_tbENKUlT_T0_E_clISt17integral_constantIbLb1EESY_IbLb0EEEEDaSU_SV_EUlSU_E_NS1_11comp_targetILNS1_3genE10ELNS1_11target_archE1201ELNS1_3gpuE5ELNS1_3repE0EEENS1_30default_config_static_selectorELNS0_4arch9wavefront6targetE0EEEvT1_.num_agpr, 0
	.set _ZN7rocprim17ROCPRIM_400000_NS6detail17trampoline_kernelINS0_14default_configENS1_20scan_config_selectorIN3c107complexIdEEEEZZNS1_9scan_implILNS1_25lookback_scan_determinismE0ELb0ELb0ES3_PKS7_PS7_S7_ZZZN2at6native31launch_logcumsumexp_cuda_kernelERKNSE_10TensorBaseESI_lENKUlvE_clEvENKUlvE1_clEvEUlS7_S7_E_S7_EEDaPvRmT3_T4_T5_mT6_P12ihipStream_tbENKUlT_T0_E_clISt17integral_constantIbLb1EESY_IbLb0EEEEDaSU_SV_EUlSU_E_NS1_11comp_targetILNS1_3genE10ELNS1_11target_archE1201ELNS1_3gpuE5ELNS1_3repE0EEENS1_30default_config_static_selectorELNS0_4arch9wavefront6targetE0EEEvT1_.numbered_sgpr, 0
	.set _ZN7rocprim17ROCPRIM_400000_NS6detail17trampoline_kernelINS0_14default_configENS1_20scan_config_selectorIN3c107complexIdEEEEZZNS1_9scan_implILNS1_25lookback_scan_determinismE0ELb0ELb0ES3_PKS7_PS7_S7_ZZZN2at6native31launch_logcumsumexp_cuda_kernelERKNSE_10TensorBaseESI_lENKUlvE_clEvENKUlvE1_clEvEUlS7_S7_E_S7_EEDaPvRmT3_T4_T5_mT6_P12ihipStream_tbENKUlT_T0_E_clISt17integral_constantIbLb1EESY_IbLb0EEEEDaSU_SV_EUlSU_E_NS1_11comp_targetILNS1_3genE10ELNS1_11target_archE1201ELNS1_3gpuE5ELNS1_3repE0EEENS1_30default_config_static_selectorELNS0_4arch9wavefront6targetE0EEEvT1_.num_named_barrier, 0
	.set _ZN7rocprim17ROCPRIM_400000_NS6detail17trampoline_kernelINS0_14default_configENS1_20scan_config_selectorIN3c107complexIdEEEEZZNS1_9scan_implILNS1_25lookback_scan_determinismE0ELb0ELb0ES3_PKS7_PS7_S7_ZZZN2at6native31launch_logcumsumexp_cuda_kernelERKNSE_10TensorBaseESI_lENKUlvE_clEvENKUlvE1_clEvEUlS7_S7_E_S7_EEDaPvRmT3_T4_T5_mT6_P12ihipStream_tbENKUlT_T0_E_clISt17integral_constantIbLb1EESY_IbLb0EEEEDaSU_SV_EUlSU_E_NS1_11comp_targetILNS1_3genE10ELNS1_11target_archE1201ELNS1_3gpuE5ELNS1_3repE0EEENS1_30default_config_static_selectorELNS0_4arch9wavefront6targetE0EEEvT1_.private_seg_size, 0
	.set _ZN7rocprim17ROCPRIM_400000_NS6detail17trampoline_kernelINS0_14default_configENS1_20scan_config_selectorIN3c107complexIdEEEEZZNS1_9scan_implILNS1_25lookback_scan_determinismE0ELb0ELb0ES3_PKS7_PS7_S7_ZZZN2at6native31launch_logcumsumexp_cuda_kernelERKNSE_10TensorBaseESI_lENKUlvE_clEvENKUlvE1_clEvEUlS7_S7_E_S7_EEDaPvRmT3_T4_T5_mT6_P12ihipStream_tbENKUlT_T0_E_clISt17integral_constantIbLb1EESY_IbLb0EEEEDaSU_SV_EUlSU_E_NS1_11comp_targetILNS1_3genE10ELNS1_11target_archE1201ELNS1_3gpuE5ELNS1_3repE0EEENS1_30default_config_static_selectorELNS0_4arch9wavefront6targetE0EEEvT1_.uses_vcc, 0
	.set _ZN7rocprim17ROCPRIM_400000_NS6detail17trampoline_kernelINS0_14default_configENS1_20scan_config_selectorIN3c107complexIdEEEEZZNS1_9scan_implILNS1_25lookback_scan_determinismE0ELb0ELb0ES3_PKS7_PS7_S7_ZZZN2at6native31launch_logcumsumexp_cuda_kernelERKNSE_10TensorBaseESI_lENKUlvE_clEvENKUlvE1_clEvEUlS7_S7_E_S7_EEDaPvRmT3_T4_T5_mT6_P12ihipStream_tbENKUlT_T0_E_clISt17integral_constantIbLb1EESY_IbLb0EEEEDaSU_SV_EUlSU_E_NS1_11comp_targetILNS1_3genE10ELNS1_11target_archE1201ELNS1_3gpuE5ELNS1_3repE0EEENS1_30default_config_static_selectorELNS0_4arch9wavefront6targetE0EEEvT1_.uses_flat_scratch, 0
	.set _ZN7rocprim17ROCPRIM_400000_NS6detail17trampoline_kernelINS0_14default_configENS1_20scan_config_selectorIN3c107complexIdEEEEZZNS1_9scan_implILNS1_25lookback_scan_determinismE0ELb0ELb0ES3_PKS7_PS7_S7_ZZZN2at6native31launch_logcumsumexp_cuda_kernelERKNSE_10TensorBaseESI_lENKUlvE_clEvENKUlvE1_clEvEUlS7_S7_E_S7_EEDaPvRmT3_T4_T5_mT6_P12ihipStream_tbENKUlT_T0_E_clISt17integral_constantIbLb1EESY_IbLb0EEEEDaSU_SV_EUlSU_E_NS1_11comp_targetILNS1_3genE10ELNS1_11target_archE1201ELNS1_3gpuE5ELNS1_3repE0EEENS1_30default_config_static_selectorELNS0_4arch9wavefront6targetE0EEEvT1_.has_dyn_sized_stack, 0
	.set _ZN7rocprim17ROCPRIM_400000_NS6detail17trampoline_kernelINS0_14default_configENS1_20scan_config_selectorIN3c107complexIdEEEEZZNS1_9scan_implILNS1_25lookback_scan_determinismE0ELb0ELb0ES3_PKS7_PS7_S7_ZZZN2at6native31launch_logcumsumexp_cuda_kernelERKNSE_10TensorBaseESI_lENKUlvE_clEvENKUlvE1_clEvEUlS7_S7_E_S7_EEDaPvRmT3_T4_T5_mT6_P12ihipStream_tbENKUlT_T0_E_clISt17integral_constantIbLb1EESY_IbLb0EEEEDaSU_SV_EUlSU_E_NS1_11comp_targetILNS1_3genE10ELNS1_11target_archE1201ELNS1_3gpuE5ELNS1_3repE0EEENS1_30default_config_static_selectorELNS0_4arch9wavefront6targetE0EEEvT1_.has_recursion, 0
	.set _ZN7rocprim17ROCPRIM_400000_NS6detail17trampoline_kernelINS0_14default_configENS1_20scan_config_selectorIN3c107complexIdEEEEZZNS1_9scan_implILNS1_25lookback_scan_determinismE0ELb0ELb0ES3_PKS7_PS7_S7_ZZZN2at6native31launch_logcumsumexp_cuda_kernelERKNSE_10TensorBaseESI_lENKUlvE_clEvENKUlvE1_clEvEUlS7_S7_E_S7_EEDaPvRmT3_T4_T5_mT6_P12ihipStream_tbENKUlT_T0_E_clISt17integral_constantIbLb1EESY_IbLb0EEEEDaSU_SV_EUlSU_E_NS1_11comp_targetILNS1_3genE10ELNS1_11target_archE1201ELNS1_3gpuE5ELNS1_3repE0EEENS1_30default_config_static_selectorELNS0_4arch9wavefront6targetE0EEEvT1_.has_indirect_call, 0
	.section	.AMDGPU.csdata,"",@progbits
; Kernel info:
; codeLenInByte = 4
; TotalNumSgprs: 0
; NumVgprs: 0
; ScratchSize: 0
; MemoryBound: 0
; FloatMode: 240
; IeeeMode: 1
; LDSByteSize: 0 bytes/workgroup (compile time only)
; SGPRBlocks: 0
; VGPRBlocks: 0
; NumSGPRsForWavesPerEU: 1
; NumVGPRsForWavesPerEU: 1
; Occupancy: 16
; WaveLimiterHint : 0
; COMPUTE_PGM_RSRC2:SCRATCH_EN: 0
; COMPUTE_PGM_RSRC2:USER_SGPR: 2
; COMPUTE_PGM_RSRC2:TRAP_HANDLER: 0
; COMPUTE_PGM_RSRC2:TGID_X_EN: 1
; COMPUTE_PGM_RSRC2:TGID_Y_EN: 0
; COMPUTE_PGM_RSRC2:TGID_Z_EN: 0
; COMPUTE_PGM_RSRC2:TIDIG_COMP_CNT: 0
	.section	.text._ZN7rocprim17ROCPRIM_400000_NS6detail17trampoline_kernelINS0_14default_configENS1_20scan_config_selectorIN3c107complexIdEEEEZZNS1_9scan_implILNS1_25lookback_scan_determinismE0ELb0ELb0ES3_PKS7_PS7_S7_ZZZN2at6native31launch_logcumsumexp_cuda_kernelERKNSE_10TensorBaseESI_lENKUlvE_clEvENKUlvE1_clEvEUlS7_S7_E_S7_EEDaPvRmT3_T4_T5_mT6_P12ihipStream_tbENKUlT_T0_E_clISt17integral_constantIbLb1EESY_IbLb0EEEEDaSU_SV_EUlSU_E_NS1_11comp_targetILNS1_3genE10ELNS1_11target_archE1200ELNS1_3gpuE4ELNS1_3repE0EEENS1_30default_config_static_selectorELNS0_4arch9wavefront6targetE0EEEvT1_,"axG",@progbits,_ZN7rocprim17ROCPRIM_400000_NS6detail17trampoline_kernelINS0_14default_configENS1_20scan_config_selectorIN3c107complexIdEEEEZZNS1_9scan_implILNS1_25lookback_scan_determinismE0ELb0ELb0ES3_PKS7_PS7_S7_ZZZN2at6native31launch_logcumsumexp_cuda_kernelERKNSE_10TensorBaseESI_lENKUlvE_clEvENKUlvE1_clEvEUlS7_S7_E_S7_EEDaPvRmT3_T4_T5_mT6_P12ihipStream_tbENKUlT_T0_E_clISt17integral_constantIbLb1EESY_IbLb0EEEEDaSU_SV_EUlSU_E_NS1_11comp_targetILNS1_3genE10ELNS1_11target_archE1200ELNS1_3gpuE4ELNS1_3repE0EEENS1_30default_config_static_selectorELNS0_4arch9wavefront6targetE0EEEvT1_,comdat
	.globl	_ZN7rocprim17ROCPRIM_400000_NS6detail17trampoline_kernelINS0_14default_configENS1_20scan_config_selectorIN3c107complexIdEEEEZZNS1_9scan_implILNS1_25lookback_scan_determinismE0ELb0ELb0ES3_PKS7_PS7_S7_ZZZN2at6native31launch_logcumsumexp_cuda_kernelERKNSE_10TensorBaseESI_lENKUlvE_clEvENKUlvE1_clEvEUlS7_S7_E_S7_EEDaPvRmT3_T4_T5_mT6_P12ihipStream_tbENKUlT_T0_E_clISt17integral_constantIbLb1EESY_IbLb0EEEEDaSU_SV_EUlSU_E_NS1_11comp_targetILNS1_3genE10ELNS1_11target_archE1200ELNS1_3gpuE4ELNS1_3repE0EEENS1_30default_config_static_selectorELNS0_4arch9wavefront6targetE0EEEvT1_ ; -- Begin function _ZN7rocprim17ROCPRIM_400000_NS6detail17trampoline_kernelINS0_14default_configENS1_20scan_config_selectorIN3c107complexIdEEEEZZNS1_9scan_implILNS1_25lookback_scan_determinismE0ELb0ELb0ES3_PKS7_PS7_S7_ZZZN2at6native31launch_logcumsumexp_cuda_kernelERKNSE_10TensorBaseESI_lENKUlvE_clEvENKUlvE1_clEvEUlS7_S7_E_S7_EEDaPvRmT3_T4_T5_mT6_P12ihipStream_tbENKUlT_T0_E_clISt17integral_constantIbLb1EESY_IbLb0EEEEDaSU_SV_EUlSU_E_NS1_11comp_targetILNS1_3genE10ELNS1_11target_archE1200ELNS1_3gpuE4ELNS1_3repE0EEENS1_30default_config_static_selectorELNS0_4arch9wavefront6targetE0EEEvT1_
	.p2align	8
	.type	_ZN7rocprim17ROCPRIM_400000_NS6detail17trampoline_kernelINS0_14default_configENS1_20scan_config_selectorIN3c107complexIdEEEEZZNS1_9scan_implILNS1_25lookback_scan_determinismE0ELb0ELb0ES3_PKS7_PS7_S7_ZZZN2at6native31launch_logcumsumexp_cuda_kernelERKNSE_10TensorBaseESI_lENKUlvE_clEvENKUlvE1_clEvEUlS7_S7_E_S7_EEDaPvRmT3_T4_T5_mT6_P12ihipStream_tbENKUlT_T0_E_clISt17integral_constantIbLb1EESY_IbLb0EEEEDaSU_SV_EUlSU_E_NS1_11comp_targetILNS1_3genE10ELNS1_11target_archE1200ELNS1_3gpuE4ELNS1_3repE0EEENS1_30default_config_static_selectorELNS0_4arch9wavefront6targetE0EEEvT1_,@function
_ZN7rocprim17ROCPRIM_400000_NS6detail17trampoline_kernelINS0_14default_configENS1_20scan_config_selectorIN3c107complexIdEEEEZZNS1_9scan_implILNS1_25lookback_scan_determinismE0ELb0ELb0ES3_PKS7_PS7_S7_ZZZN2at6native31launch_logcumsumexp_cuda_kernelERKNSE_10TensorBaseESI_lENKUlvE_clEvENKUlvE1_clEvEUlS7_S7_E_S7_EEDaPvRmT3_T4_T5_mT6_P12ihipStream_tbENKUlT_T0_E_clISt17integral_constantIbLb1EESY_IbLb0EEEEDaSU_SV_EUlSU_E_NS1_11comp_targetILNS1_3genE10ELNS1_11target_archE1200ELNS1_3gpuE4ELNS1_3repE0EEENS1_30default_config_static_selectorELNS0_4arch9wavefront6targetE0EEEvT1_: ; @_ZN7rocprim17ROCPRIM_400000_NS6detail17trampoline_kernelINS0_14default_configENS1_20scan_config_selectorIN3c107complexIdEEEEZZNS1_9scan_implILNS1_25lookback_scan_determinismE0ELb0ELb0ES3_PKS7_PS7_S7_ZZZN2at6native31launch_logcumsumexp_cuda_kernelERKNSE_10TensorBaseESI_lENKUlvE_clEvENKUlvE1_clEvEUlS7_S7_E_S7_EEDaPvRmT3_T4_T5_mT6_P12ihipStream_tbENKUlT_T0_E_clISt17integral_constantIbLb1EESY_IbLb0EEEEDaSU_SV_EUlSU_E_NS1_11comp_targetILNS1_3genE10ELNS1_11target_archE1200ELNS1_3gpuE4ELNS1_3repE0EEENS1_30default_config_static_selectorELNS0_4arch9wavefront6targetE0EEEvT1_
; %bb.0:
	.section	.rodata,"a",@progbits
	.p2align	6, 0x0
	.amdhsa_kernel _ZN7rocprim17ROCPRIM_400000_NS6detail17trampoline_kernelINS0_14default_configENS1_20scan_config_selectorIN3c107complexIdEEEEZZNS1_9scan_implILNS1_25lookback_scan_determinismE0ELb0ELb0ES3_PKS7_PS7_S7_ZZZN2at6native31launch_logcumsumexp_cuda_kernelERKNSE_10TensorBaseESI_lENKUlvE_clEvENKUlvE1_clEvEUlS7_S7_E_S7_EEDaPvRmT3_T4_T5_mT6_P12ihipStream_tbENKUlT_T0_E_clISt17integral_constantIbLb1EESY_IbLb0EEEEDaSU_SV_EUlSU_E_NS1_11comp_targetILNS1_3genE10ELNS1_11target_archE1200ELNS1_3gpuE4ELNS1_3repE0EEENS1_30default_config_static_selectorELNS0_4arch9wavefront6targetE0EEEvT1_
		.amdhsa_group_segment_fixed_size 0
		.amdhsa_private_segment_fixed_size 0
		.amdhsa_kernarg_size 128
		.amdhsa_user_sgpr_count 2
		.amdhsa_user_sgpr_dispatch_ptr 0
		.amdhsa_user_sgpr_queue_ptr 0
		.amdhsa_user_sgpr_kernarg_segment_ptr 1
		.amdhsa_user_sgpr_dispatch_id 0
		.amdhsa_user_sgpr_private_segment_size 0
		.amdhsa_wavefront_size32 1
		.amdhsa_uses_dynamic_stack 0
		.amdhsa_enable_private_segment 0
		.amdhsa_system_sgpr_workgroup_id_x 1
		.amdhsa_system_sgpr_workgroup_id_y 0
		.amdhsa_system_sgpr_workgroup_id_z 0
		.amdhsa_system_sgpr_workgroup_info 0
		.amdhsa_system_vgpr_workitem_id 0
		.amdhsa_next_free_vgpr 1
		.amdhsa_next_free_sgpr 1
		.amdhsa_reserve_vcc 0
		.amdhsa_float_round_mode_32 0
		.amdhsa_float_round_mode_16_64 0
		.amdhsa_float_denorm_mode_32 3
		.amdhsa_float_denorm_mode_16_64 3
		.amdhsa_fp16_overflow 0
		.amdhsa_workgroup_processor_mode 1
		.amdhsa_memory_ordered 1
		.amdhsa_forward_progress 1
		.amdhsa_inst_pref_size 0
		.amdhsa_round_robin_scheduling 0
		.amdhsa_exception_fp_ieee_invalid_op 0
		.amdhsa_exception_fp_denorm_src 0
		.amdhsa_exception_fp_ieee_div_zero 0
		.amdhsa_exception_fp_ieee_overflow 0
		.amdhsa_exception_fp_ieee_underflow 0
		.amdhsa_exception_fp_ieee_inexact 0
		.amdhsa_exception_int_div_zero 0
	.end_amdhsa_kernel
	.section	.text._ZN7rocprim17ROCPRIM_400000_NS6detail17trampoline_kernelINS0_14default_configENS1_20scan_config_selectorIN3c107complexIdEEEEZZNS1_9scan_implILNS1_25lookback_scan_determinismE0ELb0ELb0ES3_PKS7_PS7_S7_ZZZN2at6native31launch_logcumsumexp_cuda_kernelERKNSE_10TensorBaseESI_lENKUlvE_clEvENKUlvE1_clEvEUlS7_S7_E_S7_EEDaPvRmT3_T4_T5_mT6_P12ihipStream_tbENKUlT_T0_E_clISt17integral_constantIbLb1EESY_IbLb0EEEEDaSU_SV_EUlSU_E_NS1_11comp_targetILNS1_3genE10ELNS1_11target_archE1200ELNS1_3gpuE4ELNS1_3repE0EEENS1_30default_config_static_selectorELNS0_4arch9wavefront6targetE0EEEvT1_,"axG",@progbits,_ZN7rocprim17ROCPRIM_400000_NS6detail17trampoline_kernelINS0_14default_configENS1_20scan_config_selectorIN3c107complexIdEEEEZZNS1_9scan_implILNS1_25lookback_scan_determinismE0ELb0ELb0ES3_PKS7_PS7_S7_ZZZN2at6native31launch_logcumsumexp_cuda_kernelERKNSE_10TensorBaseESI_lENKUlvE_clEvENKUlvE1_clEvEUlS7_S7_E_S7_EEDaPvRmT3_T4_T5_mT6_P12ihipStream_tbENKUlT_T0_E_clISt17integral_constantIbLb1EESY_IbLb0EEEEDaSU_SV_EUlSU_E_NS1_11comp_targetILNS1_3genE10ELNS1_11target_archE1200ELNS1_3gpuE4ELNS1_3repE0EEENS1_30default_config_static_selectorELNS0_4arch9wavefront6targetE0EEEvT1_,comdat
.Lfunc_end228:
	.size	_ZN7rocprim17ROCPRIM_400000_NS6detail17trampoline_kernelINS0_14default_configENS1_20scan_config_selectorIN3c107complexIdEEEEZZNS1_9scan_implILNS1_25lookback_scan_determinismE0ELb0ELb0ES3_PKS7_PS7_S7_ZZZN2at6native31launch_logcumsumexp_cuda_kernelERKNSE_10TensorBaseESI_lENKUlvE_clEvENKUlvE1_clEvEUlS7_S7_E_S7_EEDaPvRmT3_T4_T5_mT6_P12ihipStream_tbENKUlT_T0_E_clISt17integral_constantIbLb1EESY_IbLb0EEEEDaSU_SV_EUlSU_E_NS1_11comp_targetILNS1_3genE10ELNS1_11target_archE1200ELNS1_3gpuE4ELNS1_3repE0EEENS1_30default_config_static_selectorELNS0_4arch9wavefront6targetE0EEEvT1_, .Lfunc_end228-_ZN7rocprim17ROCPRIM_400000_NS6detail17trampoline_kernelINS0_14default_configENS1_20scan_config_selectorIN3c107complexIdEEEEZZNS1_9scan_implILNS1_25lookback_scan_determinismE0ELb0ELb0ES3_PKS7_PS7_S7_ZZZN2at6native31launch_logcumsumexp_cuda_kernelERKNSE_10TensorBaseESI_lENKUlvE_clEvENKUlvE1_clEvEUlS7_S7_E_S7_EEDaPvRmT3_T4_T5_mT6_P12ihipStream_tbENKUlT_T0_E_clISt17integral_constantIbLb1EESY_IbLb0EEEEDaSU_SV_EUlSU_E_NS1_11comp_targetILNS1_3genE10ELNS1_11target_archE1200ELNS1_3gpuE4ELNS1_3repE0EEENS1_30default_config_static_selectorELNS0_4arch9wavefront6targetE0EEEvT1_
                                        ; -- End function
	.set _ZN7rocprim17ROCPRIM_400000_NS6detail17trampoline_kernelINS0_14default_configENS1_20scan_config_selectorIN3c107complexIdEEEEZZNS1_9scan_implILNS1_25lookback_scan_determinismE0ELb0ELb0ES3_PKS7_PS7_S7_ZZZN2at6native31launch_logcumsumexp_cuda_kernelERKNSE_10TensorBaseESI_lENKUlvE_clEvENKUlvE1_clEvEUlS7_S7_E_S7_EEDaPvRmT3_T4_T5_mT6_P12ihipStream_tbENKUlT_T0_E_clISt17integral_constantIbLb1EESY_IbLb0EEEEDaSU_SV_EUlSU_E_NS1_11comp_targetILNS1_3genE10ELNS1_11target_archE1200ELNS1_3gpuE4ELNS1_3repE0EEENS1_30default_config_static_selectorELNS0_4arch9wavefront6targetE0EEEvT1_.num_vgpr, 0
	.set _ZN7rocprim17ROCPRIM_400000_NS6detail17trampoline_kernelINS0_14default_configENS1_20scan_config_selectorIN3c107complexIdEEEEZZNS1_9scan_implILNS1_25lookback_scan_determinismE0ELb0ELb0ES3_PKS7_PS7_S7_ZZZN2at6native31launch_logcumsumexp_cuda_kernelERKNSE_10TensorBaseESI_lENKUlvE_clEvENKUlvE1_clEvEUlS7_S7_E_S7_EEDaPvRmT3_T4_T5_mT6_P12ihipStream_tbENKUlT_T0_E_clISt17integral_constantIbLb1EESY_IbLb0EEEEDaSU_SV_EUlSU_E_NS1_11comp_targetILNS1_3genE10ELNS1_11target_archE1200ELNS1_3gpuE4ELNS1_3repE0EEENS1_30default_config_static_selectorELNS0_4arch9wavefront6targetE0EEEvT1_.num_agpr, 0
	.set _ZN7rocprim17ROCPRIM_400000_NS6detail17trampoline_kernelINS0_14default_configENS1_20scan_config_selectorIN3c107complexIdEEEEZZNS1_9scan_implILNS1_25lookback_scan_determinismE0ELb0ELb0ES3_PKS7_PS7_S7_ZZZN2at6native31launch_logcumsumexp_cuda_kernelERKNSE_10TensorBaseESI_lENKUlvE_clEvENKUlvE1_clEvEUlS7_S7_E_S7_EEDaPvRmT3_T4_T5_mT6_P12ihipStream_tbENKUlT_T0_E_clISt17integral_constantIbLb1EESY_IbLb0EEEEDaSU_SV_EUlSU_E_NS1_11comp_targetILNS1_3genE10ELNS1_11target_archE1200ELNS1_3gpuE4ELNS1_3repE0EEENS1_30default_config_static_selectorELNS0_4arch9wavefront6targetE0EEEvT1_.numbered_sgpr, 0
	.set _ZN7rocprim17ROCPRIM_400000_NS6detail17trampoline_kernelINS0_14default_configENS1_20scan_config_selectorIN3c107complexIdEEEEZZNS1_9scan_implILNS1_25lookback_scan_determinismE0ELb0ELb0ES3_PKS7_PS7_S7_ZZZN2at6native31launch_logcumsumexp_cuda_kernelERKNSE_10TensorBaseESI_lENKUlvE_clEvENKUlvE1_clEvEUlS7_S7_E_S7_EEDaPvRmT3_T4_T5_mT6_P12ihipStream_tbENKUlT_T0_E_clISt17integral_constantIbLb1EESY_IbLb0EEEEDaSU_SV_EUlSU_E_NS1_11comp_targetILNS1_3genE10ELNS1_11target_archE1200ELNS1_3gpuE4ELNS1_3repE0EEENS1_30default_config_static_selectorELNS0_4arch9wavefront6targetE0EEEvT1_.num_named_barrier, 0
	.set _ZN7rocprim17ROCPRIM_400000_NS6detail17trampoline_kernelINS0_14default_configENS1_20scan_config_selectorIN3c107complexIdEEEEZZNS1_9scan_implILNS1_25lookback_scan_determinismE0ELb0ELb0ES3_PKS7_PS7_S7_ZZZN2at6native31launch_logcumsumexp_cuda_kernelERKNSE_10TensorBaseESI_lENKUlvE_clEvENKUlvE1_clEvEUlS7_S7_E_S7_EEDaPvRmT3_T4_T5_mT6_P12ihipStream_tbENKUlT_T0_E_clISt17integral_constantIbLb1EESY_IbLb0EEEEDaSU_SV_EUlSU_E_NS1_11comp_targetILNS1_3genE10ELNS1_11target_archE1200ELNS1_3gpuE4ELNS1_3repE0EEENS1_30default_config_static_selectorELNS0_4arch9wavefront6targetE0EEEvT1_.private_seg_size, 0
	.set _ZN7rocprim17ROCPRIM_400000_NS6detail17trampoline_kernelINS0_14default_configENS1_20scan_config_selectorIN3c107complexIdEEEEZZNS1_9scan_implILNS1_25lookback_scan_determinismE0ELb0ELb0ES3_PKS7_PS7_S7_ZZZN2at6native31launch_logcumsumexp_cuda_kernelERKNSE_10TensorBaseESI_lENKUlvE_clEvENKUlvE1_clEvEUlS7_S7_E_S7_EEDaPvRmT3_T4_T5_mT6_P12ihipStream_tbENKUlT_T0_E_clISt17integral_constantIbLb1EESY_IbLb0EEEEDaSU_SV_EUlSU_E_NS1_11comp_targetILNS1_3genE10ELNS1_11target_archE1200ELNS1_3gpuE4ELNS1_3repE0EEENS1_30default_config_static_selectorELNS0_4arch9wavefront6targetE0EEEvT1_.uses_vcc, 0
	.set _ZN7rocprim17ROCPRIM_400000_NS6detail17trampoline_kernelINS0_14default_configENS1_20scan_config_selectorIN3c107complexIdEEEEZZNS1_9scan_implILNS1_25lookback_scan_determinismE0ELb0ELb0ES3_PKS7_PS7_S7_ZZZN2at6native31launch_logcumsumexp_cuda_kernelERKNSE_10TensorBaseESI_lENKUlvE_clEvENKUlvE1_clEvEUlS7_S7_E_S7_EEDaPvRmT3_T4_T5_mT6_P12ihipStream_tbENKUlT_T0_E_clISt17integral_constantIbLb1EESY_IbLb0EEEEDaSU_SV_EUlSU_E_NS1_11comp_targetILNS1_3genE10ELNS1_11target_archE1200ELNS1_3gpuE4ELNS1_3repE0EEENS1_30default_config_static_selectorELNS0_4arch9wavefront6targetE0EEEvT1_.uses_flat_scratch, 0
	.set _ZN7rocprim17ROCPRIM_400000_NS6detail17trampoline_kernelINS0_14default_configENS1_20scan_config_selectorIN3c107complexIdEEEEZZNS1_9scan_implILNS1_25lookback_scan_determinismE0ELb0ELb0ES3_PKS7_PS7_S7_ZZZN2at6native31launch_logcumsumexp_cuda_kernelERKNSE_10TensorBaseESI_lENKUlvE_clEvENKUlvE1_clEvEUlS7_S7_E_S7_EEDaPvRmT3_T4_T5_mT6_P12ihipStream_tbENKUlT_T0_E_clISt17integral_constantIbLb1EESY_IbLb0EEEEDaSU_SV_EUlSU_E_NS1_11comp_targetILNS1_3genE10ELNS1_11target_archE1200ELNS1_3gpuE4ELNS1_3repE0EEENS1_30default_config_static_selectorELNS0_4arch9wavefront6targetE0EEEvT1_.has_dyn_sized_stack, 0
	.set _ZN7rocprim17ROCPRIM_400000_NS6detail17trampoline_kernelINS0_14default_configENS1_20scan_config_selectorIN3c107complexIdEEEEZZNS1_9scan_implILNS1_25lookback_scan_determinismE0ELb0ELb0ES3_PKS7_PS7_S7_ZZZN2at6native31launch_logcumsumexp_cuda_kernelERKNSE_10TensorBaseESI_lENKUlvE_clEvENKUlvE1_clEvEUlS7_S7_E_S7_EEDaPvRmT3_T4_T5_mT6_P12ihipStream_tbENKUlT_T0_E_clISt17integral_constantIbLb1EESY_IbLb0EEEEDaSU_SV_EUlSU_E_NS1_11comp_targetILNS1_3genE10ELNS1_11target_archE1200ELNS1_3gpuE4ELNS1_3repE0EEENS1_30default_config_static_selectorELNS0_4arch9wavefront6targetE0EEEvT1_.has_recursion, 0
	.set _ZN7rocprim17ROCPRIM_400000_NS6detail17trampoline_kernelINS0_14default_configENS1_20scan_config_selectorIN3c107complexIdEEEEZZNS1_9scan_implILNS1_25lookback_scan_determinismE0ELb0ELb0ES3_PKS7_PS7_S7_ZZZN2at6native31launch_logcumsumexp_cuda_kernelERKNSE_10TensorBaseESI_lENKUlvE_clEvENKUlvE1_clEvEUlS7_S7_E_S7_EEDaPvRmT3_T4_T5_mT6_P12ihipStream_tbENKUlT_T0_E_clISt17integral_constantIbLb1EESY_IbLb0EEEEDaSU_SV_EUlSU_E_NS1_11comp_targetILNS1_3genE10ELNS1_11target_archE1200ELNS1_3gpuE4ELNS1_3repE0EEENS1_30default_config_static_selectorELNS0_4arch9wavefront6targetE0EEEvT1_.has_indirect_call, 0
	.section	.AMDGPU.csdata,"",@progbits
; Kernel info:
; codeLenInByte = 0
; TotalNumSgprs: 0
; NumVgprs: 0
; ScratchSize: 0
; MemoryBound: 0
; FloatMode: 240
; IeeeMode: 1
; LDSByteSize: 0 bytes/workgroup (compile time only)
; SGPRBlocks: 0
; VGPRBlocks: 0
; NumSGPRsForWavesPerEU: 1
; NumVGPRsForWavesPerEU: 1
; Occupancy: 16
; WaveLimiterHint : 0
; COMPUTE_PGM_RSRC2:SCRATCH_EN: 0
; COMPUTE_PGM_RSRC2:USER_SGPR: 2
; COMPUTE_PGM_RSRC2:TRAP_HANDLER: 0
; COMPUTE_PGM_RSRC2:TGID_X_EN: 1
; COMPUTE_PGM_RSRC2:TGID_Y_EN: 0
; COMPUTE_PGM_RSRC2:TGID_Z_EN: 0
; COMPUTE_PGM_RSRC2:TIDIG_COMP_CNT: 0
	.section	.text._ZN7rocprim17ROCPRIM_400000_NS6detail17trampoline_kernelINS0_14default_configENS1_20scan_config_selectorIN3c107complexIdEEEEZZNS1_9scan_implILNS1_25lookback_scan_determinismE0ELb0ELb0ES3_PKS7_PS7_S7_ZZZN2at6native31launch_logcumsumexp_cuda_kernelERKNSE_10TensorBaseESI_lENKUlvE_clEvENKUlvE1_clEvEUlS7_S7_E_S7_EEDaPvRmT3_T4_T5_mT6_P12ihipStream_tbENKUlT_T0_E_clISt17integral_constantIbLb1EESY_IbLb0EEEEDaSU_SV_EUlSU_E_NS1_11comp_targetILNS1_3genE9ELNS1_11target_archE1100ELNS1_3gpuE3ELNS1_3repE0EEENS1_30default_config_static_selectorELNS0_4arch9wavefront6targetE0EEEvT1_,"axG",@progbits,_ZN7rocprim17ROCPRIM_400000_NS6detail17trampoline_kernelINS0_14default_configENS1_20scan_config_selectorIN3c107complexIdEEEEZZNS1_9scan_implILNS1_25lookback_scan_determinismE0ELb0ELb0ES3_PKS7_PS7_S7_ZZZN2at6native31launch_logcumsumexp_cuda_kernelERKNSE_10TensorBaseESI_lENKUlvE_clEvENKUlvE1_clEvEUlS7_S7_E_S7_EEDaPvRmT3_T4_T5_mT6_P12ihipStream_tbENKUlT_T0_E_clISt17integral_constantIbLb1EESY_IbLb0EEEEDaSU_SV_EUlSU_E_NS1_11comp_targetILNS1_3genE9ELNS1_11target_archE1100ELNS1_3gpuE3ELNS1_3repE0EEENS1_30default_config_static_selectorELNS0_4arch9wavefront6targetE0EEEvT1_,comdat
	.globl	_ZN7rocprim17ROCPRIM_400000_NS6detail17trampoline_kernelINS0_14default_configENS1_20scan_config_selectorIN3c107complexIdEEEEZZNS1_9scan_implILNS1_25lookback_scan_determinismE0ELb0ELb0ES3_PKS7_PS7_S7_ZZZN2at6native31launch_logcumsumexp_cuda_kernelERKNSE_10TensorBaseESI_lENKUlvE_clEvENKUlvE1_clEvEUlS7_S7_E_S7_EEDaPvRmT3_T4_T5_mT6_P12ihipStream_tbENKUlT_T0_E_clISt17integral_constantIbLb1EESY_IbLb0EEEEDaSU_SV_EUlSU_E_NS1_11comp_targetILNS1_3genE9ELNS1_11target_archE1100ELNS1_3gpuE3ELNS1_3repE0EEENS1_30default_config_static_selectorELNS0_4arch9wavefront6targetE0EEEvT1_ ; -- Begin function _ZN7rocprim17ROCPRIM_400000_NS6detail17trampoline_kernelINS0_14default_configENS1_20scan_config_selectorIN3c107complexIdEEEEZZNS1_9scan_implILNS1_25lookback_scan_determinismE0ELb0ELb0ES3_PKS7_PS7_S7_ZZZN2at6native31launch_logcumsumexp_cuda_kernelERKNSE_10TensorBaseESI_lENKUlvE_clEvENKUlvE1_clEvEUlS7_S7_E_S7_EEDaPvRmT3_T4_T5_mT6_P12ihipStream_tbENKUlT_T0_E_clISt17integral_constantIbLb1EESY_IbLb0EEEEDaSU_SV_EUlSU_E_NS1_11comp_targetILNS1_3genE9ELNS1_11target_archE1100ELNS1_3gpuE3ELNS1_3repE0EEENS1_30default_config_static_selectorELNS0_4arch9wavefront6targetE0EEEvT1_
	.p2align	8
	.type	_ZN7rocprim17ROCPRIM_400000_NS6detail17trampoline_kernelINS0_14default_configENS1_20scan_config_selectorIN3c107complexIdEEEEZZNS1_9scan_implILNS1_25lookback_scan_determinismE0ELb0ELb0ES3_PKS7_PS7_S7_ZZZN2at6native31launch_logcumsumexp_cuda_kernelERKNSE_10TensorBaseESI_lENKUlvE_clEvENKUlvE1_clEvEUlS7_S7_E_S7_EEDaPvRmT3_T4_T5_mT6_P12ihipStream_tbENKUlT_T0_E_clISt17integral_constantIbLb1EESY_IbLb0EEEEDaSU_SV_EUlSU_E_NS1_11comp_targetILNS1_3genE9ELNS1_11target_archE1100ELNS1_3gpuE3ELNS1_3repE0EEENS1_30default_config_static_selectorELNS0_4arch9wavefront6targetE0EEEvT1_,@function
_ZN7rocprim17ROCPRIM_400000_NS6detail17trampoline_kernelINS0_14default_configENS1_20scan_config_selectorIN3c107complexIdEEEEZZNS1_9scan_implILNS1_25lookback_scan_determinismE0ELb0ELb0ES3_PKS7_PS7_S7_ZZZN2at6native31launch_logcumsumexp_cuda_kernelERKNSE_10TensorBaseESI_lENKUlvE_clEvENKUlvE1_clEvEUlS7_S7_E_S7_EEDaPvRmT3_T4_T5_mT6_P12ihipStream_tbENKUlT_T0_E_clISt17integral_constantIbLb1EESY_IbLb0EEEEDaSU_SV_EUlSU_E_NS1_11comp_targetILNS1_3genE9ELNS1_11target_archE1100ELNS1_3gpuE3ELNS1_3repE0EEENS1_30default_config_static_selectorELNS0_4arch9wavefront6targetE0EEEvT1_: ; @_ZN7rocprim17ROCPRIM_400000_NS6detail17trampoline_kernelINS0_14default_configENS1_20scan_config_selectorIN3c107complexIdEEEEZZNS1_9scan_implILNS1_25lookback_scan_determinismE0ELb0ELb0ES3_PKS7_PS7_S7_ZZZN2at6native31launch_logcumsumexp_cuda_kernelERKNSE_10TensorBaseESI_lENKUlvE_clEvENKUlvE1_clEvEUlS7_S7_E_S7_EEDaPvRmT3_T4_T5_mT6_P12ihipStream_tbENKUlT_T0_E_clISt17integral_constantIbLb1EESY_IbLb0EEEEDaSU_SV_EUlSU_E_NS1_11comp_targetILNS1_3genE9ELNS1_11target_archE1100ELNS1_3gpuE3ELNS1_3repE0EEENS1_30default_config_static_selectorELNS0_4arch9wavefront6targetE0EEEvT1_
; %bb.0:
	.section	.rodata,"a",@progbits
	.p2align	6, 0x0
	.amdhsa_kernel _ZN7rocprim17ROCPRIM_400000_NS6detail17trampoline_kernelINS0_14default_configENS1_20scan_config_selectorIN3c107complexIdEEEEZZNS1_9scan_implILNS1_25lookback_scan_determinismE0ELb0ELb0ES3_PKS7_PS7_S7_ZZZN2at6native31launch_logcumsumexp_cuda_kernelERKNSE_10TensorBaseESI_lENKUlvE_clEvENKUlvE1_clEvEUlS7_S7_E_S7_EEDaPvRmT3_T4_T5_mT6_P12ihipStream_tbENKUlT_T0_E_clISt17integral_constantIbLb1EESY_IbLb0EEEEDaSU_SV_EUlSU_E_NS1_11comp_targetILNS1_3genE9ELNS1_11target_archE1100ELNS1_3gpuE3ELNS1_3repE0EEENS1_30default_config_static_selectorELNS0_4arch9wavefront6targetE0EEEvT1_
		.amdhsa_group_segment_fixed_size 0
		.amdhsa_private_segment_fixed_size 0
		.amdhsa_kernarg_size 128
		.amdhsa_user_sgpr_count 2
		.amdhsa_user_sgpr_dispatch_ptr 0
		.amdhsa_user_sgpr_queue_ptr 0
		.amdhsa_user_sgpr_kernarg_segment_ptr 1
		.amdhsa_user_sgpr_dispatch_id 0
		.amdhsa_user_sgpr_private_segment_size 0
		.amdhsa_wavefront_size32 1
		.amdhsa_uses_dynamic_stack 0
		.amdhsa_enable_private_segment 0
		.amdhsa_system_sgpr_workgroup_id_x 1
		.amdhsa_system_sgpr_workgroup_id_y 0
		.amdhsa_system_sgpr_workgroup_id_z 0
		.amdhsa_system_sgpr_workgroup_info 0
		.amdhsa_system_vgpr_workitem_id 0
		.amdhsa_next_free_vgpr 1
		.amdhsa_next_free_sgpr 1
		.amdhsa_reserve_vcc 0
		.amdhsa_float_round_mode_32 0
		.amdhsa_float_round_mode_16_64 0
		.amdhsa_float_denorm_mode_32 3
		.amdhsa_float_denorm_mode_16_64 3
		.amdhsa_fp16_overflow 0
		.amdhsa_workgroup_processor_mode 1
		.amdhsa_memory_ordered 1
		.amdhsa_forward_progress 1
		.amdhsa_inst_pref_size 0
		.amdhsa_round_robin_scheduling 0
		.amdhsa_exception_fp_ieee_invalid_op 0
		.amdhsa_exception_fp_denorm_src 0
		.amdhsa_exception_fp_ieee_div_zero 0
		.amdhsa_exception_fp_ieee_overflow 0
		.amdhsa_exception_fp_ieee_underflow 0
		.amdhsa_exception_fp_ieee_inexact 0
		.amdhsa_exception_int_div_zero 0
	.end_amdhsa_kernel
	.section	.text._ZN7rocprim17ROCPRIM_400000_NS6detail17trampoline_kernelINS0_14default_configENS1_20scan_config_selectorIN3c107complexIdEEEEZZNS1_9scan_implILNS1_25lookback_scan_determinismE0ELb0ELb0ES3_PKS7_PS7_S7_ZZZN2at6native31launch_logcumsumexp_cuda_kernelERKNSE_10TensorBaseESI_lENKUlvE_clEvENKUlvE1_clEvEUlS7_S7_E_S7_EEDaPvRmT3_T4_T5_mT6_P12ihipStream_tbENKUlT_T0_E_clISt17integral_constantIbLb1EESY_IbLb0EEEEDaSU_SV_EUlSU_E_NS1_11comp_targetILNS1_3genE9ELNS1_11target_archE1100ELNS1_3gpuE3ELNS1_3repE0EEENS1_30default_config_static_selectorELNS0_4arch9wavefront6targetE0EEEvT1_,"axG",@progbits,_ZN7rocprim17ROCPRIM_400000_NS6detail17trampoline_kernelINS0_14default_configENS1_20scan_config_selectorIN3c107complexIdEEEEZZNS1_9scan_implILNS1_25lookback_scan_determinismE0ELb0ELb0ES3_PKS7_PS7_S7_ZZZN2at6native31launch_logcumsumexp_cuda_kernelERKNSE_10TensorBaseESI_lENKUlvE_clEvENKUlvE1_clEvEUlS7_S7_E_S7_EEDaPvRmT3_T4_T5_mT6_P12ihipStream_tbENKUlT_T0_E_clISt17integral_constantIbLb1EESY_IbLb0EEEEDaSU_SV_EUlSU_E_NS1_11comp_targetILNS1_3genE9ELNS1_11target_archE1100ELNS1_3gpuE3ELNS1_3repE0EEENS1_30default_config_static_selectorELNS0_4arch9wavefront6targetE0EEEvT1_,comdat
.Lfunc_end229:
	.size	_ZN7rocprim17ROCPRIM_400000_NS6detail17trampoline_kernelINS0_14default_configENS1_20scan_config_selectorIN3c107complexIdEEEEZZNS1_9scan_implILNS1_25lookback_scan_determinismE0ELb0ELb0ES3_PKS7_PS7_S7_ZZZN2at6native31launch_logcumsumexp_cuda_kernelERKNSE_10TensorBaseESI_lENKUlvE_clEvENKUlvE1_clEvEUlS7_S7_E_S7_EEDaPvRmT3_T4_T5_mT6_P12ihipStream_tbENKUlT_T0_E_clISt17integral_constantIbLb1EESY_IbLb0EEEEDaSU_SV_EUlSU_E_NS1_11comp_targetILNS1_3genE9ELNS1_11target_archE1100ELNS1_3gpuE3ELNS1_3repE0EEENS1_30default_config_static_selectorELNS0_4arch9wavefront6targetE0EEEvT1_, .Lfunc_end229-_ZN7rocprim17ROCPRIM_400000_NS6detail17trampoline_kernelINS0_14default_configENS1_20scan_config_selectorIN3c107complexIdEEEEZZNS1_9scan_implILNS1_25lookback_scan_determinismE0ELb0ELb0ES3_PKS7_PS7_S7_ZZZN2at6native31launch_logcumsumexp_cuda_kernelERKNSE_10TensorBaseESI_lENKUlvE_clEvENKUlvE1_clEvEUlS7_S7_E_S7_EEDaPvRmT3_T4_T5_mT6_P12ihipStream_tbENKUlT_T0_E_clISt17integral_constantIbLb1EESY_IbLb0EEEEDaSU_SV_EUlSU_E_NS1_11comp_targetILNS1_3genE9ELNS1_11target_archE1100ELNS1_3gpuE3ELNS1_3repE0EEENS1_30default_config_static_selectorELNS0_4arch9wavefront6targetE0EEEvT1_
                                        ; -- End function
	.set _ZN7rocprim17ROCPRIM_400000_NS6detail17trampoline_kernelINS0_14default_configENS1_20scan_config_selectorIN3c107complexIdEEEEZZNS1_9scan_implILNS1_25lookback_scan_determinismE0ELb0ELb0ES3_PKS7_PS7_S7_ZZZN2at6native31launch_logcumsumexp_cuda_kernelERKNSE_10TensorBaseESI_lENKUlvE_clEvENKUlvE1_clEvEUlS7_S7_E_S7_EEDaPvRmT3_T4_T5_mT6_P12ihipStream_tbENKUlT_T0_E_clISt17integral_constantIbLb1EESY_IbLb0EEEEDaSU_SV_EUlSU_E_NS1_11comp_targetILNS1_3genE9ELNS1_11target_archE1100ELNS1_3gpuE3ELNS1_3repE0EEENS1_30default_config_static_selectorELNS0_4arch9wavefront6targetE0EEEvT1_.num_vgpr, 0
	.set _ZN7rocprim17ROCPRIM_400000_NS6detail17trampoline_kernelINS0_14default_configENS1_20scan_config_selectorIN3c107complexIdEEEEZZNS1_9scan_implILNS1_25lookback_scan_determinismE0ELb0ELb0ES3_PKS7_PS7_S7_ZZZN2at6native31launch_logcumsumexp_cuda_kernelERKNSE_10TensorBaseESI_lENKUlvE_clEvENKUlvE1_clEvEUlS7_S7_E_S7_EEDaPvRmT3_T4_T5_mT6_P12ihipStream_tbENKUlT_T0_E_clISt17integral_constantIbLb1EESY_IbLb0EEEEDaSU_SV_EUlSU_E_NS1_11comp_targetILNS1_3genE9ELNS1_11target_archE1100ELNS1_3gpuE3ELNS1_3repE0EEENS1_30default_config_static_selectorELNS0_4arch9wavefront6targetE0EEEvT1_.num_agpr, 0
	.set _ZN7rocprim17ROCPRIM_400000_NS6detail17trampoline_kernelINS0_14default_configENS1_20scan_config_selectorIN3c107complexIdEEEEZZNS1_9scan_implILNS1_25lookback_scan_determinismE0ELb0ELb0ES3_PKS7_PS7_S7_ZZZN2at6native31launch_logcumsumexp_cuda_kernelERKNSE_10TensorBaseESI_lENKUlvE_clEvENKUlvE1_clEvEUlS7_S7_E_S7_EEDaPvRmT3_T4_T5_mT6_P12ihipStream_tbENKUlT_T0_E_clISt17integral_constantIbLb1EESY_IbLb0EEEEDaSU_SV_EUlSU_E_NS1_11comp_targetILNS1_3genE9ELNS1_11target_archE1100ELNS1_3gpuE3ELNS1_3repE0EEENS1_30default_config_static_selectorELNS0_4arch9wavefront6targetE0EEEvT1_.numbered_sgpr, 0
	.set _ZN7rocprim17ROCPRIM_400000_NS6detail17trampoline_kernelINS0_14default_configENS1_20scan_config_selectorIN3c107complexIdEEEEZZNS1_9scan_implILNS1_25lookback_scan_determinismE0ELb0ELb0ES3_PKS7_PS7_S7_ZZZN2at6native31launch_logcumsumexp_cuda_kernelERKNSE_10TensorBaseESI_lENKUlvE_clEvENKUlvE1_clEvEUlS7_S7_E_S7_EEDaPvRmT3_T4_T5_mT6_P12ihipStream_tbENKUlT_T0_E_clISt17integral_constantIbLb1EESY_IbLb0EEEEDaSU_SV_EUlSU_E_NS1_11comp_targetILNS1_3genE9ELNS1_11target_archE1100ELNS1_3gpuE3ELNS1_3repE0EEENS1_30default_config_static_selectorELNS0_4arch9wavefront6targetE0EEEvT1_.num_named_barrier, 0
	.set _ZN7rocprim17ROCPRIM_400000_NS6detail17trampoline_kernelINS0_14default_configENS1_20scan_config_selectorIN3c107complexIdEEEEZZNS1_9scan_implILNS1_25lookback_scan_determinismE0ELb0ELb0ES3_PKS7_PS7_S7_ZZZN2at6native31launch_logcumsumexp_cuda_kernelERKNSE_10TensorBaseESI_lENKUlvE_clEvENKUlvE1_clEvEUlS7_S7_E_S7_EEDaPvRmT3_T4_T5_mT6_P12ihipStream_tbENKUlT_T0_E_clISt17integral_constantIbLb1EESY_IbLb0EEEEDaSU_SV_EUlSU_E_NS1_11comp_targetILNS1_3genE9ELNS1_11target_archE1100ELNS1_3gpuE3ELNS1_3repE0EEENS1_30default_config_static_selectorELNS0_4arch9wavefront6targetE0EEEvT1_.private_seg_size, 0
	.set _ZN7rocprim17ROCPRIM_400000_NS6detail17trampoline_kernelINS0_14default_configENS1_20scan_config_selectorIN3c107complexIdEEEEZZNS1_9scan_implILNS1_25lookback_scan_determinismE0ELb0ELb0ES3_PKS7_PS7_S7_ZZZN2at6native31launch_logcumsumexp_cuda_kernelERKNSE_10TensorBaseESI_lENKUlvE_clEvENKUlvE1_clEvEUlS7_S7_E_S7_EEDaPvRmT3_T4_T5_mT6_P12ihipStream_tbENKUlT_T0_E_clISt17integral_constantIbLb1EESY_IbLb0EEEEDaSU_SV_EUlSU_E_NS1_11comp_targetILNS1_3genE9ELNS1_11target_archE1100ELNS1_3gpuE3ELNS1_3repE0EEENS1_30default_config_static_selectorELNS0_4arch9wavefront6targetE0EEEvT1_.uses_vcc, 0
	.set _ZN7rocprim17ROCPRIM_400000_NS6detail17trampoline_kernelINS0_14default_configENS1_20scan_config_selectorIN3c107complexIdEEEEZZNS1_9scan_implILNS1_25lookback_scan_determinismE0ELb0ELb0ES3_PKS7_PS7_S7_ZZZN2at6native31launch_logcumsumexp_cuda_kernelERKNSE_10TensorBaseESI_lENKUlvE_clEvENKUlvE1_clEvEUlS7_S7_E_S7_EEDaPvRmT3_T4_T5_mT6_P12ihipStream_tbENKUlT_T0_E_clISt17integral_constantIbLb1EESY_IbLb0EEEEDaSU_SV_EUlSU_E_NS1_11comp_targetILNS1_3genE9ELNS1_11target_archE1100ELNS1_3gpuE3ELNS1_3repE0EEENS1_30default_config_static_selectorELNS0_4arch9wavefront6targetE0EEEvT1_.uses_flat_scratch, 0
	.set _ZN7rocprim17ROCPRIM_400000_NS6detail17trampoline_kernelINS0_14default_configENS1_20scan_config_selectorIN3c107complexIdEEEEZZNS1_9scan_implILNS1_25lookback_scan_determinismE0ELb0ELb0ES3_PKS7_PS7_S7_ZZZN2at6native31launch_logcumsumexp_cuda_kernelERKNSE_10TensorBaseESI_lENKUlvE_clEvENKUlvE1_clEvEUlS7_S7_E_S7_EEDaPvRmT3_T4_T5_mT6_P12ihipStream_tbENKUlT_T0_E_clISt17integral_constantIbLb1EESY_IbLb0EEEEDaSU_SV_EUlSU_E_NS1_11comp_targetILNS1_3genE9ELNS1_11target_archE1100ELNS1_3gpuE3ELNS1_3repE0EEENS1_30default_config_static_selectorELNS0_4arch9wavefront6targetE0EEEvT1_.has_dyn_sized_stack, 0
	.set _ZN7rocprim17ROCPRIM_400000_NS6detail17trampoline_kernelINS0_14default_configENS1_20scan_config_selectorIN3c107complexIdEEEEZZNS1_9scan_implILNS1_25lookback_scan_determinismE0ELb0ELb0ES3_PKS7_PS7_S7_ZZZN2at6native31launch_logcumsumexp_cuda_kernelERKNSE_10TensorBaseESI_lENKUlvE_clEvENKUlvE1_clEvEUlS7_S7_E_S7_EEDaPvRmT3_T4_T5_mT6_P12ihipStream_tbENKUlT_T0_E_clISt17integral_constantIbLb1EESY_IbLb0EEEEDaSU_SV_EUlSU_E_NS1_11comp_targetILNS1_3genE9ELNS1_11target_archE1100ELNS1_3gpuE3ELNS1_3repE0EEENS1_30default_config_static_selectorELNS0_4arch9wavefront6targetE0EEEvT1_.has_recursion, 0
	.set _ZN7rocprim17ROCPRIM_400000_NS6detail17trampoline_kernelINS0_14default_configENS1_20scan_config_selectorIN3c107complexIdEEEEZZNS1_9scan_implILNS1_25lookback_scan_determinismE0ELb0ELb0ES3_PKS7_PS7_S7_ZZZN2at6native31launch_logcumsumexp_cuda_kernelERKNSE_10TensorBaseESI_lENKUlvE_clEvENKUlvE1_clEvEUlS7_S7_E_S7_EEDaPvRmT3_T4_T5_mT6_P12ihipStream_tbENKUlT_T0_E_clISt17integral_constantIbLb1EESY_IbLb0EEEEDaSU_SV_EUlSU_E_NS1_11comp_targetILNS1_3genE9ELNS1_11target_archE1100ELNS1_3gpuE3ELNS1_3repE0EEENS1_30default_config_static_selectorELNS0_4arch9wavefront6targetE0EEEvT1_.has_indirect_call, 0
	.section	.AMDGPU.csdata,"",@progbits
; Kernel info:
; codeLenInByte = 0
; TotalNumSgprs: 0
; NumVgprs: 0
; ScratchSize: 0
; MemoryBound: 0
; FloatMode: 240
; IeeeMode: 1
; LDSByteSize: 0 bytes/workgroup (compile time only)
; SGPRBlocks: 0
; VGPRBlocks: 0
; NumSGPRsForWavesPerEU: 1
; NumVGPRsForWavesPerEU: 1
; Occupancy: 16
; WaveLimiterHint : 0
; COMPUTE_PGM_RSRC2:SCRATCH_EN: 0
; COMPUTE_PGM_RSRC2:USER_SGPR: 2
; COMPUTE_PGM_RSRC2:TRAP_HANDLER: 0
; COMPUTE_PGM_RSRC2:TGID_X_EN: 1
; COMPUTE_PGM_RSRC2:TGID_Y_EN: 0
; COMPUTE_PGM_RSRC2:TGID_Z_EN: 0
; COMPUTE_PGM_RSRC2:TIDIG_COMP_CNT: 0
	.section	.text._ZN7rocprim17ROCPRIM_400000_NS6detail17trampoline_kernelINS0_14default_configENS1_20scan_config_selectorIN3c107complexIdEEEEZZNS1_9scan_implILNS1_25lookback_scan_determinismE0ELb0ELb0ES3_PKS7_PS7_S7_ZZZN2at6native31launch_logcumsumexp_cuda_kernelERKNSE_10TensorBaseESI_lENKUlvE_clEvENKUlvE1_clEvEUlS7_S7_E_S7_EEDaPvRmT3_T4_T5_mT6_P12ihipStream_tbENKUlT_T0_E_clISt17integral_constantIbLb1EESY_IbLb0EEEEDaSU_SV_EUlSU_E_NS1_11comp_targetILNS1_3genE8ELNS1_11target_archE1030ELNS1_3gpuE2ELNS1_3repE0EEENS1_30default_config_static_selectorELNS0_4arch9wavefront6targetE0EEEvT1_,"axG",@progbits,_ZN7rocprim17ROCPRIM_400000_NS6detail17trampoline_kernelINS0_14default_configENS1_20scan_config_selectorIN3c107complexIdEEEEZZNS1_9scan_implILNS1_25lookback_scan_determinismE0ELb0ELb0ES3_PKS7_PS7_S7_ZZZN2at6native31launch_logcumsumexp_cuda_kernelERKNSE_10TensorBaseESI_lENKUlvE_clEvENKUlvE1_clEvEUlS7_S7_E_S7_EEDaPvRmT3_T4_T5_mT6_P12ihipStream_tbENKUlT_T0_E_clISt17integral_constantIbLb1EESY_IbLb0EEEEDaSU_SV_EUlSU_E_NS1_11comp_targetILNS1_3genE8ELNS1_11target_archE1030ELNS1_3gpuE2ELNS1_3repE0EEENS1_30default_config_static_selectorELNS0_4arch9wavefront6targetE0EEEvT1_,comdat
	.globl	_ZN7rocprim17ROCPRIM_400000_NS6detail17trampoline_kernelINS0_14default_configENS1_20scan_config_selectorIN3c107complexIdEEEEZZNS1_9scan_implILNS1_25lookback_scan_determinismE0ELb0ELb0ES3_PKS7_PS7_S7_ZZZN2at6native31launch_logcumsumexp_cuda_kernelERKNSE_10TensorBaseESI_lENKUlvE_clEvENKUlvE1_clEvEUlS7_S7_E_S7_EEDaPvRmT3_T4_T5_mT6_P12ihipStream_tbENKUlT_T0_E_clISt17integral_constantIbLb1EESY_IbLb0EEEEDaSU_SV_EUlSU_E_NS1_11comp_targetILNS1_3genE8ELNS1_11target_archE1030ELNS1_3gpuE2ELNS1_3repE0EEENS1_30default_config_static_selectorELNS0_4arch9wavefront6targetE0EEEvT1_ ; -- Begin function _ZN7rocprim17ROCPRIM_400000_NS6detail17trampoline_kernelINS0_14default_configENS1_20scan_config_selectorIN3c107complexIdEEEEZZNS1_9scan_implILNS1_25lookback_scan_determinismE0ELb0ELb0ES3_PKS7_PS7_S7_ZZZN2at6native31launch_logcumsumexp_cuda_kernelERKNSE_10TensorBaseESI_lENKUlvE_clEvENKUlvE1_clEvEUlS7_S7_E_S7_EEDaPvRmT3_T4_T5_mT6_P12ihipStream_tbENKUlT_T0_E_clISt17integral_constantIbLb1EESY_IbLb0EEEEDaSU_SV_EUlSU_E_NS1_11comp_targetILNS1_3genE8ELNS1_11target_archE1030ELNS1_3gpuE2ELNS1_3repE0EEENS1_30default_config_static_selectorELNS0_4arch9wavefront6targetE0EEEvT1_
	.p2align	8
	.type	_ZN7rocprim17ROCPRIM_400000_NS6detail17trampoline_kernelINS0_14default_configENS1_20scan_config_selectorIN3c107complexIdEEEEZZNS1_9scan_implILNS1_25lookback_scan_determinismE0ELb0ELb0ES3_PKS7_PS7_S7_ZZZN2at6native31launch_logcumsumexp_cuda_kernelERKNSE_10TensorBaseESI_lENKUlvE_clEvENKUlvE1_clEvEUlS7_S7_E_S7_EEDaPvRmT3_T4_T5_mT6_P12ihipStream_tbENKUlT_T0_E_clISt17integral_constantIbLb1EESY_IbLb0EEEEDaSU_SV_EUlSU_E_NS1_11comp_targetILNS1_3genE8ELNS1_11target_archE1030ELNS1_3gpuE2ELNS1_3repE0EEENS1_30default_config_static_selectorELNS0_4arch9wavefront6targetE0EEEvT1_,@function
_ZN7rocprim17ROCPRIM_400000_NS6detail17trampoline_kernelINS0_14default_configENS1_20scan_config_selectorIN3c107complexIdEEEEZZNS1_9scan_implILNS1_25lookback_scan_determinismE0ELb0ELb0ES3_PKS7_PS7_S7_ZZZN2at6native31launch_logcumsumexp_cuda_kernelERKNSE_10TensorBaseESI_lENKUlvE_clEvENKUlvE1_clEvEUlS7_S7_E_S7_EEDaPvRmT3_T4_T5_mT6_P12ihipStream_tbENKUlT_T0_E_clISt17integral_constantIbLb1EESY_IbLb0EEEEDaSU_SV_EUlSU_E_NS1_11comp_targetILNS1_3genE8ELNS1_11target_archE1030ELNS1_3gpuE2ELNS1_3repE0EEENS1_30default_config_static_selectorELNS0_4arch9wavefront6targetE0EEEvT1_: ; @_ZN7rocprim17ROCPRIM_400000_NS6detail17trampoline_kernelINS0_14default_configENS1_20scan_config_selectorIN3c107complexIdEEEEZZNS1_9scan_implILNS1_25lookback_scan_determinismE0ELb0ELb0ES3_PKS7_PS7_S7_ZZZN2at6native31launch_logcumsumexp_cuda_kernelERKNSE_10TensorBaseESI_lENKUlvE_clEvENKUlvE1_clEvEUlS7_S7_E_S7_EEDaPvRmT3_T4_T5_mT6_P12ihipStream_tbENKUlT_T0_E_clISt17integral_constantIbLb1EESY_IbLb0EEEEDaSU_SV_EUlSU_E_NS1_11comp_targetILNS1_3genE8ELNS1_11target_archE1030ELNS1_3gpuE2ELNS1_3repE0EEENS1_30default_config_static_selectorELNS0_4arch9wavefront6targetE0EEEvT1_
; %bb.0:
	.section	.rodata,"a",@progbits
	.p2align	6, 0x0
	.amdhsa_kernel _ZN7rocprim17ROCPRIM_400000_NS6detail17trampoline_kernelINS0_14default_configENS1_20scan_config_selectorIN3c107complexIdEEEEZZNS1_9scan_implILNS1_25lookback_scan_determinismE0ELb0ELb0ES3_PKS7_PS7_S7_ZZZN2at6native31launch_logcumsumexp_cuda_kernelERKNSE_10TensorBaseESI_lENKUlvE_clEvENKUlvE1_clEvEUlS7_S7_E_S7_EEDaPvRmT3_T4_T5_mT6_P12ihipStream_tbENKUlT_T0_E_clISt17integral_constantIbLb1EESY_IbLb0EEEEDaSU_SV_EUlSU_E_NS1_11comp_targetILNS1_3genE8ELNS1_11target_archE1030ELNS1_3gpuE2ELNS1_3repE0EEENS1_30default_config_static_selectorELNS0_4arch9wavefront6targetE0EEEvT1_
		.amdhsa_group_segment_fixed_size 0
		.amdhsa_private_segment_fixed_size 0
		.amdhsa_kernarg_size 128
		.amdhsa_user_sgpr_count 2
		.amdhsa_user_sgpr_dispatch_ptr 0
		.amdhsa_user_sgpr_queue_ptr 0
		.amdhsa_user_sgpr_kernarg_segment_ptr 1
		.amdhsa_user_sgpr_dispatch_id 0
		.amdhsa_user_sgpr_private_segment_size 0
		.amdhsa_wavefront_size32 1
		.amdhsa_uses_dynamic_stack 0
		.amdhsa_enable_private_segment 0
		.amdhsa_system_sgpr_workgroup_id_x 1
		.amdhsa_system_sgpr_workgroup_id_y 0
		.amdhsa_system_sgpr_workgroup_id_z 0
		.amdhsa_system_sgpr_workgroup_info 0
		.amdhsa_system_vgpr_workitem_id 0
		.amdhsa_next_free_vgpr 1
		.amdhsa_next_free_sgpr 1
		.amdhsa_reserve_vcc 0
		.amdhsa_float_round_mode_32 0
		.amdhsa_float_round_mode_16_64 0
		.amdhsa_float_denorm_mode_32 3
		.amdhsa_float_denorm_mode_16_64 3
		.amdhsa_fp16_overflow 0
		.amdhsa_workgroup_processor_mode 1
		.amdhsa_memory_ordered 1
		.amdhsa_forward_progress 1
		.amdhsa_inst_pref_size 0
		.amdhsa_round_robin_scheduling 0
		.amdhsa_exception_fp_ieee_invalid_op 0
		.amdhsa_exception_fp_denorm_src 0
		.amdhsa_exception_fp_ieee_div_zero 0
		.amdhsa_exception_fp_ieee_overflow 0
		.amdhsa_exception_fp_ieee_underflow 0
		.amdhsa_exception_fp_ieee_inexact 0
		.amdhsa_exception_int_div_zero 0
	.end_amdhsa_kernel
	.section	.text._ZN7rocprim17ROCPRIM_400000_NS6detail17trampoline_kernelINS0_14default_configENS1_20scan_config_selectorIN3c107complexIdEEEEZZNS1_9scan_implILNS1_25lookback_scan_determinismE0ELb0ELb0ES3_PKS7_PS7_S7_ZZZN2at6native31launch_logcumsumexp_cuda_kernelERKNSE_10TensorBaseESI_lENKUlvE_clEvENKUlvE1_clEvEUlS7_S7_E_S7_EEDaPvRmT3_T4_T5_mT6_P12ihipStream_tbENKUlT_T0_E_clISt17integral_constantIbLb1EESY_IbLb0EEEEDaSU_SV_EUlSU_E_NS1_11comp_targetILNS1_3genE8ELNS1_11target_archE1030ELNS1_3gpuE2ELNS1_3repE0EEENS1_30default_config_static_selectorELNS0_4arch9wavefront6targetE0EEEvT1_,"axG",@progbits,_ZN7rocprim17ROCPRIM_400000_NS6detail17trampoline_kernelINS0_14default_configENS1_20scan_config_selectorIN3c107complexIdEEEEZZNS1_9scan_implILNS1_25lookback_scan_determinismE0ELb0ELb0ES3_PKS7_PS7_S7_ZZZN2at6native31launch_logcumsumexp_cuda_kernelERKNSE_10TensorBaseESI_lENKUlvE_clEvENKUlvE1_clEvEUlS7_S7_E_S7_EEDaPvRmT3_T4_T5_mT6_P12ihipStream_tbENKUlT_T0_E_clISt17integral_constantIbLb1EESY_IbLb0EEEEDaSU_SV_EUlSU_E_NS1_11comp_targetILNS1_3genE8ELNS1_11target_archE1030ELNS1_3gpuE2ELNS1_3repE0EEENS1_30default_config_static_selectorELNS0_4arch9wavefront6targetE0EEEvT1_,comdat
.Lfunc_end230:
	.size	_ZN7rocprim17ROCPRIM_400000_NS6detail17trampoline_kernelINS0_14default_configENS1_20scan_config_selectorIN3c107complexIdEEEEZZNS1_9scan_implILNS1_25lookback_scan_determinismE0ELb0ELb0ES3_PKS7_PS7_S7_ZZZN2at6native31launch_logcumsumexp_cuda_kernelERKNSE_10TensorBaseESI_lENKUlvE_clEvENKUlvE1_clEvEUlS7_S7_E_S7_EEDaPvRmT3_T4_T5_mT6_P12ihipStream_tbENKUlT_T0_E_clISt17integral_constantIbLb1EESY_IbLb0EEEEDaSU_SV_EUlSU_E_NS1_11comp_targetILNS1_3genE8ELNS1_11target_archE1030ELNS1_3gpuE2ELNS1_3repE0EEENS1_30default_config_static_selectorELNS0_4arch9wavefront6targetE0EEEvT1_, .Lfunc_end230-_ZN7rocprim17ROCPRIM_400000_NS6detail17trampoline_kernelINS0_14default_configENS1_20scan_config_selectorIN3c107complexIdEEEEZZNS1_9scan_implILNS1_25lookback_scan_determinismE0ELb0ELb0ES3_PKS7_PS7_S7_ZZZN2at6native31launch_logcumsumexp_cuda_kernelERKNSE_10TensorBaseESI_lENKUlvE_clEvENKUlvE1_clEvEUlS7_S7_E_S7_EEDaPvRmT3_T4_T5_mT6_P12ihipStream_tbENKUlT_T0_E_clISt17integral_constantIbLb1EESY_IbLb0EEEEDaSU_SV_EUlSU_E_NS1_11comp_targetILNS1_3genE8ELNS1_11target_archE1030ELNS1_3gpuE2ELNS1_3repE0EEENS1_30default_config_static_selectorELNS0_4arch9wavefront6targetE0EEEvT1_
                                        ; -- End function
	.set _ZN7rocprim17ROCPRIM_400000_NS6detail17trampoline_kernelINS0_14default_configENS1_20scan_config_selectorIN3c107complexIdEEEEZZNS1_9scan_implILNS1_25lookback_scan_determinismE0ELb0ELb0ES3_PKS7_PS7_S7_ZZZN2at6native31launch_logcumsumexp_cuda_kernelERKNSE_10TensorBaseESI_lENKUlvE_clEvENKUlvE1_clEvEUlS7_S7_E_S7_EEDaPvRmT3_T4_T5_mT6_P12ihipStream_tbENKUlT_T0_E_clISt17integral_constantIbLb1EESY_IbLb0EEEEDaSU_SV_EUlSU_E_NS1_11comp_targetILNS1_3genE8ELNS1_11target_archE1030ELNS1_3gpuE2ELNS1_3repE0EEENS1_30default_config_static_selectorELNS0_4arch9wavefront6targetE0EEEvT1_.num_vgpr, 0
	.set _ZN7rocprim17ROCPRIM_400000_NS6detail17trampoline_kernelINS0_14default_configENS1_20scan_config_selectorIN3c107complexIdEEEEZZNS1_9scan_implILNS1_25lookback_scan_determinismE0ELb0ELb0ES3_PKS7_PS7_S7_ZZZN2at6native31launch_logcumsumexp_cuda_kernelERKNSE_10TensorBaseESI_lENKUlvE_clEvENKUlvE1_clEvEUlS7_S7_E_S7_EEDaPvRmT3_T4_T5_mT6_P12ihipStream_tbENKUlT_T0_E_clISt17integral_constantIbLb1EESY_IbLb0EEEEDaSU_SV_EUlSU_E_NS1_11comp_targetILNS1_3genE8ELNS1_11target_archE1030ELNS1_3gpuE2ELNS1_3repE0EEENS1_30default_config_static_selectorELNS0_4arch9wavefront6targetE0EEEvT1_.num_agpr, 0
	.set _ZN7rocprim17ROCPRIM_400000_NS6detail17trampoline_kernelINS0_14default_configENS1_20scan_config_selectorIN3c107complexIdEEEEZZNS1_9scan_implILNS1_25lookback_scan_determinismE0ELb0ELb0ES3_PKS7_PS7_S7_ZZZN2at6native31launch_logcumsumexp_cuda_kernelERKNSE_10TensorBaseESI_lENKUlvE_clEvENKUlvE1_clEvEUlS7_S7_E_S7_EEDaPvRmT3_T4_T5_mT6_P12ihipStream_tbENKUlT_T0_E_clISt17integral_constantIbLb1EESY_IbLb0EEEEDaSU_SV_EUlSU_E_NS1_11comp_targetILNS1_3genE8ELNS1_11target_archE1030ELNS1_3gpuE2ELNS1_3repE0EEENS1_30default_config_static_selectorELNS0_4arch9wavefront6targetE0EEEvT1_.numbered_sgpr, 0
	.set _ZN7rocprim17ROCPRIM_400000_NS6detail17trampoline_kernelINS0_14default_configENS1_20scan_config_selectorIN3c107complexIdEEEEZZNS1_9scan_implILNS1_25lookback_scan_determinismE0ELb0ELb0ES3_PKS7_PS7_S7_ZZZN2at6native31launch_logcumsumexp_cuda_kernelERKNSE_10TensorBaseESI_lENKUlvE_clEvENKUlvE1_clEvEUlS7_S7_E_S7_EEDaPvRmT3_T4_T5_mT6_P12ihipStream_tbENKUlT_T0_E_clISt17integral_constantIbLb1EESY_IbLb0EEEEDaSU_SV_EUlSU_E_NS1_11comp_targetILNS1_3genE8ELNS1_11target_archE1030ELNS1_3gpuE2ELNS1_3repE0EEENS1_30default_config_static_selectorELNS0_4arch9wavefront6targetE0EEEvT1_.num_named_barrier, 0
	.set _ZN7rocprim17ROCPRIM_400000_NS6detail17trampoline_kernelINS0_14default_configENS1_20scan_config_selectorIN3c107complexIdEEEEZZNS1_9scan_implILNS1_25lookback_scan_determinismE0ELb0ELb0ES3_PKS7_PS7_S7_ZZZN2at6native31launch_logcumsumexp_cuda_kernelERKNSE_10TensorBaseESI_lENKUlvE_clEvENKUlvE1_clEvEUlS7_S7_E_S7_EEDaPvRmT3_T4_T5_mT6_P12ihipStream_tbENKUlT_T0_E_clISt17integral_constantIbLb1EESY_IbLb0EEEEDaSU_SV_EUlSU_E_NS1_11comp_targetILNS1_3genE8ELNS1_11target_archE1030ELNS1_3gpuE2ELNS1_3repE0EEENS1_30default_config_static_selectorELNS0_4arch9wavefront6targetE0EEEvT1_.private_seg_size, 0
	.set _ZN7rocprim17ROCPRIM_400000_NS6detail17trampoline_kernelINS0_14default_configENS1_20scan_config_selectorIN3c107complexIdEEEEZZNS1_9scan_implILNS1_25lookback_scan_determinismE0ELb0ELb0ES3_PKS7_PS7_S7_ZZZN2at6native31launch_logcumsumexp_cuda_kernelERKNSE_10TensorBaseESI_lENKUlvE_clEvENKUlvE1_clEvEUlS7_S7_E_S7_EEDaPvRmT3_T4_T5_mT6_P12ihipStream_tbENKUlT_T0_E_clISt17integral_constantIbLb1EESY_IbLb0EEEEDaSU_SV_EUlSU_E_NS1_11comp_targetILNS1_3genE8ELNS1_11target_archE1030ELNS1_3gpuE2ELNS1_3repE0EEENS1_30default_config_static_selectorELNS0_4arch9wavefront6targetE0EEEvT1_.uses_vcc, 0
	.set _ZN7rocprim17ROCPRIM_400000_NS6detail17trampoline_kernelINS0_14default_configENS1_20scan_config_selectorIN3c107complexIdEEEEZZNS1_9scan_implILNS1_25lookback_scan_determinismE0ELb0ELb0ES3_PKS7_PS7_S7_ZZZN2at6native31launch_logcumsumexp_cuda_kernelERKNSE_10TensorBaseESI_lENKUlvE_clEvENKUlvE1_clEvEUlS7_S7_E_S7_EEDaPvRmT3_T4_T5_mT6_P12ihipStream_tbENKUlT_T0_E_clISt17integral_constantIbLb1EESY_IbLb0EEEEDaSU_SV_EUlSU_E_NS1_11comp_targetILNS1_3genE8ELNS1_11target_archE1030ELNS1_3gpuE2ELNS1_3repE0EEENS1_30default_config_static_selectorELNS0_4arch9wavefront6targetE0EEEvT1_.uses_flat_scratch, 0
	.set _ZN7rocprim17ROCPRIM_400000_NS6detail17trampoline_kernelINS0_14default_configENS1_20scan_config_selectorIN3c107complexIdEEEEZZNS1_9scan_implILNS1_25lookback_scan_determinismE0ELb0ELb0ES3_PKS7_PS7_S7_ZZZN2at6native31launch_logcumsumexp_cuda_kernelERKNSE_10TensorBaseESI_lENKUlvE_clEvENKUlvE1_clEvEUlS7_S7_E_S7_EEDaPvRmT3_T4_T5_mT6_P12ihipStream_tbENKUlT_T0_E_clISt17integral_constantIbLb1EESY_IbLb0EEEEDaSU_SV_EUlSU_E_NS1_11comp_targetILNS1_3genE8ELNS1_11target_archE1030ELNS1_3gpuE2ELNS1_3repE0EEENS1_30default_config_static_selectorELNS0_4arch9wavefront6targetE0EEEvT1_.has_dyn_sized_stack, 0
	.set _ZN7rocprim17ROCPRIM_400000_NS6detail17trampoline_kernelINS0_14default_configENS1_20scan_config_selectorIN3c107complexIdEEEEZZNS1_9scan_implILNS1_25lookback_scan_determinismE0ELb0ELb0ES3_PKS7_PS7_S7_ZZZN2at6native31launch_logcumsumexp_cuda_kernelERKNSE_10TensorBaseESI_lENKUlvE_clEvENKUlvE1_clEvEUlS7_S7_E_S7_EEDaPvRmT3_T4_T5_mT6_P12ihipStream_tbENKUlT_T0_E_clISt17integral_constantIbLb1EESY_IbLb0EEEEDaSU_SV_EUlSU_E_NS1_11comp_targetILNS1_3genE8ELNS1_11target_archE1030ELNS1_3gpuE2ELNS1_3repE0EEENS1_30default_config_static_selectorELNS0_4arch9wavefront6targetE0EEEvT1_.has_recursion, 0
	.set _ZN7rocprim17ROCPRIM_400000_NS6detail17trampoline_kernelINS0_14default_configENS1_20scan_config_selectorIN3c107complexIdEEEEZZNS1_9scan_implILNS1_25lookback_scan_determinismE0ELb0ELb0ES3_PKS7_PS7_S7_ZZZN2at6native31launch_logcumsumexp_cuda_kernelERKNSE_10TensorBaseESI_lENKUlvE_clEvENKUlvE1_clEvEUlS7_S7_E_S7_EEDaPvRmT3_T4_T5_mT6_P12ihipStream_tbENKUlT_T0_E_clISt17integral_constantIbLb1EESY_IbLb0EEEEDaSU_SV_EUlSU_E_NS1_11comp_targetILNS1_3genE8ELNS1_11target_archE1030ELNS1_3gpuE2ELNS1_3repE0EEENS1_30default_config_static_selectorELNS0_4arch9wavefront6targetE0EEEvT1_.has_indirect_call, 0
	.section	.AMDGPU.csdata,"",@progbits
; Kernel info:
; codeLenInByte = 0
; TotalNumSgprs: 0
; NumVgprs: 0
; ScratchSize: 0
; MemoryBound: 0
; FloatMode: 240
; IeeeMode: 1
; LDSByteSize: 0 bytes/workgroup (compile time only)
; SGPRBlocks: 0
; VGPRBlocks: 0
; NumSGPRsForWavesPerEU: 1
; NumVGPRsForWavesPerEU: 1
; Occupancy: 16
; WaveLimiterHint : 0
; COMPUTE_PGM_RSRC2:SCRATCH_EN: 0
; COMPUTE_PGM_RSRC2:USER_SGPR: 2
; COMPUTE_PGM_RSRC2:TRAP_HANDLER: 0
; COMPUTE_PGM_RSRC2:TGID_X_EN: 1
; COMPUTE_PGM_RSRC2:TGID_Y_EN: 0
; COMPUTE_PGM_RSRC2:TGID_Z_EN: 0
; COMPUTE_PGM_RSRC2:TIDIG_COMP_CNT: 0
	.section	.text._ZN7rocprim17ROCPRIM_400000_NS6detail17trampoline_kernelINS0_14default_configENS1_20scan_config_selectorIN3c107complexIdEEEEZZNS1_9scan_implILNS1_25lookback_scan_determinismE0ELb0ELb0ES3_PKS7_PS7_S7_ZZZN2at6native31launch_logcumsumexp_cuda_kernelERKNSE_10TensorBaseESI_lENKUlvE_clEvENKUlvE1_clEvEUlS7_S7_E_S7_EEDaPvRmT3_T4_T5_mT6_P12ihipStream_tbENKUlT_T0_E_clISt17integral_constantIbLb1EESY_IbLb0EEEEDaSU_SV_EUlSU_E0_NS1_11comp_targetILNS1_3genE0ELNS1_11target_archE4294967295ELNS1_3gpuE0ELNS1_3repE0EEENS1_30default_config_static_selectorELNS0_4arch9wavefront6targetE0EEEvT1_,"axG",@progbits,_ZN7rocprim17ROCPRIM_400000_NS6detail17trampoline_kernelINS0_14default_configENS1_20scan_config_selectorIN3c107complexIdEEEEZZNS1_9scan_implILNS1_25lookback_scan_determinismE0ELb0ELb0ES3_PKS7_PS7_S7_ZZZN2at6native31launch_logcumsumexp_cuda_kernelERKNSE_10TensorBaseESI_lENKUlvE_clEvENKUlvE1_clEvEUlS7_S7_E_S7_EEDaPvRmT3_T4_T5_mT6_P12ihipStream_tbENKUlT_T0_E_clISt17integral_constantIbLb1EESY_IbLb0EEEEDaSU_SV_EUlSU_E0_NS1_11comp_targetILNS1_3genE0ELNS1_11target_archE4294967295ELNS1_3gpuE0ELNS1_3repE0EEENS1_30default_config_static_selectorELNS0_4arch9wavefront6targetE0EEEvT1_,comdat
	.globl	_ZN7rocprim17ROCPRIM_400000_NS6detail17trampoline_kernelINS0_14default_configENS1_20scan_config_selectorIN3c107complexIdEEEEZZNS1_9scan_implILNS1_25lookback_scan_determinismE0ELb0ELb0ES3_PKS7_PS7_S7_ZZZN2at6native31launch_logcumsumexp_cuda_kernelERKNSE_10TensorBaseESI_lENKUlvE_clEvENKUlvE1_clEvEUlS7_S7_E_S7_EEDaPvRmT3_T4_T5_mT6_P12ihipStream_tbENKUlT_T0_E_clISt17integral_constantIbLb1EESY_IbLb0EEEEDaSU_SV_EUlSU_E0_NS1_11comp_targetILNS1_3genE0ELNS1_11target_archE4294967295ELNS1_3gpuE0ELNS1_3repE0EEENS1_30default_config_static_selectorELNS0_4arch9wavefront6targetE0EEEvT1_ ; -- Begin function _ZN7rocprim17ROCPRIM_400000_NS6detail17trampoline_kernelINS0_14default_configENS1_20scan_config_selectorIN3c107complexIdEEEEZZNS1_9scan_implILNS1_25lookback_scan_determinismE0ELb0ELb0ES3_PKS7_PS7_S7_ZZZN2at6native31launch_logcumsumexp_cuda_kernelERKNSE_10TensorBaseESI_lENKUlvE_clEvENKUlvE1_clEvEUlS7_S7_E_S7_EEDaPvRmT3_T4_T5_mT6_P12ihipStream_tbENKUlT_T0_E_clISt17integral_constantIbLb1EESY_IbLb0EEEEDaSU_SV_EUlSU_E0_NS1_11comp_targetILNS1_3genE0ELNS1_11target_archE4294967295ELNS1_3gpuE0ELNS1_3repE0EEENS1_30default_config_static_selectorELNS0_4arch9wavefront6targetE0EEEvT1_
	.p2align	8
	.type	_ZN7rocprim17ROCPRIM_400000_NS6detail17trampoline_kernelINS0_14default_configENS1_20scan_config_selectorIN3c107complexIdEEEEZZNS1_9scan_implILNS1_25lookback_scan_determinismE0ELb0ELb0ES3_PKS7_PS7_S7_ZZZN2at6native31launch_logcumsumexp_cuda_kernelERKNSE_10TensorBaseESI_lENKUlvE_clEvENKUlvE1_clEvEUlS7_S7_E_S7_EEDaPvRmT3_T4_T5_mT6_P12ihipStream_tbENKUlT_T0_E_clISt17integral_constantIbLb1EESY_IbLb0EEEEDaSU_SV_EUlSU_E0_NS1_11comp_targetILNS1_3genE0ELNS1_11target_archE4294967295ELNS1_3gpuE0ELNS1_3repE0EEENS1_30default_config_static_selectorELNS0_4arch9wavefront6targetE0EEEvT1_,@function
_ZN7rocprim17ROCPRIM_400000_NS6detail17trampoline_kernelINS0_14default_configENS1_20scan_config_selectorIN3c107complexIdEEEEZZNS1_9scan_implILNS1_25lookback_scan_determinismE0ELb0ELb0ES3_PKS7_PS7_S7_ZZZN2at6native31launch_logcumsumexp_cuda_kernelERKNSE_10TensorBaseESI_lENKUlvE_clEvENKUlvE1_clEvEUlS7_S7_E_S7_EEDaPvRmT3_T4_T5_mT6_P12ihipStream_tbENKUlT_T0_E_clISt17integral_constantIbLb1EESY_IbLb0EEEEDaSU_SV_EUlSU_E0_NS1_11comp_targetILNS1_3genE0ELNS1_11target_archE4294967295ELNS1_3gpuE0ELNS1_3repE0EEENS1_30default_config_static_selectorELNS0_4arch9wavefront6targetE0EEEvT1_: ; @_ZN7rocprim17ROCPRIM_400000_NS6detail17trampoline_kernelINS0_14default_configENS1_20scan_config_selectorIN3c107complexIdEEEEZZNS1_9scan_implILNS1_25lookback_scan_determinismE0ELb0ELb0ES3_PKS7_PS7_S7_ZZZN2at6native31launch_logcumsumexp_cuda_kernelERKNSE_10TensorBaseESI_lENKUlvE_clEvENKUlvE1_clEvEUlS7_S7_E_S7_EEDaPvRmT3_T4_T5_mT6_P12ihipStream_tbENKUlT_T0_E_clISt17integral_constantIbLb1EESY_IbLb0EEEEDaSU_SV_EUlSU_E0_NS1_11comp_targetILNS1_3genE0ELNS1_11target_archE4294967295ELNS1_3gpuE0ELNS1_3repE0EEENS1_30default_config_static_selectorELNS0_4arch9wavefront6targetE0EEEvT1_
; %bb.0:
	.section	.rodata,"a",@progbits
	.p2align	6, 0x0
	.amdhsa_kernel _ZN7rocprim17ROCPRIM_400000_NS6detail17trampoline_kernelINS0_14default_configENS1_20scan_config_selectorIN3c107complexIdEEEEZZNS1_9scan_implILNS1_25lookback_scan_determinismE0ELb0ELb0ES3_PKS7_PS7_S7_ZZZN2at6native31launch_logcumsumexp_cuda_kernelERKNSE_10TensorBaseESI_lENKUlvE_clEvENKUlvE1_clEvEUlS7_S7_E_S7_EEDaPvRmT3_T4_T5_mT6_P12ihipStream_tbENKUlT_T0_E_clISt17integral_constantIbLb1EESY_IbLb0EEEEDaSU_SV_EUlSU_E0_NS1_11comp_targetILNS1_3genE0ELNS1_11target_archE4294967295ELNS1_3gpuE0ELNS1_3repE0EEENS1_30default_config_static_selectorELNS0_4arch9wavefront6targetE0EEEvT1_
		.amdhsa_group_segment_fixed_size 0
		.amdhsa_private_segment_fixed_size 0
		.amdhsa_kernarg_size 48
		.amdhsa_user_sgpr_count 2
		.amdhsa_user_sgpr_dispatch_ptr 0
		.amdhsa_user_sgpr_queue_ptr 0
		.amdhsa_user_sgpr_kernarg_segment_ptr 1
		.amdhsa_user_sgpr_dispatch_id 0
		.amdhsa_user_sgpr_private_segment_size 0
		.amdhsa_wavefront_size32 1
		.amdhsa_uses_dynamic_stack 0
		.amdhsa_enable_private_segment 0
		.amdhsa_system_sgpr_workgroup_id_x 1
		.amdhsa_system_sgpr_workgroup_id_y 0
		.amdhsa_system_sgpr_workgroup_id_z 0
		.amdhsa_system_sgpr_workgroup_info 0
		.amdhsa_system_vgpr_workitem_id 0
		.amdhsa_next_free_vgpr 1
		.amdhsa_next_free_sgpr 1
		.amdhsa_reserve_vcc 0
		.amdhsa_float_round_mode_32 0
		.amdhsa_float_round_mode_16_64 0
		.amdhsa_float_denorm_mode_32 3
		.amdhsa_float_denorm_mode_16_64 3
		.amdhsa_fp16_overflow 0
		.amdhsa_workgroup_processor_mode 1
		.amdhsa_memory_ordered 1
		.amdhsa_forward_progress 1
		.amdhsa_inst_pref_size 0
		.amdhsa_round_robin_scheduling 0
		.amdhsa_exception_fp_ieee_invalid_op 0
		.amdhsa_exception_fp_denorm_src 0
		.amdhsa_exception_fp_ieee_div_zero 0
		.amdhsa_exception_fp_ieee_overflow 0
		.amdhsa_exception_fp_ieee_underflow 0
		.amdhsa_exception_fp_ieee_inexact 0
		.amdhsa_exception_int_div_zero 0
	.end_amdhsa_kernel
	.section	.text._ZN7rocprim17ROCPRIM_400000_NS6detail17trampoline_kernelINS0_14default_configENS1_20scan_config_selectorIN3c107complexIdEEEEZZNS1_9scan_implILNS1_25lookback_scan_determinismE0ELb0ELb0ES3_PKS7_PS7_S7_ZZZN2at6native31launch_logcumsumexp_cuda_kernelERKNSE_10TensorBaseESI_lENKUlvE_clEvENKUlvE1_clEvEUlS7_S7_E_S7_EEDaPvRmT3_T4_T5_mT6_P12ihipStream_tbENKUlT_T0_E_clISt17integral_constantIbLb1EESY_IbLb0EEEEDaSU_SV_EUlSU_E0_NS1_11comp_targetILNS1_3genE0ELNS1_11target_archE4294967295ELNS1_3gpuE0ELNS1_3repE0EEENS1_30default_config_static_selectorELNS0_4arch9wavefront6targetE0EEEvT1_,"axG",@progbits,_ZN7rocprim17ROCPRIM_400000_NS6detail17trampoline_kernelINS0_14default_configENS1_20scan_config_selectorIN3c107complexIdEEEEZZNS1_9scan_implILNS1_25lookback_scan_determinismE0ELb0ELb0ES3_PKS7_PS7_S7_ZZZN2at6native31launch_logcumsumexp_cuda_kernelERKNSE_10TensorBaseESI_lENKUlvE_clEvENKUlvE1_clEvEUlS7_S7_E_S7_EEDaPvRmT3_T4_T5_mT6_P12ihipStream_tbENKUlT_T0_E_clISt17integral_constantIbLb1EESY_IbLb0EEEEDaSU_SV_EUlSU_E0_NS1_11comp_targetILNS1_3genE0ELNS1_11target_archE4294967295ELNS1_3gpuE0ELNS1_3repE0EEENS1_30default_config_static_selectorELNS0_4arch9wavefront6targetE0EEEvT1_,comdat
.Lfunc_end231:
	.size	_ZN7rocprim17ROCPRIM_400000_NS6detail17trampoline_kernelINS0_14default_configENS1_20scan_config_selectorIN3c107complexIdEEEEZZNS1_9scan_implILNS1_25lookback_scan_determinismE0ELb0ELb0ES3_PKS7_PS7_S7_ZZZN2at6native31launch_logcumsumexp_cuda_kernelERKNSE_10TensorBaseESI_lENKUlvE_clEvENKUlvE1_clEvEUlS7_S7_E_S7_EEDaPvRmT3_T4_T5_mT6_P12ihipStream_tbENKUlT_T0_E_clISt17integral_constantIbLb1EESY_IbLb0EEEEDaSU_SV_EUlSU_E0_NS1_11comp_targetILNS1_3genE0ELNS1_11target_archE4294967295ELNS1_3gpuE0ELNS1_3repE0EEENS1_30default_config_static_selectorELNS0_4arch9wavefront6targetE0EEEvT1_, .Lfunc_end231-_ZN7rocprim17ROCPRIM_400000_NS6detail17trampoline_kernelINS0_14default_configENS1_20scan_config_selectorIN3c107complexIdEEEEZZNS1_9scan_implILNS1_25lookback_scan_determinismE0ELb0ELb0ES3_PKS7_PS7_S7_ZZZN2at6native31launch_logcumsumexp_cuda_kernelERKNSE_10TensorBaseESI_lENKUlvE_clEvENKUlvE1_clEvEUlS7_S7_E_S7_EEDaPvRmT3_T4_T5_mT6_P12ihipStream_tbENKUlT_T0_E_clISt17integral_constantIbLb1EESY_IbLb0EEEEDaSU_SV_EUlSU_E0_NS1_11comp_targetILNS1_3genE0ELNS1_11target_archE4294967295ELNS1_3gpuE0ELNS1_3repE0EEENS1_30default_config_static_selectorELNS0_4arch9wavefront6targetE0EEEvT1_
                                        ; -- End function
	.set _ZN7rocprim17ROCPRIM_400000_NS6detail17trampoline_kernelINS0_14default_configENS1_20scan_config_selectorIN3c107complexIdEEEEZZNS1_9scan_implILNS1_25lookback_scan_determinismE0ELb0ELb0ES3_PKS7_PS7_S7_ZZZN2at6native31launch_logcumsumexp_cuda_kernelERKNSE_10TensorBaseESI_lENKUlvE_clEvENKUlvE1_clEvEUlS7_S7_E_S7_EEDaPvRmT3_T4_T5_mT6_P12ihipStream_tbENKUlT_T0_E_clISt17integral_constantIbLb1EESY_IbLb0EEEEDaSU_SV_EUlSU_E0_NS1_11comp_targetILNS1_3genE0ELNS1_11target_archE4294967295ELNS1_3gpuE0ELNS1_3repE0EEENS1_30default_config_static_selectorELNS0_4arch9wavefront6targetE0EEEvT1_.num_vgpr, 0
	.set _ZN7rocprim17ROCPRIM_400000_NS6detail17trampoline_kernelINS0_14default_configENS1_20scan_config_selectorIN3c107complexIdEEEEZZNS1_9scan_implILNS1_25lookback_scan_determinismE0ELb0ELb0ES3_PKS7_PS7_S7_ZZZN2at6native31launch_logcumsumexp_cuda_kernelERKNSE_10TensorBaseESI_lENKUlvE_clEvENKUlvE1_clEvEUlS7_S7_E_S7_EEDaPvRmT3_T4_T5_mT6_P12ihipStream_tbENKUlT_T0_E_clISt17integral_constantIbLb1EESY_IbLb0EEEEDaSU_SV_EUlSU_E0_NS1_11comp_targetILNS1_3genE0ELNS1_11target_archE4294967295ELNS1_3gpuE0ELNS1_3repE0EEENS1_30default_config_static_selectorELNS0_4arch9wavefront6targetE0EEEvT1_.num_agpr, 0
	.set _ZN7rocprim17ROCPRIM_400000_NS6detail17trampoline_kernelINS0_14default_configENS1_20scan_config_selectorIN3c107complexIdEEEEZZNS1_9scan_implILNS1_25lookback_scan_determinismE0ELb0ELb0ES3_PKS7_PS7_S7_ZZZN2at6native31launch_logcumsumexp_cuda_kernelERKNSE_10TensorBaseESI_lENKUlvE_clEvENKUlvE1_clEvEUlS7_S7_E_S7_EEDaPvRmT3_T4_T5_mT6_P12ihipStream_tbENKUlT_T0_E_clISt17integral_constantIbLb1EESY_IbLb0EEEEDaSU_SV_EUlSU_E0_NS1_11comp_targetILNS1_3genE0ELNS1_11target_archE4294967295ELNS1_3gpuE0ELNS1_3repE0EEENS1_30default_config_static_selectorELNS0_4arch9wavefront6targetE0EEEvT1_.numbered_sgpr, 0
	.set _ZN7rocprim17ROCPRIM_400000_NS6detail17trampoline_kernelINS0_14default_configENS1_20scan_config_selectorIN3c107complexIdEEEEZZNS1_9scan_implILNS1_25lookback_scan_determinismE0ELb0ELb0ES3_PKS7_PS7_S7_ZZZN2at6native31launch_logcumsumexp_cuda_kernelERKNSE_10TensorBaseESI_lENKUlvE_clEvENKUlvE1_clEvEUlS7_S7_E_S7_EEDaPvRmT3_T4_T5_mT6_P12ihipStream_tbENKUlT_T0_E_clISt17integral_constantIbLb1EESY_IbLb0EEEEDaSU_SV_EUlSU_E0_NS1_11comp_targetILNS1_3genE0ELNS1_11target_archE4294967295ELNS1_3gpuE0ELNS1_3repE0EEENS1_30default_config_static_selectorELNS0_4arch9wavefront6targetE0EEEvT1_.num_named_barrier, 0
	.set _ZN7rocprim17ROCPRIM_400000_NS6detail17trampoline_kernelINS0_14default_configENS1_20scan_config_selectorIN3c107complexIdEEEEZZNS1_9scan_implILNS1_25lookback_scan_determinismE0ELb0ELb0ES3_PKS7_PS7_S7_ZZZN2at6native31launch_logcumsumexp_cuda_kernelERKNSE_10TensorBaseESI_lENKUlvE_clEvENKUlvE1_clEvEUlS7_S7_E_S7_EEDaPvRmT3_T4_T5_mT6_P12ihipStream_tbENKUlT_T0_E_clISt17integral_constantIbLb1EESY_IbLb0EEEEDaSU_SV_EUlSU_E0_NS1_11comp_targetILNS1_3genE0ELNS1_11target_archE4294967295ELNS1_3gpuE0ELNS1_3repE0EEENS1_30default_config_static_selectorELNS0_4arch9wavefront6targetE0EEEvT1_.private_seg_size, 0
	.set _ZN7rocprim17ROCPRIM_400000_NS6detail17trampoline_kernelINS0_14default_configENS1_20scan_config_selectorIN3c107complexIdEEEEZZNS1_9scan_implILNS1_25lookback_scan_determinismE0ELb0ELb0ES3_PKS7_PS7_S7_ZZZN2at6native31launch_logcumsumexp_cuda_kernelERKNSE_10TensorBaseESI_lENKUlvE_clEvENKUlvE1_clEvEUlS7_S7_E_S7_EEDaPvRmT3_T4_T5_mT6_P12ihipStream_tbENKUlT_T0_E_clISt17integral_constantIbLb1EESY_IbLb0EEEEDaSU_SV_EUlSU_E0_NS1_11comp_targetILNS1_3genE0ELNS1_11target_archE4294967295ELNS1_3gpuE0ELNS1_3repE0EEENS1_30default_config_static_selectorELNS0_4arch9wavefront6targetE0EEEvT1_.uses_vcc, 0
	.set _ZN7rocprim17ROCPRIM_400000_NS6detail17trampoline_kernelINS0_14default_configENS1_20scan_config_selectorIN3c107complexIdEEEEZZNS1_9scan_implILNS1_25lookback_scan_determinismE0ELb0ELb0ES3_PKS7_PS7_S7_ZZZN2at6native31launch_logcumsumexp_cuda_kernelERKNSE_10TensorBaseESI_lENKUlvE_clEvENKUlvE1_clEvEUlS7_S7_E_S7_EEDaPvRmT3_T4_T5_mT6_P12ihipStream_tbENKUlT_T0_E_clISt17integral_constantIbLb1EESY_IbLb0EEEEDaSU_SV_EUlSU_E0_NS1_11comp_targetILNS1_3genE0ELNS1_11target_archE4294967295ELNS1_3gpuE0ELNS1_3repE0EEENS1_30default_config_static_selectorELNS0_4arch9wavefront6targetE0EEEvT1_.uses_flat_scratch, 0
	.set _ZN7rocprim17ROCPRIM_400000_NS6detail17trampoline_kernelINS0_14default_configENS1_20scan_config_selectorIN3c107complexIdEEEEZZNS1_9scan_implILNS1_25lookback_scan_determinismE0ELb0ELb0ES3_PKS7_PS7_S7_ZZZN2at6native31launch_logcumsumexp_cuda_kernelERKNSE_10TensorBaseESI_lENKUlvE_clEvENKUlvE1_clEvEUlS7_S7_E_S7_EEDaPvRmT3_T4_T5_mT6_P12ihipStream_tbENKUlT_T0_E_clISt17integral_constantIbLb1EESY_IbLb0EEEEDaSU_SV_EUlSU_E0_NS1_11comp_targetILNS1_3genE0ELNS1_11target_archE4294967295ELNS1_3gpuE0ELNS1_3repE0EEENS1_30default_config_static_selectorELNS0_4arch9wavefront6targetE0EEEvT1_.has_dyn_sized_stack, 0
	.set _ZN7rocprim17ROCPRIM_400000_NS6detail17trampoline_kernelINS0_14default_configENS1_20scan_config_selectorIN3c107complexIdEEEEZZNS1_9scan_implILNS1_25lookback_scan_determinismE0ELb0ELb0ES3_PKS7_PS7_S7_ZZZN2at6native31launch_logcumsumexp_cuda_kernelERKNSE_10TensorBaseESI_lENKUlvE_clEvENKUlvE1_clEvEUlS7_S7_E_S7_EEDaPvRmT3_T4_T5_mT6_P12ihipStream_tbENKUlT_T0_E_clISt17integral_constantIbLb1EESY_IbLb0EEEEDaSU_SV_EUlSU_E0_NS1_11comp_targetILNS1_3genE0ELNS1_11target_archE4294967295ELNS1_3gpuE0ELNS1_3repE0EEENS1_30default_config_static_selectorELNS0_4arch9wavefront6targetE0EEEvT1_.has_recursion, 0
	.set _ZN7rocprim17ROCPRIM_400000_NS6detail17trampoline_kernelINS0_14default_configENS1_20scan_config_selectorIN3c107complexIdEEEEZZNS1_9scan_implILNS1_25lookback_scan_determinismE0ELb0ELb0ES3_PKS7_PS7_S7_ZZZN2at6native31launch_logcumsumexp_cuda_kernelERKNSE_10TensorBaseESI_lENKUlvE_clEvENKUlvE1_clEvEUlS7_S7_E_S7_EEDaPvRmT3_T4_T5_mT6_P12ihipStream_tbENKUlT_T0_E_clISt17integral_constantIbLb1EESY_IbLb0EEEEDaSU_SV_EUlSU_E0_NS1_11comp_targetILNS1_3genE0ELNS1_11target_archE4294967295ELNS1_3gpuE0ELNS1_3repE0EEENS1_30default_config_static_selectorELNS0_4arch9wavefront6targetE0EEEvT1_.has_indirect_call, 0
	.section	.AMDGPU.csdata,"",@progbits
; Kernel info:
; codeLenInByte = 0
; TotalNumSgprs: 0
; NumVgprs: 0
; ScratchSize: 0
; MemoryBound: 0
; FloatMode: 240
; IeeeMode: 1
; LDSByteSize: 0 bytes/workgroup (compile time only)
; SGPRBlocks: 0
; VGPRBlocks: 0
; NumSGPRsForWavesPerEU: 1
; NumVGPRsForWavesPerEU: 1
; Occupancy: 16
; WaveLimiterHint : 0
; COMPUTE_PGM_RSRC2:SCRATCH_EN: 0
; COMPUTE_PGM_RSRC2:USER_SGPR: 2
; COMPUTE_PGM_RSRC2:TRAP_HANDLER: 0
; COMPUTE_PGM_RSRC2:TGID_X_EN: 1
; COMPUTE_PGM_RSRC2:TGID_Y_EN: 0
; COMPUTE_PGM_RSRC2:TGID_Z_EN: 0
; COMPUTE_PGM_RSRC2:TIDIG_COMP_CNT: 0
	.section	.text._ZN7rocprim17ROCPRIM_400000_NS6detail17trampoline_kernelINS0_14default_configENS1_20scan_config_selectorIN3c107complexIdEEEEZZNS1_9scan_implILNS1_25lookback_scan_determinismE0ELb0ELb0ES3_PKS7_PS7_S7_ZZZN2at6native31launch_logcumsumexp_cuda_kernelERKNSE_10TensorBaseESI_lENKUlvE_clEvENKUlvE1_clEvEUlS7_S7_E_S7_EEDaPvRmT3_T4_T5_mT6_P12ihipStream_tbENKUlT_T0_E_clISt17integral_constantIbLb1EESY_IbLb0EEEEDaSU_SV_EUlSU_E0_NS1_11comp_targetILNS1_3genE5ELNS1_11target_archE942ELNS1_3gpuE9ELNS1_3repE0EEENS1_30default_config_static_selectorELNS0_4arch9wavefront6targetE0EEEvT1_,"axG",@progbits,_ZN7rocprim17ROCPRIM_400000_NS6detail17trampoline_kernelINS0_14default_configENS1_20scan_config_selectorIN3c107complexIdEEEEZZNS1_9scan_implILNS1_25lookback_scan_determinismE0ELb0ELb0ES3_PKS7_PS7_S7_ZZZN2at6native31launch_logcumsumexp_cuda_kernelERKNSE_10TensorBaseESI_lENKUlvE_clEvENKUlvE1_clEvEUlS7_S7_E_S7_EEDaPvRmT3_T4_T5_mT6_P12ihipStream_tbENKUlT_T0_E_clISt17integral_constantIbLb1EESY_IbLb0EEEEDaSU_SV_EUlSU_E0_NS1_11comp_targetILNS1_3genE5ELNS1_11target_archE942ELNS1_3gpuE9ELNS1_3repE0EEENS1_30default_config_static_selectorELNS0_4arch9wavefront6targetE0EEEvT1_,comdat
	.globl	_ZN7rocprim17ROCPRIM_400000_NS6detail17trampoline_kernelINS0_14default_configENS1_20scan_config_selectorIN3c107complexIdEEEEZZNS1_9scan_implILNS1_25lookback_scan_determinismE0ELb0ELb0ES3_PKS7_PS7_S7_ZZZN2at6native31launch_logcumsumexp_cuda_kernelERKNSE_10TensorBaseESI_lENKUlvE_clEvENKUlvE1_clEvEUlS7_S7_E_S7_EEDaPvRmT3_T4_T5_mT6_P12ihipStream_tbENKUlT_T0_E_clISt17integral_constantIbLb1EESY_IbLb0EEEEDaSU_SV_EUlSU_E0_NS1_11comp_targetILNS1_3genE5ELNS1_11target_archE942ELNS1_3gpuE9ELNS1_3repE0EEENS1_30default_config_static_selectorELNS0_4arch9wavefront6targetE0EEEvT1_ ; -- Begin function _ZN7rocprim17ROCPRIM_400000_NS6detail17trampoline_kernelINS0_14default_configENS1_20scan_config_selectorIN3c107complexIdEEEEZZNS1_9scan_implILNS1_25lookback_scan_determinismE0ELb0ELb0ES3_PKS7_PS7_S7_ZZZN2at6native31launch_logcumsumexp_cuda_kernelERKNSE_10TensorBaseESI_lENKUlvE_clEvENKUlvE1_clEvEUlS7_S7_E_S7_EEDaPvRmT3_T4_T5_mT6_P12ihipStream_tbENKUlT_T0_E_clISt17integral_constantIbLb1EESY_IbLb0EEEEDaSU_SV_EUlSU_E0_NS1_11comp_targetILNS1_3genE5ELNS1_11target_archE942ELNS1_3gpuE9ELNS1_3repE0EEENS1_30default_config_static_selectorELNS0_4arch9wavefront6targetE0EEEvT1_
	.p2align	8
	.type	_ZN7rocprim17ROCPRIM_400000_NS6detail17trampoline_kernelINS0_14default_configENS1_20scan_config_selectorIN3c107complexIdEEEEZZNS1_9scan_implILNS1_25lookback_scan_determinismE0ELb0ELb0ES3_PKS7_PS7_S7_ZZZN2at6native31launch_logcumsumexp_cuda_kernelERKNSE_10TensorBaseESI_lENKUlvE_clEvENKUlvE1_clEvEUlS7_S7_E_S7_EEDaPvRmT3_T4_T5_mT6_P12ihipStream_tbENKUlT_T0_E_clISt17integral_constantIbLb1EESY_IbLb0EEEEDaSU_SV_EUlSU_E0_NS1_11comp_targetILNS1_3genE5ELNS1_11target_archE942ELNS1_3gpuE9ELNS1_3repE0EEENS1_30default_config_static_selectorELNS0_4arch9wavefront6targetE0EEEvT1_,@function
_ZN7rocprim17ROCPRIM_400000_NS6detail17trampoline_kernelINS0_14default_configENS1_20scan_config_selectorIN3c107complexIdEEEEZZNS1_9scan_implILNS1_25lookback_scan_determinismE0ELb0ELb0ES3_PKS7_PS7_S7_ZZZN2at6native31launch_logcumsumexp_cuda_kernelERKNSE_10TensorBaseESI_lENKUlvE_clEvENKUlvE1_clEvEUlS7_S7_E_S7_EEDaPvRmT3_T4_T5_mT6_P12ihipStream_tbENKUlT_T0_E_clISt17integral_constantIbLb1EESY_IbLb0EEEEDaSU_SV_EUlSU_E0_NS1_11comp_targetILNS1_3genE5ELNS1_11target_archE942ELNS1_3gpuE9ELNS1_3repE0EEENS1_30default_config_static_selectorELNS0_4arch9wavefront6targetE0EEEvT1_: ; @_ZN7rocprim17ROCPRIM_400000_NS6detail17trampoline_kernelINS0_14default_configENS1_20scan_config_selectorIN3c107complexIdEEEEZZNS1_9scan_implILNS1_25lookback_scan_determinismE0ELb0ELb0ES3_PKS7_PS7_S7_ZZZN2at6native31launch_logcumsumexp_cuda_kernelERKNSE_10TensorBaseESI_lENKUlvE_clEvENKUlvE1_clEvEUlS7_S7_E_S7_EEDaPvRmT3_T4_T5_mT6_P12ihipStream_tbENKUlT_T0_E_clISt17integral_constantIbLb1EESY_IbLb0EEEEDaSU_SV_EUlSU_E0_NS1_11comp_targetILNS1_3genE5ELNS1_11target_archE942ELNS1_3gpuE9ELNS1_3repE0EEENS1_30default_config_static_selectorELNS0_4arch9wavefront6targetE0EEEvT1_
; %bb.0:
	.section	.rodata,"a",@progbits
	.p2align	6, 0x0
	.amdhsa_kernel _ZN7rocprim17ROCPRIM_400000_NS6detail17trampoline_kernelINS0_14default_configENS1_20scan_config_selectorIN3c107complexIdEEEEZZNS1_9scan_implILNS1_25lookback_scan_determinismE0ELb0ELb0ES3_PKS7_PS7_S7_ZZZN2at6native31launch_logcumsumexp_cuda_kernelERKNSE_10TensorBaseESI_lENKUlvE_clEvENKUlvE1_clEvEUlS7_S7_E_S7_EEDaPvRmT3_T4_T5_mT6_P12ihipStream_tbENKUlT_T0_E_clISt17integral_constantIbLb1EESY_IbLb0EEEEDaSU_SV_EUlSU_E0_NS1_11comp_targetILNS1_3genE5ELNS1_11target_archE942ELNS1_3gpuE9ELNS1_3repE0EEENS1_30default_config_static_selectorELNS0_4arch9wavefront6targetE0EEEvT1_
		.amdhsa_group_segment_fixed_size 0
		.amdhsa_private_segment_fixed_size 0
		.amdhsa_kernarg_size 48
		.amdhsa_user_sgpr_count 2
		.amdhsa_user_sgpr_dispatch_ptr 0
		.amdhsa_user_sgpr_queue_ptr 0
		.amdhsa_user_sgpr_kernarg_segment_ptr 1
		.amdhsa_user_sgpr_dispatch_id 0
		.amdhsa_user_sgpr_private_segment_size 0
		.amdhsa_wavefront_size32 1
		.amdhsa_uses_dynamic_stack 0
		.amdhsa_enable_private_segment 0
		.amdhsa_system_sgpr_workgroup_id_x 1
		.amdhsa_system_sgpr_workgroup_id_y 0
		.amdhsa_system_sgpr_workgroup_id_z 0
		.amdhsa_system_sgpr_workgroup_info 0
		.amdhsa_system_vgpr_workitem_id 0
		.amdhsa_next_free_vgpr 1
		.amdhsa_next_free_sgpr 1
		.amdhsa_reserve_vcc 0
		.amdhsa_float_round_mode_32 0
		.amdhsa_float_round_mode_16_64 0
		.amdhsa_float_denorm_mode_32 3
		.amdhsa_float_denorm_mode_16_64 3
		.amdhsa_fp16_overflow 0
		.amdhsa_workgroup_processor_mode 1
		.amdhsa_memory_ordered 1
		.amdhsa_forward_progress 1
		.amdhsa_inst_pref_size 0
		.amdhsa_round_robin_scheduling 0
		.amdhsa_exception_fp_ieee_invalid_op 0
		.amdhsa_exception_fp_denorm_src 0
		.amdhsa_exception_fp_ieee_div_zero 0
		.amdhsa_exception_fp_ieee_overflow 0
		.amdhsa_exception_fp_ieee_underflow 0
		.amdhsa_exception_fp_ieee_inexact 0
		.amdhsa_exception_int_div_zero 0
	.end_amdhsa_kernel
	.section	.text._ZN7rocprim17ROCPRIM_400000_NS6detail17trampoline_kernelINS0_14default_configENS1_20scan_config_selectorIN3c107complexIdEEEEZZNS1_9scan_implILNS1_25lookback_scan_determinismE0ELb0ELb0ES3_PKS7_PS7_S7_ZZZN2at6native31launch_logcumsumexp_cuda_kernelERKNSE_10TensorBaseESI_lENKUlvE_clEvENKUlvE1_clEvEUlS7_S7_E_S7_EEDaPvRmT3_T4_T5_mT6_P12ihipStream_tbENKUlT_T0_E_clISt17integral_constantIbLb1EESY_IbLb0EEEEDaSU_SV_EUlSU_E0_NS1_11comp_targetILNS1_3genE5ELNS1_11target_archE942ELNS1_3gpuE9ELNS1_3repE0EEENS1_30default_config_static_selectorELNS0_4arch9wavefront6targetE0EEEvT1_,"axG",@progbits,_ZN7rocprim17ROCPRIM_400000_NS6detail17trampoline_kernelINS0_14default_configENS1_20scan_config_selectorIN3c107complexIdEEEEZZNS1_9scan_implILNS1_25lookback_scan_determinismE0ELb0ELb0ES3_PKS7_PS7_S7_ZZZN2at6native31launch_logcumsumexp_cuda_kernelERKNSE_10TensorBaseESI_lENKUlvE_clEvENKUlvE1_clEvEUlS7_S7_E_S7_EEDaPvRmT3_T4_T5_mT6_P12ihipStream_tbENKUlT_T0_E_clISt17integral_constantIbLb1EESY_IbLb0EEEEDaSU_SV_EUlSU_E0_NS1_11comp_targetILNS1_3genE5ELNS1_11target_archE942ELNS1_3gpuE9ELNS1_3repE0EEENS1_30default_config_static_selectorELNS0_4arch9wavefront6targetE0EEEvT1_,comdat
.Lfunc_end232:
	.size	_ZN7rocprim17ROCPRIM_400000_NS6detail17trampoline_kernelINS0_14default_configENS1_20scan_config_selectorIN3c107complexIdEEEEZZNS1_9scan_implILNS1_25lookback_scan_determinismE0ELb0ELb0ES3_PKS7_PS7_S7_ZZZN2at6native31launch_logcumsumexp_cuda_kernelERKNSE_10TensorBaseESI_lENKUlvE_clEvENKUlvE1_clEvEUlS7_S7_E_S7_EEDaPvRmT3_T4_T5_mT6_P12ihipStream_tbENKUlT_T0_E_clISt17integral_constantIbLb1EESY_IbLb0EEEEDaSU_SV_EUlSU_E0_NS1_11comp_targetILNS1_3genE5ELNS1_11target_archE942ELNS1_3gpuE9ELNS1_3repE0EEENS1_30default_config_static_selectorELNS0_4arch9wavefront6targetE0EEEvT1_, .Lfunc_end232-_ZN7rocprim17ROCPRIM_400000_NS6detail17trampoline_kernelINS0_14default_configENS1_20scan_config_selectorIN3c107complexIdEEEEZZNS1_9scan_implILNS1_25lookback_scan_determinismE0ELb0ELb0ES3_PKS7_PS7_S7_ZZZN2at6native31launch_logcumsumexp_cuda_kernelERKNSE_10TensorBaseESI_lENKUlvE_clEvENKUlvE1_clEvEUlS7_S7_E_S7_EEDaPvRmT3_T4_T5_mT6_P12ihipStream_tbENKUlT_T0_E_clISt17integral_constantIbLb1EESY_IbLb0EEEEDaSU_SV_EUlSU_E0_NS1_11comp_targetILNS1_3genE5ELNS1_11target_archE942ELNS1_3gpuE9ELNS1_3repE0EEENS1_30default_config_static_selectorELNS0_4arch9wavefront6targetE0EEEvT1_
                                        ; -- End function
	.set _ZN7rocprim17ROCPRIM_400000_NS6detail17trampoline_kernelINS0_14default_configENS1_20scan_config_selectorIN3c107complexIdEEEEZZNS1_9scan_implILNS1_25lookback_scan_determinismE0ELb0ELb0ES3_PKS7_PS7_S7_ZZZN2at6native31launch_logcumsumexp_cuda_kernelERKNSE_10TensorBaseESI_lENKUlvE_clEvENKUlvE1_clEvEUlS7_S7_E_S7_EEDaPvRmT3_T4_T5_mT6_P12ihipStream_tbENKUlT_T0_E_clISt17integral_constantIbLb1EESY_IbLb0EEEEDaSU_SV_EUlSU_E0_NS1_11comp_targetILNS1_3genE5ELNS1_11target_archE942ELNS1_3gpuE9ELNS1_3repE0EEENS1_30default_config_static_selectorELNS0_4arch9wavefront6targetE0EEEvT1_.num_vgpr, 0
	.set _ZN7rocprim17ROCPRIM_400000_NS6detail17trampoline_kernelINS0_14default_configENS1_20scan_config_selectorIN3c107complexIdEEEEZZNS1_9scan_implILNS1_25lookback_scan_determinismE0ELb0ELb0ES3_PKS7_PS7_S7_ZZZN2at6native31launch_logcumsumexp_cuda_kernelERKNSE_10TensorBaseESI_lENKUlvE_clEvENKUlvE1_clEvEUlS7_S7_E_S7_EEDaPvRmT3_T4_T5_mT6_P12ihipStream_tbENKUlT_T0_E_clISt17integral_constantIbLb1EESY_IbLb0EEEEDaSU_SV_EUlSU_E0_NS1_11comp_targetILNS1_3genE5ELNS1_11target_archE942ELNS1_3gpuE9ELNS1_3repE0EEENS1_30default_config_static_selectorELNS0_4arch9wavefront6targetE0EEEvT1_.num_agpr, 0
	.set _ZN7rocprim17ROCPRIM_400000_NS6detail17trampoline_kernelINS0_14default_configENS1_20scan_config_selectorIN3c107complexIdEEEEZZNS1_9scan_implILNS1_25lookback_scan_determinismE0ELb0ELb0ES3_PKS7_PS7_S7_ZZZN2at6native31launch_logcumsumexp_cuda_kernelERKNSE_10TensorBaseESI_lENKUlvE_clEvENKUlvE1_clEvEUlS7_S7_E_S7_EEDaPvRmT3_T4_T5_mT6_P12ihipStream_tbENKUlT_T0_E_clISt17integral_constantIbLb1EESY_IbLb0EEEEDaSU_SV_EUlSU_E0_NS1_11comp_targetILNS1_3genE5ELNS1_11target_archE942ELNS1_3gpuE9ELNS1_3repE0EEENS1_30default_config_static_selectorELNS0_4arch9wavefront6targetE0EEEvT1_.numbered_sgpr, 0
	.set _ZN7rocprim17ROCPRIM_400000_NS6detail17trampoline_kernelINS0_14default_configENS1_20scan_config_selectorIN3c107complexIdEEEEZZNS1_9scan_implILNS1_25lookback_scan_determinismE0ELb0ELb0ES3_PKS7_PS7_S7_ZZZN2at6native31launch_logcumsumexp_cuda_kernelERKNSE_10TensorBaseESI_lENKUlvE_clEvENKUlvE1_clEvEUlS7_S7_E_S7_EEDaPvRmT3_T4_T5_mT6_P12ihipStream_tbENKUlT_T0_E_clISt17integral_constantIbLb1EESY_IbLb0EEEEDaSU_SV_EUlSU_E0_NS1_11comp_targetILNS1_3genE5ELNS1_11target_archE942ELNS1_3gpuE9ELNS1_3repE0EEENS1_30default_config_static_selectorELNS0_4arch9wavefront6targetE0EEEvT1_.num_named_barrier, 0
	.set _ZN7rocprim17ROCPRIM_400000_NS6detail17trampoline_kernelINS0_14default_configENS1_20scan_config_selectorIN3c107complexIdEEEEZZNS1_9scan_implILNS1_25lookback_scan_determinismE0ELb0ELb0ES3_PKS7_PS7_S7_ZZZN2at6native31launch_logcumsumexp_cuda_kernelERKNSE_10TensorBaseESI_lENKUlvE_clEvENKUlvE1_clEvEUlS7_S7_E_S7_EEDaPvRmT3_T4_T5_mT6_P12ihipStream_tbENKUlT_T0_E_clISt17integral_constantIbLb1EESY_IbLb0EEEEDaSU_SV_EUlSU_E0_NS1_11comp_targetILNS1_3genE5ELNS1_11target_archE942ELNS1_3gpuE9ELNS1_3repE0EEENS1_30default_config_static_selectorELNS0_4arch9wavefront6targetE0EEEvT1_.private_seg_size, 0
	.set _ZN7rocprim17ROCPRIM_400000_NS6detail17trampoline_kernelINS0_14default_configENS1_20scan_config_selectorIN3c107complexIdEEEEZZNS1_9scan_implILNS1_25lookback_scan_determinismE0ELb0ELb0ES3_PKS7_PS7_S7_ZZZN2at6native31launch_logcumsumexp_cuda_kernelERKNSE_10TensorBaseESI_lENKUlvE_clEvENKUlvE1_clEvEUlS7_S7_E_S7_EEDaPvRmT3_T4_T5_mT6_P12ihipStream_tbENKUlT_T0_E_clISt17integral_constantIbLb1EESY_IbLb0EEEEDaSU_SV_EUlSU_E0_NS1_11comp_targetILNS1_3genE5ELNS1_11target_archE942ELNS1_3gpuE9ELNS1_3repE0EEENS1_30default_config_static_selectorELNS0_4arch9wavefront6targetE0EEEvT1_.uses_vcc, 0
	.set _ZN7rocprim17ROCPRIM_400000_NS6detail17trampoline_kernelINS0_14default_configENS1_20scan_config_selectorIN3c107complexIdEEEEZZNS1_9scan_implILNS1_25lookback_scan_determinismE0ELb0ELb0ES3_PKS7_PS7_S7_ZZZN2at6native31launch_logcumsumexp_cuda_kernelERKNSE_10TensorBaseESI_lENKUlvE_clEvENKUlvE1_clEvEUlS7_S7_E_S7_EEDaPvRmT3_T4_T5_mT6_P12ihipStream_tbENKUlT_T0_E_clISt17integral_constantIbLb1EESY_IbLb0EEEEDaSU_SV_EUlSU_E0_NS1_11comp_targetILNS1_3genE5ELNS1_11target_archE942ELNS1_3gpuE9ELNS1_3repE0EEENS1_30default_config_static_selectorELNS0_4arch9wavefront6targetE0EEEvT1_.uses_flat_scratch, 0
	.set _ZN7rocprim17ROCPRIM_400000_NS6detail17trampoline_kernelINS0_14default_configENS1_20scan_config_selectorIN3c107complexIdEEEEZZNS1_9scan_implILNS1_25lookback_scan_determinismE0ELb0ELb0ES3_PKS7_PS7_S7_ZZZN2at6native31launch_logcumsumexp_cuda_kernelERKNSE_10TensorBaseESI_lENKUlvE_clEvENKUlvE1_clEvEUlS7_S7_E_S7_EEDaPvRmT3_T4_T5_mT6_P12ihipStream_tbENKUlT_T0_E_clISt17integral_constantIbLb1EESY_IbLb0EEEEDaSU_SV_EUlSU_E0_NS1_11comp_targetILNS1_3genE5ELNS1_11target_archE942ELNS1_3gpuE9ELNS1_3repE0EEENS1_30default_config_static_selectorELNS0_4arch9wavefront6targetE0EEEvT1_.has_dyn_sized_stack, 0
	.set _ZN7rocprim17ROCPRIM_400000_NS6detail17trampoline_kernelINS0_14default_configENS1_20scan_config_selectorIN3c107complexIdEEEEZZNS1_9scan_implILNS1_25lookback_scan_determinismE0ELb0ELb0ES3_PKS7_PS7_S7_ZZZN2at6native31launch_logcumsumexp_cuda_kernelERKNSE_10TensorBaseESI_lENKUlvE_clEvENKUlvE1_clEvEUlS7_S7_E_S7_EEDaPvRmT3_T4_T5_mT6_P12ihipStream_tbENKUlT_T0_E_clISt17integral_constantIbLb1EESY_IbLb0EEEEDaSU_SV_EUlSU_E0_NS1_11comp_targetILNS1_3genE5ELNS1_11target_archE942ELNS1_3gpuE9ELNS1_3repE0EEENS1_30default_config_static_selectorELNS0_4arch9wavefront6targetE0EEEvT1_.has_recursion, 0
	.set _ZN7rocprim17ROCPRIM_400000_NS6detail17trampoline_kernelINS0_14default_configENS1_20scan_config_selectorIN3c107complexIdEEEEZZNS1_9scan_implILNS1_25lookback_scan_determinismE0ELb0ELb0ES3_PKS7_PS7_S7_ZZZN2at6native31launch_logcumsumexp_cuda_kernelERKNSE_10TensorBaseESI_lENKUlvE_clEvENKUlvE1_clEvEUlS7_S7_E_S7_EEDaPvRmT3_T4_T5_mT6_P12ihipStream_tbENKUlT_T0_E_clISt17integral_constantIbLb1EESY_IbLb0EEEEDaSU_SV_EUlSU_E0_NS1_11comp_targetILNS1_3genE5ELNS1_11target_archE942ELNS1_3gpuE9ELNS1_3repE0EEENS1_30default_config_static_selectorELNS0_4arch9wavefront6targetE0EEEvT1_.has_indirect_call, 0
	.section	.AMDGPU.csdata,"",@progbits
; Kernel info:
; codeLenInByte = 0
; TotalNumSgprs: 0
; NumVgprs: 0
; ScratchSize: 0
; MemoryBound: 0
; FloatMode: 240
; IeeeMode: 1
; LDSByteSize: 0 bytes/workgroup (compile time only)
; SGPRBlocks: 0
; VGPRBlocks: 0
; NumSGPRsForWavesPerEU: 1
; NumVGPRsForWavesPerEU: 1
; Occupancy: 16
; WaveLimiterHint : 0
; COMPUTE_PGM_RSRC2:SCRATCH_EN: 0
; COMPUTE_PGM_RSRC2:USER_SGPR: 2
; COMPUTE_PGM_RSRC2:TRAP_HANDLER: 0
; COMPUTE_PGM_RSRC2:TGID_X_EN: 1
; COMPUTE_PGM_RSRC2:TGID_Y_EN: 0
; COMPUTE_PGM_RSRC2:TGID_Z_EN: 0
; COMPUTE_PGM_RSRC2:TIDIG_COMP_CNT: 0
	.section	.text._ZN7rocprim17ROCPRIM_400000_NS6detail17trampoline_kernelINS0_14default_configENS1_20scan_config_selectorIN3c107complexIdEEEEZZNS1_9scan_implILNS1_25lookback_scan_determinismE0ELb0ELb0ES3_PKS7_PS7_S7_ZZZN2at6native31launch_logcumsumexp_cuda_kernelERKNSE_10TensorBaseESI_lENKUlvE_clEvENKUlvE1_clEvEUlS7_S7_E_S7_EEDaPvRmT3_T4_T5_mT6_P12ihipStream_tbENKUlT_T0_E_clISt17integral_constantIbLb1EESY_IbLb0EEEEDaSU_SV_EUlSU_E0_NS1_11comp_targetILNS1_3genE4ELNS1_11target_archE910ELNS1_3gpuE8ELNS1_3repE0EEENS1_30default_config_static_selectorELNS0_4arch9wavefront6targetE0EEEvT1_,"axG",@progbits,_ZN7rocprim17ROCPRIM_400000_NS6detail17trampoline_kernelINS0_14default_configENS1_20scan_config_selectorIN3c107complexIdEEEEZZNS1_9scan_implILNS1_25lookback_scan_determinismE0ELb0ELb0ES3_PKS7_PS7_S7_ZZZN2at6native31launch_logcumsumexp_cuda_kernelERKNSE_10TensorBaseESI_lENKUlvE_clEvENKUlvE1_clEvEUlS7_S7_E_S7_EEDaPvRmT3_T4_T5_mT6_P12ihipStream_tbENKUlT_T0_E_clISt17integral_constantIbLb1EESY_IbLb0EEEEDaSU_SV_EUlSU_E0_NS1_11comp_targetILNS1_3genE4ELNS1_11target_archE910ELNS1_3gpuE8ELNS1_3repE0EEENS1_30default_config_static_selectorELNS0_4arch9wavefront6targetE0EEEvT1_,comdat
	.globl	_ZN7rocprim17ROCPRIM_400000_NS6detail17trampoline_kernelINS0_14default_configENS1_20scan_config_selectorIN3c107complexIdEEEEZZNS1_9scan_implILNS1_25lookback_scan_determinismE0ELb0ELb0ES3_PKS7_PS7_S7_ZZZN2at6native31launch_logcumsumexp_cuda_kernelERKNSE_10TensorBaseESI_lENKUlvE_clEvENKUlvE1_clEvEUlS7_S7_E_S7_EEDaPvRmT3_T4_T5_mT6_P12ihipStream_tbENKUlT_T0_E_clISt17integral_constantIbLb1EESY_IbLb0EEEEDaSU_SV_EUlSU_E0_NS1_11comp_targetILNS1_3genE4ELNS1_11target_archE910ELNS1_3gpuE8ELNS1_3repE0EEENS1_30default_config_static_selectorELNS0_4arch9wavefront6targetE0EEEvT1_ ; -- Begin function _ZN7rocprim17ROCPRIM_400000_NS6detail17trampoline_kernelINS0_14default_configENS1_20scan_config_selectorIN3c107complexIdEEEEZZNS1_9scan_implILNS1_25lookback_scan_determinismE0ELb0ELb0ES3_PKS7_PS7_S7_ZZZN2at6native31launch_logcumsumexp_cuda_kernelERKNSE_10TensorBaseESI_lENKUlvE_clEvENKUlvE1_clEvEUlS7_S7_E_S7_EEDaPvRmT3_T4_T5_mT6_P12ihipStream_tbENKUlT_T0_E_clISt17integral_constantIbLb1EESY_IbLb0EEEEDaSU_SV_EUlSU_E0_NS1_11comp_targetILNS1_3genE4ELNS1_11target_archE910ELNS1_3gpuE8ELNS1_3repE0EEENS1_30default_config_static_selectorELNS0_4arch9wavefront6targetE0EEEvT1_
	.p2align	8
	.type	_ZN7rocprim17ROCPRIM_400000_NS6detail17trampoline_kernelINS0_14default_configENS1_20scan_config_selectorIN3c107complexIdEEEEZZNS1_9scan_implILNS1_25lookback_scan_determinismE0ELb0ELb0ES3_PKS7_PS7_S7_ZZZN2at6native31launch_logcumsumexp_cuda_kernelERKNSE_10TensorBaseESI_lENKUlvE_clEvENKUlvE1_clEvEUlS7_S7_E_S7_EEDaPvRmT3_T4_T5_mT6_P12ihipStream_tbENKUlT_T0_E_clISt17integral_constantIbLb1EESY_IbLb0EEEEDaSU_SV_EUlSU_E0_NS1_11comp_targetILNS1_3genE4ELNS1_11target_archE910ELNS1_3gpuE8ELNS1_3repE0EEENS1_30default_config_static_selectorELNS0_4arch9wavefront6targetE0EEEvT1_,@function
_ZN7rocprim17ROCPRIM_400000_NS6detail17trampoline_kernelINS0_14default_configENS1_20scan_config_selectorIN3c107complexIdEEEEZZNS1_9scan_implILNS1_25lookback_scan_determinismE0ELb0ELb0ES3_PKS7_PS7_S7_ZZZN2at6native31launch_logcumsumexp_cuda_kernelERKNSE_10TensorBaseESI_lENKUlvE_clEvENKUlvE1_clEvEUlS7_S7_E_S7_EEDaPvRmT3_T4_T5_mT6_P12ihipStream_tbENKUlT_T0_E_clISt17integral_constantIbLb1EESY_IbLb0EEEEDaSU_SV_EUlSU_E0_NS1_11comp_targetILNS1_3genE4ELNS1_11target_archE910ELNS1_3gpuE8ELNS1_3repE0EEENS1_30default_config_static_selectorELNS0_4arch9wavefront6targetE0EEEvT1_: ; @_ZN7rocprim17ROCPRIM_400000_NS6detail17trampoline_kernelINS0_14default_configENS1_20scan_config_selectorIN3c107complexIdEEEEZZNS1_9scan_implILNS1_25lookback_scan_determinismE0ELb0ELb0ES3_PKS7_PS7_S7_ZZZN2at6native31launch_logcumsumexp_cuda_kernelERKNSE_10TensorBaseESI_lENKUlvE_clEvENKUlvE1_clEvEUlS7_S7_E_S7_EEDaPvRmT3_T4_T5_mT6_P12ihipStream_tbENKUlT_T0_E_clISt17integral_constantIbLb1EESY_IbLb0EEEEDaSU_SV_EUlSU_E0_NS1_11comp_targetILNS1_3genE4ELNS1_11target_archE910ELNS1_3gpuE8ELNS1_3repE0EEENS1_30default_config_static_selectorELNS0_4arch9wavefront6targetE0EEEvT1_
; %bb.0:
	.section	.rodata,"a",@progbits
	.p2align	6, 0x0
	.amdhsa_kernel _ZN7rocprim17ROCPRIM_400000_NS6detail17trampoline_kernelINS0_14default_configENS1_20scan_config_selectorIN3c107complexIdEEEEZZNS1_9scan_implILNS1_25lookback_scan_determinismE0ELb0ELb0ES3_PKS7_PS7_S7_ZZZN2at6native31launch_logcumsumexp_cuda_kernelERKNSE_10TensorBaseESI_lENKUlvE_clEvENKUlvE1_clEvEUlS7_S7_E_S7_EEDaPvRmT3_T4_T5_mT6_P12ihipStream_tbENKUlT_T0_E_clISt17integral_constantIbLb1EESY_IbLb0EEEEDaSU_SV_EUlSU_E0_NS1_11comp_targetILNS1_3genE4ELNS1_11target_archE910ELNS1_3gpuE8ELNS1_3repE0EEENS1_30default_config_static_selectorELNS0_4arch9wavefront6targetE0EEEvT1_
		.amdhsa_group_segment_fixed_size 0
		.amdhsa_private_segment_fixed_size 0
		.amdhsa_kernarg_size 48
		.amdhsa_user_sgpr_count 2
		.amdhsa_user_sgpr_dispatch_ptr 0
		.amdhsa_user_sgpr_queue_ptr 0
		.amdhsa_user_sgpr_kernarg_segment_ptr 1
		.amdhsa_user_sgpr_dispatch_id 0
		.amdhsa_user_sgpr_private_segment_size 0
		.amdhsa_wavefront_size32 1
		.amdhsa_uses_dynamic_stack 0
		.amdhsa_enable_private_segment 0
		.amdhsa_system_sgpr_workgroup_id_x 1
		.amdhsa_system_sgpr_workgroup_id_y 0
		.amdhsa_system_sgpr_workgroup_id_z 0
		.amdhsa_system_sgpr_workgroup_info 0
		.amdhsa_system_vgpr_workitem_id 0
		.amdhsa_next_free_vgpr 1
		.amdhsa_next_free_sgpr 1
		.amdhsa_reserve_vcc 0
		.amdhsa_float_round_mode_32 0
		.amdhsa_float_round_mode_16_64 0
		.amdhsa_float_denorm_mode_32 3
		.amdhsa_float_denorm_mode_16_64 3
		.amdhsa_fp16_overflow 0
		.amdhsa_workgroup_processor_mode 1
		.amdhsa_memory_ordered 1
		.amdhsa_forward_progress 1
		.amdhsa_inst_pref_size 0
		.amdhsa_round_robin_scheduling 0
		.amdhsa_exception_fp_ieee_invalid_op 0
		.amdhsa_exception_fp_denorm_src 0
		.amdhsa_exception_fp_ieee_div_zero 0
		.amdhsa_exception_fp_ieee_overflow 0
		.amdhsa_exception_fp_ieee_underflow 0
		.amdhsa_exception_fp_ieee_inexact 0
		.amdhsa_exception_int_div_zero 0
	.end_amdhsa_kernel
	.section	.text._ZN7rocprim17ROCPRIM_400000_NS6detail17trampoline_kernelINS0_14default_configENS1_20scan_config_selectorIN3c107complexIdEEEEZZNS1_9scan_implILNS1_25lookback_scan_determinismE0ELb0ELb0ES3_PKS7_PS7_S7_ZZZN2at6native31launch_logcumsumexp_cuda_kernelERKNSE_10TensorBaseESI_lENKUlvE_clEvENKUlvE1_clEvEUlS7_S7_E_S7_EEDaPvRmT3_T4_T5_mT6_P12ihipStream_tbENKUlT_T0_E_clISt17integral_constantIbLb1EESY_IbLb0EEEEDaSU_SV_EUlSU_E0_NS1_11comp_targetILNS1_3genE4ELNS1_11target_archE910ELNS1_3gpuE8ELNS1_3repE0EEENS1_30default_config_static_selectorELNS0_4arch9wavefront6targetE0EEEvT1_,"axG",@progbits,_ZN7rocprim17ROCPRIM_400000_NS6detail17trampoline_kernelINS0_14default_configENS1_20scan_config_selectorIN3c107complexIdEEEEZZNS1_9scan_implILNS1_25lookback_scan_determinismE0ELb0ELb0ES3_PKS7_PS7_S7_ZZZN2at6native31launch_logcumsumexp_cuda_kernelERKNSE_10TensorBaseESI_lENKUlvE_clEvENKUlvE1_clEvEUlS7_S7_E_S7_EEDaPvRmT3_T4_T5_mT6_P12ihipStream_tbENKUlT_T0_E_clISt17integral_constantIbLb1EESY_IbLb0EEEEDaSU_SV_EUlSU_E0_NS1_11comp_targetILNS1_3genE4ELNS1_11target_archE910ELNS1_3gpuE8ELNS1_3repE0EEENS1_30default_config_static_selectorELNS0_4arch9wavefront6targetE0EEEvT1_,comdat
.Lfunc_end233:
	.size	_ZN7rocprim17ROCPRIM_400000_NS6detail17trampoline_kernelINS0_14default_configENS1_20scan_config_selectorIN3c107complexIdEEEEZZNS1_9scan_implILNS1_25lookback_scan_determinismE0ELb0ELb0ES3_PKS7_PS7_S7_ZZZN2at6native31launch_logcumsumexp_cuda_kernelERKNSE_10TensorBaseESI_lENKUlvE_clEvENKUlvE1_clEvEUlS7_S7_E_S7_EEDaPvRmT3_T4_T5_mT6_P12ihipStream_tbENKUlT_T0_E_clISt17integral_constantIbLb1EESY_IbLb0EEEEDaSU_SV_EUlSU_E0_NS1_11comp_targetILNS1_3genE4ELNS1_11target_archE910ELNS1_3gpuE8ELNS1_3repE0EEENS1_30default_config_static_selectorELNS0_4arch9wavefront6targetE0EEEvT1_, .Lfunc_end233-_ZN7rocprim17ROCPRIM_400000_NS6detail17trampoline_kernelINS0_14default_configENS1_20scan_config_selectorIN3c107complexIdEEEEZZNS1_9scan_implILNS1_25lookback_scan_determinismE0ELb0ELb0ES3_PKS7_PS7_S7_ZZZN2at6native31launch_logcumsumexp_cuda_kernelERKNSE_10TensorBaseESI_lENKUlvE_clEvENKUlvE1_clEvEUlS7_S7_E_S7_EEDaPvRmT3_T4_T5_mT6_P12ihipStream_tbENKUlT_T0_E_clISt17integral_constantIbLb1EESY_IbLb0EEEEDaSU_SV_EUlSU_E0_NS1_11comp_targetILNS1_3genE4ELNS1_11target_archE910ELNS1_3gpuE8ELNS1_3repE0EEENS1_30default_config_static_selectorELNS0_4arch9wavefront6targetE0EEEvT1_
                                        ; -- End function
	.set _ZN7rocprim17ROCPRIM_400000_NS6detail17trampoline_kernelINS0_14default_configENS1_20scan_config_selectorIN3c107complexIdEEEEZZNS1_9scan_implILNS1_25lookback_scan_determinismE0ELb0ELb0ES3_PKS7_PS7_S7_ZZZN2at6native31launch_logcumsumexp_cuda_kernelERKNSE_10TensorBaseESI_lENKUlvE_clEvENKUlvE1_clEvEUlS7_S7_E_S7_EEDaPvRmT3_T4_T5_mT6_P12ihipStream_tbENKUlT_T0_E_clISt17integral_constantIbLb1EESY_IbLb0EEEEDaSU_SV_EUlSU_E0_NS1_11comp_targetILNS1_3genE4ELNS1_11target_archE910ELNS1_3gpuE8ELNS1_3repE0EEENS1_30default_config_static_selectorELNS0_4arch9wavefront6targetE0EEEvT1_.num_vgpr, 0
	.set _ZN7rocprim17ROCPRIM_400000_NS6detail17trampoline_kernelINS0_14default_configENS1_20scan_config_selectorIN3c107complexIdEEEEZZNS1_9scan_implILNS1_25lookback_scan_determinismE0ELb0ELb0ES3_PKS7_PS7_S7_ZZZN2at6native31launch_logcumsumexp_cuda_kernelERKNSE_10TensorBaseESI_lENKUlvE_clEvENKUlvE1_clEvEUlS7_S7_E_S7_EEDaPvRmT3_T4_T5_mT6_P12ihipStream_tbENKUlT_T0_E_clISt17integral_constantIbLb1EESY_IbLb0EEEEDaSU_SV_EUlSU_E0_NS1_11comp_targetILNS1_3genE4ELNS1_11target_archE910ELNS1_3gpuE8ELNS1_3repE0EEENS1_30default_config_static_selectorELNS0_4arch9wavefront6targetE0EEEvT1_.num_agpr, 0
	.set _ZN7rocprim17ROCPRIM_400000_NS6detail17trampoline_kernelINS0_14default_configENS1_20scan_config_selectorIN3c107complexIdEEEEZZNS1_9scan_implILNS1_25lookback_scan_determinismE0ELb0ELb0ES3_PKS7_PS7_S7_ZZZN2at6native31launch_logcumsumexp_cuda_kernelERKNSE_10TensorBaseESI_lENKUlvE_clEvENKUlvE1_clEvEUlS7_S7_E_S7_EEDaPvRmT3_T4_T5_mT6_P12ihipStream_tbENKUlT_T0_E_clISt17integral_constantIbLb1EESY_IbLb0EEEEDaSU_SV_EUlSU_E0_NS1_11comp_targetILNS1_3genE4ELNS1_11target_archE910ELNS1_3gpuE8ELNS1_3repE0EEENS1_30default_config_static_selectorELNS0_4arch9wavefront6targetE0EEEvT1_.numbered_sgpr, 0
	.set _ZN7rocprim17ROCPRIM_400000_NS6detail17trampoline_kernelINS0_14default_configENS1_20scan_config_selectorIN3c107complexIdEEEEZZNS1_9scan_implILNS1_25lookback_scan_determinismE0ELb0ELb0ES3_PKS7_PS7_S7_ZZZN2at6native31launch_logcumsumexp_cuda_kernelERKNSE_10TensorBaseESI_lENKUlvE_clEvENKUlvE1_clEvEUlS7_S7_E_S7_EEDaPvRmT3_T4_T5_mT6_P12ihipStream_tbENKUlT_T0_E_clISt17integral_constantIbLb1EESY_IbLb0EEEEDaSU_SV_EUlSU_E0_NS1_11comp_targetILNS1_3genE4ELNS1_11target_archE910ELNS1_3gpuE8ELNS1_3repE0EEENS1_30default_config_static_selectorELNS0_4arch9wavefront6targetE0EEEvT1_.num_named_barrier, 0
	.set _ZN7rocprim17ROCPRIM_400000_NS6detail17trampoline_kernelINS0_14default_configENS1_20scan_config_selectorIN3c107complexIdEEEEZZNS1_9scan_implILNS1_25lookback_scan_determinismE0ELb0ELb0ES3_PKS7_PS7_S7_ZZZN2at6native31launch_logcumsumexp_cuda_kernelERKNSE_10TensorBaseESI_lENKUlvE_clEvENKUlvE1_clEvEUlS7_S7_E_S7_EEDaPvRmT3_T4_T5_mT6_P12ihipStream_tbENKUlT_T0_E_clISt17integral_constantIbLb1EESY_IbLb0EEEEDaSU_SV_EUlSU_E0_NS1_11comp_targetILNS1_3genE4ELNS1_11target_archE910ELNS1_3gpuE8ELNS1_3repE0EEENS1_30default_config_static_selectorELNS0_4arch9wavefront6targetE0EEEvT1_.private_seg_size, 0
	.set _ZN7rocprim17ROCPRIM_400000_NS6detail17trampoline_kernelINS0_14default_configENS1_20scan_config_selectorIN3c107complexIdEEEEZZNS1_9scan_implILNS1_25lookback_scan_determinismE0ELb0ELb0ES3_PKS7_PS7_S7_ZZZN2at6native31launch_logcumsumexp_cuda_kernelERKNSE_10TensorBaseESI_lENKUlvE_clEvENKUlvE1_clEvEUlS7_S7_E_S7_EEDaPvRmT3_T4_T5_mT6_P12ihipStream_tbENKUlT_T0_E_clISt17integral_constantIbLb1EESY_IbLb0EEEEDaSU_SV_EUlSU_E0_NS1_11comp_targetILNS1_3genE4ELNS1_11target_archE910ELNS1_3gpuE8ELNS1_3repE0EEENS1_30default_config_static_selectorELNS0_4arch9wavefront6targetE0EEEvT1_.uses_vcc, 0
	.set _ZN7rocprim17ROCPRIM_400000_NS6detail17trampoline_kernelINS0_14default_configENS1_20scan_config_selectorIN3c107complexIdEEEEZZNS1_9scan_implILNS1_25lookback_scan_determinismE0ELb0ELb0ES3_PKS7_PS7_S7_ZZZN2at6native31launch_logcumsumexp_cuda_kernelERKNSE_10TensorBaseESI_lENKUlvE_clEvENKUlvE1_clEvEUlS7_S7_E_S7_EEDaPvRmT3_T4_T5_mT6_P12ihipStream_tbENKUlT_T0_E_clISt17integral_constantIbLb1EESY_IbLb0EEEEDaSU_SV_EUlSU_E0_NS1_11comp_targetILNS1_3genE4ELNS1_11target_archE910ELNS1_3gpuE8ELNS1_3repE0EEENS1_30default_config_static_selectorELNS0_4arch9wavefront6targetE0EEEvT1_.uses_flat_scratch, 0
	.set _ZN7rocprim17ROCPRIM_400000_NS6detail17trampoline_kernelINS0_14default_configENS1_20scan_config_selectorIN3c107complexIdEEEEZZNS1_9scan_implILNS1_25lookback_scan_determinismE0ELb0ELb0ES3_PKS7_PS7_S7_ZZZN2at6native31launch_logcumsumexp_cuda_kernelERKNSE_10TensorBaseESI_lENKUlvE_clEvENKUlvE1_clEvEUlS7_S7_E_S7_EEDaPvRmT3_T4_T5_mT6_P12ihipStream_tbENKUlT_T0_E_clISt17integral_constantIbLb1EESY_IbLb0EEEEDaSU_SV_EUlSU_E0_NS1_11comp_targetILNS1_3genE4ELNS1_11target_archE910ELNS1_3gpuE8ELNS1_3repE0EEENS1_30default_config_static_selectorELNS0_4arch9wavefront6targetE0EEEvT1_.has_dyn_sized_stack, 0
	.set _ZN7rocprim17ROCPRIM_400000_NS6detail17trampoline_kernelINS0_14default_configENS1_20scan_config_selectorIN3c107complexIdEEEEZZNS1_9scan_implILNS1_25lookback_scan_determinismE0ELb0ELb0ES3_PKS7_PS7_S7_ZZZN2at6native31launch_logcumsumexp_cuda_kernelERKNSE_10TensorBaseESI_lENKUlvE_clEvENKUlvE1_clEvEUlS7_S7_E_S7_EEDaPvRmT3_T4_T5_mT6_P12ihipStream_tbENKUlT_T0_E_clISt17integral_constantIbLb1EESY_IbLb0EEEEDaSU_SV_EUlSU_E0_NS1_11comp_targetILNS1_3genE4ELNS1_11target_archE910ELNS1_3gpuE8ELNS1_3repE0EEENS1_30default_config_static_selectorELNS0_4arch9wavefront6targetE0EEEvT1_.has_recursion, 0
	.set _ZN7rocprim17ROCPRIM_400000_NS6detail17trampoline_kernelINS0_14default_configENS1_20scan_config_selectorIN3c107complexIdEEEEZZNS1_9scan_implILNS1_25lookback_scan_determinismE0ELb0ELb0ES3_PKS7_PS7_S7_ZZZN2at6native31launch_logcumsumexp_cuda_kernelERKNSE_10TensorBaseESI_lENKUlvE_clEvENKUlvE1_clEvEUlS7_S7_E_S7_EEDaPvRmT3_T4_T5_mT6_P12ihipStream_tbENKUlT_T0_E_clISt17integral_constantIbLb1EESY_IbLb0EEEEDaSU_SV_EUlSU_E0_NS1_11comp_targetILNS1_3genE4ELNS1_11target_archE910ELNS1_3gpuE8ELNS1_3repE0EEENS1_30default_config_static_selectorELNS0_4arch9wavefront6targetE0EEEvT1_.has_indirect_call, 0
	.section	.AMDGPU.csdata,"",@progbits
; Kernel info:
; codeLenInByte = 0
; TotalNumSgprs: 0
; NumVgprs: 0
; ScratchSize: 0
; MemoryBound: 0
; FloatMode: 240
; IeeeMode: 1
; LDSByteSize: 0 bytes/workgroup (compile time only)
; SGPRBlocks: 0
; VGPRBlocks: 0
; NumSGPRsForWavesPerEU: 1
; NumVGPRsForWavesPerEU: 1
; Occupancy: 16
; WaveLimiterHint : 0
; COMPUTE_PGM_RSRC2:SCRATCH_EN: 0
; COMPUTE_PGM_RSRC2:USER_SGPR: 2
; COMPUTE_PGM_RSRC2:TRAP_HANDLER: 0
; COMPUTE_PGM_RSRC2:TGID_X_EN: 1
; COMPUTE_PGM_RSRC2:TGID_Y_EN: 0
; COMPUTE_PGM_RSRC2:TGID_Z_EN: 0
; COMPUTE_PGM_RSRC2:TIDIG_COMP_CNT: 0
	.section	.text._ZN7rocprim17ROCPRIM_400000_NS6detail17trampoline_kernelINS0_14default_configENS1_20scan_config_selectorIN3c107complexIdEEEEZZNS1_9scan_implILNS1_25lookback_scan_determinismE0ELb0ELb0ES3_PKS7_PS7_S7_ZZZN2at6native31launch_logcumsumexp_cuda_kernelERKNSE_10TensorBaseESI_lENKUlvE_clEvENKUlvE1_clEvEUlS7_S7_E_S7_EEDaPvRmT3_T4_T5_mT6_P12ihipStream_tbENKUlT_T0_E_clISt17integral_constantIbLb1EESY_IbLb0EEEEDaSU_SV_EUlSU_E0_NS1_11comp_targetILNS1_3genE3ELNS1_11target_archE908ELNS1_3gpuE7ELNS1_3repE0EEENS1_30default_config_static_selectorELNS0_4arch9wavefront6targetE0EEEvT1_,"axG",@progbits,_ZN7rocprim17ROCPRIM_400000_NS6detail17trampoline_kernelINS0_14default_configENS1_20scan_config_selectorIN3c107complexIdEEEEZZNS1_9scan_implILNS1_25lookback_scan_determinismE0ELb0ELb0ES3_PKS7_PS7_S7_ZZZN2at6native31launch_logcumsumexp_cuda_kernelERKNSE_10TensorBaseESI_lENKUlvE_clEvENKUlvE1_clEvEUlS7_S7_E_S7_EEDaPvRmT3_T4_T5_mT6_P12ihipStream_tbENKUlT_T0_E_clISt17integral_constantIbLb1EESY_IbLb0EEEEDaSU_SV_EUlSU_E0_NS1_11comp_targetILNS1_3genE3ELNS1_11target_archE908ELNS1_3gpuE7ELNS1_3repE0EEENS1_30default_config_static_selectorELNS0_4arch9wavefront6targetE0EEEvT1_,comdat
	.globl	_ZN7rocprim17ROCPRIM_400000_NS6detail17trampoline_kernelINS0_14default_configENS1_20scan_config_selectorIN3c107complexIdEEEEZZNS1_9scan_implILNS1_25lookback_scan_determinismE0ELb0ELb0ES3_PKS7_PS7_S7_ZZZN2at6native31launch_logcumsumexp_cuda_kernelERKNSE_10TensorBaseESI_lENKUlvE_clEvENKUlvE1_clEvEUlS7_S7_E_S7_EEDaPvRmT3_T4_T5_mT6_P12ihipStream_tbENKUlT_T0_E_clISt17integral_constantIbLb1EESY_IbLb0EEEEDaSU_SV_EUlSU_E0_NS1_11comp_targetILNS1_3genE3ELNS1_11target_archE908ELNS1_3gpuE7ELNS1_3repE0EEENS1_30default_config_static_selectorELNS0_4arch9wavefront6targetE0EEEvT1_ ; -- Begin function _ZN7rocprim17ROCPRIM_400000_NS6detail17trampoline_kernelINS0_14default_configENS1_20scan_config_selectorIN3c107complexIdEEEEZZNS1_9scan_implILNS1_25lookback_scan_determinismE0ELb0ELb0ES3_PKS7_PS7_S7_ZZZN2at6native31launch_logcumsumexp_cuda_kernelERKNSE_10TensorBaseESI_lENKUlvE_clEvENKUlvE1_clEvEUlS7_S7_E_S7_EEDaPvRmT3_T4_T5_mT6_P12ihipStream_tbENKUlT_T0_E_clISt17integral_constantIbLb1EESY_IbLb0EEEEDaSU_SV_EUlSU_E0_NS1_11comp_targetILNS1_3genE3ELNS1_11target_archE908ELNS1_3gpuE7ELNS1_3repE0EEENS1_30default_config_static_selectorELNS0_4arch9wavefront6targetE0EEEvT1_
	.p2align	8
	.type	_ZN7rocprim17ROCPRIM_400000_NS6detail17trampoline_kernelINS0_14default_configENS1_20scan_config_selectorIN3c107complexIdEEEEZZNS1_9scan_implILNS1_25lookback_scan_determinismE0ELb0ELb0ES3_PKS7_PS7_S7_ZZZN2at6native31launch_logcumsumexp_cuda_kernelERKNSE_10TensorBaseESI_lENKUlvE_clEvENKUlvE1_clEvEUlS7_S7_E_S7_EEDaPvRmT3_T4_T5_mT6_P12ihipStream_tbENKUlT_T0_E_clISt17integral_constantIbLb1EESY_IbLb0EEEEDaSU_SV_EUlSU_E0_NS1_11comp_targetILNS1_3genE3ELNS1_11target_archE908ELNS1_3gpuE7ELNS1_3repE0EEENS1_30default_config_static_selectorELNS0_4arch9wavefront6targetE0EEEvT1_,@function
_ZN7rocprim17ROCPRIM_400000_NS6detail17trampoline_kernelINS0_14default_configENS1_20scan_config_selectorIN3c107complexIdEEEEZZNS1_9scan_implILNS1_25lookback_scan_determinismE0ELb0ELb0ES3_PKS7_PS7_S7_ZZZN2at6native31launch_logcumsumexp_cuda_kernelERKNSE_10TensorBaseESI_lENKUlvE_clEvENKUlvE1_clEvEUlS7_S7_E_S7_EEDaPvRmT3_T4_T5_mT6_P12ihipStream_tbENKUlT_T0_E_clISt17integral_constantIbLb1EESY_IbLb0EEEEDaSU_SV_EUlSU_E0_NS1_11comp_targetILNS1_3genE3ELNS1_11target_archE908ELNS1_3gpuE7ELNS1_3repE0EEENS1_30default_config_static_selectorELNS0_4arch9wavefront6targetE0EEEvT1_: ; @_ZN7rocprim17ROCPRIM_400000_NS6detail17trampoline_kernelINS0_14default_configENS1_20scan_config_selectorIN3c107complexIdEEEEZZNS1_9scan_implILNS1_25lookback_scan_determinismE0ELb0ELb0ES3_PKS7_PS7_S7_ZZZN2at6native31launch_logcumsumexp_cuda_kernelERKNSE_10TensorBaseESI_lENKUlvE_clEvENKUlvE1_clEvEUlS7_S7_E_S7_EEDaPvRmT3_T4_T5_mT6_P12ihipStream_tbENKUlT_T0_E_clISt17integral_constantIbLb1EESY_IbLb0EEEEDaSU_SV_EUlSU_E0_NS1_11comp_targetILNS1_3genE3ELNS1_11target_archE908ELNS1_3gpuE7ELNS1_3repE0EEENS1_30default_config_static_selectorELNS0_4arch9wavefront6targetE0EEEvT1_
; %bb.0:
	.section	.rodata,"a",@progbits
	.p2align	6, 0x0
	.amdhsa_kernel _ZN7rocprim17ROCPRIM_400000_NS6detail17trampoline_kernelINS0_14default_configENS1_20scan_config_selectorIN3c107complexIdEEEEZZNS1_9scan_implILNS1_25lookback_scan_determinismE0ELb0ELb0ES3_PKS7_PS7_S7_ZZZN2at6native31launch_logcumsumexp_cuda_kernelERKNSE_10TensorBaseESI_lENKUlvE_clEvENKUlvE1_clEvEUlS7_S7_E_S7_EEDaPvRmT3_T4_T5_mT6_P12ihipStream_tbENKUlT_T0_E_clISt17integral_constantIbLb1EESY_IbLb0EEEEDaSU_SV_EUlSU_E0_NS1_11comp_targetILNS1_3genE3ELNS1_11target_archE908ELNS1_3gpuE7ELNS1_3repE0EEENS1_30default_config_static_selectorELNS0_4arch9wavefront6targetE0EEEvT1_
		.amdhsa_group_segment_fixed_size 0
		.amdhsa_private_segment_fixed_size 0
		.amdhsa_kernarg_size 48
		.amdhsa_user_sgpr_count 2
		.amdhsa_user_sgpr_dispatch_ptr 0
		.amdhsa_user_sgpr_queue_ptr 0
		.amdhsa_user_sgpr_kernarg_segment_ptr 1
		.amdhsa_user_sgpr_dispatch_id 0
		.amdhsa_user_sgpr_private_segment_size 0
		.amdhsa_wavefront_size32 1
		.amdhsa_uses_dynamic_stack 0
		.amdhsa_enable_private_segment 0
		.amdhsa_system_sgpr_workgroup_id_x 1
		.amdhsa_system_sgpr_workgroup_id_y 0
		.amdhsa_system_sgpr_workgroup_id_z 0
		.amdhsa_system_sgpr_workgroup_info 0
		.amdhsa_system_vgpr_workitem_id 0
		.amdhsa_next_free_vgpr 1
		.amdhsa_next_free_sgpr 1
		.amdhsa_reserve_vcc 0
		.amdhsa_float_round_mode_32 0
		.amdhsa_float_round_mode_16_64 0
		.amdhsa_float_denorm_mode_32 3
		.amdhsa_float_denorm_mode_16_64 3
		.amdhsa_fp16_overflow 0
		.amdhsa_workgroup_processor_mode 1
		.amdhsa_memory_ordered 1
		.amdhsa_forward_progress 1
		.amdhsa_inst_pref_size 0
		.amdhsa_round_robin_scheduling 0
		.amdhsa_exception_fp_ieee_invalid_op 0
		.amdhsa_exception_fp_denorm_src 0
		.amdhsa_exception_fp_ieee_div_zero 0
		.amdhsa_exception_fp_ieee_overflow 0
		.amdhsa_exception_fp_ieee_underflow 0
		.amdhsa_exception_fp_ieee_inexact 0
		.amdhsa_exception_int_div_zero 0
	.end_amdhsa_kernel
	.section	.text._ZN7rocprim17ROCPRIM_400000_NS6detail17trampoline_kernelINS0_14default_configENS1_20scan_config_selectorIN3c107complexIdEEEEZZNS1_9scan_implILNS1_25lookback_scan_determinismE0ELb0ELb0ES3_PKS7_PS7_S7_ZZZN2at6native31launch_logcumsumexp_cuda_kernelERKNSE_10TensorBaseESI_lENKUlvE_clEvENKUlvE1_clEvEUlS7_S7_E_S7_EEDaPvRmT3_T4_T5_mT6_P12ihipStream_tbENKUlT_T0_E_clISt17integral_constantIbLb1EESY_IbLb0EEEEDaSU_SV_EUlSU_E0_NS1_11comp_targetILNS1_3genE3ELNS1_11target_archE908ELNS1_3gpuE7ELNS1_3repE0EEENS1_30default_config_static_selectorELNS0_4arch9wavefront6targetE0EEEvT1_,"axG",@progbits,_ZN7rocprim17ROCPRIM_400000_NS6detail17trampoline_kernelINS0_14default_configENS1_20scan_config_selectorIN3c107complexIdEEEEZZNS1_9scan_implILNS1_25lookback_scan_determinismE0ELb0ELb0ES3_PKS7_PS7_S7_ZZZN2at6native31launch_logcumsumexp_cuda_kernelERKNSE_10TensorBaseESI_lENKUlvE_clEvENKUlvE1_clEvEUlS7_S7_E_S7_EEDaPvRmT3_T4_T5_mT6_P12ihipStream_tbENKUlT_T0_E_clISt17integral_constantIbLb1EESY_IbLb0EEEEDaSU_SV_EUlSU_E0_NS1_11comp_targetILNS1_3genE3ELNS1_11target_archE908ELNS1_3gpuE7ELNS1_3repE0EEENS1_30default_config_static_selectorELNS0_4arch9wavefront6targetE0EEEvT1_,comdat
.Lfunc_end234:
	.size	_ZN7rocprim17ROCPRIM_400000_NS6detail17trampoline_kernelINS0_14default_configENS1_20scan_config_selectorIN3c107complexIdEEEEZZNS1_9scan_implILNS1_25lookback_scan_determinismE0ELb0ELb0ES3_PKS7_PS7_S7_ZZZN2at6native31launch_logcumsumexp_cuda_kernelERKNSE_10TensorBaseESI_lENKUlvE_clEvENKUlvE1_clEvEUlS7_S7_E_S7_EEDaPvRmT3_T4_T5_mT6_P12ihipStream_tbENKUlT_T0_E_clISt17integral_constantIbLb1EESY_IbLb0EEEEDaSU_SV_EUlSU_E0_NS1_11comp_targetILNS1_3genE3ELNS1_11target_archE908ELNS1_3gpuE7ELNS1_3repE0EEENS1_30default_config_static_selectorELNS0_4arch9wavefront6targetE0EEEvT1_, .Lfunc_end234-_ZN7rocprim17ROCPRIM_400000_NS6detail17trampoline_kernelINS0_14default_configENS1_20scan_config_selectorIN3c107complexIdEEEEZZNS1_9scan_implILNS1_25lookback_scan_determinismE0ELb0ELb0ES3_PKS7_PS7_S7_ZZZN2at6native31launch_logcumsumexp_cuda_kernelERKNSE_10TensorBaseESI_lENKUlvE_clEvENKUlvE1_clEvEUlS7_S7_E_S7_EEDaPvRmT3_T4_T5_mT6_P12ihipStream_tbENKUlT_T0_E_clISt17integral_constantIbLb1EESY_IbLb0EEEEDaSU_SV_EUlSU_E0_NS1_11comp_targetILNS1_3genE3ELNS1_11target_archE908ELNS1_3gpuE7ELNS1_3repE0EEENS1_30default_config_static_selectorELNS0_4arch9wavefront6targetE0EEEvT1_
                                        ; -- End function
	.set _ZN7rocprim17ROCPRIM_400000_NS6detail17trampoline_kernelINS0_14default_configENS1_20scan_config_selectorIN3c107complexIdEEEEZZNS1_9scan_implILNS1_25lookback_scan_determinismE0ELb0ELb0ES3_PKS7_PS7_S7_ZZZN2at6native31launch_logcumsumexp_cuda_kernelERKNSE_10TensorBaseESI_lENKUlvE_clEvENKUlvE1_clEvEUlS7_S7_E_S7_EEDaPvRmT3_T4_T5_mT6_P12ihipStream_tbENKUlT_T0_E_clISt17integral_constantIbLb1EESY_IbLb0EEEEDaSU_SV_EUlSU_E0_NS1_11comp_targetILNS1_3genE3ELNS1_11target_archE908ELNS1_3gpuE7ELNS1_3repE0EEENS1_30default_config_static_selectorELNS0_4arch9wavefront6targetE0EEEvT1_.num_vgpr, 0
	.set _ZN7rocprim17ROCPRIM_400000_NS6detail17trampoline_kernelINS0_14default_configENS1_20scan_config_selectorIN3c107complexIdEEEEZZNS1_9scan_implILNS1_25lookback_scan_determinismE0ELb0ELb0ES3_PKS7_PS7_S7_ZZZN2at6native31launch_logcumsumexp_cuda_kernelERKNSE_10TensorBaseESI_lENKUlvE_clEvENKUlvE1_clEvEUlS7_S7_E_S7_EEDaPvRmT3_T4_T5_mT6_P12ihipStream_tbENKUlT_T0_E_clISt17integral_constantIbLb1EESY_IbLb0EEEEDaSU_SV_EUlSU_E0_NS1_11comp_targetILNS1_3genE3ELNS1_11target_archE908ELNS1_3gpuE7ELNS1_3repE0EEENS1_30default_config_static_selectorELNS0_4arch9wavefront6targetE0EEEvT1_.num_agpr, 0
	.set _ZN7rocprim17ROCPRIM_400000_NS6detail17trampoline_kernelINS0_14default_configENS1_20scan_config_selectorIN3c107complexIdEEEEZZNS1_9scan_implILNS1_25lookback_scan_determinismE0ELb0ELb0ES3_PKS7_PS7_S7_ZZZN2at6native31launch_logcumsumexp_cuda_kernelERKNSE_10TensorBaseESI_lENKUlvE_clEvENKUlvE1_clEvEUlS7_S7_E_S7_EEDaPvRmT3_T4_T5_mT6_P12ihipStream_tbENKUlT_T0_E_clISt17integral_constantIbLb1EESY_IbLb0EEEEDaSU_SV_EUlSU_E0_NS1_11comp_targetILNS1_3genE3ELNS1_11target_archE908ELNS1_3gpuE7ELNS1_3repE0EEENS1_30default_config_static_selectorELNS0_4arch9wavefront6targetE0EEEvT1_.numbered_sgpr, 0
	.set _ZN7rocprim17ROCPRIM_400000_NS6detail17trampoline_kernelINS0_14default_configENS1_20scan_config_selectorIN3c107complexIdEEEEZZNS1_9scan_implILNS1_25lookback_scan_determinismE0ELb0ELb0ES3_PKS7_PS7_S7_ZZZN2at6native31launch_logcumsumexp_cuda_kernelERKNSE_10TensorBaseESI_lENKUlvE_clEvENKUlvE1_clEvEUlS7_S7_E_S7_EEDaPvRmT3_T4_T5_mT6_P12ihipStream_tbENKUlT_T0_E_clISt17integral_constantIbLb1EESY_IbLb0EEEEDaSU_SV_EUlSU_E0_NS1_11comp_targetILNS1_3genE3ELNS1_11target_archE908ELNS1_3gpuE7ELNS1_3repE0EEENS1_30default_config_static_selectorELNS0_4arch9wavefront6targetE0EEEvT1_.num_named_barrier, 0
	.set _ZN7rocprim17ROCPRIM_400000_NS6detail17trampoline_kernelINS0_14default_configENS1_20scan_config_selectorIN3c107complexIdEEEEZZNS1_9scan_implILNS1_25lookback_scan_determinismE0ELb0ELb0ES3_PKS7_PS7_S7_ZZZN2at6native31launch_logcumsumexp_cuda_kernelERKNSE_10TensorBaseESI_lENKUlvE_clEvENKUlvE1_clEvEUlS7_S7_E_S7_EEDaPvRmT3_T4_T5_mT6_P12ihipStream_tbENKUlT_T0_E_clISt17integral_constantIbLb1EESY_IbLb0EEEEDaSU_SV_EUlSU_E0_NS1_11comp_targetILNS1_3genE3ELNS1_11target_archE908ELNS1_3gpuE7ELNS1_3repE0EEENS1_30default_config_static_selectorELNS0_4arch9wavefront6targetE0EEEvT1_.private_seg_size, 0
	.set _ZN7rocprim17ROCPRIM_400000_NS6detail17trampoline_kernelINS0_14default_configENS1_20scan_config_selectorIN3c107complexIdEEEEZZNS1_9scan_implILNS1_25lookback_scan_determinismE0ELb0ELb0ES3_PKS7_PS7_S7_ZZZN2at6native31launch_logcumsumexp_cuda_kernelERKNSE_10TensorBaseESI_lENKUlvE_clEvENKUlvE1_clEvEUlS7_S7_E_S7_EEDaPvRmT3_T4_T5_mT6_P12ihipStream_tbENKUlT_T0_E_clISt17integral_constantIbLb1EESY_IbLb0EEEEDaSU_SV_EUlSU_E0_NS1_11comp_targetILNS1_3genE3ELNS1_11target_archE908ELNS1_3gpuE7ELNS1_3repE0EEENS1_30default_config_static_selectorELNS0_4arch9wavefront6targetE0EEEvT1_.uses_vcc, 0
	.set _ZN7rocprim17ROCPRIM_400000_NS6detail17trampoline_kernelINS0_14default_configENS1_20scan_config_selectorIN3c107complexIdEEEEZZNS1_9scan_implILNS1_25lookback_scan_determinismE0ELb0ELb0ES3_PKS7_PS7_S7_ZZZN2at6native31launch_logcumsumexp_cuda_kernelERKNSE_10TensorBaseESI_lENKUlvE_clEvENKUlvE1_clEvEUlS7_S7_E_S7_EEDaPvRmT3_T4_T5_mT6_P12ihipStream_tbENKUlT_T0_E_clISt17integral_constantIbLb1EESY_IbLb0EEEEDaSU_SV_EUlSU_E0_NS1_11comp_targetILNS1_3genE3ELNS1_11target_archE908ELNS1_3gpuE7ELNS1_3repE0EEENS1_30default_config_static_selectorELNS0_4arch9wavefront6targetE0EEEvT1_.uses_flat_scratch, 0
	.set _ZN7rocprim17ROCPRIM_400000_NS6detail17trampoline_kernelINS0_14default_configENS1_20scan_config_selectorIN3c107complexIdEEEEZZNS1_9scan_implILNS1_25lookback_scan_determinismE0ELb0ELb0ES3_PKS7_PS7_S7_ZZZN2at6native31launch_logcumsumexp_cuda_kernelERKNSE_10TensorBaseESI_lENKUlvE_clEvENKUlvE1_clEvEUlS7_S7_E_S7_EEDaPvRmT3_T4_T5_mT6_P12ihipStream_tbENKUlT_T0_E_clISt17integral_constantIbLb1EESY_IbLb0EEEEDaSU_SV_EUlSU_E0_NS1_11comp_targetILNS1_3genE3ELNS1_11target_archE908ELNS1_3gpuE7ELNS1_3repE0EEENS1_30default_config_static_selectorELNS0_4arch9wavefront6targetE0EEEvT1_.has_dyn_sized_stack, 0
	.set _ZN7rocprim17ROCPRIM_400000_NS6detail17trampoline_kernelINS0_14default_configENS1_20scan_config_selectorIN3c107complexIdEEEEZZNS1_9scan_implILNS1_25lookback_scan_determinismE0ELb0ELb0ES3_PKS7_PS7_S7_ZZZN2at6native31launch_logcumsumexp_cuda_kernelERKNSE_10TensorBaseESI_lENKUlvE_clEvENKUlvE1_clEvEUlS7_S7_E_S7_EEDaPvRmT3_T4_T5_mT6_P12ihipStream_tbENKUlT_T0_E_clISt17integral_constantIbLb1EESY_IbLb0EEEEDaSU_SV_EUlSU_E0_NS1_11comp_targetILNS1_3genE3ELNS1_11target_archE908ELNS1_3gpuE7ELNS1_3repE0EEENS1_30default_config_static_selectorELNS0_4arch9wavefront6targetE0EEEvT1_.has_recursion, 0
	.set _ZN7rocprim17ROCPRIM_400000_NS6detail17trampoline_kernelINS0_14default_configENS1_20scan_config_selectorIN3c107complexIdEEEEZZNS1_9scan_implILNS1_25lookback_scan_determinismE0ELb0ELb0ES3_PKS7_PS7_S7_ZZZN2at6native31launch_logcumsumexp_cuda_kernelERKNSE_10TensorBaseESI_lENKUlvE_clEvENKUlvE1_clEvEUlS7_S7_E_S7_EEDaPvRmT3_T4_T5_mT6_P12ihipStream_tbENKUlT_T0_E_clISt17integral_constantIbLb1EESY_IbLb0EEEEDaSU_SV_EUlSU_E0_NS1_11comp_targetILNS1_3genE3ELNS1_11target_archE908ELNS1_3gpuE7ELNS1_3repE0EEENS1_30default_config_static_selectorELNS0_4arch9wavefront6targetE0EEEvT1_.has_indirect_call, 0
	.section	.AMDGPU.csdata,"",@progbits
; Kernel info:
; codeLenInByte = 0
; TotalNumSgprs: 0
; NumVgprs: 0
; ScratchSize: 0
; MemoryBound: 0
; FloatMode: 240
; IeeeMode: 1
; LDSByteSize: 0 bytes/workgroup (compile time only)
; SGPRBlocks: 0
; VGPRBlocks: 0
; NumSGPRsForWavesPerEU: 1
; NumVGPRsForWavesPerEU: 1
; Occupancy: 16
; WaveLimiterHint : 0
; COMPUTE_PGM_RSRC2:SCRATCH_EN: 0
; COMPUTE_PGM_RSRC2:USER_SGPR: 2
; COMPUTE_PGM_RSRC2:TRAP_HANDLER: 0
; COMPUTE_PGM_RSRC2:TGID_X_EN: 1
; COMPUTE_PGM_RSRC2:TGID_Y_EN: 0
; COMPUTE_PGM_RSRC2:TGID_Z_EN: 0
; COMPUTE_PGM_RSRC2:TIDIG_COMP_CNT: 0
	.section	.text._ZN7rocprim17ROCPRIM_400000_NS6detail17trampoline_kernelINS0_14default_configENS1_20scan_config_selectorIN3c107complexIdEEEEZZNS1_9scan_implILNS1_25lookback_scan_determinismE0ELb0ELb0ES3_PKS7_PS7_S7_ZZZN2at6native31launch_logcumsumexp_cuda_kernelERKNSE_10TensorBaseESI_lENKUlvE_clEvENKUlvE1_clEvEUlS7_S7_E_S7_EEDaPvRmT3_T4_T5_mT6_P12ihipStream_tbENKUlT_T0_E_clISt17integral_constantIbLb1EESY_IbLb0EEEEDaSU_SV_EUlSU_E0_NS1_11comp_targetILNS1_3genE2ELNS1_11target_archE906ELNS1_3gpuE6ELNS1_3repE0EEENS1_30default_config_static_selectorELNS0_4arch9wavefront6targetE0EEEvT1_,"axG",@progbits,_ZN7rocprim17ROCPRIM_400000_NS6detail17trampoline_kernelINS0_14default_configENS1_20scan_config_selectorIN3c107complexIdEEEEZZNS1_9scan_implILNS1_25lookback_scan_determinismE0ELb0ELb0ES3_PKS7_PS7_S7_ZZZN2at6native31launch_logcumsumexp_cuda_kernelERKNSE_10TensorBaseESI_lENKUlvE_clEvENKUlvE1_clEvEUlS7_S7_E_S7_EEDaPvRmT3_T4_T5_mT6_P12ihipStream_tbENKUlT_T0_E_clISt17integral_constantIbLb1EESY_IbLb0EEEEDaSU_SV_EUlSU_E0_NS1_11comp_targetILNS1_3genE2ELNS1_11target_archE906ELNS1_3gpuE6ELNS1_3repE0EEENS1_30default_config_static_selectorELNS0_4arch9wavefront6targetE0EEEvT1_,comdat
	.globl	_ZN7rocprim17ROCPRIM_400000_NS6detail17trampoline_kernelINS0_14default_configENS1_20scan_config_selectorIN3c107complexIdEEEEZZNS1_9scan_implILNS1_25lookback_scan_determinismE0ELb0ELb0ES3_PKS7_PS7_S7_ZZZN2at6native31launch_logcumsumexp_cuda_kernelERKNSE_10TensorBaseESI_lENKUlvE_clEvENKUlvE1_clEvEUlS7_S7_E_S7_EEDaPvRmT3_T4_T5_mT6_P12ihipStream_tbENKUlT_T0_E_clISt17integral_constantIbLb1EESY_IbLb0EEEEDaSU_SV_EUlSU_E0_NS1_11comp_targetILNS1_3genE2ELNS1_11target_archE906ELNS1_3gpuE6ELNS1_3repE0EEENS1_30default_config_static_selectorELNS0_4arch9wavefront6targetE0EEEvT1_ ; -- Begin function _ZN7rocprim17ROCPRIM_400000_NS6detail17trampoline_kernelINS0_14default_configENS1_20scan_config_selectorIN3c107complexIdEEEEZZNS1_9scan_implILNS1_25lookback_scan_determinismE0ELb0ELb0ES3_PKS7_PS7_S7_ZZZN2at6native31launch_logcumsumexp_cuda_kernelERKNSE_10TensorBaseESI_lENKUlvE_clEvENKUlvE1_clEvEUlS7_S7_E_S7_EEDaPvRmT3_T4_T5_mT6_P12ihipStream_tbENKUlT_T0_E_clISt17integral_constantIbLb1EESY_IbLb0EEEEDaSU_SV_EUlSU_E0_NS1_11comp_targetILNS1_3genE2ELNS1_11target_archE906ELNS1_3gpuE6ELNS1_3repE0EEENS1_30default_config_static_selectorELNS0_4arch9wavefront6targetE0EEEvT1_
	.p2align	8
	.type	_ZN7rocprim17ROCPRIM_400000_NS6detail17trampoline_kernelINS0_14default_configENS1_20scan_config_selectorIN3c107complexIdEEEEZZNS1_9scan_implILNS1_25lookback_scan_determinismE0ELb0ELb0ES3_PKS7_PS7_S7_ZZZN2at6native31launch_logcumsumexp_cuda_kernelERKNSE_10TensorBaseESI_lENKUlvE_clEvENKUlvE1_clEvEUlS7_S7_E_S7_EEDaPvRmT3_T4_T5_mT6_P12ihipStream_tbENKUlT_T0_E_clISt17integral_constantIbLb1EESY_IbLb0EEEEDaSU_SV_EUlSU_E0_NS1_11comp_targetILNS1_3genE2ELNS1_11target_archE906ELNS1_3gpuE6ELNS1_3repE0EEENS1_30default_config_static_selectorELNS0_4arch9wavefront6targetE0EEEvT1_,@function
_ZN7rocprim17ROCPRIM_400000_NS6detail17trampoline_kernelINS0_14default_configENS1_20scan_config_selectorIN3c107complexIdEEEEZZNS1_9scan_implILNS1_25lookback_scan_determinismE0ELb0ELb0ES3_PKS7_PS7_S7_ZZZN2at6native31launch_logcumsumexp_cuda_kernelERKNSE_10TensorBaseESI_lENKUlvE_clEvENKUlvE1_clEvEUlS7_S7_E_S7_EEDaPvRmT3_T4_T5_mT6_P12ihipStream_tbENKUlT_T0_E_clISt17integral_constantIbLb1EESY_IbLb0EEEEDaSU_SV_EUlSU_E0_NS1_11comp_targetILNS1_3genE2ELNS1_11target_archE906ELNS1_3gpuE6ELNS1_3repE0EEENS1_30default_config_static_selectorELNS0_4arch9wavefront6targetE0EEEvT1_: ; @_ZN7rocprim17ROCPRIM_400000_NS6detail17trampoline_kernelINS0_14default_configENS1_20scan_config_selectorIN3c107complexIdEEEEZZNS1_9scan_implILNS1_25lookback_scan_determinismE0ELb0ELb0ES3_PKS7_PS7_S7_ZZZN2at6native31launch_logcumsumexp_cuda_kernelERKNSE_10TensorBaseESI_lENKUlvE_clEvENKUlvE1_clEvEUlS7_S7_E_S7_EEDaPvRmT3_T4_T5_mT6_P12ihipStream_tbENKUlT_T0_E_clISt17integral_constantIbLb1EESY_IbLb0EEEEDaSU_SV_EUlSU_E0_NS1_11comp_targetILNS1_3genE2ELNS1_11target_archE906ELNS1_3gpuE6ELNS1_3repE0EEENS1_30default_config_static_selectorELNS0_4arch9wavefront6targetE0EEEvT1_
; %bb.0:
	.section	.rodata,"a",@progbits
	.p2align	6, 0x0
	.amdhsa_kernel _ZN7rocprim17ROCPRIM_400000_NS6detail17trampoline_kernelINS0_14default_configENS1_20scan_config_selectorIN3c107complexIdEEEEZZNS1_9scan_implILNS1_25lookback_scan_determinismE0ELb0ELb0ES3_PKS7_PS7_S7_ZZZN2at6native31launch_logcumsumexp_cuda_kernelERKNSE_10TensorBaseESI_lENKUlvE_clEvENKUlvE1_clEvEUlS7_S7_E_S7_EEDaPvRmT3_T4_T5_mT6_P12ihipStream_tbENKUlT_T0_E_clISt17integral_constantIbLb1EESY_IbLb0EEEEDaSU_SV_EUlSU_E0_NS1_11comp_targetILNS1_3genE2ELNS1_11target_archE906ELNS1_3gpuE6ELNS1_3repE0EEENS1_30default_config_static_selectorELNS0_4arch9wavefront6targetE0EEEvT1_
		.amdhsa_group_segment_fixed_size 0
		.amdhsa_private_segment_fixed_size 0
		.amdhsa_kernarg_size 48
		.amdhsa_user_sgpr_count 2
		.amdhsa_user_sgpr_dispatch_ptr 0
		.amdhsa_user_sgpr_queue_ptr 0
		.amdhsa_user_sgpr_kernarg_segment_ptr 1
		.amdhsa_user_sgpr_dispatch_id 0
		.amdhsa_user_sgpr_private_segment_size 0
		.amdhsa_wavefront_size32 1
		.amdhsa_uses_dynamic_stack 0
		.amdhsa_enable_private_segment 0
		.amdhsa_system_sgpr_workgroup_id_x 1
		.amdhsa_system_sgpr_workgroup_id_y 0
		.amdhsa_system_sgpr_workgroup_id_z 0
		.amdhsa_system_sgpr_workgroup_info 0
		.amdhsa_system_vgpr_workitem_id 0
		.amdhsa_next_free_vgpr 1
		.amdhsa_next_free_sgpr 1
		.amdhsa_reserve_vcc 0
		.amdhsa_float_round_mode_32 0
		.amdhsa_float_round_mode_16_64 0
		.amdhsa_float_denorm_mode_32 3
		.amdhsa_float_denorm_mode_16_64 3
		.amdhsa_fp16_overflow 0
		.amdhsa_workgroup_processor_mode 1
		.amdhsa_memory_ordered 1
		.amdhsa_forward_progress 1
		.amdhsa_inst_pref_size 0
		.amdhsa_round_robin_scheduling 0
		.amdhsa_exception_fp_ieee_invalid_op 0
		.amdhsa_exception_fp_denorm_src 0
		.amdhsa_exception_fp_ieee_div_zero 0
		.amdhsa_exception_fp_ieee_overflow 0
		.amdhsa_exception_fp_ieee_underflow 0
		.amdhsa_exception_fp_ieee_inexact 0
		.amdhsa_exception_int_div_zero 0
	.end_amdhsa_kernel
	.section	.text._ZN7rocprim17ROCPRIM_400000_NS6detail17trampoline_kernelINS0_14default_configENS1_20scan_config_selectorIN3c107complexIdEEEEZZNS1_9scan_implILNS1_25lookback_scan_determinismE0ELb0ELb0ES3_PKS7_PS7_S7_ZZZN2at6native31launch_logcumsumexp_cuda_kernelERKNSE_10TensorBaseESI_lENKUlvE_clEvENKUlvE1_clEvEUlS7_S7_E_S7_EEDaPvRmT3_T4_T5_mT6_P12ihipStream_tbENKUlT_T0_E_clISt17integral_constantIbLb1EESY_IbLb0EEEEDaSU_SV_EUlSU_E0_NS1_11comp_targetILNS1_3genE2ELNS1_11target_archE906ELNS1_3gpuE6ELNS1_3repE0EEENS1_30default_config_static_selectorELNS0_4arch9wavefront6targetE0EEEvT1_,"axG",@progbits,_ZN7rocprim17ROCPRIM_400000_NS6detail17trampoline_kernelINS0_14default_configENS1_20scan_config_selectorIN3c107complexIdEEEEZZNS1_9scan_implILNS1_25lookback_scan_determinismE0ELb0ELb0ES3_PKS7_PS7_S7_ZZZN2at6native31launch_logcumsumexp_cuda_kernelERKNSE_10TensorBaseESI_lENKUlvE_clEvENKUlvE1_clEvEUlS7_S7_E_S7_EEDaPvRmT3_T4_T5_mT6_P12ihipStream_tbENKUlT_T0_E_clISt17integral_constantIbLb1EESY_IbLb0EEEEDaSU_SV_EUlSU_E0_NS1_11comp_targetILNS1_3genE2ELNS1_11target_archE906ELNS1_3gpuE6ELNS1_3repE0EEENS1_30default_config_static_selectorELNS0_4arch9wavefront6targetE0EEEvT1_,comdat
.Lfunc_end235:
	.size	_ZN7rocprim17ROCPRIM_400000_NS6detail17trampoline_kernelINS0_14default_configENS1_20scan_config_selectorIN3c107complexIdEEEEZZNS1_9scan_implILNS1_25lookback_scan_determinismE0ELb0ELb0ES3_PKS7_PS7_S7_ZZZN2at6native31launch_logcumsumexp_cuda_kernelERKNSE_10TensorBaseESI_lENKUlvE_clEvENKUlvE1_clEvEUlS7_S7_E_S7_EEDaPvRmT3_T4_T5_mT6_P12ihipStream_tbENKUlT_T0_E_clISt17integral_constantIbLb1EESY_IbLb0EEEEDaSU_SV_EUlSU_E0_NS1_11comp_targetILNS1_3genE2ELNS1_11target_archE906ELNS1_3gpuE6ELNS1_3repE0EEENS1_30default_config_static_selectorELNS0_4arch9wavefront6targetE0EEEvT1_, .Lfunc_end235-_ZN7rocprim17ROCPRIM_400000_NS6detail17trampoline_kernelINS0_14default_configENS1_20scan_config_selectorIN3c107complexIdEEEEZZNS1_9scan_implILNS1_25lookback_scan_determinismE0ELb0ELb0ES3_PKS7_PS7_S7_ZZZN2at6native31launch_logcumsumexp_cuda_kernelERKNSE_10TensorBaseESI_lENKUlvE_clEvENKUlvE1_clEvEUlS7_S7_E_S7_EEDaPvRmT3_T4_T5_mT6_P12ihipStream_tbENKUlT_T0_E_clISt17integral_constantIbLb1EESY_IbLb0EEEEDaSU_SV_EUlSU_E0_NS1_11comp_targetILNS1_3genE2ELNS1_11target_archE906ELNS1_3gpuE6ELNS1_3repE0EEENS1_30default_config_static_selectorELNS0_4arch9wavefront6targetE0EEEvT1_
                                        ; -- End function
	.set _ZN7rocprim17ROCPRIM_400000_NS6detail17trampoline_kernelINS0_14default_configENS1_20scan_config_selectorIN3c107complexIdEEEEZZNS1_9scan_implILNS1_25lookback_scan_determinismE0ELb0ELb0ES3_PKS7_PS7_S7_ZZZN2at6native31launch_logcumsumexp_cuda_kernelERKNSE_10TensorBaseESI_lENKUlvE_clEvENKUlvE1_clEvEUlS7_S7_E_S7_EEDaPvRmT3_T4_T5_mT6_P12ihipStream_tbENKUlT_T0_E_clISt17integral_constantIbLb1EESY_IbLb0EEEEDaSU_SV_EUlSU_E0_NS1_11comp_targetILNS1_3genE2ELNS1_11target_archE906ELNS1_3gpuE6ELNS1_3repE0EEENS1_30default_config_static_selectorELNS0_4arch9wavefront6targetE0EEEvT1_.num_vgpr, 0
	.set _ZN7rocprim17ROCPRIM_400000_NS6detail17trampoline_kernelINS0_14default_configENS1_20scan_config_selectorIN3c107complexIdEEEEZZNS1_9scan_implILNS1_25lookback_scan_determinismE0ELb0ELb0ES3_PKS7_PS7_S7_ZZZN2at6native31launch_logcumsumexp_cuda_kernelERKNSE_10TensorBaseESI_lENKUlvE_clEvENKUlvE1_clEvEUlS7_S7_E_S7_EEDaPvRmT3_T4_T5_mT6_P12ihipStream_tbENKUlT_T0_E_clISt17integral_constantIbLb1EESY_IbLb0EEEEDaSU_SV_EUlSU_E0_NS1_11comp_targetILNS1_3genE2ELNS1_11target_archE906ELNS1_3gpuE6ELNS1_3repE0EEENS1_30default_config_static_selectorELNS0_4arch9wavefront6targetE0EEEvT1_.num_agpr, 0
	.set _ZN7rocprim17ROCPRIM_400000_NS6detail17trampoline_kernelINS0_14default_configENS1_20scan_config_selectorIN3c107complexIdEEEEZZNS1_9scan_implILNS1_25lookback_scan_determinismE0ELb0ELb0ES3_PKS7_PS7_S7_ZZZN2at6native31launch_logcumsumexp_cuda_kernelERKNSE_10TensorBaseESI_lENKUlvE_clEvENKUlvE1_clEvEUlS7_S7_E_S7_EEDaPvRmT3_T4_T5_mT6_P12ihipStream_tbENKUlT_T0_E_clISt17integral_constantIbLb1EESY_IbLb0EEEEDaSU_SV_EUlSU_E0_NS1_11comp_targetILNS1_3genE2ELNS1_11target_archE906ELNS1_3gpuE6ELNS1_3repE0EEENS1_30default_config_static_selectorELNS0_4arch9wavefront6targetE0EEEvT1_.numbered_sgpr, 0
	.set _ZN7rocprim17ROCPRIM_400000_NS6detail17trampoline_kernelINS0_14default_configENS1_20scan_config_selectorIN3c107complexIdEEEEZZNS1_9scan_implILNS1_25lookback_scan_determinismE0ELb0ELb0ES3_PKS7_PS7_S7_ZZZN2at6native31launch_logcumsumexp_cuda_kernelERKNSE_10TensorBaseESI_lENKUlvE_clEvENKUlvE1_clEvEUlS7_S7_E_S7_EEDaPvRmT3_T4_T5_mT6_P12ihipStream_tbENKUlT_T0_E_clISt17integral_constantIbLb1EESY_IbLb0EEEEDaSU_SV_EUlSU_E0_NS1_11comp_targetILNS1_3genE2ELNS1_11target_archE906ELNS1_3gpuE6ELNS1_3repE0EEENS1_30default_config_static_selectorELNS0_4arch9wavefront6targetE0EEEvT1_.num_named_barrier, 0
	.set _ZN7rocprim17ROCPRIM_400000_NS6detail17trampoline_kernelINS0_14default_configENS1_20scan_config_selectorIN3c107complexIdEEEEZZNS1_9scan_implILNS1_25lookback_scan_determinismE0ELb0ELb0ES3_PKS7_PS7_S7_ZZZN2at6native31launch_logcumsumexp_cuda_kernelERKNSE_10TensorBaseESI_lENKUlvE_clEvENKUlvE1_clEvEUlS7_S7_E_S7_EEDaPvRmT3_T4_T5_mT6_P12ihipStream_tbENKUlT_T0_E_clISt17integral_constantIbLb1EESY_IbLb0EEEEDaSU_SV_EUlSU_E0_NS1_11comp_targetILNS1_3genE2ELNS1_11target_archE906ELNS1_3gpuE6ELNS1_3repE0EEENS1_30default_config_static_selectorELNS0_4arch9wavefront6targetE0EEEvT1_.private_seg_size, 0
	.set _ZN7rocprim17ROCPRIM_400000_NS6detail17trampoline_kernelINS0_14default_configENS1_20scan_config_selectorIN3c107complexIdEEEEZZNS1_9scan_implILNS1_25lookback_scan_determinismE0ELb0ELb0ES3_PKS7_PS7_S7_ZZZN2at6native31launch_logcumsumexp_cuda_kernelERKNSE_10TensorBaseESI_lENKUlvE_clEvENKUlvE1_clEvEUlS7_S7_E_S7_EEDaPvRmT3_T4_T5_mT6_P12ihipStream_tbENKUlT_T0_E_clISt17integral_constantIbLb1EESY_IbLb0EEEEDaSU_SV_EUlSU_E0_NS1_11comp_targetILNS1_3genE2ELNS1_11target_archE906ELNS1_3gpuE6ELNS1_3repE0EEENS1_30default_config_static_selectorELNS0_4arch9wavefront6targetE0EEEvT1_.uses_vcc, 0
	.set _ZN7rocprim17ROCPRIM_400000_NS6detail17trampoline_kernelINS0_14default_configENS1_20scan_config_selectorIN3c107complexIdEEEEZZNS1_9scan_implILNS1_25lookback_scan_determinismE0ELb0ELb0ES3_PKS7_PS7_S7_ZZZN2at6native31launch_logcumsumexp_cuda_kernelERKNSE_10TensorBaseESI_lENKUlvE_clEvENKUlvE1_clEvEUlS7_S7_E_S7_EEDaPvRmT3_T4_T5_mT6_P12ihipStream_tbENKUlT_T0_E_clISt17integral_constantIbLb1EESY_IbLb0EEEEDaSU_SV_EUlSU_E0_NS1_11comp_targetILNS1_3genE2ELNS1_11target_archE906ELNS1_3gpuE6ELNS1_3repE0EEENS1_30default_config_static_selectorELNS0_4arch9wavefront6targetE0EEEvT1_.uses_flat_scratch, 0
	.set _ZN7rocprim17ROCPRIM_400000_NS6detail17trampoline_kernelINS0_14default_configENS1_20scan_config_selectorIN3c107complexIdEEEEZZNS1_9scan_implILNS1_25lookback_scan_determinismE0ELb0ELb0ES3_PKS7_PS7_S7_ZZZN2at6native31launch_logcumsumexp_cuda_kernelERKNSE_10TensorBaseESI_lENKUlvE_clEvENKUlvE1_clEvEUlS7_S7_E_S7_EEDaPvRmT3_T4_T5_mT6_P12ihipStream_tbENKUlT_T0_E_clISt17integral_constantIbLb1EESY_IbLb0EEEEDaSU_SV_EUlSU_E0_NS1_11comp_targetILNS1_3genE2ELNS1_11target_archE906ELNS1_3gpuE6ELNS1_3repE0EEENS1_30default_config_static_selectorELNS0_4arch9wavefront6targetE0EEEvT1_.has_dyn_sized_stack, 0
	.set _ZN7rocprim17ROCPRIM_400000_NS6detail17trampoline_kernelINS0_14default_configENS1_20scan_config_selectorIN3c107complexIdEEEEZZNS1_9scan_implILNS1_25lookback_scan_determinismE0ELb0ELb0ES3_PKS7_PS7_S7_ZZZN2at6native31launch_logcumsumexp_cuda_kernelERKNSE_10TensorBaseESI_lENKUlvE_clEvENKUlvE1_clEvEUlS7_S7_E_S7_EEDaPvRmT3_T4_T5_mT6_P12ihipStream_tbENKUlT_T0_E_clISt17integral_constantIbLb1EESY_IbLb0EEEEDaSU_SV_EUlSU_E0_NS1_11comp_targetILNS1_3genE2ELNS1_11target_archE906ELNS1_3gpuE6ELNS1_3repE0EEENS1_30default_config_static_selectorELNS0_4arch9wavefront6targetE0EEEvT1_.has_recursion, 0
	.set _ZN7rocprim17ROCPRIM_400000_NS6detail17trampoline_kernelINS0_14default_configENS1_20scan_config_selectorIN3c107complexIdEEEEZZNS1_9scan_implILNS1_25lookback_scan_determinismE0ELb0ELb0ES3_PKS7_PS7_S7_ZZZN2at6native31launch_logcumsumexp_cuda_kernelERKNSE_10TensorBaseESI_lENKUlvE_clEvENKUlvE1_clEvEUlS7_S7_E_S7_EEDaPvRmT3_T4_T5_mT6_P12ihipStream_tbENKUlT_T0_E_clISt17integral_constantIbLb1EESY_IbLb0EEEEDaSU_SV_EUlSU_E0_NS1_11comp_targetILNS1_3genE2ELNS1_11target_archE906ELNS1_3gpuE6ELNS1_3repE0EEENS1_30default_config_static_selectorELNS0_4arch9wavefront6targetE0EEEvT1_.has_indirect_call, 0
	.section	.AMDGPU.csdata,"",@progbits
; Kernel info:
; codeLenInByte = 0
; TotalNumSgprs: 0
; NumVgprs: 0
; ScratchSize: 0
; MemoryBound: 0
; FloatMode: 240
; IeeeMode: 1
; LDSByteSize: 0 bytes/workgroup (compile time only)
; SGPRBlocks: 0
; VGPRBlocks: 0
; NumSGPRsForWavesPerEU: 1
; NumVGPRsForWavesPerEU: 1
; Occupancy: 16
; WaveLimiterHint : 0
; COMPUTE_PGM_RSRC2:SCRATCH_EN: 0
; COMPUTE_PGM_RSRC2:USER_SGPR: 2
; COMPUTE_PGM_RSRC2:TRAP_HANDLER: 0
; COMPUTE_PGM_RSRC2:TGID_X_EN: 1
; COMPUTE_PGM_RSRC2:TGID_Y_EN: 0
; COMPUTE_PGM_RSRC2:TGID_Z_EN: 0
; COMPUTE_PGM_RSRC2:TIDIG_COMP_CNT: 0
	.section	.text._ZN7rocprim17ROCPRIM_400000_NS6detail17trampoline_kernelINS0_14default_configENS1_20scan_config_selectorIN3c107complexIdEEEEZZNS1_9scan_implILNS1_25lookback_scan_determinismE0ELb0ELb0ES3_PKS7_PS7_S7_ZZZN2at6native31launch_logcumsumexp_cuda_kernelERKNSE_10TensorBaseESI_lENKUlvE_clEvENKUlvE1_clEvEUlS7_S7_E_S7_EEDaPvRmT3_T4_T5_mT6_P12ihipStream_tbENKUlT_T0_E_clISt17integral_constantIbLb1EESY_IbLb0EEEEDaSU_SV_EUlSU_E0_NS1_11comp_targetILNS1_3genE10ELNS1_11target_archE1201ELNS1_3gpuE5ELNS1_3repE0EEENS1_30default_config_static_selectorELNS0_4arch9wavefront6targetE0EEEvT1_,"axG",@progbits,_ZN7rocprim17ROCPRIM_400000_NS6detail17trampoline_kernelINS0_14default_configENS1_20scan_config_selectorIN3c107complexIdEEEEZZNS1_9scan_implILNS1_25lookback_scan_determinismE0ELb0ELb0ES3_PKS7_PS7_S7_ZZZN2at6native31launch_logcumsumexp_cuda_kernelERKNSE_10TensorBaseESI_lENKUlvE_clEvENKUlvE1_clEvEUlS7_S7_E_S7_EEDaPvRmT3_T4_T5_mT6_P12ihipStream_tbENKUlT_T0_E_clISt17integral_constantIbLb1EESY_IbLb0EEEEDaSU_SV_EUlSU_E0_NS1_11comp_targetILNS1_3genE10ELNS1_11target_archE1201ELNS1_3gpuE5ELNS1_3repE0EEENS1_30default_config_static_selectorELNS0_4arch9wavefront6targetE0EEEvT1_,comdat
	.globl	_ZN7rocprim17ROCPRIM_400000_NS6detail17trampoline_kernelINS0_14default_configENS1_20scan_config_selectorIN3c107complexIdEEEEZZNS1_9scan_implILNS1_25lookback_scan_determinismE0ELb0ELb0ES3_PKS7_PS7_S7_ZZZN2at6native31launch_logcumsumexp_cuda_kernelERKNSE_10TensorBaseESI_lENKUlvE_clEvENKUlvE1_clEvEUlS7_S7_E_S7_EEDaPvRmT3_T4_T5_mT6_P12ihipStream_tbENKUlT_T0_E_clISt17integral_constantIbLb1EESY_IbLb0EEEEDaSU_SV_EUlSU_E0_NS1_11comp_targetILNS1_3genE10ELNS1_11target_archE1201ELNS1_3gpuE5ELNS1_3repE0EEENS1_30default_config_static_selectorELNS0_4arch9wavefront6targetE0EEEvT1_ ; -- Begin function _ZN7rocprim17ROCPRIM_400000_NS6detail17trampoline_kernelINS0_14default_configENS1_20scan_config_selectorIN3c107complexIdEEEEZZNS1_9scan_implILNS1_25lookback_scan_determinismE0ELb0ELb0ES3_PKS7_PS7_S7_ZZZN2at6native31launch_logcumsumexp_cuda_kernelERKNSE_10TensorBaseESI_lENKUlvE_clEvENKUlvE1_clEvEUlS7_S7_E_S7_EEDaPvRmT3_T4_T5_mT6_P12ihipStream_tbENKUlT_T0_E_clISt17integral_constantIbLb1EESY_IbLb0EEEEDaSU_SV_EUlSU_E0_NS1_11comp_targetILNS1_3genE10ELNS1_11target_archE1201ELNS1_3gpuE5ELNS1_3repE0EEENS1_30default_config_static_selectorELNS0_4arch9wavefront6targetE0EEEvT1_
	.p2align	8
	.type	_ZN7rocprim17ROCPRIM_400000_NS6detail17trampoline_kernelINS0_14default_configENS1_20scan_config_selectorIN3c107complexIdEEEEZZNS1_9scan_implILNS1_25lookback_scan_determinismE0ELb0ELb0ES3_PKS7_PS7_S7_ZZZN2at6native31launch_logcumsumexp_cuda_kernelERKNSE_10TensorBaseESI_lENKUlvE_clEvENKUlvE1_clEvEUlS7_S7_E_S7_EEDaPvRmT3_T4_T5_mT6_P12ihipStream_tbENKUlT_T0_E_clISt17integral_constantIbLb1EESY_IbLb0EEEEDaSU_SV_EUlSU_E0_NS1_11comp_targetILNS1_3genE10ELNS1_11target_archE1201ELNS1_3gpuE5ELNS1_3repE0EEENS1_30default_config_static_selectorELNS0_4arch9wavefront6targetE0EEEvT1_,@function
_ZN7rocprim17ROCPRIM_400000_NS6detail17trampoline_kernelINS0_14default_configENS1_20scan_config_selectorIN3c107complexIdEEEEZZNS1_9scan_implILNS1_25lookback_scan_determinismE0ELb0ELb0ES3_PKS7_PS7_S7_ZZZN2at6native31launch_logcumsumexp_cuda_kernelERKNSE_10TensorBaseESI_lENKUlvE_clEvENKUlvE1_clEvEUlS7_S7_E_S7_EEDaPvRmT3_T4_T5_mT6_P12ihipStream_tbENKUlT_T0_E_clISt17integral_constantIbLb1EESY_IbLb0EEEEDaSU_SV_EUlSU_E0_NS1_11comp_targetILNS1_3genE10ELNS1_11target_archE1201ELNS1_3gpuE5ELNS1_3repE0EEENS1_30default_config_static_selectorELNS0_4arch9wavefront6targetE0EEEvT1_: ; @_ZN7rocprim17ROCPRIM_400000_NS6detail17trampoline_kernelINS0_14default_configENS1_20scan_config_selectorIN3c107complexIdEEEEZZNS1_9scan_implILNS1_25lookback_scan_determinismE0ELb0ELb0ES3_PKS7_PS7_S7_ZZZN2at6native31launch_logcumsumexp_cuda_kernelERKNSE_10TensorBaseESI_lENKUlvE_clEvENKUlvE1_clEvEUlS7_S7_E_S7_EEDaPvRmT3_T4_T5_mT6_P12ihipStream_tbENKUlT_T0_E_clISt17integral_constantIbLb1EESY_IbLb0EEEEDaSU_SV_EUlSU_E0_NS1_11comp_targetILNS1_3genE10ELNS1_11target_archE1201ELNS1_3gpuE5ELNS1_3repE0EEENS1_30default_config_static_selectorELNS0_4arch9wavefront6targetE0EEEvT1_
; %bb.0:
	s_mov_b64 s[18:19], s[0:1]
	s_load_b128 s[0:3], s[0:1], 0x0
	s_mov_b32 s32, 0
	s_wait_kmcnt 0x0
	s_load_b128 s[4:7], s[0:1], 0x0
	v_mov_b32_e32 v180, v0
	s_wait_kmcnt 0x0
	v_dual_mov_b32 v2, s6 :: v_dual_mov_b32 v3, s7
	s_delay_alu instid0(VALU_DEP_2)
	v_dual_mov_b32 v0, s4 :: v_dual_lshlrev_b32 v181, 4, v180
	v_cmp_gt_u32_e64 s20, s2, v180
	v_mov_b32_e32 v1, s5
	s_and_saveexec_b32 s3, s20
	s_cbranch_execz .LBB236_2
; %bb.1:
	global_load_b128 v[0:3], v181, s[0:1]
.LBB236_2:
	s_wait_alu 0xfffe
	s_or_b32 exec_lo, exec_lo, s3
	v_or_b32_e32 v4, 0x100, v180
	v_dual_mov_b32 v6, s6 :: v_dual_mov_b32 v7, s7
	s_delay_alu instid0(VALU_DEP_2)
	v_cmp_gt_u32_e64 s21, s2, v4
	v_dual_mov_b32 v4, s4 :: v_dual_mov_b32 v5, s5
	s_and_saveexec_b32 s3, s21
	s_cbranch_execz .LBB236_4
; %bb.3:
	global_load_b128 v[4:7], v181, s[0:1] offset:4096
.LBB236_4:
	s_wait_alu 0xfffe
	s_or_b32 exec_lo, exec_lo, s3
	v_or_b32_e32 v8, 0x200, v180
	v_dual_mov_b32 v11, s7 :: v_dual_mov_b32 v10, s6
	s_delay_alu instid0(VALU_DEP_2)
	v_cmp_gt_u32_e64 s22, s2, v8
	v_dual_mov_b32 v9, s5 :: v_dual_mov_b32 v8, s4
	s_and_saveexec_b32 s3, s22
	s_cbranch_execz .LBB236_6
; %bb.5:
	global_load_b128 v[8:11], v181, s[0:1] offset:8192
.LBB236_6:
	;; [unrolled: 12-line block ×9, first 2 shown]
	s_wait_alu 0xfffe
	s_or_b32 exec_lo, exec_lo, s3
	v_or_b32_e32 v40, 0xa00, v180
	s_delay_alu instid0(VALU_DEP_1)
	v_cmp_gt_u32_e64 s33, s2, v40
	v_cmp_le_u32_e32 vcc_lo, s2, v40
	s_and_saveexec_b32 s2, vcc_lo
	s_wait_alu 0xfffe
	s_xor_b32 s2, exec_lo, s2
	s_wait_alu 0xfffe
	s_or_saveexec_b32 s2, s2
	v_dual_mov_b32 v43, s7 :: v_dual_mov_b32 v42, s6
	v_dual_mov_b32 v41, s5 :: v_dual_mov_b32 v40, s4
	s_wait_alu 0xfffe
	s_xor_b32 exec_lo, exec_lo, s2
	s_cbranch_execz .LBB236_22
; %bb.21:
	v_lshlrev_b32_e32 v40, 4, v180
	global_load_b128 v[40:43], v40, s[0:1] offset:40960
.LBB236_22:
	s_or_b32 exec_lo, exec_lo, s2
	s_wait_loadcnt 0x0
	ds_store_b128 v181, v[4:7] offset:4096
	ds_store_b128 v181, v[8:11] offset:8192
	;; [unrolled: 1-line block ×9, first 2 shown]
	ds_store_b128 v181, v[0:3]
	ds_store_b128 v181, v[40:43] offset:40960
	v_mad_u32_u24 v0, 0xa0, v180, v181
	s_wait_dscnt 0x0
	s_barrier_signal -1
	s_barrier_wait -1
	global_inv scope:SCOPE_SE
	ds_load_b128 v[40:43], v0
	ds_load_b128 v[148:151], v0 offset:16
	ds_load_b128 v[140:143], v0 offset:32
	;; [unrolled: 1-line block ×10, first 2 shown]
	s_getpc_b64 s[34:35]
	s_sext_i32_i16 s35, s35
	s_add_co_u32 s34, s34, _ZZZZN2at6native31launch_logcumsumexp_cuda_kernelERKNS_10TensorBaseES3_lENKUlvE_clEvENKUlvE1_clEvENKUlN3c107complexIdEES8_E_clES8_S8_@rel32@lo+8
	s_add_co_ci_u32 s35, s35, _ZZZZN2at6native31launch_logcumsumexp_cuda_kernelERKNS_10TensorBaseES3_lENKUlvE_clEvENKUlvE1_clEvENKUlN3c107complexIdEES8_E_clES8_S8_@rel32@hi+16
	s_wait_loadcnt_dscnt 0x0
	s_barrier_signal -1
	s_barrier_wait -1
	global_inv scope:SCOPE_SE
	v_dual_mov_b32 v0, v40 :: v_dual_mov_b32 v1, v41
	v_dual_mov_b32 v2, v42 :: v_dual_mov_b32 v3, v43
	;; [unrolled: 1-line block ×4, first 2 shown]
	s_swappc_b64 s[30:31], s[34:35]
	v_dual_mov_b32 v4, v140 :: v_dual_mov_b32 v5, v141
	v_dual_mov_b32 v6, v142 :: v_dual_mov_b32 v7, v143
	v_dual_mov_b32 v44, v0 :: v_dual_mov_b32 v45, v1
	v_dual_mov_b32 v46, v2 :: v_dual_mov_b32 v47, v3
	s_wait_alu 0xfffe
	s_swappc_b64 s[30:31], s[34:35]
	v_dual_mov_b32 v4, v136 :: v_dual_mov_b32 v5, v137
	v_dual_mov_b32 v6, v138 :: v_dual_mov_b32 v7, v139
	v_dual_mov_b32 v72, v0 :: v_dual_mov_b32 v73, v1
	v_dual_mov_b32 v74, v2 :: v_dual_mov_b32 v75, v3
	s_wait_alu 0xfffe
	;; [unrolled: 6-line block ×9, first 2 shown]
	s_swappc_b64 s[30:31], s[34:35]
	v_dual_mov_b32 v170, v2 :: v_dual_mov_b32 v171, v3
	v_mbcnt_lo_u32_b32 v182, -1, 0
	v_dual_mov_b32 v168, v0 :: v_dual_mov_b32 v169, v1
	s_delay_alu instid0(VALU_DEP_3) | instskip(NEXT) | instid1(VALU_DEP_3)
	v_mov_b32_dpp v6, v170 row_shr:1 row_mask:0xf bank_mask:0xf
	v_dual_mov_b32 v175, v171 :: v_dual_and_b32 v176, 15, v182
	s_delay_alu instid0(VALU_DEP_3) | instskip(NEXT) | instid1(VALU_DEP_4)
	v_dual_mov_b32 v174, v170 :: v_dual_mov_b32 v173, v169
	v_mov_b32_dpp v4, v168 row_shr:1 row_mask:0xf bank_mask:0xf
	v_mov_b32_dpp v5, v169 row_shr:1 row_mask:0xf bank_mask:0xf
	;; [unrolled: 1-line block ×3, first 2 shown]
	v_mov_b32_e32 v172, v168
	s_mov_b32 s36, exec_lo
	v_cmpx_ne_u32_e32 0, v176
	s_cbranch_execz .LBB236_24
; %bb.23:
	v_dual_mov_b32 v0, v4 :: v_dual_mov_b32 v1, v5
	v_dual_mov_b32 v2, v6 :: v_dual_mov_b32 v3, v7
	;; [unrolled: 1-line block ×4, first 2 shown]
	s_wait_alu 0xfffe
	s_swappc_b64 s[30:31], s[34:35]
	v_dual_mov_b32 v172, v0 :: v_dual_mov_b32 v173, v1
	v_dual_mov_b32 v174, v2 :: v_dual_mov_b32 v175, v3
.LBB236_24:
	s_wait_alu 0xfffe
	s_or_b32 exec_lo, exec_lo, s36
	v_mov_b32_dpp v4, v0 row_shr:2 row_mask:0xf bank_mask:0xf
	v_mov_b32_dpp v5, v1 row_shr:2 row_mask:0xf bank_mask:0xf
	v_mov_b32_dpp v6, v2 row_shr:2 row_mask:0xf bank_mask:0xf
	v_mov_b32_dpp v7, v3 row_shr:2 row_mask:0xf bank_mask:0xf
	s_mov_b32 s34, exec_lo
	v_cmpx_lt_u32_e32 1, v176
	s_cbranch_execz .LBB236_26
; %bb.25:
	v_dual_mov_b32 v0, v4 :: v_dual_mov_b32 v1, v5
	v_dual_mov_b32 v2, v6 :: v_dual_mov_b32 v3, v7
	v_dual_mov_b32 v4, v172 :: v_dual_mov_b32 v5, v173
	v_dual_mov_b32 v6, v174 :: v_dual_mov_b32 v7, v175
	s_getpc_b64 s[0:1]
	s_wait_alu 0xfffe
	s_sext_i32_i16 s1, s1
	s_add_co_u32 s0, s0, _ZZZZN2at6native31launch_logcumsumexp_cuda_kernelERKNS_10TensorBaseES3_lENKUlvE_clEvENKUlvE1_clEvENKUlN3c107complexIdEES8_E_clES8_S8_@rel32@lo+12
	s_wait_alu 0xfffe
	s_add_co_ci_u32 s1, s1, _ZZZZN2at6native31launch_logcumsumexp_cuda_kernelERKNS_10TensorBaseES3_lENKUlvE_clEvENKUlvE1_clEvENKUlN3c107complexIdEES8_E_clES8_S8_@rel32@hi+24
	s_wait_alu 0xfffe
	s_swappc_b64 s[30:31], s[0:1]
	v_dual_mov_b32 v175, v3 :: v_dual_mov_b32 v174, v2
	v_dual_mov_b32 v173, v1 :: v_dual_mov_b32 v172, v0
.LBB236_26:
	s_wait_alu 0xfffe
	s_or_b32 exec_lo, exec_lo, s34
	v_mov_b32_dpp v4, v0 row_shr:4 row_mask:0xf bank_mask:0xf
	v_mov_b32_dpp v5, v1 row_shr:4 row_mask:0xf bank_mask:0xf
	v_mov_b32_dpp v6, v2 row_shr:4 row_mask:0xf bank_mask:0xf
	v_mov_b32_dpp v7, v3 row_shr:4 row_mask:0xf bank_mask:0xf
	s_mov_b32 s34, exec_lo
	v_cmpx_lt_u32_e32 3, v176
	s_cbranch_execz .LBB236_28
; %bb.27:
	v_dual_mov_b32 v0, v4 :: v_dual_mov_b32 v1, v5
	v_dual_mov_b32 v2, v6 :: v_dual_mov_b32 v3, v7
	v_dual_mov_b32 v4, v172 :: v_dual_mov_b32 v5, v173
	v_dual_mov_b32 v6, v174 :: v_dual_mov_b32 v7, v175
	s_getpc_b64 s[0:1]
	s_wait_alu 0xfffe
	s_sext_i32_i16 s1, s1
	s_add_co_u32 s0, s0, _ZZZZN2at6native31launch_logcumsumexp_cuda_kernelERKNS_10TensorBaseES3_lENKUlvE_clEvENKUlvE1_clEvENKUlN3c107complexIdEES8_E_clES8_S8_@rel32@lo+12
	s_wait_alu 0xfffe
	s_add_co_ci_u32 s1, s1, _ZZZZN2at6native31launch_logcumsumexp_cuda_kernelERKNS_10TensorBaseES3_lENKUlvE_clEvENKUlvE1_clEvENKUlN3c107complexIdEES8_E_clES8_S8_@rel32@hi+24
	s_wait_alu 0xfffe
	s_swappc_b64 s[30:31], s[0:1]
	v_dual_mov_b32 v175, v3 :: v_dual_mov_b32 v174, v2
	v_dual_mov_b32 v173, v1 :: v_dual_mov_b32 v172, v0
.LBB236_28:
	;; [unrolled: 25-line block ×3, first 2 shown]
	s_wait_alu 0xfffe
	s_or_b32 exec_lo, exec_lo, s34
	ds_swizzle_b32 v0, v0 offset:swizzle(BROADCAST,32,15)
	ds_swizzle_b32 v1, v1 offset:swizzle(BROADCAST,32,15)
	;; [unrolled: 1-line block ×4, first 2 shown]
	v_and_b32_e32 v4, 16, v182
	s_mov_b32 s34, exec_lo
	s_delay_alu instid0(VALU_DEP_1)
	v_cmpx_ne_u32_e32 0, v4
	s_cbranch_execz .LBB236_32
; %bb.31:
	v_dual_mov_b32 v4, v172 :: v_dual_mov_b32 v5, v173
	v_dual_mov_b32 v6, v174 :: v_dual_mov_b32 v7, v175
	s_getpc_b64 s[0:1]
	s_wait_alu 0xfffe
	s_sext_i32_i16 s1, s1
	s_add_co_u32 s0, s0, _ZZZZN2at6native31launch_logcumsumexp_cuda_kernelERKNS_10TensorBaseES3_lENKUlvE_clEvENKUlvE1_clEvENKUlN3c107complexIdEES8_E_clES8_S8_@rel32@lo+12
	s_wait_alu 0xfffe
	s_add_co_ci_u32 s1, s1, _ZZZZN2at6native31launch_logcumsumexp_cuda_kernelERKNS_10TensorBaseES3_lENKUlvE_clEvENKUlvE1_clEvENKUlN3c107complexIdEES8_E_clES8_S8_@rel32@hi+24
	s_wait_alu 0xfffe
	s_swappc_b64 s[30:31], s[0:1]
	v_dual_mov_b32 v172, v0 :: v_dual_mov_b32 v173, v1
	v_dual_mov_b32 v174, v2 :: v_dual_mov_b32 v175, v3
.LBB236_32:
	s_wait_alu 0xfffe
	s_or_b32 exec_lo, exec_lo, s34
	s_wait_dscnt 0x3
	v_or_b32_e32 v0, 31, v180
	v_lshrrev_b32_e32 v184, 5, v180
	s_mov_b32 s0, exec_lo
	s_delay_alu instid0(VALU_DEP_2)
	v_cmpx_eq_u32_e64 v180, v0
; %bb.33:
	s_delay_alu instid0(VALU_DEP_2)
	v_lshlrev_b32_e32 v0, 4, v184
	ds_store_b128 v0, v[172:175]
; %bb.34:
	s_wait_alu 0xfffe
	s_or_b32 exec_lo, exec_lo, s0
	s_load_b64 s[18:19], s[18:19], 0x28
	s_mov_b32 s34, exec_lo
	s_wait_storecnt_dscnt 0x0
	s_barrier_signal -1
	s_barrier_wait -1
	global_inv scope:SCOPE_SE
	v_cmpx_gt_u32_e32 8, v180
	s_cbranch_execz .LBB236_42
; %bb.35:
	ds_load_b128 v[4:7], v181
	v_and_b32_e32 v176, 7, v182
	s_mov_b32 s35, exec_lo
	s_wait_dscnt 0x0
	v_mov_b32_dpp v0, v4 row_shr:1 row_mask:0xf bank_mask:0xf
	v_mov_b32_dpp v1, v5 row_shr:1 row_mask:0xf bank_mask:0xf
	;; [unrolled: 1-line block ×4, first 2 shown]
	v_cmpx_ne_u32_e32 0, v176
	s_cbranch_execz .LBB236_37
; %bb.36:
	s_getpc_b64 s[0:1]
	s_wait_alu 0xfffe
	s_sext_i32_i16 s1, s1
	s_add_co_u32 s0, s0, _ZZZZN2at6native31launch_logcumsumexp_cuda_kernelERKNS_10TensorBaseES3_lENKUlvE_clEvENKUlvE1_clEvENKUlN3c107complexIdEES8_E_clES8_S8_@rel32@lo+12
	s_wait_alu 0xfffe
	s_add_co_ci_u32 s1, s1, _ZZZZN2at6native31launch_logcumsumexp_cuda_kernelERKNS_10TensorBaseES3_lENKUlvE_clEvENKUlvE1_clEvENKUlN3c107complexIdEES8_E_clES8_S8_@rel32@hi+24
	s_wait_alu 0xfffe
	s_swappc_b64 s[30:31], s[0:1]
	v_dual_mov_b32 v4, v0 :: v_dual_mov_b32 v5, v1
	v_dual_mov_b32 v6, v2 :: v_dual_mov_b32 v7, v3
.LBB236_37:
	s_wait_alu 0xfffe
	s_or_b32 exec_lo, exec_lo, s35
	s_delay_alu instid0(VALU_DEP_2)
	v_mov_b32_dpp v0, v4 row_shr:2 row_mask:0xf bank_mask:0xf
	v_mov_b32_dpp v1, v5 row_shr:2 row_mask:0xf bank_mask:0xf
	;; [unrolled: 1-line block ×4, first 2 shown]
	s_mov_b32 s35, exec_lo
	v_cmpx_lt_u32_e32 1, v176
	s_cbranch_execz .LBB236_39
; %bb.38:
	s_getpc_b64 s[0:1]
	s_wait_alu 0xfffe
	s_sext_i32_i16 s1, s1
	s_add_co_u32 s0, s0, _ZZZZN2at6native31launch_logcumsumexp_cuda_kernelERKNS_10TensorBaseES3_lENKUlvE_clEvENKUlvE1_clEvENKUlN3c107complexIdEES8_E_clES8_S8_@rel32@lo+12
	s_wait_alu 0xfffe
	s_add_co_ci_u32 s1, s1, _ZZZZN2at6native31launch_logcumsumexp_cuda_kernelERKNS_10TensorBaseES3_lENKUlvE_clEvENKUlvE1_clEvENKUlN3c107complexIdEES8_E_clES8_S8_@rel32@hi+24
	s_wait_alu 0xfffe
	s_swappc_b64 s[30:31], s[0:1]
	v_dual_mov_b32 v4, v0 :: v_dual_mov_b32 v5, v1
	v_dual_mov_b32 v6, v2 :: v_dual_mov_b32 v7, v3
.LBB236_39:
	s_wait_alu 0xfffe
	s_or_b32 exec_lo, exec_lo, s35
	s_delay_alu instid0(VALU_DEP_2)
	v_mov_b32_dpp v0, v4 row_shr:4 row_mask:0xf bank_mask:0xf
	v_mov_b32_dpp v1, v5 row_shr:4 row_mask:0xf bank_mask:0xf
	;; [unrolled: 1-line block ×4, first 2 shown]
	s_mov_b32 s35, exec_lo
	v_cmpx_lt_u32_e32 3, v176
	s_cbranch_execz .LBB236_41
; %bb.40:
	s_getpc_b64 s[0:1]
	s_wait_alu 0xfffe
	s_sext_i32_i16 s1, s1
	s_add_co_u32 s0, s0, _ZZZZN2at6native31launch_logcumsumexp_cuda_kernelERKNS_10TensorBaseES3_lENKUlvE_clEvENKUlvE1_clEvENKUlN3c107complexIdEES8_E_clES8_S8_@rel32@lo+12
	s_wait_alu 0xfffe
	s_add_co_ci_u32 s1, s1, _ZZZZN2at6native31launch_logcumsumexp_cuda_kernelERKNS_10TensorBaseES3_lENKUlvE_clEvENKUlvE1_clEvENKUlN3c107complexIdEES8_E_clES8_S8_@rel32@hi+24
	s_wait_alu 0xfffe
	s_swappc_b64 s[30:31], s[0:1]
	v_dual_mov_b32 v4, v0 :: v_dual_mov_b32 v5, v1
	v_dual_mov_b32 v6, v2 :: v_dual_mov_b32 v7, v3
.LBB236_41:
	s_wait_alu 0xfffe
	s_or_b32 exec_lo, exec_lo, s35
	ds_store_b128 v181, v[4:7]
.LBB236_42:
	s_wait_alu 0xfffe
	s_or_b32 exec_lo, exec_lo, s34
	v_mov_b32_e32 v178, 0
	v_dual_mov_b32 v179, 0 :: v_dual_mov_b32 v176, 0
	v_mul_u32_u24_e32 v183, 0xa0, v180
	v_mov_b32_e32 v177, 0
	s_mov_b32 s34, exec_lo
	s_wait_storecnt 0x0
	s_wait_loadcnt_dscnt 0x0
	s_barrier_signal -1
	s_barrier_wait -1
	global_inv scope:SCOPE_SE
	v_cmpx_lt_u32_e32 31, v180
	s_cbranch_execz .LBB236_44
; %bb.43:
	v_lshl_add_u32 v0, v184, 4, -16
	v_dual_mov_b32 v4, v172 :: v_dual_mov_b32 v5, v173
	s_getpc_b64 s[0:1]
	s_wait_alu 0xfffe
	s_sext_i32_i16 s1, s1
	s_add_co_u32 s0, s0, _ZZZZN2at6native31launch_logcumsumexp_cuda_kernelERKNS_10TensorBaseES3_lENKUlvE_clEvENKUlvE1_clEvENKUlN3c107complexIdEES8_E_clES8_S8_@rel32@lo+12
	s_wait_alu 0xfffe
	s_add_co_ci_u32 s1, s1, _ZZZZN2at6native31launch_logcumsumexp_cuda_kernelERKNS_10TensorBaseES3_lENKUlvE_clEvENKUlvE1_clEvENKUlN3c107complexIdEES8_E_clES8_S8_@rel32@hi+24
	v_mov_b32_e32 v7, v175
	ds_load_b128 v[176:179], v0
	s_wait_dscnt 0x0
	v_dual_mov_b32 v6, v174 :: v_dual_mov_b32 v1, v177
	v_dual_mov_b32 v0, v176 :: v_dual_mov_b32 v3, v179
	v_mov_b32_e32 v2, v178
	s_wait_alu 0xfffe
	s_swappc_b64 s[30:31], s[0:1]
	s_delay_alu instid0(VALU_DEP_2) | instskip(NEXT) | instid1(VALU_DEP_2)
	v_dual_mov_b32 v172, v0 :: v_dual_mov_b32 v173, v1
	v_dual_mov_b32 v174, v2 :: v_dual_mov_b32 v175, v3
.LBB236_44:
	s_wait_alu 0xfffe
	s_or_b32 exec_lo, exec_lo, s34
	v_add_nc_u32_e32 v0, -1, v182
	s_mov_b32 s36, exec_lo
	s_delay_alu instid0(VALU_DEP_1) | instskip(SKIP_2) | instid1(VALU_DEP_1)
	v_cmp_gt_i32_e32 vcc_lo, 0, v0
	s_wait_alu 0xfffd
	v_cndmask_b32_e32 v0, v0, v182, vcc_lo
	v_lshlrev_b32_e32 v3, 2, v0
	ds_bpermute_b32 v0, v3, v172
	ds_bpermute_b32 v1, v3, v173
	;; [unrolled: 1-line block ×4, first 2 shown]
	v_cmpx_ne_u32_e32 0, v180
	s_cbranch_execz .LBB236_46
; %bb.45:
	v_cmp_eq_u32_e32 vcc_lo, 0, v182
	v_dual_mov_b32 v4, v40 :: v_dual_mov_b32 v5, v41
	v_dual_mov_b32 v6, v42 :: v_dual_mov_b32 v7, v43
	s_wait_dscnt 0x2
	s_wait_alu 0xfffd
	v_dual_cndmask_b32 v0, v0, v176 :: v_dual_cndmask_b32 v1, v1, v177
	s_wait_dscnt 0x0
	v_dual_cndmask_b32 v2, v2, v178 :: v_dual_cndmask_b32 v3, v3, v179
	s_getpc_b64 s[34:35]
	s_wait_alu 0xfffe
	s_sext_i32_i16 s35, s35
	s_add_co_u32 s34, s34, _ZZZZN2at6native31launch_logcumsumexp_cuda_kernelERKNS_10TensorBaseES3_lENKUlvE_clEvENKUlvE1_clEvENKUlN3c107complexIdEES8_E_clES8_S8_@rel32@lo+12
	s_wait_alu 0xfffe
	s_add_co_ci_u32 s35, s35, _ZZZZN2at6native31launch_logcumsumexp_cuda_kernelERKNS_10TensorBaseES3_lENKUlvE_clEvENKUlvE1_clEvENKUlN3c107complexIdEES8_E_clES8_S8_@rel32@hi+24
	s_wait_alu 0xfffe
	s_swappc_b64 s[30:31], s[34:35]
	v_dual_mov_b32 v4, v148 :: v_dual_mov_b32 v5, v149
	v_dual_mov_b32 v6, v150 :: v_dual_mov_b32 v7, v151
	;; [unrolled: 1-line block ×4, first 2 shown]
	;;#ASMSTART
	;;#ASMEND
	s_wait_alu 0xfffe
	s_swappc_b64 s[30:31], s[34:35]
	v_dual_mov_b32 v4, v140 :: v_dual_mov_b32 v5, v141
	v_dual_mov_b32 v6, v142 :: v_dual_mov_b32 v7, v143
	v_dual_mov_b32 v44, v0 :: v_dual_mov_b32 v45, v1
	v_dual_mov_b32 v46, v2 :: v_dual_mov_b32 v47, v3
	s_wait_alu 0xfffe
	s_swappc_b64 s[30:31], s[34:35]
	v_dual_mov_b32 v4, v136 :: v_dual_mov_b32 v5, v137
	v_dual_mov_b32 v6, v138 :: v_dual_mov_b32 v7, v139
	v_dual_mov_b32 v72, v0 :: v_dual_mov_b32 v73, v1
	v_dual_mov_b32 v74, v2 :: v_dual_mov_b32 v75, v3
	;; [unrolled: 6-line block ×9, first 2 shown]
	s_wait_alu 0xfffe
	s_swappc_b64 s[30:31], s[34:35]
	v_dual_mov_b32 v168, v0 :: v_dual_mov_b32 v169, v1
	v_dual_mov_b32 v170, v2 :: v_dual_mov_b32 v171, v3
.LBB236_46:
	s_wait_alu 0xfffe
	s_or_b32 exec_lo, exec_lo, s36
	s_wait_dscnt 0x3
	v_add_nc_u32_e32 v0, v181, v183
	s_wait_storecnt 0x0
	s_wait_loadcnt_dscnt 0x0
	s_barrier_signal -1
	s_barrier_wait -1
	global_inv scope:SCOPE_SE
	ds_store_b128 v0, v[40:43]
	ds_store_b128 v0, v[44:47] offset:16
	ds_store_b128 v0, v[72:75] offset:32
	;; [unrolled: 1-line block ×10, first 2 shown]
	s_wait_loadcnt_dscnt 0x0
	s_barrier_signal -1
	s_barrier_wait -1
	global_inv scope:SCOPE_SE
	ds_load_b128 v[32:35], v181 offset:8192
	ds_load_b128 v[28:31], v181 offset:12288
	;; [unrolled: 1-line block ×10, first 2 shown]
	v_lshlrev_b32_e32 v40, 4, v180
	s_wait_kmcnt 0x0
	s_delay_alu instid0(VALU_DEP_1)
	v_add_co_u32 v40, s0, s18, v40
	s_wait_alu 0xf1ff
	v_add_co_ci_u32_e64 v41, null, s19, 0, s0
	s_and_saveexec_b32 s0, s20
	s_cbranch_execnz .LBB236_58
; %bb.47:
	s_wait_alu 0xfffe
	s_or_b32 exec_lo, exec_lo, s0
	s_and_saveexec_b32 s0, s21
	s_cbranch_execnz .LBB236_59
.LBB236_48:
	s_wait_alu 0xfffe
	s_or_b32 exec_lo, exec_lo, s0
	s_and_saveexec_b32 s0, s22
	s_cbranch_execnz .LBB236_60
.LBB236_49:
	s_wait_alu 0xfffe
	s_or_b32 exec_lo, exec_lo, s0
	s_and_saveexec_b32 s0, s23
	s_cbranch_execnz .LBB236_61
.LBB236_50:
	s_wait_alu 0xfffe
	s_or_b32 exec_lo, exec_lo, s0
	s_and_saveexec_b32 s0, s24
	s_cbranch_execnz .LBB236_62
.LBB236_51:
	s_wait_alu 0xfffe
	s_or_b32 exec_lo, exec_lo, s0
	s_and_saveexec_b32 s0, s25
	s_cbranch_execnz .LBB236_63
.LBB236_52:
	s_wait_alu 0xfffe
	s_or_b32 exec_lo, exec_lo, s0
	s_and_saveexec_b32 s0, s26
	s_cbranch_execnz .LBB236_64
.LBB236_53:
	s_wait_alu 0xfffe
	s_or_b32 exec_lo, exec_lo, s0
	s_and_saveexec_b32 s0, s27
	s_cbranch_execnz .LBB236_65
.LBB236_54:
	s_wait_alu 0xfffe
	s_or_b32 exec_lo, exec_lo, s0
	s_and_saveexec_b32 s0, s28
	s_cbranch_execnz .LBB236_66
.LBB236_55:
	s_wait_alu 0xfffe
	s_or_b32 exec_lo, exec_lo, s0
	s_and_saveexec_b32 s0, s29
	s_cbranch_execnz .LBB236_67
.LBB236_56:
	s_wait_alu 0xfffe
	s_or_b32 exec_lo, exec_lo, s0
	s_and_saveexec_b32 s0, s33
	s_cbranch_execnz .LBB236_68
.LBB236_57:
	s_nop 0
	s_sendmsg sendmsg(MSG_DEALLOC_VGPRS)
	s_endpgm
.LBB236_58:
	ds_load_b128 v[42:45], v181
	s_wait_dscnt 0x0
	global_store_b128 v[40:41], v[42:45], off
	s_wait_alu 0xfffe
	s_or_b32 exec_lo, exec_lo, s0
	s_and_saveexec_b32 s0, s21
	s_cbranch_execz .LBB236_48
.LBB236_59:
	s_wait_dscnt 0x1
	global_store_b128 v[40:41], v[36:39], off offset:4096
	s_wait_alu 0xfffe
	s_or_b32 exec_lo, exec_lo, s0
	s_and_saveexec_b32 s0, s22
	s_cbranch_execz .LBB236_49
.LBB236_60:
	s_wait_dscnt 0x9
	global_store_b128 v[40:41], v[32:35], off offset:8192
	s_wait_alu 0xfffe
	s_or_b32 exec_lo, exec_lo, s0
	s_and_saveexec_b32 s0, s23
	s_cbranch_execz .LBB236_50
.LBB236_61:
	s_wait_dscnt 0x8
	global_store_b128 v[40:41], v[28:31], off offset:12288
	s_wait_alu 0xfffe
	s_or_b32 exec_lo, exec_lo, s0
	s_and_saveexec_b32 s0, s24
	s_cbranch_execz .LBB236_51
.LBB236_62:
	s_wait_dscnt 0x7
	global_store_b128 v[40:41], v[24:27], off offset:16384
	s_wait_alu 0xfffe
	s_or_b32 exec_lo, exec_lo, s0
	s_and_saveexec_b32 s0, s25
	s_cbranch_execz .LBB236_52
.LBB236_63:
	s_wait_dscnt 0x6
	global_store_b128 v[40:41], v[20:23], off offset:20480
	s_wait_alu 0xfffe
	s_or_b32 exec_lo, exec_lo, s0
	s_and_saveexec_b32 s0, s26
	s_cbranch_execz .LBB236_53
.LBB236_64:
	s_wait_dscnt 0x5
	global_store_b128 v[40:41], v[16:19], off offset:24576
	s_wait_alu 0xfffe
	s_or_b32 exec_lo, exec_lo, s0
	s_and_saveexec_b32 s0, s27
	s_cbranch_execz .LBB236_54
.LBB236_65:
	s_wait_dscnt 0x4
	global_store_b128 v[40:41], v[12:15], off offset:28672
	s_wait_alu 0xfffe
	s_or_b32 exec_lo, exec_lo, s0
	s_and_saveexec_b32 s0, s28
	s_cbranch_execz .LBB236_55
.LBB236_66:
	s_wait_dscnt 0x3
	global_store_b128 v[40:41], v[8:11], off offset:32768
	s_wait_alu 0xfffe
	s_or_b32 exec_lo, exec_lo, s0
	s_and_saveexec_b32 s0, s29
	s_cbranch_execz .LBB236_56
.LBB236_67:
	s_wait_dscnt 0x2
	global_store_b128 v[40:41], v[4:7], off offset:36864
	s_wait_alu 0xfffe
	s_or_b32 exec_lo, exec_lo, s0
	s_and_saveexec_b32 s0, s33
	s_cbranch_execz .LBB236_57
.LBB236_68:
	s_wait_dscnt 0x0
	global_store_b128 v[40:41], v[0:3], off offset:40960
	s_nop 0
	s_sendmsg sendmsg(MSG_DEALLOC_VGPRS)
	s_endpgm
	.section	.rodata,"a",@progbits
	.p2align	6, 0x0
	.amdhsa_kernel _ZN7rocprim17ROCPRIM_400000_NS6detail17trampoline_kernelINS0_14default_configENS1_20scan_config_selectorIN3c107complexIdEEEEZZNS1_9scan_implILNS1_25lookback_scan_determinismE0ELb0ELb0ES3_PKS7_PS7_S7_ZZZN2at6native31launch_logcumsumexp_cuda_kernelERKNSE_10TensorBaseESI_lENKUlvE_clEvENKUlvE1_clEvEUlS7_S7_E_S7_EEDaPvRmT3_T4_T5_mT6_P12ihipStream_tbENKUlT_T0_E_clISt17integral_constantIbLb1EESY_IbLb0EEEEDaSU_SV_EUlSU_E0_NS1_11comp_targetILNS1_3genE10ELNS1_11target_archE1201ELNS1_3gpuE5ELNS1_3repE0EEENS1_30default_config_static_selectorELNS0_4arch9wavefront6targetE0EEEvT1_
		.amdhsa_group_segment_fixed_size 45056
		.amdhsa_private_segment_fixed_size 0
		.amdhsa_kernarg_size 48
		.amdhsa_user_sgpr_count 2
		.amdhsa_user_sgpr_dispatch_ptr 0
		.amdhsa_user_sgpr_queue_ptr 0
		.amdhsa_user_sgpr_kernarg_segment_ptr 1
		.amdhsa_user_sgpr_dispatch_id 0
		.amdhsa_user_sgpr_private_segment_size 0
		.amdhsa_wavefront_size32 1
		.amdhsa_uses_dynamic_stack 0
		.amdhsa_enable_private_segment 0
		.amdhsa_system_sgpr_workgroup_id_x 1
		.amdhsa_system_sgpr_workgroup_id_y 0
		.amdhsa_system_sgpr_workgroup_id_z 0
		.amdhsa_system_sgpr_workgroup_info 0
		.amdhsa_system_vgpr_workitem_id 0
		.amdhsa_next_free_vgpr 241
		.amdhsa_next_free_sgpr 37
		.amdhsa_reserve_vcc 1
		.amdhsa_float_round_mode_32 0
		.amdhsa_float_round_mode_16_64 0
		.amdhsa_float_denorm_mode_32 3
		.amdhsa_float_denorm_mode_16_64 3
		.amdhsa_fp16_overflow 0
		.amdhsa_workgroup_processor_mode 1
		.amdhsa_memory_ordered 1
		.amdhsa_forward_progress 1
		.amdhsa_inst_pref_size 33
		.amdhsa_round_robin_scheduling 0
		.amdhsa_exception_fp_ieee_invalid_op 0
		.amdhsa_exception_fp_denorm_src 0
		.amdhsa_exception_fp_ieee_div_zero 0
		.amdhsa_exception_fp_ieee_overflow 0
		.amdhsa_exception_fp_ieee_underflow 0
		.amdhsa_exception_fp_ieee_inexact 0
		.amdhsa_exception_int_div_zero 0
	.end_amdhsa_kernel
	.section	.text._ZN7rocprim17ROCPRIM_400000_NS6detail17trampoline_kernelINS0_14default_configENS1_20scan_config_selectorIN3c107complexIdEEEEZZNS1_9scan_implILNS1_25lookback_scan_determinismE0ELb0ELb0ES3_PKS7_PS7_S7_ZZZN2at6native31launch_logcumsumexp_cuda_kernelERKNSE_10TensorBaseESI_lENKUlvE_clEvENKUlvE1_clEvEUlS7_S7_E_S7_EEDaPvRmT3_T4_T5_mT6_P12ihipStream_tbENKUlT_T0_E_clISt17integral_constantIbLb1EESY_IbLb0EEEEDaSU_SV_EUlSU_E0_NS1_11comp_targetILNS1_3genE10ELNS1_11target_archE1201ELNS1_3gpuE5ELNS1_3repE0EEENS1_30default_config_static_selectorELNS0_4arch9wavefront6targetE0EEEvT1_,"axG",@progbits,_ZN7rocprim17ROCPRIM_400000_NS6detail17trampoline_kernelINS0_14default_configENS1_20scan_config_selectorIN3c107complexIdEEEEZZNS1_9scan_implILNS1_25lookback_scan_determinismE0ELb0ELb0ES3_PKS7_PS7_S7_ZZZN2at6native31launch_logcumsumexp_cuda_kernelERKNSE_10TensorBaseESI_lENKUlvE_clEvENKUlvE1_clEvEUlS7_S7_E_S7_EEDaPvRmT3_T4_T5_mT6_P12ihipStream_tbENKUlT_T0_E_clISt17integral_constantIbLb1EESY_IbLb0EEEEDaSU_SV_EUlSU_E0_NS1_11comp_targetILNS1_3genE10ELNS1_11target_archE1201ELNS1_3gpuE5ELNS1_3repE0EEENS1_30default_config_static_selectorELNS0_4arch9wavefront6targetE0EEEvT1_,comdat
.Lfunc_end236:
	.size	_ZN7rocprim17ROCPRIM_400000_NS6detail17trampoline_kernelINS0_14default_configENS1_20scan_config_selectorIN3c107complexIdEEEEZZNS1_9scan_implILNS1_25lookback_scan_determinismE0ELb0ELb0ES3_PKS7_PS7_S7_ZZZN2at6native31launch_logcumsumexp_cuda_kernelERKNSE_10TensorBaseESI_lENKUlvE_clEvENKUlvE1_clEvEUlS7_S7_E_S7_EEDaPvRmT3_T4_T5_mT6_P12ihipStream_tbENKUlT_T0_E_clISt17integral_constantIbLb1EESY_IbLb0EEEEDaSU_SV_EUlSU_E0_NS1_11comp_targetILNS1_3genE10ELNS1_11target_archE1201ELNS1_3gpuE5ELNS1_3repE0EEENS1_30default_config_static_selectorELNS0_4arch9wavefront6targetE0EEEvT1_, .Lfunc_end236-_ZN7rocprim17ROCPRIM_400000_NS6detail17trampoline_kernelINS0_14default_configENS1_20scan_config_selectorIN3c107complexIdEEEEZZNS1_9scan_implILNS1_25lookback_scan_determinismE0ELb0ELb0ES3_PKS7_PS7_S7_ZZZN2at6native31launch_logcumsumexp_cuda_kernelERKNSE_10TensorBaseESI_lENKUlvE_clEvENKUlvE1_clEvEUlS7_S7_E_S7_EEDaPvRmT3_T4_T5_mT6_P12ihipStream_tbENKUlT_T0_E_clISt17integral_constantIbLb1EESY_IbLb0EEEEDaSU_SV_EUlSU_E0_NS1_11comp_targetILNS1_3genE10ELNS1_11target_archE1201ELNS1_3gpuE5ELNS1_3repE0EEENS1_30default_config_static_selectorELNS0_4arch9wavefront6targetE0EEEvT1_
                                        ; -- End function
	.set _ZN7rocprim17ROCPRIM_400000_NS6detail17trampoline_kernelINS0_14default_configENS1_20scan_config_selectorIN3c107complexIdEEEEZZNS1_9scan_implILNS1_25lookback_scan_determinismE0ELb0ELb0ES3_PKS7_PS7_S7_ZZZN2at6native31launch_logcumsumexp_cuda_kernelERKNSE_10TensorBaseESI_lENKUlvE_clEvENKUlvE1_clEvEUlS7_S7_E_S7_EEDaPvRmT3_T4_T5_mT6_P12ihipStream_tbENKUlT_T0_E_clISt17integral_constantIbLb1EESY_IbLb0EEEEDaSU_SV_EUlSU_E0_NS1_11comp_targetILNS1_3genE10ELNS1_11target_archE1201ELNS1_3gpuE5ELNS1_3repE0EEENS1_30default_config_static_selectorELNS0_4arch9wavefront6targetE0EEEvT1_.num_vgpr, max(185, .L_ZZZZN2at6native31launch_logcumsumexp_cuda_kernelERKNS_10TensorBaseES3_lENKUlvE_clEvENKUlvE1_clEvENKUlN3c107complexIdEES8_E_clES8_S8_.num_vgpr)
	.set _ZN7rocprim17ROCPRIM_400000_NS6detail17trampoline_kernelINS0_14default_configENS1_20scan_config_selectorIN3c107complexIdEEEEZZNS1_9scan_implILNS1_25lookback_scan_determinismE0ELb0ELb0ES3_PKS7_PS7_S7_ZZZN2at6native31launch_logcumsumexp_cuda_kernelERKNSE_10TensorBaseESI_lENKUlvE_clEvENKUlvE1_clEvEUlS7_S7_E_S7_EEDaPvRmT3_T4_T5_mT6_P12ihipStream_tbENKUlT_T0_E_clISt17integral_constantIbLb1EESY_IbLb0EEEEDaSU_SV_EUlSU_E0_NS1_11comp_targetILNS1_3genE10ELNS1_11target_archE1201ELNS1_3gpuE5ELNS1_3repE0EEENS1_30default_config_static_selectorELNS0_4arch9wavefront6targetE0EEEvT1_.num_agpr, max(0, .L_ZZZZN2at6native31launch_logcumsumexp_cuda_kernelERKNS_10TensorBaseES3_lENKUlvE_clEvENKUlvE1_clEvENKUlN3c107complexIdEES8_E_clES8_S8_.num_agpr)
	.set _ZN7rocprim17ROCPRIM_400000_NS6detail17trampoline_kernelINS0_14default_configENS1_20scan_config_selectorIN3c107complexIdEEEEZZNS1_9scan_implILNS1_25lookback_scan_determinismE0ELb0ELb0ES3_PKS7_PS7_S7_ZZZN2at6native31launch_logcumsumexp_cuda_kernelERKNSE_10TensorBaseESI_lENKUlvE_clEvENKUlvE1_clEvEUlS7_S7_E_S7_EEDaPvRmT3_T4_T5_mT6_P12ihipStream_tbENKUlT_T0_E_clISt17integral_constantIbLb1EESY_IbLb0EEEEDaSU_SV_EUlSU_E0_NS1_11comp_targetILNS1_3genE10ELNS1_11target_archE1201ELNS1_3gpuE5ELNS1_3repE0EEENS1_30default_config_static_selectorELNS0_4arch9wavefront6targetE0EEEvT1_.numbered_sgpr, max(37, .L_ZZZZN2at6native31launch_logcumsumexp_cuda_kernelERKNS_10TensorBaseES3_lENKUlvE_clEvENKUlvE1_clEvENKUlN3c107complexIdEES8_E_clES8_S8_.numbered_sgpr)
	.set _ZN7rocprim17ROCPRIM_400000_NS6detail17trampoline_kernelINS0_14default_configENS1_20scan_config_selectorIN3c107complexIdEEEEZZNS1_9scan_implILNS1_25lookback_scan_determinismE0ELb0ELb0ES3_PKS7_PS7_S7_ZZZN2at6native31launch_logcumsumexp_cuda_kernelERKNSE_10TensorBaseESI_lENKUlvE_clEvENKUlvE1_clEvEUlS7_S7_E_S7_EEDaPvRmT3_T4_T5_mT6_P12ihipStream_tbENKUlT_T0_E_clISt17integral_constantIbLb1EESY_IbLb0EEEEDaSU_SV_EUlSU_E0_NS1_11comp_targetILNS1_3genE10ELNS1_11target_archE1201ELNS1_3gpuE5ELNS1_3repE0EEENS1_30default_config_static_selectorELNS0_4arch9wavefront6targetE0EEEvT1_.num_named_barrier, max(0, .L_ZZZZN2at6native31launch_logcumsumexp_cuda_kernelERKNS_10TensorBaseES3_lENKUlvE_clEvENKUlvE1_clEvENKUlN3c107complexIdEES8_E_clES8_S8_.num_named_barrier)
	.set _ZN7rocprim17ROCPRIM_400000_NS6detail17trampoline_kernelINS0_14default_configENS1_20scan_config_selectorIN3c107complexIdEEEEZZNS1_9scan_implILNS1_25lookback_scan_determinismE0ELb0ELb0ES3_PKS7_PS7_S7_ZZZN2at6native31launch_logcumsumexp_cuda_kernelERKNSE_10TensorBaseESI_lENKUlvE_clEvENKUlvE1_clEvEUlS7_S7_E_S7_EEDaPvRmT3_T4_T5_mT6_P12ihipStream_tbENKUlT_T0_E_clISt17integral_constantIbLb1EESY_IbLb0EEEEDaSU_SV_EUlSU_E0_NS1_11comp_targetILNS1_3genE10ELNS1_11target_archE1201ELNS1_3gpuE5ELNS1_3repE0EEENS1_30default_config_static_selectorELNS0_4arch9wavefront6targetE0EEEvT1_.private_seg_size, 0+max(.L_ZZZZN2at6native31launch_logcumsumexp_cuda_kernelERKNS_10TensorBaseES3_lENKUlvE_clEvENKUlvE1_clEvENKUlN3c107complexIdEES8_E_clES8_S8_.private_seg_size)
	.set _ZN7rocprim17ROCPRIM_400000_NS6detail17trampoline_kernelINS0_14default_configENS1_20scan_config_selectorIN3c107complexIdEEEEZZNS1_9scan_implILNS1_25lookback_scan_determinismE0ELb0ELb0ES3_PKS7_PS7_S7_ZZZN2at6native31launch_logcumsumexp_cuda_kernelERKNSE_10TensorBaseESI_lENKUlvE_clEvENKUlvE1_clEvEUlS7_S7_E_S7_EEDaPvRmT3_T4_T5_mT6_P12ihipStream_tbENKUlT_T0_E_clISt17integral_constantIbLb1EESY_IbLb0EEEEDaSU_SV_EUlSU_E0_NS1_11comp_targetILNS1_3genE10ELNS1_11target_archE1201ELNS1_3gpuE5ELNS1_3repE0EEENS1_30default_config_static_selectorELNS0_4arch9wavefront6targetE0EEEvT1_.uses_vcc, or(1, .L_ZZZZN2at6native31launch_logcumsumexp_cuda_kernelERKNS_10TensorBaseES3_lENKUlvE_clEvENKUlvE1_clEvENKUlN3c107complexIdEES8_E_clES8_S8_.uses_vcc)
	.set _ZN7rocprim17ROCPRIM_400000_NS6detail17trampoline_kernelINS0_14default_configENS1_20scan_config_selectorIN3c107complexIdEEEEZZNS1_9scan_implILNS1_25lookback_scan_determinismE0ELb0ELb0ES3_PKS7_PS7_S7_ZZZN2at6native31launch_logcumsumexp_cuda_kernelERKNSE_10TensorBaseESI_lENKUlvE_clEvENKUlvE1_clEvEUlS7_S7_E_S7_EEDaPvRmT3_T4_T5_mT6_P12ihipStream_tbENKUlT_T0_E_clISt17integral_constantIbLb1EESY_IbLb0EEEEDaSU_SV_EUlSU_E0_NS1_11comp_targetILNS1_3genE10ELNS1_11target_archE1201ELNS1_3gpuE5ELNS1_3repE0EEENS1_30default_config_static_selectorELNS0_4arch9wavefront6targetE0EEEvT1_.uses_flat_scratch, or(0, .L_ZZZZN2at6native31launch_logcumsumexp_cuda_kernelERKNS_10TensorBaseES3_lENKUlvE_clEvENKUlvE1_clEvENKUlN3c107complexIdEES8_E_clES8_S8_.uses_flat_scratch)
	.set _ZN7rocprim17ROCPRIM_400000_NS6detail17trampoline_kernelINS0_14default_configENS1_20scan_config_selectorIN3c107complexIdEEEEZZNS1_9scan_implILNS1_25lookback_scan_determinismE0ELb0ELb0ES3_PKS7_PS7_S7_ZZZN2at6native31launch_logcumsumexp_cuda_kernelERKNSE_10TensorBaseESI_lENKUlvE_clEvENKUlvE1_clEvEUlS7_S7_E_S7_EEDaPvRmT3_T4_T5_mT6_P12ihipStream_tbENKUlT_T0_E_clISt17integral_constantIbLb1EESY_IbLb0EEEEDaSU_SV_EUlSU_E0_NS1_11comp_targetILNS1_3genE10ELNS1_11target_archE1201ELNS1_3gpuE5ELNS1_3repE0EEENS1_30default_config_static_selectorELNS0_4arch9wavefront6targetE0EEEvT1_.has_dyn_sized_stack, or(0, .L_ZZZZN2at6native31launch_logcumsumexp_cuda_kernelERKNS_10TensorBaseES3_lENKUlvE_clEvENKUlvE1_clEvENKUlN3c107complexIdEES8_E_clES8_S8_.has_dyn_sized_stack)
	.set _ZN7rocprim17ROCPRIM_400000_NS6detail17trampoline_kernelINS0_14default_configENS1_20scan_config_selectorIN3c107complexIdEEEEZZNS1_9scan_implILNS1_25lookback_scan_determinismE0ELb0ELb0ES3_PKS7_PS7_S7_ZZZN2at6native31launch_logcumsumexp_cuda_kernelERKNSE_10TensorBaseESI_lENKUlvE_clEvENKUlvE1_clEvEUlS7_S7_E_S7_EEDaPvRmT3_T4_T5_mT6_P12ihipStream_tbENKUlT_T0_E_clISt17integral_constantIbLb1EESY_IbLb0EEEEDaSU_SV_EUlSU_E0_NS1_11comp_targetILNS1_3genE10ELNS1_11target_archE1201ELNS1_3gpuE5ELNS1_3repE0EEENS1_30default_config_static_selectorELNS0_4arch9wavefront6targetE0EEEvT1_.has_recursion, or(0, .L_ZZZZN2at6native31launch_logcumsumexp_cuda_kernelERKNS_10TensorBaseES3_lENKUlvE_clEvENKUlvE1_clEvENKUlN3c107complexIdEES8_E_clES8_S8_.has_recursion)
	.set _ZN7rocprim17ROCPRIM_400000_NS6detail17trampoline_kernelINS0_14default_configENS1_20scan_config_selectorIN3c107complexIdEEEEZZNS1_9scan_implILNS1_25lookback_scan_determinismE0ELb0ELb0ES3_PKS7_PS7_S7_ZZZN2at6native31launch_logcumsumexp_cuda_kernelERKNSE_10TensorBaseESI_lENKUlvE_clEvENKUlvE1_clEvEUlS7_S7_E_S7_EEDaPvRmT3_T4_T5_mT6_P12ihipStream_tbENKUlT_T0_E_clISt17integral_constantIbLb1EESY_IbLb0EEEEDaSU_SV_EUlSU_E0_NS1_11comp_targetILNS1_3genE10ELNS1_11target_archE1201ELNS1_3gpuE5ELNS1_3repE0EEENS1_30default_config_static_selectorELNS0_4arch9wavefront6targetE0EEEvT1_.has_indirect_call, or(0, .L_ZZZZN2at6native31launch_logcumsumexp_cuda_kernelERKNS_10TensorBaseES3_lENKUlvE_clEvENKUlvE1_clEvENKUlN3c107complexIdEES8_E_clES8_S8_.has_indirect_call)
	.section	.AMDGPU.csdata,"",@progbits
; Kernel info:
; codeLenInByte = 4156
; TotalNumSgprs: 39
; NumVgprs: 185
; ScratchSize: 0
; MemoryBound: 1
; FloatMode: 240
; IeeeMode: 1
; LDSByteSize: 45056 bytes/workgroup (compile time only)
; SGPRBlocks: 0
; VGPRBlocks: 30
; NumSGPRsForWavesPerEU: 39
; NumVGPRsForWavesPerEU: 241
; Occupancy: 4
; WaveLimiterHint : 0
; COMPUTE_PGM_RSRC2:SCRATCH_EN: 0
; COMPUTE_PGM_RSRC2:USER_SGPR: 2
; COMPUTE_PGM_RSRC2:TRAP_HANDLER: 0
; COMPUTE_PGM_RSRC2:TGID_X_EN: 1
; COMPUTE_PGM_RSRC2:TGID_Y_EN: 0
; COMPUTE_PGM_RSRC2:TGID_Z_EN: 0
; COMPUTE_PGM_RSRC2:TIDIG_COMP_CNT: 0
	.section	.text._ZN7rocprim17ROCPRIM_400000_NS6detail17trampoline_kernelINS0_14default_configENS1_20scan_config_selectorIN3c107complexIdEEEEZZNS1_9scan_implILNS1_25lookback_scan_determinismE0ELb0ELb0ES3_PKS7_PS7_S7_ZZZN2at6native31launch_logcumsumexp_cuda_kernelERKNSE_10TensorBaseESI_lENKUlvE_clEvENKUlvE1_clEvEUlS7_S7_E_S7_EEDaPvRmT3_T4_T5_mT6_P12ihipStream_tbENKUlT_T0_E_clISt17integral_constantIbLb1EESY_IbLb0EEEEDaSU_SV_EUlSU_E0_NS1_11comp_targetILNS1_3genE10ELNS1_11target_archE1200ELNS1_3gpuE4ELNS1_3repE0EEENS1_30default_config_static_selectorELNS0_4arch9wavefront6targetE0EEEvT1_,"axG",@progbits,_ZN7rocprim17ROCPRIM_400000_NS6detail17trampoline_kernelINS0_14default_configENS1_20scan_config_selectorIN3c107complexIdEEEEZZNS1_9scan_implILNS1_25lookback_scan_determinismE0ELb0ELb0ES3_PKS7_PS7_S7_ZZZN2at6native31launch_logcumsumexp_cuda_kernelERKNSE_10TensorBaseESI_lENKUlvE_clEvENKUlvE1_clEvEUlS7_S7_E_S7_EEDaPvRmT3_T4_T5_mT6_P12ihipStream_tbENKUlT_T0_E_clISt17integral_constantIbLb1EESY_IbLb0EEEEDaSU_SV_EUlSU_E0_NS1_11comp_targetILNS1_3genE10ELNS1_11target_archE1200ELNS1_3gpuE4ELNS1_3repE0EEENS1_30default_config_static_selectorELNS0_4arch9wavefront6targetE0EEEvT1_,comdat
	.globl	_ZN7rocprim17ROCPRIM_400000_NS6detail17trampoline_kernelINS0_14default_configENS1_20scan_config_selectorIN3c107complexIdEEEEZZNS1_9scan_implILNS1_25lookback_scan_determinismE0ELb0ELb0ES3_PKS7_PS7_S7_ZZZN2at6native31launch_logcumsumexp_cuda_kernelERKNSE_10TensorBaseESI_lENKUlvE_clEvENKUlvE1_clEvEUlS7_S7_E_S7_EEDaPvRmT3_T4_T5_mT6_P12ihipStream_tbENKUlT_T0_E_clISt17integral_constantIbLb1EESY_IbLb0EEEEDaSU_SV_EUlSU_E0_NS1_11comp_targetILNS1_3genE10ELNS1_11target_archE1200ELNS1_3gpuE4ELNS1_3repE0EEENS1_30default_config_static_selectorELNS0_4arch9wavefront6targetE0EEEvT1_ ; -- Begin function _ZN7rocprim17ROCPRIM_400000_NS6detail17trampoline_kernelINS0_14default_configENS1_20scan_config_selectorIN3c107complexIdEEEEZZNS1_9scan_implILNS1_25lookback_scan_determinismE0ELb0ELb0ES3_PKS7_PS7_S7_ZZZN2at6native31launch_logcumsumexp_cuda_kernelERKNSE_10TensorBaseESI_lENKUlvE_clEvENKUlvE1_clEvEUlS7_S7_E_S7_EEDaPvRmT3_T4_T5_mT6_P12ihipStream_tbENKUlT_T0_E_clISt17integral_constantIbLb1EESY_IbLb0EEEEDaSU_SV_EUlSU_E0_NS1_11comp_targetILNS1_3genE10ELNS1_11target_archE1200ELNS1_3gpuE4ELNS1_3repE0EEENS1_30default_config_static_selectorELNS0_4arch9wavefront6targetE0EEEvT1_
	.p2align	8
	.type	_ZN7rocprim17ROCPRIM_400000_NS6detail17trampoline_kernelINS0_14default_configENS1_20scan_config_selectorIN3c107complexIdEEEEZZNS1_9scan_implILNS1_25lookback_scan_determinismE0ELb0ELb0ES3_PKS7_PS7_S7_ZZZN2at6native31launch_logcumsumexp_cuda_kernelERKNSE_10TensorBaseESI_lENKUlvE_clEvENKUlvE1_clEvEUlS7_S7_E_S7_EEDaPvRmT3_T4_T5_mT6_P12ihipStream_tbENKUlT_T0_E_clISt17integral_constantIbLb1EESY_IbLb0EEEEDaSU_SV_EUlSU_E0_NS1_11comp_targetILNS1_3genE10ELNS1_11target_archE1200ELNS1_3gpuE4ELNS1_3repE0EEENS1_30default_config_static_selectorELNS0_4arch9wavefront6targetE0EEEvT1_,@function
_ZN7rocprim17ROCPRIM_400000_NS6detail17trampoline_kernelINS0_14default_configENS1_20scan_config_selectorIN3c107complexIdEEEEZZNS1_9scan_implILNS1_25lookback_scan_determinismE0ELb0ELb0ES3_PKS7_PS7_S7_ZZZN2at6native31launch_logcumsumexp_cuda_kernelERKNSE_10TensorBaseESI_lENKUlvE_clEvENKUlvE1_clEvEUlS7_S7_E_S7_EEDaPvRmT3_T4_T5_mT6_P12ihipStream_tbENKUlT_T0_E_clISt17integral_constantIbLb1EESY_IbLb0EEEEDaSU_SV_EUlSU_E0_NS1_11comp_targetILNS1_3genE10ELNS1_11target_archE1200ELNS1_3gpuE4ELNS1_3repE0EEENS1_30default_config_static_selectorELNS0_4arch9wavefront6targetE0EEEvT1_: ; @_ZN7rocprim17ROCPRIM_400000_NS6detail17trampoline_kernelINS0_14default_configENS1_20scan_config_selectorIN3c107complexIdEEEEZZNS1_9scan_implILNS1_25lookback_scan_determinismE0ELb0ELb0ES3_PKS7_PS7_S7_ZZZN2at6native31launch_logcumsumexp_cuda_kernelERKNSE_10TensorBaseESI_lENKUlvE_clEvENKUlvE1_clEvEUlS7_S7_E_S7_EEDaPvRmT3_T4_T5_mT6_P12ihipStream_tbENKUlT_T0_E_clISt17integral_constantIbLb1EESY_IbLb0EEEEDaSU_SV_EUlSU_E0_NS1_11comp_targetILNS1_3genE10ELNS1_11target_archE1200ELNS1_3gpuE4ELNS1_3repE0EEENS1_30default_config_static_selectorELNS0_4arch9wavefront6targetE0EEEvT1_
; %bb.0:
	.section	.rodata,"a",@progbits
	.p2align	6, 0x0
	.amdhsa_kernel _ZN7rocprim17ROCPRIM_400000_NS6detail17trampoline_kernelINS0_14default_configENS1_20scan_config_selectorIN3c107complexIdEEEEZZNS1_9scan_implILNS1_25lookback_scan_determinismE0ELb0ELb0ES3_PKS7_PS7_S7_ZZZN2at6native31launch_logcumsumexp_cuda_kernelERKNSE_10TensorBaseESI_lENKUlvE_clEvENKUlvE1_clEvEUlS7_S7_E_S7_EEDaPvRmT3_T4_T5_mT6_P12ihipStream_tbENKUlT_T0_E_clISt17integral_constantIbLb1EESY_IbLb0EEEEDaSU_SV_EUlSU_E0_NS1_11comp_targetILNS1_3genE10ELNS1_11target_archE1200ELNS1_3gpuE4ELNS1_3repE0EEENS1_30default_config_static_selectorELNS0_4arch9wavefront6targetE0EEEvT1_
		.amdhsa_group_segment_fixed_size 0
		.amdhsa_private_segment_fixed_size 0
		.amdhsa_kernarg_size 48
		.amdhsa_user_sgpr_count 2
		.amdhsa_user_sgpr_dispatch_ptr 0
		.amdhsa_user_sgpr_queue_ptr 0
		.amdhsa_user_sgpr_kernarg_segment_ptr 1
		.amdhsa_user_sgpr_dispatch_id 0
		.amdhsa_user_sgpr_private_segment_size 0
		.amdhsa_wavefront_size32 1
		.amdhsa_uses_dynamic_stack 0
		.amdhsa_enable_private_segment 0
		.amdhsa_system_sgpr_workgroup_id_x 1
		.amdhsa_system_sgpr_workgroup_id_y 0
		.amdhsa_system_sgpr_workgroup_id_z 0
		.amdhsa_system_sgpr_workgroup_info 0
		.amdhsa_system_vgpr_workitem_id 0
		.amdhsa_next_free_vgpr 1
		.amdhsa_next_free_sgpr 1
		.amdhsa_reserve_vcc 0
		.amdhsa_float_round_mode_32 0
		.amdhsa_float_round_mode_16_64 0
		.amdhsa_float_denorm_mode_32 3
		.amdhsa_float_denorm_mode_16_64 3
		.amdhsa_fp16_overflow 0
		.amdhsa_workgroup_processor_mode 1
		.amdhsa_memory_ordered 1
		.amdhsa_forward_progress 1
		.amdhsa_inst_pref_size 0
		.amdhsa_round_robin_scheduling 0
		.amdhsa_exception_fp_ieee_invalid_op 0
		.amdhsa_exception_fp_denorm_src 0
		.amdhsa_exception_fp_ieee_div_zero 0
		.amdhsa_exception_fp_ieee_overflow 0
		.amdhsa_exception_fp_ieee_underflow 0
		.amdhsa_exception_fp_ieee_inexact 0
		.amdhsa_exception_int_div_zero 0
	.end_amdhsa_kernel
	.section	.text._ZN7rocprim17ROCPRIM_400000_NS6detail17trampoline_kernelINS0_14default_configENS1_20scan_config_selectorIN3c107complexIdEEEEZZNS1_9scan_implILNS1_25lookback_scan_determinismE0ELb0ELb0ES3_PKS7_PS7_S7_ZZZN2at6native31launch_logcumsumexp_cuda_kernelERKNSE_10TensorBaseESI_lENKUlvE_clEvENKUlvE1_clEvEUlS7_S7_E_S7_EEDaPvRmT3_T4_T5_mT6_P12ihipStream_tbENKUlT_T0_E_clISt17integral_constantIbLb1EESY_IbLb0EEEEDaSU_SV_EUlSU_E0_NS1_11comp_targetILNS1_3genE10ELNS1_11target_archE1200ELNS1_3gpuE4ELNS1_3repE0EEENS1_30default_config_static_selectorELNS0_4arch9wavefront6targetE0EEEvT1_,"axG",@progbits,_ZN7rocprim17ROCPRIM_400000_NS6detail17trampoline_kernelINS0_14default_configENS1_20scan_config_selectorIN3c107complexIdEEEEZZNS1_9scan_implILNS1_25lookback_scan_determinismE0ELb0ELb0ES3_PKS7_PS7_S7_ZZZN2at6native31launch_logcumsumexp_cuda_kernelERKNSE_10TensorBaseESI_lENKUlvE_clEvENKUlvE1_clEvEUlS7_S7_E_S7_EEDaPvRmT3_T4_T5_mT6_P12ihipStream_tbENKUlT_T0_E_clISt17integral_constantIbLb1EESY_IbLb0EEEEDaSU_SV_EUlSU_E0_NS1_11comp_targetILNS1_3genE10ELNS1_11target_archE1200ELNS1_3gpuE4ELNS1_3repE0EEENS1_30default_config_static_selectorELNS0_4arch9wavefront6targetE0EEEvT1_,comdat
.Lfunc_end237:
	.size	_ZN7rocprim17ROCPRIM_400000_NS6detail17trampoline_kernelINS0_14default_configENS1_20scan_config_selectorIN3c107complexIdEEEEZZNS1_9scan_implILNS1_25lookback_scan_determinismE0ELb0ELb0ES3_PKS7_PS7_S7_ZZZN2at6native31launch_logcumsumexp_cuda_kernelERKNSE_10TensorBaseESI_lENKUlvE_clEvENKUlvE1_clEvEUlS7_S7_E_S7_EEDaPvRmT3_T4_T5_mT6_P12ihipStream_tbENKUlT_T0_E_clISt17integral_constantIbLb1EESY_IbLb0EEEEDaSU_SV_EUlSU_E0_NS1_11comp_targetILNS1_3genE10ELNS1_11target_archE1200ELNS1_3gpuE4ELNS1_3repE0EEENS1_30default_config_static_selectorELNS0_4arch9wavefront6targetE0EEEvT1_, .Lfunc_end237-_ZN7rocprim17ROCPRIM_400000_NS6detail17trampoline_kernelINS0_14default_configENS1_20scan_config_selectorIN3c107complexIdEEEEZZNS1_9scan_implILNS1_25lookback_scan_determinismE0ELb0ELb0ES3_PKS7_PS7_S7_ZZZN2at6native31launch_logcumsumexp_cuda_kernelERKNSE_10TensorBaseESI_lENKUlvE_clEvENKUlvE1_clEvEUlS7_S7_E_S7_EEDaPvRmT3_T4_T5_mT6_P12ihipStream_tbENKUlT_T0_E_clISt17integral_constantIbLb1EESY_IbLb0EEEEDaSU_SV_EUlSU_E0_NS1_11comp_targetILNS1_3genE10ELNS1_11target_archE1200ELNS1_3gpuE4ELNS1_3repE0EEENS1_30default_config_static_selectorELNS0_4arch9wavefront6targetE0EEEvT1_
                                        ; -- End function
	.set _ZN7rocprim17ROCPRIM_400000_NS6detail17trampoline_kernelINS0_14default_configENS1_20scan_config_selectorIN3c107complexIdEEEEZZNS1_9scan_implILNS1_25lookback_scan_determinismE0ELb0ELb0ES3_PKS7_PS7_S7_ZZZN2at6native31launch_logcumsumexp_cuda_kernelERKNSE_10TensorBaseESI_lENKUlvE_clEvENKUlvE1_clEvEUlS7_S7_E_S7_EEDaPvRmT3_T4_T5_mT6_P12ihipStream_tbENKUlT_T0_E_clISt17integral_constantIbLb1EESY_IbLb0EEEEDaSU_SV_EUlSU_E0_NS1_11comp_targetILNS1_3genE10ELNS1_11target_archE1200ELNS1_3gpuE4ELNS1_3repE0EEENS1_30default_config_static_selectorELNS0_4arch9wavefront6targetE0EEEvT1_.num_vgpr, 0
	.set _ZN7rocprim17ROCPRIM_400000_NS6detail17trampoline_kernelINS0_14default_configENS1_20scan_config_selectorIN3c107complexIdEEEEZZNS1_9scan_implILNS1_25lookback_scan_determinismE0ELb0ELb0ES3_PKS7_PS7_S7_ZZZN2at6native31launch_logcumsumexp_cuda_kernelERKNSE_10TensorBaseESI_lENKUlvE_clEvENKUlvE1_clEvEUlS7_S7_E_S7_EEDaPvRmT3_T4_T5_mT6_P12ihipStream_tbENKUlT_T0_E_clISt17integral_constantIbLb1EESY_IbLb0EEEEDaSU_SV_EUlSU_E0_NS1_11comp_targetILNS1_3genE10ELNS1_11target_archE1200ELNS1_3gpuE4ELNS1_3repE0EEENS1_30default_config_static_selectorELNS0_4arch9wavefront6targetE0EEEvT1_.num_agpr, 0
	.set _ZN7rocprim17ROCPRIM_400000_NS6detail17trampoline_kernelINS0_14default_configENS1_20scan_config_selectorIN3c107complexIdEEEEZZNS1_9scan_implILNS1_25lookback_scan_determinismE0ELb0ELb0ES3_PKS7_PS7_S7_ZZZN2at6native31launch_logcumsumexp_cuda_kernelERKNSE_10TensorBaseESI_lENKUlvE_clEvENKUlvE1_clEvEUlS7_S7_E_S7_EEDaPvRmT3_T4_T5_mT6_P12ihipStream_tbENKUlT_T0_E_clISt17integral_constantIbLb1EESY_IbLb0EEEEDaSU_SV_EUlSU_E0_NS1_11comp_targetILNS1_3genE10ELNS1_11target_archE1200ELNS1_3gpuE4ELNS1_3repE0EEENS1_30default_config_static_selectorELNS0_4arch9wavefront6targetE0EEEvT1_.numbered_sgpr, 0
	.set _ZN7rocprim17ROCPRIM_400000_NS6detail17trampoline_kernelINS0_14default_configENS1_20scan_config_selectorIN3c107complexIdEEEEZZNS1_9scan_implILNS1_25lookback_scan_determinismE0ELb0ELb0ES3_PKS7_PS7_S7_ZZZN2at6native31launch_logcumsumexp_cuda_kernelERKNSE_10TensorBaseESI_lENKUlvE_clEvENKUlvE1_clEvEUlS7_S7_E_S7_EEDaPvRmT3_T4_T5_mT6_P12ihipStream_tbENKUlT_T0_E_clISt17integral_constantIbLb1EESY_IbLb0EEEEDaSU_SV_EUlSU_E0_NS1_11comp_targetILNS1_3genE10ELNS1_11target_archE1200ELNS1_3gpuE4ELNS1_3repE0EEENS1_30default_config_static_selectorELNS0_4arch9wavefront6targetE0EEEvT1_.num_named_barrier, 0
	.set _ZN7rocprim17ROCPRIM_400000_NS6detail17trampoline_kernelINS0_14default_configENS1_20scan_config_selectorIN3c107complexIdEEEEZZNS1_9scan_implILNS1_25lookback_scan_determinismE0ELb0ELb0ES3_PKS7_PS7_S7_ZZZN2at6native31launch_logcumsumexp_cuda_kernelERKNSE_10TensorBaseESI_lENKUlvE_clEvENKUlvE1_clEvEUlS7_S7_E_S7_EEDaPvRmT3_T4_T5_mT6_P12ihipStream_tbENKUlT_T0_E_clISt17integral_constantIbLb1EESY_IbLb0EEEEDaSU_SV_EUlSU_E0_NS1_11comp_targetILNS1_3genE10ELNS1_11target_archE1200ELNS1_3gpuE4ELNS1_3repE0EEENS1_30default_config_static_selectorELNS0_4arch9wavefront6targetE0EEEvT1_.private_seg_size, 0
	.set _ZN7rocprim17ROCPRIM_400000_NS6detail17trampoline_kernelINS0_14default_configENS1_20scan_config_selectorIN3c107complexIdEEEEZZNS1_9scan_implILNS1_25lookback_scan_determinismE0ELb0ELb0ES3_PKS7_PS7_S7_ZZZN2at6native31launch_logcumsumexp_cuda_kernelERKNSE_10TensorBaseESI_lENKUlvE_clEvENKUlvE1_clEvEUlS7_S7_E_S7_EEDaPvRmT3_T4_T5_mT6_P12ihipStream_tbENKUlT_T0_E_clISt17integral_constantIbLb1EESY_IbLb0EEEEDaSU_SV_EUlSU_E0_NS1_11comp_targetILNS1_3genE10ELNS1_11target_archE1200ELNS1_3gpuE4ELNS1_3repE0EEENS1_30default_config_static_selectorELNS0_4arch9wavefront6targetE0EEEvT1_.uses_vcc, 0
	.set _ZN7rocprim17ROCPRIM_400000_NS6detail17trampoline_kernelINS0_14default_configENS1_20scan_config_selectorIN3c107complexIdEEEEZZNS1_9scan_implILNS1_25lookback_scan_determinismE0ELb0ELb0ES3_PKS7_PS7_S7_ZZZN2at6native31launch_logcumsumexp_cuda_kernelERKNSE_10TensorBaseESI_lENKUlvE_clEvENKUlvE1_clEvEUlS7_S7_E_S7_EEDaPvRmT3_T4_T5_mT6_P12ihipStream_tbENKUlT_T0_E_clISt17integral_constantIbLb1EESY_IbLb0EEEEDaSU_SV_EUlSU_E0_NS1_11comp_targetILNS1_3genE10ELNS1_11target_archE1200ELNS1_3gpuE4ELNS1_3repE0EEENS1_30default_config_static_selectorELNS0_4arch9wavefront6targetE0EEEvT1_.uses_flat_scratch, 0
	.set _ZN7rocprim17ROCPRIM_400000_NS6detail17trampoline_kernelINS0_14default_configENS1_20scan_config_selectorIN3c107complexIdEEEEZZNS1_9scan_implILNS1_25lookback_scan_determinismE0ELb0ELb0ES3_PKS7_PS7_S7_ZZZN2at6native31launch_logcumsumexp_cuda_kernelERKNSE_10TensorBaseESI_lENKUlvE_clEvENKUlvE1_clEvEUlS7_S7_E_S7_EEDaPvRmT3_T4_T5_mT6_P12ihipStream_tbENKUlT_T0_E_clISt17integral_constantIbLb1EESY_IbLb0EEEEDaSU_SV_EUlSU_E0_NS1_11comp_targetILNS1_3genE10ELNS1_11target_archE1200ELNS1_3gpuE4ELNS1_3repE0EEENS1_30default_config_static_selectorELNS0_4arch9wavefront6targetE0EEEvT1_.has_dyn_sized_stack, 0
	.set _ZN7rocprim17ROCPRIM_400000_NS6detail17trampoline_kernelINS0_14default_configENS1_20scan_config_selectorIN3c107complexIdEEEEZZNS1_9scan_implILNS1_25lookback_scan_determinismE0ELb0ELb0ES3_PKS7_PS7_S7_ZZZN2at6native31launch_logcumsumexp_cuda_kernelERKNSE_10TensorBaseESI_lENKUlvE_clEvENKUlvE1_clEvEUlS7_S7_E_S7_EEDaPvRmT3_T4_T5_mT6_P12ihipStream_tbENKUlT_T0_E_clISt17integral_constantIbLb1EESY_IbLb0EEEEDaSU_SV_EUlSU_E0_NS1_11comp_targetILNS1_3genE10ELNS1_11target_archE1200ELNS1_3gpuE4ELNS1_3repE0EEENS1_30default_config_static_selectorELNS0_4arch9wavefront6targetE0EEEvT1_.has_recursion, 0
	.set _ZN7rocprim17ROCPRIM_400000_NS6detail17trampoline_kernelINS0_14default_configENS1_20scan_config_selectorIN3c107complexIdEEEEZZNS1_9scan_implILNS1_25lookback_scan_determinismE0ELb0ELb0ES3_PKS7_PS7_S7_ZZZN2at6native31launch_logcumsumexp_cuda_kernelERKNSE_10TensorBaseESI_lENKUlvE_clEvENKUlvE1_clEvEUlS7_S7_E_S7_EEDaPvRmT3_T4_T5_mT6_P12ihipStream_tbENKUlT_T0_E_clISt17integral_constantIbLb1EESY_IbLb0EEEEDaSU_SV_EUlSU_E0_NS1_11comp_targetILNS1_3genE10ELNS1_11target_archE1200ELNS1_3gpuE4ELNS1_3repE0EEENS1_30default_config_static_selectorELNS0_4arch9wavefront6targetE0EEEvT1_.has_indirect_call, 0
	.section	.AMDGPU.csdata,"",@progbits
; Kernel info:
; codeLenInByte = 0
; TotalNumSgprs: 0
; NumVgprs: 0
; ScratchSize: 0
; MemoryBound: 0
; FloatMode: 240
; IeeeMode: 1
; LDSByteSize: 0 bytes/workgroup (compile time only)
; SGPRBlocks: 0
; VGPRBlocks: 0
; NumSGPRsForWavesPerEU: 1
; NumVGPRsForWavesPerEU: 1
; Occupancy: 16
; WaveLimiterHint : 0
; COMPUTE_PGM_RSRC2:SCRATCH_EN: 0
; COMPUTE_PGM_RSRC2:USER_SGPR: 2
; COMPUTE_PGM_RSRC2:TRAP_HANDLER: 0
; COMPUTE_PGM_RSRC2:TGID_X_EN: 1
; COMPUTE_PGM_RSRC2:TGID_Y_EN: 0
; COMPUTE_PGM_RSRC2:TGID_Z_EN: 0
; COMPUTE_PGM_RSRC2:TIDIG_COMP_CNT: 0
	.section	.text._ZN7rocprim17ROCPRIM_400000_NS6detail17trampoline_kernelINS0_14default_configENS1_20scan_config_selectorIN3c107complexIdEEEEZZNS1_9scan_implILNS1_25lookback_scan_determinismE0ELb0ELb0ES3_PKS7_PS7_S7_ZZZN2at6native31launch_logcumsumexp_cuda_kernelERKNSE_10TensorBaseESI_lENKUlvE_clEvENKUlvE1_clEvEUlS7_S7_E_S7_EEDaPvRmT3_T4_T5_mT6_P12ihipStream_tbENKUlT_T0_E_clISt17integral_constantIbLb1EESY_IbLb0EEEEDaSU_SV_EUlSU_E0_NS1_11comp_targetILNS1_3genE9ELNS1_11target_archE1100ELNS1_3gpuE3ELNS1_3repE0EEENS1_30default_config_static_selectorELNS0_4arch9wavefront6targetE0EEEvT1_,"axG",@progbits,_ZN7rocprim17ROCPRIM_400000_NS6detail17trampoline_kernelINS0_14default_configENS1_20scan_config_selectorIN3c107complexIdEEEEZZNS1_9scan_implILNS1_25lookback_scan_determinismE0ELb0ELb0ES3_PKS7_PS7_S7_ZZZN2at6native31launch_logcumsumexp_cuda_kernelERKNSE_10TensorBaseESI_lENKUlvE_clEvENKUlvE1_clEvEUlS7_S7_E_S7_EEDaPvRmT3_T4_T5_mT6_P12ihipStream_tbENKUlT_T0_E_clISt17integral_constantIbLb1EESY_IbLb0EEEEDaSU_SV_EUlSU_E0_NS1_11comp_targetILNS1_3genE9ELNS1_11target_archE1100ELNS1_3gpuE3ELNS1_3repE0EEENS1_30default_config_static_selectorELNS0_4arch9wavefront6targetE0EEEvT1_,comdat
	.globl	_ZN7rocprim17ROCPRIM_400000_NS6detail17trampoline_kernelINS0_14default_configENS1_20scan_config_selectorIN3c107complexIdEEEEZZNS1_9scan_implILNS1_25lookback_scan_determinismE0ELb0ELb0ES3_PKS7_PS7_S7_ZZZN2at6native31launch_logcumsumexp_cuda_kernelERKNSE_10TensorBaseESI_lENKUlvE_clEvENKUlvE1_clEvEUlS7_S7_E_S7_EEDaPvRmT3_T4_T5_mT6_P12ihipStream_tbENKUlT_T0_E_clISt17integral_constantIbLb1EESY_IbLb0EEEEDaSU_SV_EUlSU_E0_NS1_11comp_targetILNS1_3genE9ELNS1_11target_archE1100ELNS1_3gpuE3ELNS1_3repE0EEENS1_30default_config_static_selectorELNS0_4arch9wavefront6targetE0EEEvT1_ ; -- Begin function _ZN7rocprim17ROCPRIM_400000_NS6detail17trampoline_kernelINS0_14default_configENS1_20scan_config_selectorIN3c107complexIdEEEEZZNS1_9scan_implILNS1_25lookback_scan_determinismE0ELb0ELb0ES3_PKS7_PS7_S7_ZZZN2at6native31launch_logcumsumexp_cuda_kernelERKNSE_10TensorBaseESI_lENKUlvE_clEvENKUlvE1_clEvEUlS7_S7_E_S7_EEDaPvRmT3_T4_T5_mT6_P12ihipStream_tbENKUlT_T0_E_clISt17integral_constantIbLb1EESY_IbLb0EEEEDaSU_SV_EUlSU_E0_NS1_11comp_targetILNS1_3genE9ELNS1_11target_archE1100ELNS1_3gpuE3ELNS1_3repE0EEENS1_30default_config_static_selectorELNS0_4arch9wavefront6targetE0EEEvT1_
	.p2align	8
	.type	_ZN7rocprim17ROCPRIM_400000_NS6detail17trampoline_kernelINS0_14default_configENS1_20scan_config_selectorIN3c107complexIdEEEEZZNS1_9scan_implILNS1_25lookback_scan_determinismE0ELb0ELb0ES3_PKS7_PS7_S7_ZZZN2at6native31launch_logcumsumexp_cuda_kernelERKNSE_10TensorBaseESI_lENKUlvE_clEvENKUlvE1_clEvEUlS7_S7_E_S7_EEDaPvRmT3_T4_T5_mT6_P12ihipStream_tbENKUlT_T0_E_clISt17integral_constantIbLb1EESY_IbLb0EEEEDaSU_SV_EUlSU_E0_NS1_11comp_targetILNS1_3genE9ELNS1_11target_archE1100ELNS1_3gpuE3ELNS1_3repE0EEENS1_30default_config_static_selectorELNS0_4arch9wavefront6targetE0EEEvT1_,@function
_ZN7rocprim17ROCPRIM_400000_NS6detail17trampoline_kernelINS0_14default_configENS1_20scan_config_selectorIN3c107complexIdEEEEZZNS1_9scan_implILNS1_25lookback_scan_determinismE0ELb0ELb0ES3_PKS7_PS7_S7_ZZZN2at6native31launch_logcumsumexp_cuda_kernelERKNSE_10TensorBaseESI_lENKUlvE_clEvENKUlvE1_clEvEUlS7_S7_E_S7_EEDaPvRmT3_T4_T5_mT6_P12ihipStream_tbENKUlT_T0_E_clISt17integral_constantIbLb1EESY_IbLb0EEEEDaSU_SV_EUlSU_E0_NS1_11comp_targetILNS1_3genE9ELNS1_11target_archE1100ELNS1_3gpuE3ELNS1_3repE0EEENS1_30default_config_static_selectorELNS0_4arch9wavefront6targetE0EEEvT1_: ; @_ZN7rocprim17ROCPRIM_400000_NS6detail17trampoline_kernelINS0_14default_configENS1_20scan_config_selectorIN3c107complexIdEEEEZZNS1_9scan_implILNS1_25lookback_scan_determinismE0ELb0ELb0ES3_PKS7_PS7_S7_ZZZN2at6native31launch_logcumsumexp_cuda_kernelERKNSE_10TensorBaseESI_lENKUlvE_clEvENKUlvE1_clEvEUlS7_S7_E_S7_EEDaPvRmT3_T4_T5_mT6_P12ihipStream_tbENKUlT_T0_E_clISt17integral_constantIbLb1EESY_IbLb0EEEEDaSU_SV_EUlSU_E0_NS1_11comp_targetILNS1_3genE9ELNS1_11target_archE1100ELNS1_3gpuE3ELNS1_3repE0EEENS1_30default_config_static_selectorELNS0_4arch9wavefront6targetE0EEEvT1_
; %bb.0:
	.section	.rodata,"a",@progbits
	.p2align	6, 0x0
	.amdhsa_kernel _ZN7rocprim17ROCPRIM_400000_NS6detail17trampoline_kernelINS0_14default_configENS1_20scan_config_selectorIN3c107complexIdEEEEZZNS1_9scan_implILNS1_25lookback_scan_determinismE0ELb0ELb0ES3_PKS7_PS7_S7_ZZZN2at6native31launch_logcumsumexp_cuda_kernelERKNSE_10TensorBaseESI_lENKUlvE_clEvENKUlvE1_clEvEUlS7_S7_E_S7_EEDaPvRmT3_T4_T5_mT6_P12ihipStream_tbENKUlT_T0_E_clISt17integral_constantIbLb1EESY_IbLb0EEEEDaSU_SV_EUlSU_E0_NS1_11comp_targetILNS1_3genE9ELNS1_11target_archE1100ELNS1_3gpuE3ELNS1_3repE0EEENS1_30default_config_static_selectorELNS0_4arch9wavefront6targetE0EEEvT1_
		.amdhsa_group_segment_fixed_size 0
		.amdhsa_private_segment_fixed_size 0
		.amdhsa_kernarg_size 48
		.amdhsa_user_sgpr_count 2
		.amdhsa_user_sgpr_dispatch_ptr 0
		.amdhsa_user_sgpr_queue_ptr 0
		.amdhsa_user_sgpr_kernarg_segment_ptr 1
		.amdhsa_user_sgpr_dispatch_id 0
		.amdhsa_user_sgpr_private_segment_size 0
		.amdhsa_wavefront_size32 1
		.amdhsa_uses_dynamic_stack 0
		.amdhsa_enable_private_segment 0
		.amdhsa_system_sgpr_workgroup_id_x 1
		.amdhsa_system_sgpr_workgroup_id_y 0
		.amdhsa_system_sgpr_workgroup_id_z 0
		.amdhsa_system_sgpr_workgroup_info 0
		.amdhsa_system_vgpr_workitem_id 0
		.amdhsa_next_free_vgpr 1
		.amdhsa_next_free_sgpr 1
		.amdhsa_reserve_vcc 0
		.amdhsa_float_round_mode_32 0
		.amdhsa_float_round_mode_16_64 0
		.amdhsa_float_denorm_mode_32 3
		.amdhsa_float_denorm_mode_16_64 3
		.amdhsa_fp16_overflow 0
		.amdhsa_workgroup_processor_mode 1
		.amdhsa_memory_ordered 1
		.amdhsa_forward_progress 1
		.amdhsa_inst_pref_size 0
		.amdhsa_round_robin_scheduling 0
		.amdhsa_exception_fp_ieee_invalid_op 0
		.amdhsa_exception_fp_denorm_src 0
		.amdhsa_exception_fp_ieee_div_zero 0
		.amdhsa_exception_fp_ieee_overflow 0
		.amdhsa_exception_fp_ieee_underflow 0
		.amdhsa_exception_fp_ieee_inexact 0
		.amdhsa_exception_int_div_zero 0
	.end_amdhsa_kernel
	.section	.text._ZN7rocprim17ROCPRIM_400000_NS6detail17trampoline_kernelINS0_14default_configENS1_20scan_config_selectorIN3c107complexIdEEEEZZNS1_9scan_implILNS1_25lookback_scan_determinismE0ELb0ELb0ES3_PKS7_PS7_S7_ZZZN2at6native31launch_logcumsumexp_cuda_kernelERKNSE_10TensorBaseESI_lENKUlvE_clEvENKUlvE1_clEvEUlS7_S7_E_S7_EEDaPvRmT3_T4_T5_mT6_P12ihipStream_tbENKUlT_T0_E_clISt17integral_constantIbLb1EESY_IbLb0EEEEDaSU_SV_EUlSU_E0_NS1_11comp_targetILNS1_3genE9ELNS1_11target_archE1100ELNS1_3gpuE3ELNS1_3repE0EEENS1_30default_config_static_selectorELNS0_4arch9wavefront6targetE0EEEvT1_,"axG",@progbits,_ZN7rocprim17ROCPRIM_400000_NS6detail17trampoline_kernelINS0_14default_configENS1_20scan_config_selectorIN3c107complexIdEEEEZZNS1_9scan_implILNS1_25lookback_scan_determinismE0ELb0ELb0ES3_PKS7_PS7_S7_ZZZN2at6native31launch_logcumsumexp_cuda_kernelERKNSE_10TensorBaseESI_lENKUlvE_clEvENKUlvE1_clEvEUlS7_S7_E_S7_EEDaPvRmT3_T4_T5_mT6_P12ihipStream_tbENKUlT_T0_E_clISt17integral_constantIbLb1EESY_IbLb0EEEEDaSU_SV_EUlSU_E0_NS1_11comp_targetILNS1_3genE9ELNS1_11target_archE1100ELNS1_3gpuE3ELNS1_3repE0EEENS1_30default_config_static_selectorELNS0_4arch9wavefront6targetE0EEEvT1_,comdat
.Lfunc_end238:
	.size	_ZN7rocprim17ROCPRIM_400000_NS6detail17trampoline_kernelINS0_14default_configENS1_20scan_config_selectorIN3c107complexIdEEEEZZNS1_9scan_implILNS1_25lookback_scan_determinismE0ELb0ELb0ES3_PKS7_PS7_S7_ZZZN2at6native31launch_logcumsumexp_cuda_kernelERKNSE_10TensorBaseESI_lENKUlvE_clEvENKUlvE1_clEvEUlS7_S7_E_S7_EEDaPvRmT3_T4_T5_mT6_P12ihipStream_tbENKUlT_T0_E_clISt17integral_constantIbLb1EESY_IbLb0EEEEDaSU_SV_EUlSU_E0_NS1_11comp_targetILNS1_3genE9ELNS1_11target_archE1100ELNS1_3gpuE3ELNS1_3repE0EEENS1_30default_config_static_selectorELNS0_4arch9wavefront6targetE0EEEvT1_, .Lfunc_end238-_ZN7rocprim17ROCPRIM_400000_NS6detail17trampoline_kernelINS0_14default_configENS1_20scan_config_selectorIN3c107complexIdEEEEZZNS1_9scan_implILNS1_25lookback_scan_determinismE0ELb0ELb0ES3_PKS7_PS7_S7_ZZZN2at6native31launch_logcumsumexp_cuda_kernelERKNSE_10TensorBaseESI_lENKUlvE_clEvENKUlvE1_clEvEUlS7_S7_E_S7_EEDaPvRmT3_T4_T5_mT6_P12ihipStream_tbENKUlT_T0_E_clISt17integral_constantIbLb1EESY_IbLb0EEEEDaSU_SV_EUlSU_E0_NS1_11comp_targetILNS1_3genE9ELNS1_11target_archE1100ELNS1_3gpuE3ELNS1_3repE0EEENS1_30default_config_static_selectorELNS0_4arch9wavefront6targetE0EEEvT1_
                                        ; -- End function
	.set _ZN7rocprim17ROCPRIM_400000_NS6detail17trampoline_kernelINS0_14default_configENS1_20scan_config_selectorIN3c107complexIdEEEEZZNS1_9scan_implILNS1_25lookback_scan_determinismE0ELb0ELb0ES3_PKS7_PS7_S7_ZZZN2at6native31launch_logcumsumexp_cuda_kernelERKNSE_10TensorBaseESI_lENKUlvE_clEvENKUlvE1_clEvEUlS7_S7_E_S7_EEDaPvRmT3_T4_T5_mT6_P12ihipStream_tbENKUlT_T0_E_clISt17integral_constantIbLb1EESY_IbLb0EEEEDaSU_SV_EUlSU_E0_NS1_11comp_targetILNS1_3genE9ELNS1_11target_archE1100ELNS1_3gpuE3ELNS1_3repE0EEENS1_30default_config_static_selectorELNS0_4arch9wavefront6targetE0EEEvT1_.num_vgpr, 0
	.set _ZN7rocprim17ROCPRIM_400000_NS6detail17trampoline_kernelINS0_14default_configENS1_20scan_config_selectorIN3c107complexIdEEEEZZNS1_9scan_implILNS1_25lookback_scan_determinismE0ELb0ELb0ES3_PKS7_PS7_S7_ZZZN2at6native31launch_logcumsumexp_cuda_kernelERKNSE_10TensorBaseESI_lENKUlvE_clEvENKUlvE1_clEvEUlS7_S7_E_S7_EEDaPvRmT3_T4_T5_mT6_P12ihipStream_tbENKUlT_T0_E_clISt17integral_constantIbLb1EESY_IbLb0EEEEDaSU_SV_EUlSU_E0_NS1_11comp_targetILNS1_3genE9ELNS1_11target_archE1100ELNS1_3gpuE3ELNS1_3repE0EEENS1_30default_config_static_selectorELNS0_4arch9wavefront6targetE0EEEvT1_.num_agpr, 0
	.set _ZN7rocprim17ROCPRIM_400000_NS6detail17trampoline_kernelINS0_14default_configENS1_20scan_config_selectorIN3c107complexIdEEEEZZNS1_9scan_implILNS1_25lookback_scan_determinismE0ELb0ELb0ES3_PKS7_PS7_S7_ZZZN2at6native31launch_logcumsumexp_cuda_kernelERKNSE_10TensorBaseESI_lENKUlvE_clEvENKUlvE1_clEvEUlS7_S7_E_S7_EEDaPvRmT3_T4_T5_mT6_P12ihipStream_tbENKUlT_T0_E_clISt17integral_constantIbLb1EESY_IbLb0EEEEDaSU_SV_EUlSU_E0_NS1_11comp_targetILNS1_3genE9ELNS1_11target_archE1100ELNS1_3gpuE3ELNS1_3repE0EEENS1_30default_config_static_selectorELNS0_4arch9wavefront6targetE0EEEvT1_.numbered_sgpr, 0
	.set _ZN7rocprim17ROCPRIM_400000_NS6detail17trampoline_kernelINS0_14default_configENS1_20scan_config_selectorIN3c107complexIdEEEEZZNS1_9scan_implILNS1_25lookback_scan_determinismE0ELb0ELb0ES3_PKS7_PS7_S7_ZZZN2at6native31launch_logcumsumexp_cuda_kernelERKNSE_10TensorBaseESI_lENKUlvE_clEvENKUlvE1_clEvEUlS7_S7_E_S7_EEDaPvRmT3_T4_T5_mT6_P12ihipStream_tbENKUlT_T0_E_clISt17integral_constantIbLb1EESY_IbLb0EEEEDaSU_SV_EUlSU_E0_NS1_11comp_targetILNS1_3genE9ELNS1_11target_archE1100ELNS1_3gpuE3ELNS1_3repE0EEENS1_30default_config_static_selectorELNS0_4arch9wavefront6targetE0EEEvT1_.num_named_barrier, 0
	.set _ZN7rocprim17ROCPRIM_400000_NS6detail17trampoline_kernelINS0_14default_configENS1_20scan_config_selectorIN3c107complexIdEEEEZZNS1_9scan_implILNS1_25lookback_scan_determinismE0ELb0ELb0ES3_PKS7_PS7_S7_ZZZN2at6native31launch_logcumsumexp_cuda_kernelERKNSE_10TensorBaseESI_lENKUlvE_clEvENKUlvE1_clEvEUlS7_S7_E_S7_EEDaPvRmT3_T4_T5_mT6_P12ihipStream_tbENKUlT_T0_E_clISt17integral_constantIbLb1EESY_IbLb0EEEEDaSU_SV_EUlSU_E0_NS1_11comp_targetILNS1_3genE9ELNS1_11target_archE1100ELNS1_3gpuE3ELNS1_3repE0EEENS1_30default_config_static_selectorELNS0_4arch9wavefront6targetE0EEEvT1_.private_seg_size, 0
	.set _ZN7rocprim17ROCPRIM_400000_NS6detail17trampoline_kernelINS0_14default_configENS1_20scan_config_selectorIN3c107complexIdEEEEZZNS1_9scan_implILNS1_25lookback_scan_determinismE0ELb0ELb0ES3_PKS7_PS7_S7_ZZZN2at6native31launch_logcumsumexp_cuda_kernelERKNSE_10TensorBaseESI_lENKUlvE_clEvENKUlvE1_clEvEUlS7_S7_E_S7_EEDaPvRmT3_T4_T5_mT6_P12ihipStream_tbENKUlT_T0_E_clISt17integral_constantIbLb1EESY_IbLb0EEEEDaSU_SV_EUlSU_E0_NS1_11comp_targetILNS1_3genE9ELNS1_11target_archE1100ELNS1_3gpuE3ELNS1_3repE0EEENS1_30default_config_static_selectorELNS0_4arch9wavefront6targetE0EEEvT1_.uses_vcc, 0
	.set _ZN7rocprim17ROCPRIM_400000_NS6detail17trampoline_kernelINS0_14default_configENS1_20scan_config_selectorIN3c107complexIdEEEEZZNS1_9scan_implILNS1_25lookback_scan_determinismE0ELb0ELb0ES3_PKS7_PS7_S7_ZZZN2at6native31launch_logcumsumexp_cuda_kernelERKNSE_10TensorBaseESI_lENKUlvE_clEvENKUlvE1_clEvEUlS7_S7_E_S7_EEDaPvRmT3_T4_T5_mT6_P12ihipStream_tbENKUlT_T0_E_clISt17integral_constantIbLb1EESY_IbLb0EEEEDaSU_SV_EUlSU_E0_NS1_11comp_targetILNS1_3genE9ELNS1_11target_archE1100ELNS1_3gpuE3ELNS1_3repE0EEENS1_30default_config_static_selectorELNS0_4arch9wavefront6targetE0EEEvT1_.uses_flat_scratch, 0
	.set _ZN7rocprim17ROCPRIM_400000_NS6detail17trampoline_kernelINS0_14default_configENS1_20scan_config_selectorIN3c107complexIdEEEEZZNS1_9scan_implILNS1_25lookback_scan_determinismE0ELb0ELb0ES3_PKS7_PS7_S7_ZZZN2at6native31launch_logcumsumexp_cuda_kernelERKNSE_10TensorBaseESI_lENKUlvE_clEvENKUlvE1_clEvEUlS7_S7_E_S7_EEDaPvRmT3_T4_T5_mT6_P12ihipStream_tbENKUlT_T0_E_clISt17integral_constantIbLb1EESY_IbLb0EEEEDaSU_SV_EUlSU_E0_NS1_11comp_targetILNS1_3genE9ELNS1_11target_archE1100ELNS1_3gpuE3ELNS1_3repE0EEENS1_30default_config_static_selectorELNS0_4arch9wavefront6targetE0EEEvT1_.has_dyn_sized_stack, 0
	.set _ZN7rocprim17ROCPRIM_400000_NS6detail17trampoline_kernelINS0_14default_configENS1_20scan_config_selectorIN3c107complexIdEEEEZZNS1_9scan_implILNS1_25lookback_scan_determinismE0ELb0ELb0ES3_PKS7_PS7_S7_ZZZN2at6native31launch_logcumsumexp_cuda_kernelERKNSE_10TensorBaseESI_lENKUlvE_clEvENKUlvE1_clEvEUlS7_S7_E_S7_EEDaPvRmT3_T4_T5_mT6_P12ihipStream_tbENKUlT_T0_E_clISt17integral_constantIbLb1EESY_IbLb0EEEEDaSU_SV_EUlSU_E0_NS1_11comp_targetILNS1_3genE9ELNS1_11target_archE1100ELNS1_3gpuE3ELNS1_3repE0EEENS1_30default_config_static_selectorELNS0_4arch9wavefront6targetE0EEEvT1_.has_recursion, 0
	.set _ZN7rocprim17ROCPRIM_400000_NS6detail17trampoline_kernelINS0_14default_configENS1_20scan_config_selectorIN3c107complexIdEEEEZZNS1_9scan_implILNS1_25lookback_scan_determinismE0ELb0ELb0ES3_PKS7_PS7_S7_ZZZN2at6native31launch_logcumsumexp_cuda_kernelERKNSE_10TensorBaseESI_lENKUlvE_clEvENKUlvE1_clEvEUlS7_S7_E_S7_EEDaPvRmT3_T4_T5_mT6_P12ihipStream_tbENKUlT_T0_E_clISt17integral_constantIbLb1EESY_IbLb0EEEEDaSU_SV_EUlSU_E0_NS1_11comp_targetILNS1_3genE9ELNS1_11target_archE1100ELNS1_3gpuE3ELNS1_3repE0EEENS1_30default_config_static_selectorELNS0_4arch9wavefront6targetE0EEEvT1_.has_indirect_call, 0
	.section	.AMDGPU.csdata,"",@progbits
; Kernel info:
; codeLenInByte = 0
; TotalNumSgprs: 0
; NumVgprs: 0
; ScratchSize: 0
; MemoryBound: 0
; FloatMode: 240
; IeeeMode: 1
; LDSByteSize: 0 bytes/workgroup (compile time only)
; SGPRBlocks: 0
; VGPRBlocks: 0
; NumSGPRsForWavesPerEU: 1
; NumVGPRsForWavesPerEU: 1
; Occupancy: 16
; WaveLimiterHint : 0
; COMPUTE_PGM_RSRC2:SCRATCH_EN: 0
; COMPUTE_PGM_RSRC2:USER_SGPR: 2
; COMPUTE_PGM_RSRC2:TRAP_HANDLER: 0
; COMPUTE_PGM_RSRC2:TGID_X_EN: 1
; COMPUTE_PGM_RSRC2:TGID_Y_EN: 0
; COMPUTE_PGM_RSRC2:TGID_Z_EN: 0
; COMPUTE_PGM_RSRC2:TIDIG_COMP_CNT: 0
	.section	.text._ZN7rocprim17ROCPRIM_400000_NS6detail17trampoline_kernelINS0_14default_configENS1_20scan_config_selectorIN3c107complexIdEEEEZZNS1_9scan_implILNS1_25lookback_scan_determinismE0ELb0ELb0ES3_PKS7_PS7_S7_ZZZN2at6native31launch_logcumsumexp_cuda_kernelERKNSE_10TensorBaseESI_lENKUlvE_clEvENKUlvE1_clEvEUlS7_S7_E_S7_EEDaPvRmT3_T4_T5_mT6_P12ihipStream_tbENKUlT_T0_E_clISt17integral_constantIbLb1EESY_IbLb0EEEEDaSU_SV_EUlSU_E0_NS1_11comp_targetILNS1_3genE8ELNS1_11target_archE1030ELNS1_3gpuE2ELNS1_3repE0EEENS1_30default_config_static_selectorELNS0_4arch9wavefront6targetE0EEEvT1_,"axG",@progbits,_ZN7rocprim17ROCPRIM_400000_NS6detail17trampoline_kernelINS0_14default_configENS1_20scan_config_selectorIN3c107complexIdEEEEZZNS1_9scan_implILNS1_25lookback_scan_determinismE0ELb0ELb0ES3_PKS7_PS7_S7_ZZZN2at6native31launch_logcumsumexp_cuda_kernelERKNSE_10TensorBaseESI_lENKUlvE_clEvENKUlvE1_clEvEUlS7_S7_E_S7_EEDaPvRmT3_T4_T5_mT6_P12ihipStream_tbENKUlT_T0_E_clISt17integral_constantIbLb1EESY_IbLb0EEEEDaSU_SV_EUlSU_E0_NS1_11comp_targetILNS1_3genE8ELNS1_11target_archE1030ELNS1_3gpuE2ELNS1_3repE0EEENS1_30default_config_static_selectorELNS0_4arch9wavefront6targetE0EEEvT1_,comdat
	.globl	_ZN7rocprim17ROCPRIM_400000_NS6detail17trampoline_kernelINS0_14default_configENS1_20scan_config_selectorIN3c107complexIdEEEEZZNS1_9scan_implILNS1_25lookback_scan_determinismE0ELb0ELb0ES3_PKS7_PS7_S7_ZZZN2at6native31launch_logcumsumexp_cuda_kernelERKNSE_10TensorBaseESI_lENKUlvE_clEvENKUlvE1_clEvEUlS7_S7_E_S7_EEDaPvRmT3_T4_T5_mT6_P12ihipStream_tbENKUlT_T0_E_clISt17integral_constantIbLb1EESY_IbLb0EEEEDaSU_SV_EUlSU_E0_NS1_11comp_targetILNS1_3genE8ELNS1_11target_archE1030ELNS1_3gpuE2ELNS1_3repE0EEENS1_30default_config_static_selectorELNS0_4arch9wavefront6targetE0EEEvT1_ ; -- Begin function _ZN7rocprim17ROCPRIM_400000_NS6detail17trampoline_kernelINS0_14default_configENS1_20scan_config_selectorIN3c107complexIdEEEEZZNS1_9scan_implILNS1_25lookback_scan_determinismE0ELb0ELb0ES3_PKS7_PS7_S7_ZZZN2at6native31launch_logcumsumexp_cuda_kernelERKNSE_10TensorBaseESI_lENKUlvE_clEvENKUlvE1_clEvEUlS7_S7_E_S7_EEDaPvRmT3_T4_T5_mT6_P12ihipStream_tbENKUlT_T0_E_clISt17integral_constantIbLb1EESY_IbLb0EEEEDaSU_SV_EUlSU_E0_NS1_11comp_targetILNS1_3genE8ELNS1_11target_archE1030ELNS1_3gpuE2ELNS1_3repE0EEENS1_30default_config_static_selectorELNS0_4arch9wavefront6targetE0EEEvT1_
	.p2align	8
	.type	_ZN7rocprim17ROCPRIM_400000_NS6detail17trampoline_kernelINS0_14default_configENS1_20scan_config_selectorIN3c107complexIdEEEEZZNS1_9scan_implILNS1_25lookback_scan_determinismE0ELb0ELb0ES3_PKS7_PS7_S7_ZZZN2at6native31launch_logcumsumexp_cuda_kernelERKNSE_10TensorBaseESI_lENKUlvE_clEvENKUlvE1_clEvEUlS7_S7_E_S7_EEDaPvRmT3_T4_T5_mT6_P12ihipStream_tbENKUlT_T0_E_clISt17integral_constantIbLb1EESY_IbLb0EEEEDaSU_SV_EUlSU_E0_NS1_11comp_targetILNS1_3genE8ELNS1_11target_archE1030ELNS1_3gpuE2ELNS1_3repE0EEENS1_30default_config_static_selectorELNS0_4arch9wavefront6targetE0EEEvT1_,@function
_ZN7rocprim17ROCPRIM_400000_NS6detail17trampoline_kernelINS0_14default_configENS1_20scan_config_selectorIN3c107complexIdEEEEZZNS1_9scan_implILNS1_25lookback_scan_determinismE0ELb0ELb0ES3_PKS7_PS7_S7_ZZZN2at6native31launch_logcumsumexp_cuda_kernelERKNSE_10TensorBaseESI_lENKUlvE_clEvENKUlvE1_clEvEUlS7_S7_E_S7_EEDaPvRmT3_T4_T5_mT6_P12ihipStream_tbENKUlT_T0_E_clISt17integral_constantIbLb1EESY_IbLb0EEEEDaSU_SV_EUlSU_E0_NS1_11comp_targetILNS1_3genE8ELNS1_11target_archE1030ELNS1_3gpuE2ELNS1_3repE0EEENS1_30default_config_static_selectorELNS0_4arch9wavefront6targetE0EEEvT1_: ; @_ZN7rocprim17ROCPRIM_400000_NS6detail17trampoline_kernelINS0_14default_configENS1_20scan_config_selectorIN3c107complexIdEEEEZZNS1_9scan_implILNS1_25lookback_scan_determinismE0ELb0ELb0ES3_PKS7_PS7_S7_ZZZN2at6native31launch_logcumsumexp_cuda_kernelERKNSE_10TensorBaseESI_lENKUlvE_clEvENKUlvE1_clEvEUlS7_S7_E_S7_EEDaPvRmT3_T4_T5_mT6_P12ihipStream_tbENKUlT_T0_E_clISt17integral_constantIbLb1EESY_IbLb0EEEEDaSU_SV_EUlSU_E0_NS1_11comp_targetILNS1_3genE8ELNS1_11target_archE1030ELNS1_3gpuE2ELNS1_3repE0EEENS1_30default_config_static_selectorELNS0_4arch9wavefront6targetE0EEEvT1_
; %bb.0:
	.section	.rodata,"a",@progbits
	.p2align	6, 0x0
	.amdhsa_kernel _ZN7rocprim17ROCPRIM_400000_NS6detail17trampoline_kernelINS0_14default_configENS1_20scan_config_selectorIN3c107complexIdEEEEZZNS1_9scan_implILNS1_25lookback_scan_determinismE0ELb0ELb0ES3_PKS7_PS7_S7_ZZZN2at6native31launch_logcumsumexp_cuda_kernelERKNSE_10TensorBaseESI_lENKUlvE_clEvENKUlvE1_clEvEUlS7_S7_E_S7_EEDaPvRmT3_T4_T5_mT6_P12ihipStream_tbENKUlT_T0_E_clISt17integral_constantIbLb1EESY_IbLb0EEEEDaSU_SV_EUlSU_E0_NS1_11comp_targetILNS1_3genE8ELNS1_11target_archE1030ELNS1_3gpuE2ELNS1_3repE0EEENS1_30default_config_static_selectorELNS0_4arch9wavefront6targetE0EEEvT1_
		.amdhsa_group_segment_fixed_size 0
		.amdhsa_private_segment_fixed_size 0
		.amdhsa_kernarg_size 48
		.amdhsa_user_sgpr_count 2
		.amdhsa_user_sgpr_dispatch_ptr 0
		.amdhsa_user_sgpr_queue_ptr 0
		.amdhsa_user_sgpr_kernarg_segment_ptr 1
		.amdhsa_user_sgpr_dispatch_id 0
		.amdhsa_user_sgpr_private_segment_size 0
		.amdhsa_wavefront_size32 1
		.amdhsa_uses_dynamic_stack 0
		.amdhsa_enable_private_segment 0
		.amdhsa_system_sgpr_workgroup_id_x 1
		.amdhsa_system_sgpr_workgroup_id_y 0
		.amdhsa_system_sgpr_workgroup_id_z 0
		.amdhsa_system_sgpr_workgroup_info 0
		.amdhsa_system_vgpr_workitem_id 0
		.amdhsa_next_free_vgpr 1
		.amdhsa_next_free_sgpr 1
		.amdhsa_reserve_vcc 0
		.amdhsa_float_round_mode_32 0
		.amdhsa_float_round_mode_16_64 0
		.amdhsa_float_denorm_mode_32 3
		.amdhsa_float_denorm_mode_16_64 3
		.amdhsa_fp16_overflow 0
		.amdhsa_workgroup_processor_mode 1
		.amdhsa_memory_ordered 1
		.amdhsa_forward_progress 1
		.amdhsa_inst_pref_size 0
		.amdhsa_round_robin_scheduling 0
		.amdhsa_exception_fp_ieee_invalid_op 0
		.amdhsa_exception_fp_denorm_src 0
		.amdhsa_exception_fp_ieee_div_zero 0
		.amdhsa_exception_fp_ieee_overflow 0
		.amdhsa_exception_fp_ieee_underflow 0
		.amdhsa_exception_fp_ieee_inexact 0
		.amdhsa_exception_int_div_zero 0
	.end_amdhsa_kernel
	.section	.text._ZN7rocprim17ROCPRIM_400000_NS6detail17trampoline_kernelINS0_14default_configENS1_20scan_config_selectorIN3c107complexIdEEEEZZNS1_9scan_implILNS1_25lookback_scan_determinismE0ELb0ELb0ES3_PKS7_PS7_S7_ZZZN2at6native31launch_logcumsumexp_cuda_kernelERKNSE_10TensorBaseESI_lENKUlvE_clEvENKUlvE1_clEvEUlS7_S7_E_S7_EEDaPvRmT3_T4_T5_mT6_P12ihipStream_tbENKUlT_T0_E_clISt17integral_constantIbLb1EESY_IbLb0EEEEDaSU_SV_EUlSU_E0_NS1_11comp_targetILNS1_3genE8ELNS1_11target_archE1030ELNS1_3gpuE2ELNS1_3repE0EEENS1_30default_config_static_selectorELNS0_4arch9wavefront6targetE0EEEvT1_,"axG",@progbits,_ZN7rocprim17ROCPRIM_400000_NS6detail17trampoline_kernelINS0_14default_configENS1_20scan_config_selectorIN3c107complexIdEEEEZZNS1_9scan_implILNS1_25lookback_scan_determinismE0ELb0ELb0ES3_PKS7_PS7_S7_ZZZN2at6native31launch_logcumsumexp_cuda_kernelERKNSE_10TensorBaseESI_lENKUlvE_clEvENKUlvE1_clEvEUlS7_S7_E_S7_EEDaPvRmT3_T4_T5_mT6_P12ihipStream_tbENKUlT_T0_E_clISt17integral_constantIbLb1EESY_IbLb0EEEEDaSU_SV_EUlSU_E0_NS1_11comp_targetILNS1_3genE8ELNS1_11target_archE1030ELNS1_3gpuE2ELNS1_3repE0EEENS1_30default_config_static_selectorELNS0_4arch9wavefront6targetE0EEEvT1_,comdat
.Lfunc_end239:
	.size	_ZN7rocprim17ROCPRIM_400000_NS6detail17trampoline_kernelINS0_14default_configENS1_20scan_config_selectorIN3c107complexIdEEEEZZNS1_9scan_implILNS1_25lookback_scan_determinismE0ELb0ELb0ES3_PKS7_PS7_S7_ZZZN2at6native31launch_logcumsumexp_cuda_kernelERKNSE_10TensorBaseESI_lENKUlvE_clEvENKUlvE1_clEvEUlS7_S7_E_S7_EEDaPvRmT3_T4_T5_mT6_P12ihipStream_tbENKUlT_T0_E_clISt17integral_constantIbLb1EESY_IbLb0EEEEDaSU_SV_EUlSU_E0_NS1_11comp_targetILNS1_3genE8ELNS1_11target_archE1030ELNS1_3gpuE2ELNS1_3repE0EEENS1_30default_config_static_selectorELNS0_4arch9wavefront6targetE0EEEvT1_, .Lfunc_end239-_ZN7rocprim17ROCPRIM_400000_NS6detail17trampoline_kernelINS0_14default_configENS1_20scan_config_selectorIN3c107complexIdEEEEZZNS1_9scan_implILNS1_25lookback_scan_determinismE0ELb0ELb0ES3_PKS7_PS7_S7_ZZZN2at6native31launch_logcumsumexp_cuda_kernelERKNSE_10TensorBaseESI_lENKUlvE_clEvENKUlvE1_clEvEUlS7_S7_E_S7_EEDaPvRmT3_T4_T5_mT6_P12ihipStream_tbENKUlT_T0_E_clISt17integral_constantIbLb1EESY_IbLb0EEEEDaSU_SV_EUlSU_E0_NS1_11comp_targetILNS1_3genE8ELNS1_11target_archE1030ELNS1_3gpuE2ELNS1_3repE0EEENS1_30default_config_static_selectorELNS0_4arch9wavefront6targetE0EEEvT1_
                                        ; -- End function
	.set _ZN7rocprim17ROCPRIM_400000_NS6detail17trampoline_kernelINS0_14default_configENS1_20scan_config_selectorIN3c107complexIdEEEEZZNS1_9scan_implILNS1_25lookback_scan_determinismE0ELb0ELb0ES3_PKS7_PS7_S7_ZZZN2at6native31launch_logcumsumexp_cuda_kernelERKNSE_10TensorBaseESI_lENKUlvE_clEvENKUlvE1_clEvEUlS7_S7_E_S7_EEDaPvRmT3_T4_T5_mT6_P12ihipStream_tbENKUlT_T0_E_clISt17integral_constantIbLb1EESY_IbLb0EEEEDaSU_SV_EUlSU_E0_NS1_11comp_targetILNS1_3genE8ELNS1_11target_archE1030ELNS1_3gpuE2ELNS1_3repE0EEENS1_30default_config_static_selectorELNS0_4arch9wavefront6targetE0EEEvT1_.num_vgpr, 0
	.set _ZN7rocprim17ROCPRIM_400000_NS6detail17trampoline_kernelINS0_14default_configENS1_20scan_config_selectorIN3c107complexIdEEEEZZNS1_9scan_implILNS1_25lookback_scan_determinismE0ELb0ELb0ES3_PKS7_PS7_S7_ZZZN2at6native31launch_logcumsumexp_cuda_kernelERKNSE_10TensorBaseESI_lENKUlvE_clEvENKUlvE1_clEvEUlS7_S7_E_S7_EEDaPvRmT3_T4_T5_mT6_P12ihipStream_tbENKUlT_T0_E_clISt17integral_constantIbLb1EESY_IbLb0EEEEDaSU_SV_EUlSU_E0_NS1_11comp_targetILNS1_3genE8ELNS1_11target_archE1030ELNS1_3gpuE2ELNS1_3repE0EEENS1_30default_config_static_selectorELNS0_4arch9wavefront6targetE0EEEvT1_.num_agpr, 0
	.set _ZN7rocprim17ROCPRIM_400000_NS6detail17trampoline_kernelINS0_14default_configENS1_20scan_config_selectorIN3c107complexIdEEEEZZNS1_9scan_implILNS1_25lookback_scan_determinismE0ELb0ELb0ES3_PKS7_PS7_S7_ZZZN2at6native31launch_logcumsumexp_cuda_kernelERKNSE_10TensorBaseESI_lENKUlvE_clEvENKUlvE1_clEvEUlS7_S7_E_S7_EEDaPvRmT3_T4_T5_mT6_P12ihipStream_tbENKUlT_T0_E_clISt17integral_constantIbLb1EESY_IbLb0EEEEDaSU_SV_EUlSU_E0_NS1_11comp_targetILNS1_3genE8ELNS1_11target_archE1030ELNS1_3gpuE2ELNS1_3repE0EEENS1_30default_config_static_selectorELNS0_4arch9wavefront6targetE0EEEvT1_.numbered_sgpr, 0
	.set _ZN7rocprim17ROCPRIM_400000_NS6detail17trampoline_kernelINS0_14default_configENS1_20scan_config_selectorIN3c107complexIdEEEEZZNS1_9scan_implILNS1_25lookback_scan_determinismE0ELb0ELb0ES3_PKS7_PS7_S7_ZZZN2at6native31launch_logcumsumexp_cuda_kernelERKNSE_10TensorBaseESI_lENKUlvE_clEvENKUlvE1_clEvEUlS7_S7_E_S7_EEDaPvRmT3_T4_T5_mT6_P12ihipStream_tbENKUlT_T0_E_clISt17integral_constantIbLb1EESY_IbLb0EEEEDaSU_SV_EUlSU_E0_NS1_11comp_targetILNS1_3genE8ELNS1_11target_archE1030ELNS1_3gpuE2ELNS1_3repE0EEENS1_30default_config_static_selectorELNS0_4arch9wavefront6targetE0EEEvT1_.num_named_barrier, 0
	.set _ZN7rocprim17ROCPRIM_400000_NS6detail17trampoline_kernelINS0_14default_configENS1_20scan_config_selectorIN3c107complexIdEEEEZZNS1_9scan_implILNS1_25lookback_scan_determinismE0ELb0ELb0ES3_PKS7_PS7_S7_ZZZN2at6native31launch_logcumsumexp_cuda_kernelERKNSE_10TensorBaseESI_lENKUlvE_clEvENKUlvE1_clEvEUlS7_S7_E_S7_EEDaPvRmT3_T4_T5_mT6_P12ihipStream_tbENKUlT_T0_E_clISt17integral_constantIbLb1EESY_IbLb0EEEEDaSU_SV_EUlSU_E0_NS1_11comp_targetILNS1_3genE8ELNS1_11target_archE1030ELNS1_3gpuE2ELNS1_3repE0EEENS1_30default_config_static_selectorELNS0_4arch9wavefront6targetE0EEEvT1_.private_seg_size, 0
	.set _ZN7rocprim17ROCPRIM_400000_NS6detail17trampoline_kernelINS0_14default_configENS1_20scan_config_selectorIN3c107complexIdEEEEZZNS1_9scan_implILNS1_25lookback_scan_determinismE0ELb0ELb0ES3_PKS7_PS7_S7_ZZZN2at6native31launch_logcumsumexp_cuda_kernelERKNSE_10TensorBaseESI_lENKUlvE_clEvENKUlvE1_clEvEUlS7_S7_E_S7_EEDaPvRmT3_T4_T5_mT6_P12ihipStream_tbENKUlT_T0_E_clISt17integral_constantIbLb1EESY_IbLb0EEEEDaSU_SV_EUlSU_E0_NS1_11comp_targetILNS1_3genE8ELNS1_11target_archE1030ELNS1_3gpuE2ELNS1_3repE0EEENS1_30default_config_static_selectorELNS0_4arch9wavefront6targetE0EEEvT1_.uses_vcc, 0
	.set _ZN7rocprim17ROCPRIM_400000_NS6detail17trampoline_kernelINS0_14default_configENS1_20scan_config_selectorIN3c107complexIdEEEEZZNS1_9scan_implILNS1_25lookback_scan_determinismE0ELb0ELb0ES3_PKS7_PS7_S7_ZZZN2at6native31launch_logcumsumexp_cuda_kernelERKNSE_10TensorBaseESI_lENKUlvE_clEvENKUlvE1_clEvEUlS7_S7_E_S7_EEDaPvRmT3_T4_T5_mT6_P12ihipStream_tbENKUlT_T0_E_clISt17integral_constantIbLb1EESY_IbLb0EEEEDaSU_SV_EUlSU_E0_NS1_11comp_targetILNS1_3genE8ELNS1_11target_archE1030ELNS1_3gpuE2ELNS1_3repE0EEENS1_30default_config_static_selectorELNS0_4arch9wavefront6targetE0EEEvT1_.uses_flat_scratch, 0
	.set _ZN7rocprim17ROCPRIM_400000_NS6detail17trampoline_kernelINS0_14default_configENS1_20scan_config_selectorIN3c107complexIdEEEEZZNS1_9scan_implILNS1_25lookback_scan_determinismE0ELb0ELb0ES3_PKS7_PS7_S7_ZZZN2at6native31launch_logcumsumexp_cuda_kernelERKNSE_10TensorBaseESI_lENKUlvE_clEvENKUlvE1_clEvEUlS7_S7_E_S7_EEDaPvRmT3_T4_T5_mT6_P12ihipStream_tbENKUlT_T0_E_clISt17integral_constantIbLb1EESY_IbLb0EEEEDaSU_SV_EUlSU_E0_NS1_11comp_targetILNS1_3genE8ELNS1_11target_archE1030ELNS1_3gpuE2ELNS1_3repE0EEENS1_30default_config_static_selectorELNS0_4arch9wavefront6targetE0EEEvT1_.has_dyn_sized_stack, 0
	.set _ZN7rocprim17ROCPRIM_400000_NS6detail17trampoline_kernelINS0_14default_configENS1_20scan_config_selectorIN3c107complexIdEEEEZZNS1_9scan_implILNS1_25lookback_scan_determinismE0ELb0ELb0ES3_PKS7_PS7_S7_ZZZN2at6native31launch_logcumsumexp_cuda_kernelERKNSE_10TensorBaseESI_lENKUlvE_clEvENKUlvE1_clEvEUlS7_S7_E_S7_EEDaPvRmT3_T4_T5_mT6_P12ihipStream_tbENKUlT_T0_E_clISt17integral_constantIbLb1EESY_IbLb0EEEEDaSU_SV_EUlSU_E0_NS1_11comp_targetILNS1_3genE8ELNS1_11target_archE1030ELNS1_3gpuE2ELNS1_3repE0EEENS1_30default_config_static_selectorELNS0_4arch9wavefront6targetE0EEEvT1_.has_recursion, 0
	.set _ZN7rocprim17ROCPRIM_400000_NS6detail17trampoline_kernelINS0_14default_configENS1_20scan_config_selectorIN3c107complexIdEEEEZZNS1_9scan_implILNS1_25lookback_scan_determinismE0ELb0ELb0ES3_PKS7_PS7_S7_ZZZN2at6native31launch_logcumsumexp_cuda_kernelERKNSE_10TensorBaseESI_lENKUlvE_clEvENKUlvE1_clEvEUlS7_S7_E_S7_EEDaPvRmT3_T4_T5_mT6_P12ihipStream_tbENKUlT_T0_E_clISt17integral_constantIbLb1EESY_IbLb0EEEEDaSU_SV_EUlSU_E0_NS1_11comp_targetILNS1_3genE8ELNS1_11target_archE1030ELNS1_3gpuE2ELNS1_3repE0EEENS1_30default_config_static_selectorELNS0_4arch9wavefront6targetE0EEEvT1_.has_indirect_call, 0
	.section	.AMDGPU.csdata,"",@progbits
; Kernel info:
; codeLenInByte = 0
; TotalNumSgprs: 0
; NumVgprs: 0
; ScratchSize: 0
; MemoryBound: 0
; FloatMode: 240
; IeeeMode: 1
; LDSByteSize: 0 bytes/workgroup (compile time only)
; SGPRBlocks: 0
; VGPRBlocks: 0
; NumSGPRsForWavesPerEU: 1
; NumVGPRsForWavesPerEU: 1
; Occupancy: 16
; WaveLimiterHint : 0
; COMPUTE_PGM_RSRC2:SCRATCH_EN: 0
; COMPUTE_PGM_RSRC2:USER_SGPR: 2
; COMPUTE_PGM_RSRC2:TRAP_HANDLER: 0
; COMPUTE_PGM_RSRC2:TGID_X_EN: 1
; COMPUTE_PGM_RSRC2:TGID_Y_EN: 0
; COMPUTE_PGM_RSRC2:TGID_Z_EN: 0
; COMPUTE_PGM_RSRC2:TIDIG_COMP_CNT: 0
	.section	.text._ZN7rocprim17ROCPRIM_400000_NS6detail31init_lookback_scan_state_kernelINS1_19lookback_scan_stateIN3c107complexIdEELb0ELb0EEENS1_16block_id_wrapperIjLb1EEEEEvT_jT0_jPNSA_10value_typeE,"axG",@progbits,_ZN7rocprim17ROCPRIM_400000_NS6detail31init_lookback_scan_state_kernelINS1_19lookback_scan_stateIN3c107complexIdEELb0ELb0EEENS1_16block_id_wrapperIjLb1EEEEEvT_jT0_jPNSA_10value_typeE,comdat
	.protected	_ZN7rocprim17ROCPRIM_400000_NS6detail31init_lookback_scan_state_kernelINS1_19lookback_scan_stateIN3c107complexIdEELb0ELb0EEENS1_16block_id_wrapperIjLb1EEEEEvT_jT0_jPNSA_10value_typeE ; -- Begin function _ZN7rocprim17ROCPRIM_400000_NS6detail31init_lookback_scan_state_kernelINS1_19lookback_scan_stateIN3c107complexIdEELb0ELb0EEENS1_16block_id_wrapperIjLb1EEEEEvT_jT0_jPNSA_10value_typeE
	.globl	_ZN7rocprim17ROCPRIM_400000_NS6detail31init_lookback_scan_state_kernelINS1_19lookback_scan_stateIN3c107complexIdEELb0ELb0EEENS1_16block_id_wrapperIjLb1EEEEEvT_jT0_jPNSA_10value_typeE
	.p2align	8
	.type	_ZN7rocprim17ROCPRIM_400000_NS6detail31init_lookback_scan_state_kernelINS1_19lookback_scan_stateIN3c107complexIdEELb0ELb0EEENS1_16block_id_wrapperIjLb1EEEEEvT_jT0_jPNSA_10value_typeE,@function
_ZN7rocprim17ROCPRIM_400000_NS6detail31init_lookback_scan_state_kernelINS1_19lookback_scan_stateIN3c107complexIdEELb0ELb0EEENS1_16block_id_wrapperIjLb1EEEEEvT_jT0_jPNSA_10value_typeE: ; @_ZN7rocprim17ROCPRIM_400000_NS6detail31init_lookback_scan_state_kernelINS1_19lookback_scan_stateIN3c107complexIdEELb0ELb0EEENS1_16block_id_wrapperIjLb1EEEEEvT_jT0_jPNSA_10value_typeE
; %bb.0:
	s_clause 0x2
	s_load_b32 s4, s[0:1], 0x44
	s_load_b64 s[2:3], s[0:1], 0x30
	s_load_b96 s[8:10], s[0:1], 0x10
	s_wait_kmcnt 0x0
	s_and_b32 s4, s4, 0xffff
	s_cmp_eq_u64 s[2:3], 0
	v_mad_co_u64_u32 v[0:1], null, ttmp9, s4, v[0:1]
	s_cbranch_scc1 .LBB240_7
; %bb.1:
	s_load_b32 s4, s[0:1], 0x28
	s_mov_b32 s13, 0
	s_mov_b32 s11, exec_lo
	s_wait_kmcnt 0x0
	s_cmp_lt_u32 s4, s10
	s_cselect_b32 s5, s4, 0
	s_wait_alu 0xfffe
	v_cmpx_eq_u32_e64 s5, v0
	s_cbranch_execz .LBB240_6
; %bb.2:
	s_add_co_i32 s12, s4, 32
	s_load_b128 s[4:7], s[0:1], 0x0
	v_mov_b32_e32 v1, s12
	global_load_u8 v1, v1, s[8:9] scope:SCOPE_DEV
	s_wait_loadcnt 0x0
	v_and_b32_e32 v2, 0xffff, v1
	v_readfirstlane_b32 s16, v1
	s_delay_alu instid0(VALU_DEP_2)
	v_cmp_ne_u32_e32 vcc_lo, 0, v2
	s_cbranch_vccnz .LBB240_5
; %bb.3:
	v_mov_b32_e32 v1, 0
	s_add_nc_u64 s[14:15], s[8:9], s[12:13]
.LBB240_4:                              ; =>This Inner Loop Header: Depth=1
	global_load_u8 v2, v1, s[14:15] scope:SCOPE_DEV
	s_wait_loadcnt 0x0
	v_and_b32_e32 v3, 0xffff, v2
	v_readfirstlane_b32 s16, v2
	s_delay_alu instid0(VALU_DEP_2)
	v_cmp_eq_u32_e32 vcc_lo, 0, v3
	s_cbranch_vccnz .LBB240_4
.LBB240_5:
	s_and_b32 s14, 0xffff, s16
	v_mov_b32_e32 v5, 0
	s_cmp_eq_u32 s14, 1
	global_inv scope:SCOPE_DEV
	s_wait_kmcnt 0x0
	s_cselect_b32 s5, s5, s7
	s_cselect_b32 s4, s4, s6
	s_lshl_b64 s[6:7], s[12:13], 4
	s_wait_alu 0xfffe
	s_add_nc_u64 s[4:5], s[4:5], s[6:7]
	global_load_b128 v[1:4], v5, s[4:5]
	s_wait_loadcnt 0x0
	global_store_b128 v5, v[1:4], s[2:3]
.LBB240_6:
	s_or_b32 exec_lo, exec_lo, s11
.LBB240_7:
	s_delay_alu instid0(SALU_CYCLE_1)
	s_mov_b32 s2, exec_lo
	v_cmpx_eq_u32_e32 0, v0
	s_cbranch_execz .LBB240_9
; %bb.8:
	s_load_b64 s[0:1], s[0:1], 0x20
	v_mov_b32_e32 v1, 0
	s_wait_kmcnt 0x0
	global_store_b32 v1, v1, s[0:1]
.LBB240_9:
	s_or_b32 exec_lo, exec_lo, s2
	s_delay_alu instid0(SALU_CYCLE_1)
	s_mov_b32 s0, exec_lo
	v_cmpx_gt_u32_e64 s10, v0
	s_cbranch_execz .LBB240_11
; %bb.10:
	v_dual_mov_b32 v2, 0 :: v_dual_add_nc_u32 v1, 32, v0
	global_store_b8 v1, v2, s[8:9]
.LBB240_11:
	s_wait_alu 0xfffe
	s_or_b32 exec_lo, exec_lo, s0
	s_delay_alu instid0(SALU_CYCLE_1)
	s_mov_b32 s0, exec_lo
	v_cmpx_gt_u32_e32 32, v0
	s_cbranch_execz .LBB240_13
; %bb.12:
	v_mov_b32_e32 v1, 0xff
	global_store_b8 v0, v1, s[8:9]
.LBB240_13:
	s_endpgm
	.section	.rodata,"a",@progbits
	.p2align	6, 0x0
	.amdhsa_kernel _ZN7rocprim17ROCPRIM_400000_NS6detail31init_lookback_scan_state_kernelINS1_19lookback_scan_stateIN3c107complexIdEELb0ELb0EEENS1_16block_id_wrapperIjLb1EEEEEvT_jT0_jPNSA_10value_typeE
		.amdhsa_group_segment_fixed_size 0
		.amdhsa_private_segment_fixed_size 0
		.amdhsa_kernarg_size 312
		.amdhsa_user_sgpr_count 2
		.amdhsa_user_sgpr_dispatch_ptr 0
		.amdhsa_user_sgpr_queue_ptr 0
		.amdhsa_user_sgpr_kernarg_segment_ptr 1
		.amdhsa_user_sgpr_dispatch_id 0
		.amdhsa_user_sgpr_private_segment_size 0
		.amdhsa_wavefront_size32 1
		.amdhsa_uses_dynamic_stack 0
		.amdhsa_enable_private_segment 0
		.amdhsa_system_sgpr_workgroup_id_x 1
		.amdhsa_system_sgpr_workgroup_id_y 0
		.amdhsa_system_sgpr_workgroup_id_z 0
		.amdhsa_system_sgpr_workgroup_info 0
		.amdhsa_system_vgpr_workitem_id 0
		.amdhsa_next_free_vgpr 6
		.amdhsa_next_free_sgpr 17
		.amdhsa_reserve_vcc 1
		.amdhsa_float_round_mode_32 0
		.amdhsa_float_round_mode_16_64 0
		.amdhsa_float_denorm_mode_32 3
		.amdhsa_float_denorm_mode_16_64 3
		.amdhsa_fp16_overflow 0
		.amdhsa_workgroup_processor_mode 1
		.amdhsa_memory_ordered 1
		.amdhsa_forward_progress 1
		.amdhsa_inst_pref_size 4
		.amdhsa_round_robin_scheduling 0
		.amdhsa_exception_fp_ieee_invalid_op 0
		.amdhsa_exception_fp_denorm_src 0
		.amdhsa_exception_fp_ieee_div_zero 0
		.amdhsa_exception_fp_ieee_overflow 0
		.amdhsa_exception_fp_ieee_underflow 0
		.amdhsa_exception_fp_ieee_inexact 0
		.amdhsa_exception_int_div_zero 0
	.end_amdhsa_kernel
	.section	.text._ZN7rocprim17ROCPRIM_400000_NS6detail31init_lookback_scan_state_kernelINS1_19lookback_scan_stateIN3c107complexIdEELb0ELb0EEENS1_16block_id_wrapperIjLb1EEEEEvT_jT0_jPNSA_10value_typeE,"axG",@progbits,_ZN7rocprim17ROCPRIM_400000_NS6detail31init_lookback_scan_state_kernelINS1_19lookback_scan_stateIN3c107complexIdEELb0ELb0EEENS1_16block_id_wrapperIjLb1EEEEEvT_jT0_jPNSA_10value_typeE,comdat
.Lfunc_end240:
	.size	_ZN7rocprim17ROCPRIM_400000_NS6detail31init_lookback_scan_state_kernelINS1_19lookback_scan_stateIN3c107complexIdEELb0ELb0EEENS1_16block_id_wrapperIjLb1EEEEEvT_jT0_jPNSA_10value_typeE, .Lfunc_end240-_ZN7rocprim17ROCPRIM_400000_NS6detail31init_lookback_scan_state_kernelINS1_19lookback_scan_stateIN3c107complexIdEELb0ELb0EEENS1_16block_id_wrapperIjLb1EEEEEvT_jT0_jPNSA_10value_typeE
                                        ; -- End function
	.set _ZN7rocprim17ROCPRIM_400000_NS6detail31init_lookback_scan_state_kernelINS1_19lookback_scan_stateIN3c107complexIdEELb0ELb0EEENS1_16block_id_wrapperIjLb1EEEEEvT_jT0_jPNSA_10value_typeE.num_vgpr, 6
	.set _ZN7rocprim17ROCPRIM_400000_NS6detail31init_lookback_scan_state_kernelINS1_19lookback_scan_stateIN3c107complexIdEELb0ELb0EEENS1_16block_id_wrapperIjLb1EEEEEvT_jT0_jPNSA_10value_typeE.num_agpr, 0
	.set _ZN7rocprim17ROCPRIM_400000_NS6detail31init_lookback_scan_state_kernelINS1_19lookback_scan_stateIN3c107complexIdEELb0ELb0EEENS1_16block_id_wrapperIjLb1EEEEEvT_jT0_jPNSA_10value_typeE.numbered_sgpr, 17
	.set _ZN7rocprim17ROCPRIM_400000_NS6detail31init_lookback_scan_state_kernelINS1_19lookback_scan_stateIN3c107complexIdEELb0ELb0EEENS1_16block_id_wrapperIjLb1EEEEEvT_jT0_jPNSA_10value_typeE.num_named_barrier, 0
	.set _ZN7rocprim17ROCPRIM_400000_NS6detail31init_lookback_scan_state_kernelINS1_19lookback_scan_stateIN3c107complexIdEELb0ELb0EEENS1_16block_id_wrapperIjLb1EEEEEvT_jT0_jPNSA_10value_typeE.private_seg_size, 0
	.set _ZN7rocprim17ROCPRIM_400000_NS6detail31init_lookback_scan_state_kernelINS1_19lookback_scan_stateIN3c107complexIdEELb0ELb0EEENS1_16block_id_wrapperIjLb1EEEEEvT_jT0_jPNSA_10value_typeE.uses_vcc, 1
	.set _ZN7rocprim17ROCPRIM_400000_NS6detail31init_lookback_scan_state_kernelINS1_19lookback_scan_stateIN3c107complexIdEELb0ELb0EEENS1_16block_id_wrapperIjLb1EEEEEvT_jT0_jPNSA_10value_typeE.uses_flat_scratch, 0
	.set _ZN7rocprim17ROCPRIM_400000_NS6detail31init_lookback_scan_state_kernelINS1_19lookback_scan_stateIN3c107complexIdEELb0ELb0EEENS1_16block_id_wrapperIjLb1EEEEEvT_jT0_jPNSA_10value_typeE.has_dyn_sized_stack, 0
	.set _ZN7rocprim17ROCPRIM_400000_NS6detail31init_lookback_scan_state_kernelINS1_19lookback_scan_stateIN3c107complexIdEELb0ELb0EEENS1_16block_id_wrapperIjLb1EEEEEvT_jT0_jPNSA_10value_typeE.has_recursion, 0
	.set _ZN7rocprim17ROCPRIM_400000_NS6detail31init_lookback_scan_state_kernelINS1_19lookback_scan_stateIN3c107complexIdEELb0ELb0EEENS1_16block_id_wrapperIjLb1EEEEEvT_jT0_jPNSA_10value_typeE.has_indirect_call, 0
	.section	.AMDGPU.csdata,"",@progbits
; Kernel info:
; codeLenInByte = 424
; TotalNumSgprs: 19
; NumVgprs: 6
; ScratchSize: 0
; MemoryBound: 0
; FloatMode: 240
; IeeeMode: 1
; LDSByteSize: 0 bytes/workgroup (compile time only)
; SGPRBlocks: 0
; VGPRBlocks: 0
; NumSGPRsForWavesPerEU: 19
; NumVGPRsForWavesPerEU: 6
; Occupancy: 16
; WaveLimiterHint : 0
; COMPUTE_PGM_RSRC2:SCRATCH_EN: 0
; COMPUTE_PGM_RSRC2:USER_SGPR: 2
; COMPUTE_PGM_RSRC2:TRAP_HANDLER: 0
; COMPUTE_PGM_RSRC2:TGID_X_EN: 1
; COMPUTE_PGM_RSRC2:TGID_Y_EN: 0
; COMPUTE_PGM_RSRC2:TGID_Z_EN: 0
; COMPUTE_PGM_RSRC2:TIDIG_COMP_CNT: 0
	.section	.text._ZN7rocprim17ROCPRIM_400000_NS6detail17trampoline_kernelINS0_14default_configENS1_20scan_config_selectorIN3c107complexIdEEEEZZNS1_9scan_implILNS1_25lookback_scan_determinismE0ELb0ELb0ES3_PKS7_PS7_S7_ZZZN2at6native31launch_logcumsumexp_cuda_kernelERKNSE_10TensorBaseESI_lENKUlvE_clEvENKUlvE1_clEvEUlS7_S7_E_S7_EEDaPvRmT3_T4_T5_mT6_P12ihipStream_tbENKUlT_T0_E_clISt17integral_constantIbLb0EESY_IbLb1EEEEDaSU_SV_EUlSU_E_NS1_11comp_targetILNS1_3genE0ELNS1_11target_archE4294967295ELNS1_3gpuE0ELNS1_3repE0EEENS1_30default_config_static_selectorELNS0_4arch9wavefront6targetE0EEEvT1_,"axG",@progbits,_ZN7rocprim17ROCPRIM_400000_NS6detail17trampoline_kernelINS0_14default_configENS1_20scan_config_selectorIN3c107complexIdEEEEZZNS1_9scan_implILNS1_25lookback_scan_determinismE0ELb0ELb0ES3_PKS7_PS7_S7_ZZZN2at6native31launch_logcumsumexp_cuda_kernelERKNSE_10TensorBaseESI_lENKUlvE_clEvENKUlvE1_clEvEUlS7_S7_E_S7_EEDaPvRmT3_T4_T5_mT6_P12ihipStream_tbENKUlT_T0_E_clISt17integral_constantIbLb0EESY_IbLb1EEEEDaSU_SV_EUlSU_E_NS1_11comp_targetILNS1_3genE0ELNS1_11target_archE4294967295ELNS1_3gpuE0ELNS1_3repE0EEENS1_30default_config_static_selectorELNS0_4arch9wavefront6targetE0EEEvT1_,comdat
	.globl	_ZN7rocprim17ROCPRIM_400000_NS6detail17trampoline_kernelINS0_14default_configENS1_20scan_config_selectorIN3c107complexIdEEEEZZNS1_9scan_implILNS1_25lookback_scan_determinismE0ELb0ELb0ES3_PKS7_PS7_S7_ZZZN2at6native31launch_logcumsumexp_cuda_kernelERKNSE_10TensorBaseESI_lENKUlvE_clEvENKUlvE1_clEvEUlS7_S7_E_S7_EEDaPvRmT3_T4_T5_mT6_P12ihipStream_tbENKUlT_T0_E_clISt17integral_constantIbLb0EESY_IbLb1EEEEDaSU_SV_EUlSU_E_NS1_11comp_targetILNS1_3genE0ELNS1_11target_archE4294967295ELNS1_3gpuE0ELNS1_3repE0EEENS1_30default_config_static_selectorELNS0_4arch9wavefront6targetE0EEEvT1_ ; -- Begin function _ZN7rocprim17ROCPRIM_400000_NS6detail17trampoline_kernelINS0_14default_configENS1_20scan_config_selectorIN3c107complexIdEEEEZZNS1_9scan_implILNS1_25lookback_scan_determinismE0ELb0ELb0ES3_PKS7_PS7_S7_ZZZN2at6native31launch_logcumsumexp_cuda_kernelERKNSE_10TensorBaseESI_lENKUlvE_clEvENKUlvE1_clEvEUlS7_S7_E_S7_EEDaPvRmT3_T4_T5_mT6_P12ihipStream_tbENKUlT_T0_E_clISt17integral_constantIbLb0EESY_IbLb1EEEEDaSU_SV_EUlSU_E_NS1_11comp_targetILNS1_3genE0ELNS1_11target_archE4294967295ELNS1_3gpuE0ELNS1_3repE0EEENS1_30default_config_static_selectorELNS0_4arch9wavefront6targetE0EEEvT1_
	.p2align	8
	.type	_ZN7rocprim17ROCPRIM_400000_NS6detail17trampoline_kernelINS0_14default_configENS1_20scan_config_selectorIN3c107complexIdEEEEZZNS1_9scan_implILNS1_25lookback_scan_determinismE0ELb0ELb0ES3_PKS7_PS7_S7_ZZZN2at6native31launch_logcumsumexp_cuda_kernelERKNSE_10TensorBaseESI_lENKUlvE_clEvENKUlvE1_clEvEUlS7_S7_E_S7_EEDaPvRmT3_T4_T5_mT6_P12ihipStream_tbENKUlT_T0_E_clISt17integral_constantIbLb0EESY_IbLb1EEEEDaSU_SV_EUlSU_E_NS1_11comp_targetILNS1_3genE0ELNS1_11target_archE4294967295ELNS1_3gpuE0ELNS1_3repE0EEENS1_30default_config_static_selectorELNS0_4arch9wavefront6targetE0EEEvT1_,@function
_ZN7rocprim17ROCPRIM_400000_NS6detail17trampoline_kernelINS0_14default_configENS1_20scan_config_selectorIN3c107complexIdEEEEZZNS1_9scan_implILNS1_25lookback_scan_determinismE0ELb0ELb0ES3_PKS7_PS7_S7_ZZZN2at6native31launch_logcumsumexp_cuda_kernelERKNSE_10TensorBaseESI_lENKUlvE_clEvENKUlvE1_clEvEUlS7_S7_E_S7_EEDaPvRmT3_T4_T5_mT6_P12ihipStream_tbENKUlT_T0_E_clISt17integral_constantIbLb0EESY_IbLb1EEEEDaSU_SV_EUlSU_E_NS1_11comp_targetILNS1_3genE0ELNS1_11target_archE4294967295ELNS1_3gpuE0ELNS1_3repE0EEENS1_30default_config_static_selectorELNS0_4arch9wavefront6targetE0EEEvT1_: ; @_ZN7rocprim17ROCPRIM_400000_NS6detail17trampoline_kernelINS0_14default_configENS1_20scan_config_selectorIN3c107complexIdEEEEZZNS1_9scan_implILNS1_25lookback_scan_determinismE0ELb0ELb0ES3_PKS7_PS7_S7_ZZZN2at6native31launch_logcumsumexp_cuda_kernelERKNSE_10TensorBaseESI_lENKUlvE_clEvENKUlvE1_clEvEUlS7_S7_E_S7_EEDaPvRmT3_T4_T5_mT6_P12ihipStream_tbENKUlT_T0_E_clISt17integral_constantIbLb0EESY_IbLb1EEEEDaSU_SV_EUlSU_E_NS1_11comp_targetILNS1_3genE0ELNS1_11target_archE4294967295ELNS1_3gpuE0ELNS1_3repE0EEENS1_30default_config_static_selectorELNS0_4arch9wavefront6targetE0EEEvT1_
; %bb.0:
	.section	.rodata,"a",@progbits
	.p2align	6, 0x0
	.amdhsa_kernel _ZN7rocprim17ROCPRIM_400000_NS6detail17trampoline_kernelINS0_14default_configENS1_20scan_config_selectorIN3c107complexIdEEEEZZNS1_9scan_implILNS1_25lookback_scan_determinismE0ELb0ELb0ES3_PKS7_PS7_S7_ZZZN2at6native31launch_logcumsumexp_cuda_kernelERKNSE_10TensorBaseESI_lENKUlvE_clEvENKUlvE1_clEvEUlS7_S7_E_S7_EEDaPvRmT3_T4_T5_mT6_P12ihipStream_tbENKUlT_T0_E_clISt17integral_constantIbLb0EESY_IbLb1EEEEDaSU_SV_EUlSU_E_NS1_11comp_targetILNS1_3genE0ELNS1_11target_archE4294967295ELNS1_3gpuE0ELNS1_3repE0EEENS1_30default_config_static_selectorELNS0_4arch9wavefront6targetE0EEEvT1_
		.amdhsa_group_segment_fixed_size 0
		.amdhsa_private_segment_fixed_size 0
		.amdhsa_kernarg_size 128
		.amdhsa_user_sgpr_count 2
		.amdhsa_user_sgpr_dispatch_ptr 0
		.amdhsa_user_sgpr_queue_ptr 0
		.amdhsa_user_sgpr_kernarg_segment_ptr 1
		.amdhsa_user_sgpr_dispatch_id 0
		.amdhsa_user_sgpr_private_segment_size 0
		.amdhsa_wavefront_size32 1
		.amdhsa_uses_dynamic_stack 0
		.amdhsa_enable_private_segment 0
		.amdhsa_system_sgpr_workgroup_id_x 1
		.amdhsa_system_sgpr_workgroup_id_y 0
		.amdhsa_system_sgpr_workgroup_id_z 0
		.amdhsa_system_sgpr_workgroup_info 0
		.amdhsa_system_vgpr_workitem_id 0
		.amdhsa_next_free_vgpr 1
		.amdhsa_next_free_sgpr 1
		.amdhsa_reserve_vcc 0
		.amdhsa_float_round_mode_32 0
		.amdhsa_float_round_mode_16_64 0
		.amdhsa_float_denorm_mode_32 3
		.amdhsa_float_denorm_mode_16_64 3
		.amdhsa_fp16_overflow 0
		.amdhsa_workgroup_processor_mode 1
		.amdhsa_memory_ordered 1
		.amdhsa_forward_progress 1
		.amdhsa_inst_pref_size 0
		.amdhsa_round_robin_scheduling 0
		.amdhsa_exception_fp_ieee_invalid_op 0
		.amdhsa_exception_fp_denorm_src 0
		.amdhsa_exception_fp_ieee_div_zero 0
		.amdhsa_exception_fp_ieee_overflow 0
		.amdhsa_exception_fp_ieee_underflow 0
		.amdhsa_exception_fp_ieee_inexact 0
		.amdhsa_exception_int_div_zero 0
	.end_amdhsa_kernel
	.section	.text._ZN7rocprim17ROCPRIM_400000_NS6detail17trampoline_kernelINS0_14default_configENS1_20scan_config_selectorIN3c107complexIdEEEEZZNS1_9scan_implILNS1_25lookback_scan_determinismE0ELb0ELb0ES3_PKS7_PS7_S7_ZZZN2at6native31launch_logcumsumexp_cuda_kernelERKNSE_10TensorBaseESI_lENKUlvE_clEvENKUlvE1_clEvEUlS7_S7_E_S7_EEDaPvRmT3_T4_T5_mT6_P12ihipStream_tbENKUlT_T0_E_clISt17integral_constantIbLb0EESY_IbLb1EEEEDaSU_SV_EUlSU_E_NS1_11comp_targetILNS1_3genE0ELNS1_11target_archE4294967295ELNS1_3gpuE0ELNS1_3repE0EEENS1_30default_config_static_selectorELNS0_4arch9wavefront6targetE0EEEvT1_,"axG",@progbits,_ZN7rocprim17ROCPRIM_400000_NS6detail17trampoline_kernelINS0_14default_configENS1_20scan_config_selectorIN3c107complexIdEEEEZZNS1_9scan_implILNS1_25lookback_scan_determinismE0ELb0ELb0ES3_PKS7_PS7_S7_ZZZN2at6native31launch_logcumsumexp_cuda_kernelERKNSE_10TensorBaseESI_lENKUlvE_clEvENKUlvE1_clEvEUlS7_S7_E_S7_EEDaPvRmT3_T4_T5_mT6_P12ihipStream_tbENKUlT_T0_E_clISt17integral_constantIbLb0EESY_IbLb1EEEEDaSU_SV_EUlSU_E_NS1_11comp_targetILNS1_3genE0ELNS1_11target_archE4294967295ELNS1_3gpuE0ELNS1_3repE0EEENS1_30default_config_static_selectorELNS0_4arch9wavefront6targetE0EEEvT1_,comdat
.Lfunc_end241:
	.size	_ZN7rocprim17ROCPRIM_400000_NS6detail17trampoline_kernelINS0_14default_configENS1_20scan_config_selectorIN3c107complexIdEEEEZZNS1_9scan_implILNS1_25lookback_scan_determinismE0ELb0ELb0ES3_PKS7_PS7_S7_ZZZN2at6native31launch_logcumsumexp_cuda_kernelERKNSE_10TensorBaseESI_lENKUlvE_clEvENKUlvE1_clEvEUlS7_S7_E_S7_EEDaPvRmT3_T4_T5_mT6_P12ihipStream_tbENKUlT_T0_E_clISt17integral_constantIbLb0EESY_IbLb1EEEEDaSU_SV_EUlSU_E_NS1_11comp_targetILNS1_3genE0ELNS1_11target_archE4294967295ELNS1_3gpuE0ELNS1_3repE0EEENS1_30default_config_static_selectorELNS0_4arch9wavefront6targetE0EEEvT1_, .Lfunc_end241-_ZN7rocprim17ROCPRIM_400000_NS6detail17trampoline_kernelINS0_14default_configENS1_20scan_config_selectorIN3c107complexIdEEEEZZNS1_9scan_implILNS1_25lookback_scan_determinismE0ELb0ELb0ES3_PKS7_PS7_S7_ZZZN2at6native31launch_logcumsumexp_cuda_kernelERKNSE_10TensorBaseESI_lENKUlvE_clEvENKUlvE1_clEvEUlS7_S7_E_S7_EEDaPvRmT3_T4_T5_mT6_P12ihipStream_tbENKUlT_T0_E_clISt17integral_constantIbLb0EESY_IbLb1EEEEDaSU_SV_EUlSU_E_NS1_11comp_targetILNS1_3genE0ELNS1_11target_archE4294967295ELNS1_3gpuE0ELNS1_3repE0EEENS1_30default_config_static_selectorELNS0_4arch9wavefront6targetE0EEEvT1_
                                        ; -- End function
	.set _ZN7rocprim17ROCPRIM_400000_NS6detail17trampoline_kernelINS0_14default_configENS1_20scan_config_selectorIN3c107complexIdEEEEZZNS1_9scan_implILNS1_25lookback_scan_determinismE0ELb0ELb0ES3_PKS7_PS7_S7_ZZZN2at6native31launch_logcumsumexp_cuda_kernelERKNSE_10TensorBaseESI_lENKUlvE_clEvENKUlvE1_clEvEUlS7_S7_E_S7_EEDaPvRmT3_T4_T5_mT6_P12ihipStream_tbENKUlT_T0_E_clISt17integral_constantIbLb0EESY_IbLb1EEEEDaSU_SV_EUlSU_E_NS1_11comp_targetILNS1_3genE0ELNS1_11target_archE4294967295ELNS1_3gpuE0ELNS1_3repE0EEENS1_30default_config_static_selectorELNS0_4arch9wavefront6targetE0EEEvT1_.num_vgpr, 0
	.set _ZN7rocprim17ROCPRIM_400000_NS6detail17trampoline_kernelINS0_14default_configENS1_20scan_config_selectorIN3c107complexIdEEEEZZNS1_9scan_implILNS1_25lookback_scan_determinismE0ELb0ELb0ES3_PKS7_PS7_S7_ZZZN2at6native31launch_logcumsumexp_cuda_kernelERKNSE_10TensorBaseESI_lENKUlvE_clEvENKUlvE1_clEvEUlS7_S7_E_S7_EEDaPvRmT3_T4_T5_mT6_P12ihipStream_tbENKUlT_T0_E_clISt17integral_constantIbLb0EESY_IbLb1EEEEDaSU_SV_EUlSU_E_NS1_11comp_targetILNS1_3genE0ELNS1_11target_archE4294967295ELNS1_3gpuE0ELNS1_3repE0EEENS1_30default_config_static_selectorELNS0_4arch9wavefront6targetE0EEEvT1_.num_agpr, 0
	.set _ZN7rocprim17ROCPRIM_400000_NS6detail17trampoline_kernelINS0_14default_configENS1_20scan_config_selectorIN3c107complexIdEEEEZZNS1_9scan_implILNS1_25lookback_scan_determinismE0ELb0ELb0ES3_PKS7_PS7_S7_ZZZN2at6native31launch_logcumsumexp_cuda_kernelERKNSE_10TensorBaseESI_lENKUlvE_clEvENKUlvE1_clEvEUlS7_S7_E_S7_EEDaPvRmT3_T4_T5_mT6_P12ihipStream_tbENKUlT_T0_E_clISt17integral_constantIbLb0EESY_IbLb1EEEEDaSU_SV_EUlSU_E_NS1_11comp_targetILNS1_3genE0ELNS1_11target_archE4294967295ELNS1_3gpuE0ELNS1_3repE0EEENS1_30default_config_static_selectorELNS0_4arch9wavefront6targetE0EEEvT1_.numbered_sgpr, 0
	.set _ZN7rocprim17ROCPRIM_400000_NS6detail17trampoline_kernelINS0_14default_configENS1_20scan_config_selectorIN3c107complexIdEEEEZZNS1_9scan_implILNS1_25lookback_scan_determinismE0ELb0ELb0ES3_PKS7_PS7_S7_ZZZN2at6native31launch_logcumsumexp_cuda_kernelERKNSE_10TensorBaseESI_lENKUlvE_clEvENKUlvE1_clEvEUlS7_S7_E_S7_EEDaPvRmT3_T4_T5_mT6_P12ihipStream_tbENKUlT_T0_E_clISt17integral_constantIbLb0EESY_IbLb1EEEEDaSU_SV_EUlSU_E_NS1_11comp_targetILNS1_3genE0ELNS1_11target_archE4294967295ELNS1_3gpuE0ELNS1_3repE0EEENS1_30default_config_static_selectorELNS0_4arch9wavefront6targetE0EEEvT1_.num_named_barrier, 0
	.set _ZN7rocprim17ROCPRIM_400000_NS6detail17trampoline_kernelINS0_14default_configENS1_20scan_config_selectorIN3c107complexIdEEEEZZNS1_9scan_implILNS1_25lookback_scan_determinismE0ELb0ELb0ES3_PKS7_PS7_S7_ZZZN2at6native31launch_logcumsumexp_cuda_kernelERKNSE_10TensorBaseESI_lENKUlvE_clEvENKUlvE1_clEvEUlS7_S7_E_S7_EEDaPvRmT3_T4_T5_mT6_P12ihipStream_tbENKUlT_T0_E_clISt17integral_constantIbLb0EESY_IbLb1EEEEDaSU_SV_EUlSU_E_NS1_11comp_targetILNS1_3genE0ELNS1_11target_archE4294967295ELNS1_3gpuE0ELNS1_3repE0EEENS1_30default_config_static_selectorELNS0_4arch9wavefront6targetE0EEEvT1_.private_seg_size, 0
	.set _ZN7rocprim17ROCPRIM_400000_NS6detail17trampoline_kernelINS0_14default_configENS1_20scan_config_selectorIN3c107complexIdEEEEZZNS1_9scan_implILNS1_25lookback_scan_determinismE0ELb0ELb0ES3_PKS7_PS7_S7_ZZZN2at6native31launch_logcumsumexp_cuda_kernelERKNSE_10TensorBaseESI_lENKUlvE_clEvENKUlvE1_clEvEUlS7_S7_E_S7_EEDaPvRmT3_T4_T5_mT6_P12ihipStream_tbENKUlT_T0_E_clISt17integral_constantIbLb0EESY_IbLb1EEEEDaSU_SV_EUlSU_E_NS1_11comp_targetILNS1_3genE0ELNS1_11target_archE4294967295ELNS1_3gpuE0ELNS1_3repE0EEENS1_30default_config_static_selectorELNS0_4arch9wavefront6targetE0EEEvT1_.uses_vcc, 0
	.set _ZN7rocprim17ROCPRIM_400000_NS6detail17trampoline_kernelINS0_14default_configENS1_20scan_config_selectorIN3c107complexIdEEEEZZNS1_9scan_implILNS1_25lookback_scan_determinismE0ELb0ELb0ES3_PKS7_PS7_S7_ZZZN2at6native31launch_logcumsumexp_cuda_kernelERKNSE_10TensorBaseESI_lENKUlvE_clEvENKUlvE1_clEvEUlS7_S7_E_S7_EEDaPvRmT3_T4_T5_mT6_P12ihipStream_tbENKUlT_T0_E_clISt17integral_constantIbLb0EESY_IbLb1EEEEDaSU_SV_EUlSU_E_NS1_11comp_targetILNS1_3genE0ELNS1_11target_archE4294967295ELNS1_3gpuE0ELNS1_3repE0EEENS1_30default_config_static_selectorELNS0_4arch9wavefront6targetE0EEEvT1_.uses_flat_scratch, 0
	.set _ZN7rocprim17ROCPRIM_400000_NS6detail17trampoline_kernelINS0_14default_configENS1_20scan_config_selectorIN3c107complexIdEEEEZZNS1_9scan_implILNS1_25lookback_scan_determinismE0ELb0ELb0ES3_PKS7_PS7_S7_ZZZN2at6native31launch_logcumsumexp_cuda_kernelERKNSE_10TensorBaseESI_lENKUlvE_clEvENKUlvE1_clEvEUlS7_S7_E_S7_EEDaPvRmT3_T4_T5_mT6_P12ihipStream_tbENKUlT_T0_E_clISt17integral_constantIbLb0EESY_IbLb1EEEEDaSU_SV_EUlSU_E_NS1_11comp_targetILNS1_3genE0ELNS1_11target_archE4294967295ELNS1_3gpuE0ELNS1_3repE0EEENS1_30default_config_static_selectorELNS0_4arch9wavefront6targetE0EEEvT1_.has_dyn_sized_stack, 0
	.set _ZN7rocprim17ROCPRIM_400000_NS6detail17trampoline_kernelINS0_14default_configENS1_20scan_config_selectorIN3c107complexIdEEEEZZNS1_9scan_implILNS1_25lookback_scan_determinismE0ELb0ELb0ES3_PKS7_PS7_S7_ZZZN2at6native31launch_logcumsumexp_cuda_kernelERKNSE_10TensorBaseESI_lENKUlvE_clEvENKUlvE1_clEvEUlS7_S7_E_S7_EEDaPvRmT3_T4_T5_mT6_P12ihipStream_tbENKUlT_T0_E_clISt17integral_constantIbLb0EESY_IbLb1EEEEDaSU_SV_EUlSU_E_NS1_11comp_targetILNS1_3genE0ELNS1_11target_archE4294967295ELNS1_3gpuE0ELNS1_3repE0EEENS1_30default_config_static_selectorELNS0_4arch9wavefront6targetE0EEEvT1_.has_recursion, 0
	.set _ZN7rocprim17ROCPRIM_400000_NS6detail17trampoline_kernelINS0_14default_configENS1_20scan_config_selectorIN3c107complexIdEEEEZZNS1_9scan_implILNS1_25lookback_scan_determinismE0ELb0ELb0ES3_PKS7_PS7_S7_ZZZN2at6native31launch_logcumsumexp_cuda_kernelERKNSE_10TensorBaseESI_lENKUlvE_clEvENKUlvE1_clEvEUlS7_S7_E_S7_EEDaPvRmT3_T4_T5_mT6_P12ihipStream_tbENKUlT_T0_E_clISt17integral_constantIbLb0EESY_IbLb1EEEEDaSU_SV_EUlSU_E_NS1_11comp_targetILNS1_3genE0ELNS1_11target_archE4294967295ELNS1_3gpuE0ELNS1_3repE0EEENS1_30default_config_static_selectorELNS0_4arch9wavefront6targetE0EEEvT1_.has_indirect_call, 0
	.section	.AMDGPU.csdata,"",@progbits
; Kernel info:
; codeLenInByte = 0
; TotalNumSgprs: 0
; NumVgprs: 0
; ScratchSize: 0
; MemoryBound: 0
; FloatMode: 240
; IeeeMode: 1
; LDSByteSize: 0 bytes/workgroup (compile time only)
; SGPRBlocks: 0
; VGPRBlocks: 0
; NumSGPRsForWavesPerEU: 1
; NumVGPRsForWavesPerEU: 1
; Occupancy: 16
; WaveLimiterHint : 0
; COMPUTE_PGM_RSRC2:SCRATCH_EN: 0
; COMPUTE_PGM_RSRC2:USER_SGPR: 2
; COMPUTE_PGM_RSRC2:TRAP_HANDLER: 0
; COMPUTE_PGM_RSRC2:TGID_X_EN: 1
; COMPUTE_PGM_RSRC2:TGID_Y_EN: 0
; COMPUTE_PGM_RSRC2:TGID_Z_EN: 0
; COMPUTE_PGM_RSRC2:TIDIG_COMP_CNT: 0
	.section	.text._ZN7rocprim17ROCPRIM_400000_NS6detail17trampoline_kernelINS0_14default_configENS1_20scan_config_selectorIN3c107complexIdEEEEZZNS1_9scan_implILNS1_25lookback_scan_determinismE0ELb0ELb0ES3_PKS7_PS7_S7_ZZZN2at6native31launch_logcumsumexp_cuda_kernelERKNSE_10TensorBaseESI_lENKUlvE_clEvENKUlvE1_clEvEUlS7_S7_E_S7_EEDaPvRmT3_T4_T5_mT6_P12ihipStream_tbENKUlT_T0_E_clISt17integral_constantIbLb0EESY_IbLb1EEEEDaSU_SV_EUlSU_E_NS1_11comp_targetILNS1_3genE5ELNS1_11target_archE942ELNS1_3gpuE9ELNS1_3repE0EEENS1_30default_config_static_selectorELNS0_4arch9wavefront6targetE0EEEvT1_,"axG",@progbits,_ZN7rocprim17ROCPRIM_400000_NS6detail17trampoline_kernelINS0_14default_configENS1_20scan_config_selectorIN3c107complexIdEEEEZZNS1_9scan_implILNS1_25lookback_scan_determinismE0ELb0ELb0ES3_PKS7_PS7_S7_ZZZN2at6native31launch_logcumsumexp_cuda_kernelERKNSE_10TensorBaseESI_lENKUlvE_clEvENKUlvE1_clEvEUlS7_S7_E_S7_EEDaPvRmT3_T4_T5_mT6_P12ihipStream_tbENKUlT_T0_E_clISt17integral_constantIbLb0EESY_IbLb1EEEEDaSU_SV_EUlSU_E_NS1_11comp_targetILNS1_3genE5ELNS1_11target_archE942ELNS1_3gpuE9ELNS1_3repE0EEENS1_30default_config_static_selectorELNS0_4arch9wavefront6targetE0EEEvT1_,comdat
	.globl	_ZN7rocprim17ROCPRIM_400000_NS6detail17trampoline_kernelINS0_14default_configENS1_20scan_config_selectorIN3c107complexIdEEEEZZNS1_9scan_implILNS1_25lookback_scan_determinismE0ELb0ELb0ES3_PKS7_PS7_S7_ZZZN2at6native31launch_logcumsumexp_cuda_kernelERKNSE_10TensorBaseESI_lENKUlvE_clEvENKUlvE1_clEvEUlS7_S7_E_S7_EEDaPvRmT3_T4_T5_mT6_P12ihipStream_tbENKUlT_T0_E_clISt17integral_constantIbLb0EESY_IbLb1EEEEDaSU_SV_EUlSU_E_NS1_11comp_targetILNS1_3genE5ELNS1_11target_archE942ELNS1_3gpuE9ELNS1_3repE0EEENS1_30default_config_static_selectorELNS0_4arch9wavefront6targetE0EEEvT1_ ; -- Begin function _ZN7rocprim17ROCPRIM_400000_NS6detail17trampoline_kernelINS0_14default_configENS1_20scan_config_selectorIN3c107complexIdEEEEZZNS1_9scan_implILNS1_25lookback_scan_determinismE0ELb0ELb0ES3_PKS7_PS7_S7_ZZZN2at6native31launch_logcumsumexp_cuda_kernelERKNSE_10TensorBaseESI_lENKUlvE_clEvENKUlvE1_clEvEUlS7_S7_E_S7_EEDaPvRmT3_T4_T5_mT6_P12ihipStream_tbENKUlT_T0_E_clISt17integral_constantIbLb0EESY_IbLb1EEEEDaSU_SV_EUlSU_E_NS1_11comp_targetILNS1_3genE5ELNS1_11target_archE942ELNS1_3gpuE9ELNS1_3repE0EEENS1_30default_config_static_selectorELNS0_4arch9wavefront6targetE0EEEvT1_
	.p2align	8
	.type	_ZN7rocprim17ROCPRIM_400000_NS6detail17trampoline_kernelINS0_14default_configENS1_20scan_config_selectorIN3c107complexIdEEEEZZNS1_9scan_implILNS1_25lookback_scan_determinismE0ELb0ELb0ES3_PKS7_PS7_S7_ZZZN2at6native31launch_logcumsumexp_cuda_kernelERKNSE_10TensorBaseESI_lENKUlvE_clEvENKUlvE1_clEvEUlS7_S7_E_S7_EEDaPvRmT3_T4_T5_mT6_P12ihipStream_tbENKUlT_T0_E_clISt17integral_constantIbLb0EESY_IbLb1EEEEDaSU_SV_EUlSU_E_NS1_11comp_targetILNS1_3genE5ELNS1_11target_archE942ELNS1_3gpuE9ELNS1_3repE0EEENS1_30default_config_static_selectorELNS0_4arch9wavefront6targetE0EEEvT1_,@function
_ZN7rocprim17ROCPRIM_400000_NS6detail17trampoline_kernelINS0_14default_configENS1_20scan_config_selectorIN3c107complexIdEEEEZZNS1_9scan_implILNS1_25lookback_scan_determinismE0ELb0ELb0ES3_PKS7_PS7_S7_ZZZN2at6native31launch_logcumsumexp_cuda_kernelERKNSE_10TensorBaseESI_lENKUlvE_clEvENKUlvE1_clEvEUlS7_S7_E_S7_EEDaPvRmT3_T4_T5_mT6_P12ihipStream_tbENKUlT_T0_E_clISt17integral_constantIbLb0EESY_IbLb1EEEEDaSU_SV_EUlSU_E_NS1_11comp_targetILNS1_3genE5ELNS1_11target_archE942ELNS1_3gpuE9ELNS1_3repE0EEENS1_30default_config_static_selectorELNS0_4arch9wavefront6targetE0EEEvT1_: ; @_ZN7rocprim17ROCPRIM_400000_NS6detail17trampoline_kernelINS0_14default_configENS1_20scan_config_selectorIN3c107complexIdEEEEZZNS1_9scan_implILNS1_25lookback_scan_determinismE0ELb0ELb0ES3_PKS7_PS7_S7_ZZZN2at6native31launch_logcumsumexp_cuda_kernelERKNSE_10TensorBaseESI_lENKUlvE_clEvENKUlvE1_clEvEUlS7_S7_E_S7_EEDaPvRmT3_T4_T5_mT6_P12ihipStream_tbENKUlT_T0_E_clISt17integral_constantIbLb0EESY_IbLb1EEEEDaSU_SV_EUlSU_E_NS1_11comp_targetILNS1_3genE5ELNS1_11target_archE942ELNS1_3gpuE9ELNS1_3repE0EEENS1_30default_config_static_selectorELNS0_4arch9wavefront6targetE0EEEvT1_
; %bb.0:
	.section	.rodata,"a",@progbits
	.p2align	6, 0x0
	.amdhsa_kernel _ZN7rocprim17ROCPRIM_400000_NS6detail17trampoline_kernelINS0_14default_configENS1_20scan_config_selectorIN3c107complexIdEEEEZZNS1_9scan_implILNS1_25lookback_scan_determinismE0ELb0ELb0ES3_PKS7_PS7_S7_ZZZN2at6native31launch_logcumsumexp_cuda_kernelERKNSE_10TensorBaseESI_lENKUlvE_clEvENKUlvE1_clEvEUlS7_S7_E_S7_EEDaPvRmT3_T4_T5_mT6_P12ihipStream_tbENKUlT_T0_E_clISt17integral_constantIbLb0EESY_IbLb1EEEEDaSU_SV_EUlSU_E_NS1_11comp_targetILNS1_3genE5ELNS1_11target_archE942ELNS1_3gpuE9ELNS1_3repE0EEENS1_30default_config_static_selectorELNS0_4arch9wavefront6targetE0EEEvT1_
		.amdhsa_group_segment_fixed_size 0
		.amdhsa_private_segment_fixed_size 0
		.amdhsa_kernarg_size 128
		.amdhsa_user_sgpr_count 2
		.amdhsa_user_sgpr_dispatch_ptr 0
		.amdhsa_user_sgpr_queue_ptr 0
		.amdhsa_user_sgpr_kernarg_segment_ptr 1
		.amdhsa_user_sgpr_dispatch_id 0
		.amdhsa_user_sgpr_private_segment_size 0
		.amdhsa_wavefront_size32 1
		.amdhsa_uses_dynamic_stack 0
		.amdhsa_enable_private_segment 0
		.amdhsa_system_sgpr_workgroup_id_x 1
		.amdhsa_system_sgpr_workgroup_id_y 0
		.amdhsa_system_sgpr_workgroup_id_z 0
		.amdhsa_system_sgpr_workgroup_info 0
		.amdhsa_system_vgpr_workitem_id 0
		.amdhsa_next_free_vgpr 1
		.amdhsa_next_free_sgpr 1
		.amdhsa_reserve_vcc 0
		.amdhsa_float_round_mode_32 0
		.amdhsa_float_round_mode_16_64 0
		.amdhsa_float_denorm_mode_32 3
		.amdhsa_float_denorm_mode_16_64 3
		.amdhsa_fp16_overflow 0
		.amdhsa_workgroup_processor_mode 1
		.amdhsa_memory_ordered 1
		.amdhsa_forward_progress 1
		.amdhsa_inst_pref_size 0
		.amdhsa_round_robin_scheduling 0
		.amdhsa_exception_fp_ieee_invalid_op 0
		.amdhsa_exception_fp_denorm_src 0
		.amdhsa_exception_fp_ieee_div_zero 0
		.amdhsa_exception_fp_ieee_overflow 0
		.amdhsa_exception_fp_ieee_underflow 0
		.amdhsa_exception_fp_ieee_inexact 0
		.amdhsa_exception_int_div_zero 0
	.end_amdhsa_kernel
	.section	.text._ZN7rocprim17ROCPRIM_400000_NS6detail17trampoline_kernelINS0_14default_configENS1_20scan_config_selectorIN3c107complexIdEEEEZZNS1_9scan_implILNS1_25lookback_scan_determinismE0ELb0ELb0ES3_PKS7_PS7_S7_ZZZN2at6native31launch_logcumsumexp_cuda_kernelERKNSE_10TensorBaseESI_lENKUlvE_clEvENKUlvE1_clEvEUlS7_S7_E_S7_EEDaPvRmT3_T4_T5_mT6_P12ihipStream_tbENKUlT_T0_E_clISt17integral_constantIbLb0EESY_IbLb1EEEEDaSU_SV_EUlSU_E_NS1_11comp_targetILNS1_3genE5ELNS1_11target_archE942ELNS1_3gpuE9ELNS1_3repE0EEENS1_30default_config_static_selectorELNS0_4arch9wavefront6targetE0EEEvT1_,"axG",@progbits,_ZN7rocprim17ROCPRIM_400000_NS6detail17trampoline_kernelINS0_14default_configENS1_20scan_config_selectorIN3c107complexIdEEEEZZNS1_9scan_implILNS1_25lookback_scan_determinismE0ELb0ELb0ES3_PKS7_PS7_S7_ZZZN2at6native31launch_logcumsumexp_cuda_kernelERKNSE_10TensorBaseESI_lENKUlvE_clEvENKUlvE1_clEvEUlS7_S7_E_S7_EEDaPvRmT3_T4_T5_mT6_P12ihipStream_tbENKUlT_T0_E_clISt17integral_constantIbLb0EESY_IbLb1EEEEDaSU_SV_EUlSU_E_NS1_11comp_targetILNS1_3genE5ELNS1_11target_archE942ELNS1_3gpuE9ELNS1_3repE0EEENS1_30default_config_static_selectorELNS0_4arch9wavefront6targetE0EEEvT1_,comdat
.Lfunc_end242:
	.size	_ZN7rocprim17ROCPRIM_400000_NS6detail17trampoline_kernelINS0_14default_configENS1_20scan_config_selectorIN3c107complexIdEEEEZZNS1_9scan_implILNS1_25lookback_scan_determinismE0ELb0ELb0ES3_PKS7_PS7_S7_ZZZN2at6native31launch_logcumsumexp_cuda_kernelERKNSE_10TensorBaseESI_lENKUlvE_clEvENKUlvE1_clEvEUlS7_S7_E_S7_EEDaPvRmT3_T4_T5_mT6_P12ihipStream_tbENKUlT_T0_E_clISt17integral_constantIbLb0EESY_IbLb1EEEEDaSU_SV_EUlSU_E_NS1_11comp_targetILNS1_3genE5ELNS1_11target_archE942ELNS1_3gpuE9ELNS1_3repE0EEENS1_30default_config_static_selectorELNS0_4arch9wavefront6targetE0EEEvT1_, .Lfunc_end242-_ZN7rocprim17ROCPRIM_400000_NS6detail17trampoline_kernelINS0_14default_configENS1_20scan_config_selectorIN3c107complexIdEEEEZZNS1_9scan_implILNS1_25lookback_scan_determinismE0ELb0ELb0ES3_PKS7_PS7_S7_ZZZN2at6native31launch_logcumsumexp_cuda_kernelERKNSE_10TensorBaseESI_lENKUlvE_clEvENKUlvE1_clEvEUlS7_S7_E_S7_EEDaPvRmT3_T4_T5_mT6_P12ihipStream_tbENKUlT_T0_E_clISt17integral_constantIbLb0EESY_IbLb1EEEEDaSU_SV_EUlSU_E_NS1_11comp_targetILNS1_3genE5ELNS1_11target_archE942ELNS1_3gpuE9ELNS1_3repE0EEENS1_30default_config_static_selectorELNS0_4arch9wavefront6targetE0EEEvT1_
                                        ; -- End function
	.set _ZN7rocprim17ROCPRIM_400000_NS6detail17trampoline_kernelINS0_14default_configENS1_20scan_config_selectorIN3c107complexIdEEEEZZNS1_9scan_implILNS1_25lookback_scan_determinismE0ELb0ELb0ES3_PKS7_PS7_S7_ZZZN2at6native31launch_logcumsumexp_cuda_kernelERKNSE_10TensorBaseESI_lENKUlvE_clEvENKUlvE1_clEvEUlS7_S7_E_S7_EEDaPvRmT3_T4_T5_mT6_P12ihipStream_tbENKUlT_T0_E_clISt17integral_constantIbLb0EESY_IbLb1EEEEDaSU_SV_EUlSU_E_NS1_11comp_targetILNS1_3genE5ELNS1_11target_archE942ELNS1_3gpuE9ELNS1_3repE0EEENS1_30default_config_static_selectorELNS0_4arch9wavefront6targetE0EEEvT1_.num_vgpr, 0
	.set _ZN7rocprim17ROCPRIM_400000_NS6detail17trampoline_kernelINS0_14default_configENS1_20scan_config_selectorIN3c107complexIdEEEEZZNS1_9scan_implILNS1_25lookback_scan_determinismE0ELb0ELb0ES3_PKS7_PS7_S7_ZZZN2at6native31launch_logcumsumexp_cuda_kernelERKNSE_10TensorBaseESI_lENKUlvE_clEvENKUlvE1_clEvEUlS7_S7_E_S7_EEDaPvRmT3_T4_T5_mT6_P12ihipStream_tbENKUlT_T0_E_clISt17integral_constantIbLb0EESY_IbLb1EEEEDaSU_SV_EUlSU_E_NS1_11comp_targetILNS1_3genE5ELNS1_11target_archE942ELNS1_3gpuE9ELNS1_3repE0EEENS1_30default_config_static_selectorELNS0_4arch9wavefront6targetE0EEEvT1_.num_agpr, 0
	.set _ZN7rocprim17ROCPRIM_400000_NS6detail17trampoline_kernelINS0_14default_configENS1_20scan_config_selectorIN3c107complexIdEEEEZZNS1_9scan_implILNS1_25lookback_scan_determinismE0ELb0ELb0ES3_PKS7_PS7_S7_ZZZN2at6native31launch_logcumsumexp_cuda_kernelERKNSE_10TensorBaseESI_lENKUlvE_clEvENKUlvE1_clEvEUlS7_S7_E_S7_EEDaPvRmT3_T4_T5_mT6_P12ihipStream_tbENKUlT_T0_E_clISt17integral_constantIbLb0EESY_IbLb1EEEEDaSU_SV_EUlSU_E_NS1_11comp_targetILNS1_3genE5ELNS1_11target_archE942ELNS1_3gpuE9ELNS1_3repE0EEENS1_30default_config_static_selectorELNS0_4arch9wavefront6targetE0EEEvT1_.numbered_sgpr, 0
	.set _ZN7rocprim17ROCPRIM_400000_NS6detail17trampoline_kernelINS0_14default_configENS1_20scan_config_selectorIN3c107complexIdEEEEZZNS1_9scan_implILNS1_25lookback_scan_determinismE0ELb0ELb0ES3_PKS7_PS7_S7_ZZZN2at6native31launch_logcumsumexp_cuda_kernelERKNSE_10TensorBaseESI_lENKUlvE_clEvENKUlvE1_clEvEUlS7_S7_E_S7_EEDaPvRmT3_T4_T5_mT6_P12ihipStream_tbENKUlT_T0_E_clISt17integral_constantIbLb0EESY_IbLb1EEEEDaSU_SV_EUlSU_E_NS1_11comp_targetILNS1_3genE5ELNS1_11target_archE942ELNS1_3gpuE9ELNS1_3repE0EEENS1_30default_config_static_selectorELNS0_4arch9wavefront6targetE0EEEvT1_.num_named_barrier, 0
	.set _ZN7rocprim17ROCPRIM_400000_NS6detail17trampoline_kernelINS0_14default_configENS1_20scan_config_selectorIN3c107complexIdEEEEZZNS1_9scan_implILNS1_25lookback_scan_determinismE0ELb0ELb0ES3_PKS7_PS7_S7_ZZZN2at6native31launch_logcumsumexp_cuda_kernelERKNSE_10TensorBaseESI_lENKUlvE_clEvENKUlvE1_clEvEUlS7_S7_E_S7_EEDaPvRmT3_T4_T5_mT6_P12ihipStream_tbENKUlT_T0_E_clISt17integral_constantIbLb0EESY_IbLb1EEEEDaSU_SV_EUlSU_E_NS1_11comp_targetILNS1_3genE5ELNS1_11target_archE942ELNS1_3gpuE9ELNS1_3repE0EEENS1_30default_config_static_selectorELNS0_4arch9wavefront6targetE0EEEvT1_.private_seg_size, 0
	.set _ZN7rocprim17ROCPRIM_400000_NS6detail17trampoline_kernelINS0_14default_configENS1_20scan_config_selectorIN3c107complexIdEEEEZZNS1_9scan_implILNS1_25lookback_scan_determinismE0ELb0ELb0ES3_PKS7_PS7_S7_ZZZN2at6native31launch_logcumsumexp_cuda_kernelERKNSE_10TensorBaseESI_lENKUlvE_clEvENKUlvE1_clEvEUlS7_S7_E_S7_EEDaPvRmT3_T4_T5_mT6_P12ihipStream_tbENKUlT_T0_E_clISt17integral_constantIbLb0EESY_IbLb1EEEEDaSU_SV_EUlSU_E_NS1_11comp_targetILNS1_3genE5ELNS1_11target_archE942ELNS1_3gpuE9ELNS1_3repE0EEENS1_30default_config_static_selectorELNS0_4arch9wavefront6targetE0EEEvT1_.uses_vcc, 0
	.set _ZN7rocprim17ROCPRIM_400000_NS6detail17trampoline_kernelINS0_14default_configENS1_20scan_config_selectorIN3c107complexIdEEEEZZNS1_9scan_implILNS1_25lookback_scan_determinismE0ELb0ELb0ES3_PKS7_PS7_S7_ZZZN2at6native31launch_logcumsumexp_cuda_kernelERKNSE_10TensorBaseESI_lENKUlvE_clEvENKUlvE1_clEvEUlS7_S7_E_S7_EEDaPvRmT3_T4_T5_mT6_P12ihipStream_tbENKUlT_T0_E_clISt17integral_constantIbLb0EESY_IbLb1EEEEDaSU_SV_EUlSU_E_NS1_11comp_targetILNS1_3genE5ELNS1_11target_archE942ELNS1_3gpuE9ELNS1_3repE0EEENS1_30default_config_static_selectorELNS0_4arch9wavefront6targetE0EEEvT1_.uses_flat_scratch, 0
	.set _ZN7rocprim17ROCPRIM_400000_NS6detail17trampoline_kernelINS0_14default_configENS1_20scan_config_selectorIN3c107complexIdEEEEZZNS1_9scan_implILNS1_25lookback_scan_determinismE0ELb0ELb0ES3_PKS7_PS7_S7_ZZZN2at6native31launch_logcumsumexp_cuda_kernelERKNSE_10TensorBaseESI_lENKUlvE_clEvENKUlvE1_clEvEUlS7_S7_E_S7_EEDaPvRmT3_T4_T5_mT6_P12ihipStream_tbENKUlT_T0_E_clISt17integral_constantIbLb0EESY_IbLb1EEEEDaSU_SV_EUlSU_E_NS1_11comp_targetILNS1_3genE5ELNS1_11target_archE942ELNS1_3gpuE9ELNS1_3repE0EEENS1_30default_config_static_selectorELNS0_4arch9wavefront6targetE0EEEvT1_.has_dyn_sized_stack, 0
	.set _ZN7rocprim17ROCPRIM_400000_NS6detail17trampoline_kernelINS0_14default_configENS1_20scan_config_selectorIN3c107complexIdEEEEZZNS1_9scan_implILNS1_25lookback_scan_determinismE0ELb0ELb0ES3_PKS7_PS7_S7_ZZZN2at6native31launch_logcumsumexp_cuda_kernelERKNSE_10TensorBaseESI_lENKUlvE_clEvENKUlvE1_clEvEUlS7_S7_E_S7_EEDaPvRmT3_T4_T5_mT6_P12ihipStream_tbENKUlT_T0_E_clISt17integral_constantIbLb0EESY_IbLb1EEEEDaSU_SV_EUlSU_E_NS1_11comp_targetILNS1_3genE5ELNS1_11target_archE942ELNS1_3gpuE9ELNS1_3repE0EEENS1_30default_config_static_selectorELNS0_4arch9wavefront6targetE0EEEvT1_.has_recursion, 0
	.set _ZN7rocprim17ROCPRIM_400000_NS6detail17trampoline_kernelINS0_14default_configENS1_20scan_config_selectorIN3c107complexIdEEEEZZNS1_9scan_implILNS1_25lookback_scan_determinismE0ELb0ELb0ES3_PKS7_PS7_S7_ZZZN2at6native31launch_logcumsumexp_cuda_kernelERKNSE_10TensorBaseESI_lENKUlvE_clEvENKUlvE1_clEvEUlS7_S7_E_S7_EEDaPvRmT3_T4_T5_mT6_P12ihipStream_tbENKUlT_T0_E_clISt17integral_constantIbLb0EESY_IbLb1EEEEDaSU_SV_EUlSU_E_NS1_11comp_targetILNS1_3genE5ELNS1_11target_archE942ELNS1_3gpuE9ELNS1_3repE0EEENS1_30default_config_static_selectorELNS0_4arch9wavefront6targetE0EEEvT1_.has_indirect_call, 0
	.section	.AMDGPU.csdata,"",@progbits
; Kernel info:
; codeLenInByte = 0
; TotalNumSgprs: 0
; NumVgprs: 0
; ScratchSize: 0
; MemoryBound: 0
; FloatMode: 240
; IeeeMode: 1
; LDSByteSize: 0 bytes/workgroup (compile time only)
; SGPRBlocks: 0
; VGPRBlocks: 0
; NumSGPRsForWavesPerEU: 1
; NumVGPRsForWavesPerEU: 1
; Occupancy: 16
; WaveLimiterHint : 0
; COMPUTE_PGM_RSRC2:SCRATCH_EN: 0
; COMPUTE_PGM_RSRC2:USER_SGPR: 2
; COMPUTE_PGM_RSRC2:TRAP_HANDLER: 0
; COMPUTE_PGM_RSRC2:TGID_X_EN: 1
; COMPUTE_PGM_RSRC2:TGID_Y_EN: 0
; COMPUTE_PGM_RSRC2:TGID_Z_EN: 0
; COMPUTE_PGM_RSRC2:TIDIG_COMP_CNT: 0
	.section	.text._ZN7rocprim17ROCPRIM_400000_NS6detail17trampoline_kernelINS0_14default_configENS1_20scan_config_selectorIN3c107complexIdEEEEZZNS1_9scan_implILNS1_25lookback_scan_determinismE0ELb0ELb0ES3_PKS7_PS7_S7_ZZZN2at6native31launch_logcumsumexp_cuda_kernelERKNSE_10TensorBaseESI_lENKUlvE_clEvENKUlvE1_clEvEUlS7_S7_E_S7_EEDaPvRmT3_T4_T5_mT6_P12ihipStream_tbENKUlT_T0_E_clISt17integral_constantIbLb0EESY_IbLb1EEEEDaSU_SV_EUlSU_E_NS1_11comp_targetILNS1_3genE4ELNS1_11target_archE910ELNS1_3gpuE8ELNS1_3repE0EEENS1_30default_config_static_selectorELNS0_4arch9wavefront6targetE0EEEvT1_,"axG",@progbits,_ZN7rocprim17ROCPRIM_400000_NS6detail17trampoline_kernelINS0_14default_configENS1_20scan_config_selectorIN3c107complexIdEEEEZZNS1_9scan_implILNS1_25lookback_scan_determinismE0ELb0ELb0ES3_PKS7_PS7_S7_ZZZN2at6native31launch_logcumsumexp_cuda_kernelERKNSE_10TensorBaseESI_lENKUlvE_clEvENKUlvE1_clEvEUlS7_S7_E_S7_EEDaPvRmT3_T4_T5_mT6_P12ihipStream_tbENKUlT_T0_E_clISt17integral_constantIbLb0EESY_IbLb1EEEEDaSU_SV_EUlSU_E_NS1_11comp_targetILNS1_3genE4ELNS1_11target_archE910ELNS1_3gpuE8ELNS1_3repE0EEENS1_30default_config_static_selectorELNS0_4arch9wavefront6targetE0EEEvT1_,comdat
	.globl	_ZN7rocprim17ROCPRIM_400000_NS6detail17trampoline_kernelINS0_14default_configENS1_20scan_config_selectorIN3c107complexIdEEEEZZNS1_9scan_implILNS1_25lookback_scan_determinismE0ELb0ELb0ES3_PKS7_PS7_S7_ZZZN2at6native31launch_logcumsumexp_cuda_kernelERKNSE_10TensorBaseESI_lENKUlvE_clEvENKUlvE1_clEvEUlS7_S7_E_S7_EEDaPvRmT3_T4_T5_mT6_P12ihipStream_tbENKUlT_T0_E_clISt17integral_constantIbLb0EESY_IbLb1EEEEDaSU_SV_EUlSU_E_NS1_11comp_targetILNS1_3genE4ELNS1_11target_archE910ELNS1_3gpuE8ELNS1_3repE0EEENS1_30default_config_static_selectorELNS0_4arch9wavefront6targetE0EEEvT1_ ; -- Begin function _ZN7rocprim17ROCPRIM_400000_NS6detail17trampoline_kernelINS0_14default_configENS1_20scan_config_selectorIN3c107complexIdEEEEZZNS1_9scan_implILNS1_25lookback_scan_determinismE0ELb0ELb0ES3_PKS7_PS7_S7_ZZZN2at6native31launch_logcumsumexp_cuda_kernelERKNSE_10TensorBaseESI_lENKUlvE_clEvENKUlvE1_clEvEUlS7_S7_E_S7_EEDaPvRmT3_T4_T5_mT6_P12ihipStream_tbENKUlT_T0_E_clISt17integral_constantIbLb0EESY_IbLb1EEEEDaSU_SV_EUlSU_E_NS1_11comp_targetILNS1_3genE4ELNS1_11target_archE910ELNS1_3gpuE8ELNS1_3repE0EEENS1_30default_config_static_selectorELNS0_4arch9wavefront6targetE0EEEvT1_
	.p2align	8
	.type	_ZN7rocprim17ROCPRIM_400000_NS6detail17trampoline_kernelINS0_14default_configENS1_20scan_config_selectorIN3c107complexIdEEEEZZNS1_9scan_implILNS1_25lookback_scan_determinismE0ELb0ELb0ES3_PKS7_PS7_S7_ZZZN2at6native31launch_logcumsumexp_cuda_kernelERKNSE_10TensorBaseESI_lENKUlvE_clEvENKUlvE1_clEvEUlS7_S7_E_S7_EEDaPvRmT3_T4_T5_mT6_P12ihipStream_tbENKUlT_T0_E_clISt17integral_constantIbLb0EESY_IbLb1EEEEDaSU_SV_EUlSU_E_NS1_11comp_targetILNS1_3genE4ELNS1_11target_archE910ELNS1_3gpuE8ELNS1_3repE0EEENS1_30default_config_static_selectorELNS0_4arch9wavefront6targetE0EEEvT1_,@function
_ZN7rocprim17ROCPRIM_400000_NS6detail17trampoline_kernelINS0_14default_configENS1_20scan_config_selectorIN3c107complexIdEEEEZZNS1_9scan_implILNS1_25lookback_scan_determinismE0ELb0ELb0ES3_PKS7_PS7_S7_ZZZN2at6native31launch_logcumsumexp_cuda_kernelERKNSE_10TensorBaseESI_lENKUlvE_clEvENKUlvE1_clEvEUlS7_S7_E_S7_EEDaPvRmT3_T4_T5_mT6_P12ihipStream_tbENKUlT_T0_E_clISt17integral_constantIbLb0EESY_IbLb1EEEEDaSU_SV_EUlSU_E_NS1_11comp_targetILNS1_3genE4ELNS1_11target_archE910ELNS1_3gpuE8ELNS1_3repE0EEENS1_30default_config_static_selectorELNS0_4arch9wavefront6targetE0EEEvT1_: ; @_ZN7rocprim17ROCPRIM_400000_NS6detail17trampoline_kernelINS0_14default_configENS1_20scan_config_selectorIN3c107complexIdEEEEZZNS1_9scan_implILNS1_25lookback_scan_determinismE0ELb0ELb0ES3_PKS7_PS7_S7_ZZZN2at6native31launch_logcumsumexp_cuda_kernelERKNSE_10TensorBaseESI_lENKUlvE_clEvENKUlvE1_clEvEUlS7_S7_E_S7_EEDaPvRmT3_T4_T5_mT6_P12ihipStream_tbENKUlT_T0_E_clISt17integral_constantIbLb0EESY_IbLb1EEEEDaSU_SV_EUlSU_E_NS1_11comp_targetILNS1_3genE4ELNS1_11target_archE910ELNS1_3gpuE8ELNS1_3repE0EEENS1_30default_config_static_selectorELNS0_4arch9wavefront6targetE0EEEvT1_
; %bb.0:
	.section	.rodata,"a",@progbits
	.p2align	6, 0x0
	.amdhsa_kernel _ZN7rocprim17ROCPRIM_400000_NS6detail17trampoline_kernelINS0_14default_configENS1_20scan_config_selectorIN3c107complexIdEEEEZZNS1_9scan_implILNS1_25lookback_scan_determinismE0ELb0ELb0ES3_PKS7_PS7_S7_ZZZN2at6native31launch_logcumsumexp_cuda_kernelERKNSE_10TensorBaseESI_lENKUlvE_clEvENKUlvE1_clEvEUlS7_S7_E_S7_EEDaPvRmT3_T4_T5_mT6_P12ihipStream_tbENKUlT_T0_E_clISt17integral_constantIbLb0EESY_IbLb1EEEEDaSU_SV_EUlSU_E_NS1_11comp_targetILNS1_3genE4ELNS1_11target_archE910ELNS1_3gpuE8ELNS1_3repE0EEENS1_30default_config_static_selectorELNS0_4arch9wavefront6targetE0EEEvT1_
		.amdhsa_group_segment_fixed_size 0
		.amdhsa_private_segment_fixed_size 0
		.amdhsa_kernarg_size 128
		.amdhsa_user_sgpr_count 2
		.amdhsa_user_sgpr_dispatch_ptr 0
		.amdhsa_user_sgpr_queue_ptr 0
		.amdhsa_user_sgpr_kernarg_segment_ptr 1
		.amdhsa_user_sgpr_dispatch_id 0
		.amdhsa_user_sgpr_private_segment_size 0
		.amdhsa_wavefront_size32 1
		.amdhsa_uses_dynamic_stack 0
		.amdhsa_enable_private_segment 0
		.amdhsa_system_sgpr_workgroup_id_x 1
		.amdhsa_system_sgpr_workgroup_id_y 0
		.amdhsa_system_sgpr_workgroup_id_z 0
		.amdhsa_system_sgpr_workgroup_info 0
		.amdhsa_system_vgpr_workitem_id 0
		.amdhsa_next_free_vgpr 1
		.amdhsa_next_free_sgpr 1
		.amdhsa_reserve_vcc 0
		.amdhsa_float_round_mode_32 0
		.amdhsa_float_round_mode_16_64 0
		.amdhsa_float_denorm_mode_32 3
		.amdhsa_float_denorm_mode_16_64 3
		.amdhsa_fp16_overflow 0
		.amdhsa_workgroup_processor_mode 1
		.amdhsa_memory_ordered 1
		.amdhsa_forward_progress 1
		.amdhsa_inst_pref_size 0
		.amdhsa_round_robin_scheduling 0
		.amdhsa_exception_fp_ieee_invalid_op 0
		.amdhsa_exception_fp_denorm_src 0
		.amdhsa_exception_fp_ieee_div_zero 0
		.amdhsa_exception_fp_ieee_overflow 0
		.amdhsa_exception_fp_ieee_underflow 0
		.amdhsa_exception_fp_ieee_inexact 0
		.amdhsa_exception_int_div_zero 0
	.end_amdhsa_kernel
	.section	.text._ZN7rocprim17ROCPRIM_400000_NS6detail17trampoline_kernelINS0_14default_configENS1_20scan_config_selectorIN3c107complexIdEEEEZZNS1_9scan_implILNS1_25lookback_scan_determinismE0ELb0ELb0ES3_PKS7_PS7_S7_ZZZN2at6native31launch_logcumsumexp_cuda_kernelERKNSE_10TensorBaseESI_lENKUlvE_clEvENKUlvE1_clEvEUlS7_S7_E_S7_EEDaPvRmT3_T4_T5_mT6_P12ihipStream_tbENKUlT_T0_E_clISt17integral_constantIbLb0EESY_IbLb1EEEEDaSU_SV_EUlSU_E_NS1_11comp_targetILNS1_3genE4ELNS1_11target_archE910ELNS1_3gpuE8ELNS1_3repE0EEENS1_30default_config_static_selectorELNS0_4arch9wavefront6targetE0EEEvT1_,"axG",@progbits,_ZN7rocprim17ROCPRIM_400000_NS6detail17trampoline_kernelINS0_14default_configENS1_20scan_config_selectorIN3c107complexIdEEEEZZNS1_9scan_implILNS1_25lookback_scan_determinismE0ELb0ELb0ES3_PKS7_PS7_S7_ZZZN2at6native31launch_logcumsumexp_cuda_kernelERKNSE_10TensorBaseESI_lENKUlvE_clEvENKUlvE1_clEvEUlS7_S7_E_S7_EEDaPvRmT3_T4_T5_mT6_P12ihipStream_tbENKUlT_T0_E_clISt17integral_constantIbLb0EESY_IbLb1EEEEDaSU_SV_EUlSU_E_NS1_11comp_targetILNS1_3genE4ELNS1_11target_archE910ELNS1_3gpuE8ELNS1_3repE0EEENS1_30default_config_static_selectorELNS0_4arch9wavefront6targetE0EEEvT1_,comdat
.Lfunc_end243:
	.size	_ZN7rocprim17ROCPRIM_400000_NS6detail17trampoline_kernelINS0_14default_configENS1_20scan_config_selectorIN3c107complexIdEEEEZZNS1_9scan_implILNS1_25lookback_scan_determinismE0ELb0ELb0ES3_PKS7_PS7_S7_ZZZN2at6native31launch_logcumsumexp_cuda_kernelERKNSE_10TensorBaseESI_lENKUlvE_clEvENKUlvE1_clEvEUlS7_S7_E_S7_EEDaPvRmT3_T4_T5_mT6_P12ihipStream_tbENKUlT_T0_E_clISt17integral_constantIbLb0EESY_IbLb1EEEEDaSU_SV_EUlSU_E_NS1_11comp_targetILNS1_3genE4ELNS1_11target_archE910ELNS1_3gpuE8ELNS1_3repE0EEENS1_30default_config_static_selectorELNS0_4arch9wavefront6targetE0EEEvT1_, .Lfunc_end243-_ZN7rocprim17ROCPRIM_400000_NS6detail17trampoline_kernelINS0_14default_configENS1_20scan_config_selectorIN3c107complexIdEEEEZZNS1_9scan_implILNS1_25lookback_scan_determinismE0ELb0ELb0ES3_PKS7_PS7_S7_ZZZN2at6native31launch_logcumsumexp_cuda_kernelERKNSE_10TensorBaseESI_lENKUlvE_clEvENKUlvE1_clEvEUlS7_S7_E_S7_EEDaPvRmT3_T4_T5_mT6_P12ihipStream_tbENKUlT_T0_E_clISt17integral_constantIbLb0EESY_IbLb1EEEEDaSU_SV_EUlSU_E_NS1_11comp_targetILNS1_3genE4ELNS1_11target_archE910ELNS1_3gpuE8ELNS1_3repE0EEENS1_30default_config_static_selectorELNS0_4arch9wavefront6targetE0EEEvT1_
                                        ; -- End function
	.set _ZN7rocprim17ROCPRIM_400000_NS6detail17trampoline_kernelINS0_14default_configENS1_20scan_config_selectorIN3c107complexIdEEEEZZNS1_9scan_implILNS1_25lookback_scan_determinismE0ELb0ELb0ES3_PKS7_PS7_S7_ZZZN2at6native31launch_logcumsumexp_cuda_kernelERKNSE_10TensorBaseESI_lENKUlvE_clEvENKUlvE1_clEvEUlS7_S7_E_S7_EEDaPvRmT3_T4_T5_mT6_P12ihipStream_tbENKUlT_T0_E_clISt17integral_constantIbLb0EESY_IbLb1EEEEDaSU_SV_EUlSU_E_NS1_11comp_targetILNS1_3genE4ELNS1_11target_archE910ELNS1_3gpuE8ELNS1_3repE0EEENS1_30default_config_static_selectorELNS0_4arch9wavefront6targetE0EEEvT1_.num_vgpr, 0
	.set _ZN7rocprim17ROCPRIM_400000_NS6detail17trampoline_kernelINS0_14default_configENS1_20scan_config_selectorIN3c107complexIdEEEEZZNS1_9scan_implILNS1_25lookback_scan_determinismE0ELb0ELb0ES3_PKS7_PS7_S7_ZZZN2at6native31launch_logcumsumexp_cuda_kernelERKNSE_10TensorBaseESI_lENKUlvE_clEvENKUlvE1_clEvEUlS7_S7_E_S7_EEDaPvRmT3_T4_T5_mT6_P12ihipStream_tbENKUlT_T0_E_clISt17integral_constantIbLb0EESY_IbLb1EEEEDaSU_SV_EUlSU_E_NS1_11comp_targetILNS1_3genE4ELNS1_11target_archE910ELNS1_3gpuE8ELNS1_3repE0EEENS1_30default_config_static_selectorELNS0_4arch9wavefront6targetE0EEEvT1_.num_agpr, 0
	.set _ZN7rocprim17ROCPRIM_400000_NS6detail17trampoline_kernelINS0_14default_configENS1_20scan_config_selectorIN3c107complexIdEEEEZZNS1_9scan_implILNS1_25lookback_scan_determinismE0ELb0ELb0ES3_PKS7_PS7_S7_ZZZN2at6native31launch_logcumsumexp_cuda_kernelERKNSE_10TensorBaseESI_lENKUlvE_clEvENKUlvE1_clEvEUlS7_S7_E_S7_EEDaPvRmT3_T4_T5_mT6_P12ihipStream_tbENKUlT_T0_E_clISt17integral_constantIbLb0EESY_IbLb1EEEEDaSU_SV_EUlSU_E_NS1_11comp_targetILNS1_3genE4ELNS1_11target_archE910ELNS1_3gpuE8ELNS1_3repE0EEENS1_30default_config_static_selectorELNS0_4arch9wavefront6targetE0EEEvT1_.numbered_sgpr, 0
	.set _ZN7rocprim17ROCPRIM_400000_NS6detail17trampoline_kernelINS0_14default_configENS1_20scan_config_selectorIN3c107complexIdEEEEZZNS1_9scan_implILNS1_25lookback_scan_determinismE0ELb0ELb0ES3_PKS7_PS7_S7_ZZZN2at6native31launch_logcumsumexp_cuda_kernelERKNSE_10TensorBaseESI_lENKUlvE_clEvENKUlvE1_clEvEUlS7_S7_E_S7_EEDaPvRmT3_T4_T5_mT6_P12ihipStream_tbENKUlT_T0_E_clISt17integral_constantIbLb0EESY_IbLb1EEEEDaSU_SV_EUlSU_E_NS1_11comp_targetILNS1_3genE4ELNS1_11target_archE910ELNS1_3gpuE8ELNS1_3repE0EEENS1_30default_config_static_selectorELNS0_4arch9wavefront6targetE0EEEvT1_.num_named_barrier, 0
	.set _ZN7rocprim17ROCPRIM_400000_NS6detail17trampoline_kernelINS0_14default_configENS1_20scan_config_selectorIN3c107complexIdEEEEZZNS1_9scan_implILNS1_25lookback_scan_determinismE0ELb0ELb0ES3_PKS7_PS7_S7_ZZZN2at6native31launch_logcumsumexp_cuda_kernelERKNSE_10TensorBaseESI_lENKUlvE_clEvENKUlvE1_clEvEUlS7_S7_E_S7_EEDaPvRmT3_T4_T5_mT6_P12ihipStream_tbENKUlT_T0_E_clISt17integral_constantIbLb0EESY_IbLb1EEEEDaSU_SV_EUlSU_E_NS1_11comp_targetILNS1_3genE4ELNS1_11target_archE910ELNS1_3gpuE8ELNS1_3repE0EEENS1_30default_config_static_selectorELNS0_4arch9wavefront6targetE0EEEvT1_.private_seg_size, 0
	.set _ZN7rocprim17ROCPRIM_400000_NS6detail17trampoline_kernelINS0_14default_configENS1_20scan_config_selectorIN3c107complexIdEEEEZZNS1_9scan_implILNS1_25lookback_scan_determinismE0ELb0ELb0ES3_PKS7_PS7_S7_ZZZN2at6native31launch_logcumsumexp_cuda_kernelERKNSE_10TensorBaseESI_lENKUlvE_clEvENKUlvE1_clEvEUlS7_S7_E_S7_EEDaPvRmT3_T4_T5_mT6_P12ihipStream_tbENKUlT_T0_E_clISt17integral_constantIbLb0EESY_IbLb1EEEEDaSU_SV_EUlSU_E_NS1_11comp_targetILNS1_3genE4ELNS1_11target_archE910ELNS1_3gpuE8ELNS1_3repE0EEENS1_30default_config_static_selectorELNS0_4arch9wavefront6targetE0EEEvT1_.uses_vcc, 0
	.set _ZN7rocprim17ROCPRIM_400000_NS6detail17trampoline_kernelINS0_14default_configENS1_20scan_config_selectorIN3c107complexIdEEEEZZNS1_9scan_implILNS1_25lookback_scan_determinismE0ELb0ELb0ES3_PKS7_PS7_S7_ZZZN2at6native31launch_logcumsumexp_cuda_kernelERKNSE_10TensorBaseESI_lENKUlvE_clEvENKUlvE1_clEvEUlS7_S7_E_S7_EEDaPvRmT3_T4_T5_mT6_P12ihipStream_tbENKUlT_T0_E_clISt17integral_constantIbLb0EESY_IbLb1EEEEDaSU_SV_EUlSU_E_NS1_11comp_targetILNS1_3genE4ELNS1_11target_archE910ELNS1_3gpuE8ELNS1_3repE0EEENS1_30default_config_static_selectorELNS0_4arch9wavefront6targetE0EEEvT1_.uses_flat_scratch, 0
	.set _ZN7rocprim17ROCPRIM_400000_NS6detail17trampoline_kernelINS0_14default_configENS1_20scan_config_selectorIN3c107complexIdEEEEZZNS1_9scan_implILNS1_25lookback_scan_determinismE0ELb0ELb0ES3_PKS7_PS7_S7_ZZZN2at6native31launch_logcumsumexp_cuda_kernelERKNSE_10TensorBaseESI_lENKUlvE_clEvENKUlvE1_clEvEUlS7_S7_E_S7_EEDaPvRmT3_T4_T5_mT6_P12ihipStream_tbENKUlT_T0_E_clISt17integral_constantIbLb0EESY_IbLb1EEEEDaSU_SV_EUlSU_E_NS1_11comp_targetILNS1_3genE4ELNS1_11target_archE910ELNS1_3gpuE8ELNS1_3repE0EEENS1_30default_config_static_selectorELNS0_4arch9wavefront6targetE0EEEvT1_.has_dyn_sized_stack, 0
	.set _ZN7rocprim17ROCPRIM_400000_NS6detail17trampoline_kernelINS0_14default_configENS1_20scan_config_selectorIN3c107complexIdEEEEZZNS1_9scan_implILNS1_25lookback_scan_determinismE0ELb0ELb0ES3_PKS7_PS7_S7_ZZZN2at6native31launch_logcumsumexp_cuda_kernelERKNSE_10TensorBaseESI_lENKUlvE_clEvENKUlvE1_clEvEUlS7_S7_E_S7_EEDaPvRmT3_T4_T5_mT6_P12ihipStream_tbENKUlT_T0_E_clISt17integral_constantIbLb0EESY_IbLb1EEEEDaSU_SV_EUlSU_E_NS1_11comp_targetILNS1_3genE4ELNS1_11target_archE910ELNS1_3gpuE8ELNS1_3repE0EEENS1_30default_config_static_selectorELNS0_4arch9wavefront6targetE0EEEvT1_.has_recursion, 0
	.set _ZN7rocprim17ROCPRIM_400000_NS6detail17trampoline_kernelINS0_14default_configENS1_20scan_config_selectorIN3c107complexIdEEEEZZNS1_9scan_implILNS1_25lookback_scan_determinismE0ELb0ELb0ES3_PKS7_PS7_S7_ZZZN2at6native31launch_logcumsumexp_cuda_kernelERKNSE_10TensorBaseESI_lENKUlvE_clEvENKUlvE1_clEvEUlS7_S7_E_S7_EEDaPvRmT3_T4_T5_mT6_P12ihipStream_tbENKUlT_T0_E_clISt17integral_constantIbLb0EESY_IbLb1EEEEDaSU_SV_EUlSU_E_NS1_11comp_targetILNS1_3genE4ELNS1_11target_archE910ELNS1_3gpuE8ELNS1_3repE0EEENS1_30default_config_static_selectorELNS0_4arch9wavefront6targetE0EEEvT1_.has_indirect_call, 0
	.section	.AMDGPU.csdata,"",@progbits
; Kernel info:
; codeLenInByte = 0
; TotalNumSgprs: 0
; NumVgprs: 0
; ScratchSize: 0
; MemoryBound: 0
; FloatMode: 240
; IeeeMode: 1
; LDSByteSize: 0 bytes/workgroup (compile time only)
; SGPRBlocks: 0
; VGPRBlocks: 0
; NumSGPRsForWavesPerEU: 1
; NumVGPRsForWavesPerEU: 1
; Occupancy: 16
; WaveLimiterHint : 0
; COMPUTE_PGM_RSRC2:SCRATCH_EN: 0
; COMPUTE_PGM_RSRC2:USER_SGPR: 2
; COMPUTE_PGM_RSRC2:TRAP_HANDLER: 0
; COMPUTE_PGM_RSRC2:TGID_X_EN: 1
; COMPUTE_PGM_RSRC2:TGID_Y_EN: 0
; COMPUTE_PGM_RSRC2:TGID_Z_EN: 0
; COMPUTE_PGM_RSRC2:TIDIG_COMP_CNT: 0
	.section	.text._ZN7rocprim17ROCPRIM_400000_NS6detail17trampoline_kernelINS0_14default_configENS1_20scan_config_selectorIN3c107complexIdEEEEZZNS1_9scan_implILNS1_25lookback_scan_determinismE0ELb0ELb0ES3_PKS7_PS7_S7_ZZZN2at6native31launch_logcumsumexp_cuda_kernelERKNSE_10TensorBaseESI_lENKUlvE_clEvENKUlvE1_clEvEUlS7_S7_E_S7_EEDaPvRmT3_T4_T5_mT6_P12ihipStream_tbENKUlT_T0_E_clISt17integral_constantIbLb0EESY_IbLb1EEEEDaSU_SV_EUlSU_E_NS1_11comp_targetILNS1_3genE3ELNS1_11target_archE908ELNS1_3gpuE7ELNS1_3repE0EEENS1_30default_config_static_selectorELNS0_4arch9wavefront6targetE0EEEvT1_,"axG",@progbits,_ZN7rocprim17ROCPRIM_400000_NS6detail17trampoline_kernelINS0_14default_configENS1_20scan_config_selectorIN3c107complexIdEEEEZZNS1_9scan_implILNS1_25lookback_scan_determinismE0ELb0ELb0ES3_PKS7_PS7_S7_ZZZN2at6native31launch_logcumsumexp_cuda_kernelERKNSE_10TensorBaseESI_lENKUlvE_clEvENKUlvE1_clEvEUlS7_S7_E_S7_EEDaPvRmT3_T4_T5_mT6_P12ihipStream_tbENKUlT_T0_E_clISt17integral_constantIbLb0EESY_IbLb1EEEEDaSU_SV_EUlSU_E_NS1_11comp_targetILNS1_3genE3ELNS1_11target_archE908ELNS1_3gpuE7ELNS1_3repE0EEENS1_30default_config_static_selectorELNS0_4arch9wavefront6targetE0EEEvT1_,comdat
	.globl	_ZN7rocprim17ROCPRIM_400000_NS6detail17trampoline_kernelINS0_14default_configENS1_20scan_config_selectorIN3c107complexIdEEEEZZNS1_9scan_implILNS1_25lookback_scan_determinismE0ELb0ELb0ES3_PKS7_PS7_S7_ZZZN2at6native31launch_logcumsumexp_cuda_kernelERKNSE_10TensorBaseESI_lENKUlvE_clEvENKUlvE1_clEvEUlS7_S7_E_S7_EEDaPvRmT3_T4_T5_mT6_P12ihipStream_tbENKUlT_T0_E_clISt17integral_constantIbLb0EESY_IbLb1EEEEDaSU_SV_EUlSU_E_NS1_11comp_targetILNS1_3genE3ELNS1_11target_archE908ELNS1_3gpuE7ELNS1_3repE0EEENS1_30default_config_static_selectorELNS0_4arch9wavefront6targetE0EEEvT1_ ; -- Begin function _ZN7rocprim17ROCPRIM_400000_NS6detail17trampoline_kernelINS0_14default_configENS1_20scan_config_selectorIN3c107complexIdEEEEZZNS1_9scan_implILNS1_25lookback_scan_determinismE0ELb0ELb0ES3_PKS7_PS7_S7_ZZZN2at6native31launch_logcumsumexp_cuda_kernelERKNSE_10TensorBaseESI_lENKUlvE_clEvENKUlvE1_clEvEUlS7_S7_E_S7_EEDaPvRmT3_T4_T5_mT6_P12ihipStream_tbENKUlT_T0_E_clISt17integral_constantIbLb0EESY_IbLb1EEEEDaSU_SV_EUlSU_E_NS1_11comp_targetILNS1_3genE3ELNS1_11target_archE908ELNS1_3gpuE7ELNS1_3repE0EEENS1_30default_config_static_selectorELNS0_4arch9wavefront6targetE0EEEvT1_
	.p2align	8
	.type	_ZN7rocprim17ROCPRIM_400000_NS6detail17trampoline_kernelINS0_14default_configENS1_20scan_config_selectorIN3c107complexIdEEEEZZNS1_9scan_implILNS1_25lookback_scan_determinismE0ELb0ELb0ES3_PKS7_PS7_S7_ZZZN2at6native31launch_logcumsumexp_cuda_kernelERKNSE_10TensorBaseESI_lENKUlvE_clEvENKUlvE1_clEvEUlS7_S7_E_S7_EEDaPvRmT3_T4_T5_mT6_P12ihipStream_tbENKUlT_T0_E_clISt17integral_constantIbLb0EESY_IbLb1EEEEDaSU_SV_EUlSU_E_NS1_11comp_targetILNS1_3genE3ELNS1_11target_archE908ELNS1_3gpuE7ELNS1_3repE0EEENS1_30default_config_static_selectorELNS0_4arch9wavefront6targetE0EEEvT1_,@function
_ZN7rocprim17ROCPRIM_400000_NS6detail17trampoline_kernelINS0_14default_configENS1_20scan_config_selectorIN3c107complexIdEEEEZZNS1_9scan_implILNS1_25lookback_scan_determinismE0ELb0ELb0ES3_PKS7_PS7_S7_ZZZN2at6native31launch_logcumsumexp_cuda_kernelERKNSE_10TensorBaseESI_lENKUlvE_clEvENKUlvE1_clEvEUlS7_S7_E_S7_EEDaPvRmT3_T4_T5_mT6_P12ihipStream_tbENKUlT_T0_E_clISt17integral_constantIbLb0EESY_IbLb1EEEEDaSU_SV_EUlSU_E_NS1_11comp_targetILNS1_3genE3ELNS1_11target_archE908ELNS1_3gpuE7ELNS1_3repE0EEENS1_30default_config_static_selectorELNS0_4arch9wavefront6targetE0EEEvT1_: ; @_ZN7rocprim17ROCPRIM_400000_NS6detail17trampoline_kernelINS0_14default_configENS1_20scan_config_selectorIN3c107complexIdEEEEZZNS1_9scan_implILNS1_25lookback_scan_determinismE0ELb0ELb0ES3_PKS7_PS7_S7_ZZZN2at6native31launch_logcumsumexp_cuda_kernelERKNSE_10TensorBaseESI_lENKUlvE_clEvENKUlvE1_clEvEUlS7_S7_E_S7_EEDaPvRmT3_T4_T5_mT6_P12ihipStream_tbENKUlT_T0_E_clISt17integral_constantIbLb0EESY_IbLb1EEEEDaSU_SV_EUlSU_E_NS1_11comp_targetILNS1_3genE3ELNS1_11target_archE908ELNS1_3gpuE7ELNS1_3repE0EEENS1_30default_config_static_selectorELNS0_4arch9wavefront6targetE0EEEvT1_
; %bb.0:
	.section	.rodata,"a",@progbits
	.p2align	6, 0x0
	.amdhsa_kernel _ZN7rocprim17ROCPRIM_400000_NS6detail17trampoline_kernelINS0_14default_configENS1_20scan_config_selectorIN3c107complexIdEEEEZZNS1_9scan_implILNS1_25lookback_scan_determinismE0ELb0ELb0ES3_PKS7_PS7_S7_ZZZN2at6native31launch_logcumsumexp_cuda_kernelERKNSE_10TensorBaseESI_lENKUlvE_clEvENKUlvE1_clEvEUlS7_S7_E_S7_EEDaPvRmT3_T4_T5_mT6_P12ihipStream_tbENKUlT_T0_E_clISt17integral_constantIbLb0EESY_IbLb1EEEEDaSU_SV_EUlSU_E_NS1_11comp_targetILNS1_3genE3ELNS1_11target_archE908ELNS1_3gpuE7ELNS1_3repE0EEENS1_30default_config_static_selectorELNS0_4arch9wavefront6targetE0EEEvT1_
		.amdhsa_group_segment_fixed_size 0
		.amdhsa_private_segment_fixed_size 0
		.amdhsa_kernarg_size 128
		.amdhsa_user_sgpr_count 2
		.amdhsa_user_sgpr_dispatch_ptr 0
		.amdhsa_user_sgpr_queue_ptr 0
		.amdhsa_user_sgpr_kernarg_segment_ptr 1
		.amdhsa_user_sgpr_dispatch_id 0
		.amdhsa_user_sgpr_private_segment_size 0
		.amdhsa_wavefront_size32 1
		.amdhsa_uses_dynamic_stack 0
		.amdhsa_enable_private_segment 0
		.amdhsa_system_sgpr_workgroup_id_x 1
		.amdhsa_system_sgpr_workgroup_id_y 0
		.amdhsa_system_sgpr_workgroup_id_z 0
		.amdhsa_system_sgpr_workgroup_info 0
		.amdhsa_system_vgpr_workitem_id 0
		.amdhsa_next_free_vgpr 1
		.amdhsa_next_free_sgpr 1
		.amdhsa_reserve_vcc 0
		.amdhsa_float_round_mode_32 0
		.amdhsa_float_round_mode_16_64 0
		.amdhsa_float_denorm_mode_32 3
		.amdhsa_float_denorm_mode_16_64 3
		.amdhsa_fp16_overflow 0
		.amdhsa_workgroup_processor_mode 1
		.amdhsa_memory_ordered 1
		.amdhsa_forward_progress 1
		.amdhsa_inst_pref_size 0
		.amdhsa_round_robin_scheduling 0
		.amdhsa_exception_fp_ieee_invalid_op 0
		.amdhsa_exception_fp_denorm_src 0
		.amdhsa_exception_fp_ieee_div_zero 0
		.amdhsa_exception_fp_ieee_overflow 0
		.amdhsa_exception_fp_ieee_underflow 0
		.amdhsa_exception_fp_ieee_inexact 0
		.amdhsa_exception_int_div_zero 0
	.end_amdhsa_kernel
	.section	.text._ZN7rocprim17ROCPRIM_400000_NS6detail17trampoline_kernelINS0_14default_configENS1_20scan_config_selectorIN3c107complexIdEEEEZZNS1_9scan_implILNS1_25lookback_scan_determinismE0ELb0ELb0ES3_PKS7_PS7_S7_ZZZN2at6native31launch_logcumsumexp_cuda_kernelERKNSE_10TensorBaseESI_lENKUlvE_clEvENKUlvE1_clEvEUlS7_S7_E_S7_EEDaPvRmT3_T4_T5_mT6_P12ihipStream_tbENKUlT_T0_E_clISt17integral_constantIbLb0EESY_IbLb1EEEEDaSU_SV_EUlSU_E_NS1_11comp_targetILNS1_3genE3ELNS1_11target_archE908ELNS1_3gpuE7ELNS1_3repE0EEENS1_30default_config_static_selectorELNS0_4arch9wavefront6targetE0EEEvT1_,"axG",@progbits,_ZN7rocprim17ROCPRIM_400000_NS6detail17trampoline_kernelINS0_14default_configENS1_20scan_config_selectorIN3c107complexIdEEEEZZNS1_9scan_implILNS1_25lookback_scan_determinismE0ELb0ELb0ES3_PKS7_PS7_S7_ZZZN2at6native31launch_logcumsumexp_cuda_kernelERKNSE_10TensorBaseESI_lENKUlvE_clEvENKUlvE1_clEvEUlS7_S7_E_S7_EEDaPvRmT3_T4_T5_mT6_P12ihipStream_tbENKUlT_T0_E_clISt17integral_constantIbLb0EESY_IbLb1EEEEDaSU_SV_EUlSU_E_NS1_11comp_targetILNS1_3genE3ELNS1_11target_archE908ELNS1_3gpuE7ELNS1_3repE0EEENS1_30default_config_static_selectorELNS0_4arch9wavefront6targetE0EEEvT1_,comdat
.Lfunc_end244:
	.size	_ZN7rocprim17ROCPRIM_400000_NS6detail17trampoline_kernelINS0_14default_configENS1_20scan_config_selectorIN3c107complexIdEEEEZZNS1_9scan_implILNS1_25lookback_scan_determinismE0ELb0ELb0ES3_PKS7_PS7_S7_ZZZN2at6native31launch_logcumsumexp_cuda_kernelERKNSE_10TensorBaseESI_lENKUlvE_clEvENKUlvE1_clEvEUlS7_S7_E_S7_EEDaPvRmT3_T4_T5_mT6_P12ihipStream_tbENKUlT_T0_E_clISt17integral_constantIbLb0EESY_IbLb1EEEEDaSU_SV_EUlSU_E_NS1_11comp_targetILNS1_3genE3ELNS1_11target_archE908ELNS1_3gpuE7ELNS1_3repE0EEENS1_30default_config_static_selectorELNS0_4arch9wavefront6targetE0EEEvT1_, .Lfunc_end244-_ZN7rocprim17ROCPRIM_400000_NS6detail17trampoline_kernelINS0_14default_configENS1_20scan_config_selectorIN3c107complexIdEEEEZZNS1_9scan_implILNS1_25lookback_scan_determinismE0ELb0ELb0ES3_PKS7_PS7_S7_ZZZN2at6native31launch_logcumsumexp_cuda_kernelERKNSE_10TensorBaseESI_lENKUlvE_clEvENKUlvE1_clEvEUlS7_S7_E_S7_EEDaPvRmT3_T4_T5_mT6_P12ihipStream_tbENKUlT_T0_E_clISt17integral_constantIbLb0EESY_IbLb1EEEEDaSU_SV_EUlSU_E_NS1_11comp_targetILNS1_3genE3ELNS1_11target_archE908ELNS1_3gpuE7ELNS1_3repE0EEENS1_30default_config_static_selectorELNS0_4arch9wavefront6targetE0EEEvT1_
                                        ; -- End function
	.set _ZN7rocprim17ROCPRIM_400000_NS6detail17trampoline_kernelINS0_14default_configENS1_20scan_config_selectorIN3c107complexIdEEEEZZNS1_9scan_implILNS1_25lookback_scan_determinismE0ELb0ELb0ES3_PKS7_PS7_S7_ZZZN2at6native31launch_logcumsumexp_cuda_kernelERKNSE_10TensorBaseESI_lENKUlvE_clEvENKUlvE1_clEvEUlS7_S7_E_S7_EEDaPvRmT3_T4_T5_mT6_P12ihipStream_tbENKUlT_T0_E_clISt17integral_constantIbLb0EESY_IbLb1EEEEDaSU_SV_EUlSU_E_NS1_11comp_targetILNS1_3genE3ELNS1_11target_archE908ELNS1_3gpuE7ELNS1_3repE0EEENS1_30default_config_static_selectorELNS0_4arch9wavefront6targetE0EEEvT1_.num_vgpr, 0
	.set _ZN7rocprim17ROCPRIM_400000_NS6detail17trampoline_kernelINS0_14default_configENS1_20scan_config_selectorIN3c107complexIdEEEEZZNS1_9scan_implILNS1_25lookback_scan_determinismE0ELb0ELb0ES3_PKS7_PS7_S7_ZZZN2at6native31launch_logcumsumexp_cuda_kernelERKNSE_10TensorBaseESI_lENKUlvE_clEvENKUlvE1_clEvEUlS7_S7_E_S7_EEDaPvRmT3_T4_T5_mT6_P12ihipStream_tbENKUlT_T0_E_clISt17integral_constantIbLb0EESY_IbLb1EEEEDaSU_SV_EUlSU_E_NS1_11comp_targetILNS1_3genE3ELNS1_11target_archE908ELNS1_3gpuE7ELNS1_3repE0EEENS1_30default_config_static_selectorELNS0_4arch9wavefront6targetE0EEEvT1_.num_agpr, 0
	.set _ZN7rocprim17ROCPRIM_400000_NS6detail17trampoline_kernelINS0_14default_configENS1_20scan_config_selectorIN3c107complexIdEEEEZZNS1_9scan_implILNS1_25lookback_scan_determinismE0ELb0ELb0ES3_PKS7_PS7_S7_ZZZN2at6native31launch_logcumsumexp_cuda_kernelERKNSE_10TensorBaseESI_lENKUlvE_clEvENKUlvE1_clEvEUlS7_S7_E_S7_EEDaPvRmT3_T4_T5_mT6_P12ihipStream_tbENKUlT_T0_E_clISt17integral_constantIbLb0EESY_IbLb1EEEEDaSU_SV_EUlSU_E_NS1_11comp_targetILNS1_3genE3ELNS1_11target_archE908ELNS1_3gpuE7ELNS1_3repE0EEENS1_30default_config_static_selectorELNS0_4arch9wavefront6targetE0EEEvT1_.numbered_sgpr, 0
	.set _ZN7rocprim17ROCPRIM_400000_NS6detail17trampoline_kernelINS0_14default_configENS1_20scan_config_selectorIN3c107complexIdEEEEZZNS1_9scan_implILNS1_25lookback_scan_determinismE0ELb0ELb0ES3_PKS7_PS7_S7_ZZZN2at6native31launch_logcumsumexp_cuda_kernelERKNSE_10TensorBaseESI_lENKUlvE_clEvENKUlvE1_clEvEUlS7_S7_E_S7_EEDaPvRmT3_T4_T5_mT6_P12ihipStream_tbENKUlT_T0_E_clISt17integral_constantIbLb0EESY_IbLb1EEEEDaSU_SV_EUlSU_E_NS1_11comp_targetILNS1_3genE3ELNS1_11target_archE908ELNS1_3gpuE7ELNS1_3repE0EEENS1_30default_config_static_selectorELNS0_4arch9wavefront6targetE0EEEvT1_.num_named_barrier, 0
	.set _ZN7rocprim17ROCPRIM_400000_NS6detail17trampoline_kernelINS0_14default_configENS1_20scan_config_selectorIN3c107complexIdEEEEZZNS1_9scan_implILNS1_25lookback_scan_determinismE0ELb0ELb0ES3_PKS7_PS7_S7_ZZZN2at6native31launch_logcumsumexp_cuda_kernelERKNSE_10TensorBaseESI_lENKUlvE_clEvENKUlvE1_clEvEUlS7_S7_E_S7_EEDaPvRmT3_T4_T5_mT6_P12ihipStream_tbENKUlT_T0_E_clISt17integral_constantIbLb0EESY_IbLb1EEEEDaSU_SV_EUlSU_E_NS1_11comp_targetILNS1_3genE3ELNS1_11target_archE908ELNS1_3gpuE7ELNS1_3repE0EEENS1_30default_config_static_selectorELNS0_4arch9wavefront6targetE0EEEvT1_.private_seg_size, 0
	.set _ZN7rocprim17ROCPRIM_400000_NS6detail17trampoline_kernelINS0_14default_configENS1_20scan_config_selectorIN3c107complexIdEEEEZZNS1_9scan_implILNS1_25lookback_scan_determinismE0ELb0ELb0ES3_PKS7_PS7_S7_ZZZN2at6native31launch_logcumsumexp_cuda_kernelERKNSE_10TensorBaseESI_lENKUlvE_clEvENKUlvE1_clEvEUlS7_S7_E_S7_EEDaPvRmT3_T4_T5_mT6_P12ihipStream_tbENKUlT_T0_E_clISt17integral_constantIbLb0EESY_IbLb1EEEEDaSU_SV_EUlSU_E_NS1_11comp_targetILNS1_3genE3ELNS1_11target_archE908ELNS1_3gpuE7ELNS1_3repE0EEENS1_30default_config_static_selectorELNS0_4arch9wavefront6targetE0EEEvT1_.uses_vcc, 0
	.set _ZN7rocprim17ROCPRIM_400000_NS6detail17trampoline_kernelINS0_14default_configENS1_20scan_config_selectorIN3c107complexIdEEEEZZNS1_9scan_implILNS1_25lookback_scan_determinismE0ELb0ELb0ES3_PKS7_PS7_S7_ZZZN2at6native31launch_logcumsumexp_cuda_kernelERKNSE_10TensorBaseESI_lENKUlvE_clEvENKUlvE1_clEvEUlS7_S7_E_S7_EEDaPvRmT3_T4_T5_mT6_P12ihipStream_tbENKUlT_T0_E_clISt17integral_constantIbLb0EESY_IbLb1EEEEDaSU_SV_EUlSU_E_NS1_11comp_targetILNS1_3genE3ELNS1_11target_archE908ELNS1_3gpuE7ELNS1_3repE0EEENS1_30default_config_static_selectorELNS0_4arch9wavefront6targetE0EEEvT1_.uses_flat_scratch, 0
	.set _ZN7rocprim17ROCPRIM_400000_NS6detail17trampoline_kernelINS0_14default_configENS1_20scan_config_selectorIN3c107complexIdEEEEZZNS1_9scan_implILNS1_25lookback_scan_determinismE0ELb0ELb0ES3_PKS7_PS7_S7_ZZZN2at6native31launch_logcumsumexp_cuda_kernelERKNSE_10TensorBaseESI_lENKUlvE_clEvENKUlvE1_clEvEUlS7_S7_E_S7_EEDaPvRmT3_T4_T5_mT6_P12ihipStream_tbENKUlT_T0_E_clISt17integral_constantIbLb0EESY_IbLb1EEEEDaSU_SV_EUlSU_E_NS1_11comp_targetILNS1_3genE3ELNS1_11target_archE908ELNS1_3gpuE7ELNS1_3repE0EEENS1_30default_config_static_selectorELNS0_4arch9wavefront6targetE0EEEvT1_.has_dyn_sized_stack, 0
	.set _ZN7rocprim17ROCPRIM_400000_NS6detail17trampoline_kernelINS0_14default_configENS1_20scan_config_selectorIN3c107complexIdEEEEZZNS1_9scan_implILNS1_25lookback_scan_determinismE0ELb0ELb0ES3_PKS7_PS7_S7_ZZZN2at6native31launch_logcumsumexp_cuda_kernelERKNSE_10TensorBaseESI_lENKUlvE_clEvENKUlvE1_clEvEUlS7_S7_E_S7_EEDaPvRmT3_T4_T5_mT6_P12ihipStream_tbENKUlT_T0_E_clISt17integral_constantIbLb0EESY_IbLb1EEEEDaSU_SV_EUlSU_E_NS1_11comp_targetILNS1_3genE3ELNS1_11target_archE908ELNS1_3gpuE7ELNS1_3repE0EEENS1_30default_config_static_selectorELNS0_4arch9wavefront6targetE0EEEvT1_.has_recursion, 0
	.set _ZN7rocprim17ROCPRIM_400000_NS6detail17trampoline_kernelINS0_14default_configENS1_20scan_config_selectorIN3c107complexIdEEEEZZNS1_9scan_implILNS1_25lookback_scan_determinismE0ELb0ELb0ES3_PKS7_PS7_S7_ZZZN2at6native31launch_logcumsumexp_cuda_kernelERKNSE_10TensorBaseESI_lENKUlvE_clEvENKUlvE1_clEvEUlS7_S7_E_S7_EEDaPvRmT3_T4_T5_mT6_P12ihipStream_tbENKUlT_T0_E_clISt17integral_constantIbLb0EESY_IbLb1EEEEDaSU_SV_EUlSU_E_NS1_11comp_targetILNS1_3genE3ELNS1_11target_archE908ELNS1_3gpuE7ELNS1_3repE0EEENS1_30default_config_static_selectorELNS0_4arch9wavefront6targetE0EEEvT1_.has_indirect_call, 0
	.section	.AMDGPU.csdata,"",@progbits
; Kernel info:
; codeLenInByte = 0
; TotalNumSgprs: 0
; NumVgprs: 0
; ScratchSize: 0
; MemoryBound: 0
; FloatMode: 240
; IeeeMode: 1
; LDSByteSize: 0 bytes/workgroup (compile time only)
; SGPRBlocks: 0
; VGPRBlocks: 0
; NumSGPRsForWavesPerEU: 1
; NumVGPRsForWavesPerEU: 1
; Occupancy: 16
; WaveLimiterHint : 0
; COMPUTE_PGM_RSRC2:SCRATCH_EN: 0
; COMPUTE_PGM_RSRC2:USER_SGPR: 2
; COMPUTE_PGM_RSRC2:TRAP_HANDLER: 0
; COMPUTE_PGM_RSRC2:TGID_X_EN: 1
; COMPUTE_PGM_RSRC2:TGID_Y_EN: 0
; COMPUTE_PGM_RSRC2:TGID_Z_EN: 0
; COMPUTE_PGM_RSRC2:TIDIG_COMP_CNT: 0
	.section	.text._ZN7rocprim17ROCPRIM_400000_NS6detail17trampoline_kernelINS0_14default_configENS1_20scan_config_selectorIN3c107complexIdEEEEZZNS1_9scan_implILNS1_25lookback_scan_determinismE0ELb0ELb0ES3_PKS7_PS7_S7_ZZZN2at6native31launch_logcumsumexp_cuda_kernelERKNSE_10TensorBaseESI_lENKUlvE_clEvENKUlvE1_clEvEUlS7_S7_E_S7_EEDaPvRmT3_T4_T5_mT6_P12ihipStream_tbENKUlT_T0_E_clISt17integral_constantIbLb0EESY_IbLb1EEEEDaSU_SV_EUlSU_E_NS1_11comp_targetILNS1_3genE2ELNS1_11target_archE906ELNS1_3gpuE6ELNS1_3repE0EEENS1_30default_config_static_selectorELNS0_4arch9wavefront6targetE0EEEvT1_,"axG",@progbits,_ZN7rocprim17ROCPRIM_400000_NS6detail17trampoline_kernelINS0_14default_configENS1_20scan_config_selectorIN3c107complexIdEEEEZZNS1_9scan_implILNS1_25lookback_scan_determinismE0ELb0ELb0ES3_PKS7_PS7_S7_ZZZN2at6native31launch_logcumsumexp_cuda_kernelERKNSE_10TensorBaseESI_lENKUlvE_clEvENKUlvE1_clEvEUlS7_S7_E_S7_EEDaPvRmT3_T4_T5_mT6_P12ihipStream_tbENKUlT_T0_E_clISt17integral_constantIbLb0EESY_IbLb1EEEEDaSU_SV_EUlSU_E_NS1_11comp_targetILNS1_3genE2ELNS1_11target_archE906ELNS1_3gpuE6ELNS1_3repE0EEENS1_30default_config_static_selectorELNS0_4arch9wavefront6targetE0EEEvT1_,comdat
	.globl	_ZN7rocprim17ROCPRIM_400000_NS6detail17trampoline_kernelINS0_14default_configENS1_20scan_config_selectorIN3c107complexIdEEEEZZNS1_9scan_implILNS1_25lookback_scan_determinismE0ELb0ELb0ES3_PKS7_PS7_S7_ZZZN2at6native31launch_logcumsumexp_cuda_kernelERKNSE_10TensorBaseESI_lENKUlvE_clEvENKUlvE1_clEvEUlS7_S7_E_S7_EEDaPvRmT3_T4_T5_mT6_P12ihipStream_tbENKUlT_T0_E_clISt17integral_constantIbLb0EESY_IbLb1EEEEDaSU_SV_EUlSU_E_NS1_11comp_targetILNS1_3genE2ELNS1_11target_archE906ELNS1_3gpuE6ELNS1_3repE0EEENS1_30default_config_static_selectorELNS0_4arch9wavefront6targetE0EEEvT1_ ; -- Begin function _ZN7rocprim17ROCPRIM_400000_NS6detail17trampoline_kernelINS0_14default_configENS1_20scan_config_selectorIN3c107complexIdEEEEZZNS1_9scan_implILNS1_25lookback_scan_determinismE0ELb0ELb0ES3_PKS7_PS7_S7_ZZZN2at6native31launch_logcumsumexp_cuda_kernelERKNSE_10TensorBaseESI_lENKUlvE_clEvENKUlvE1_clEvEUlS7_S7_E_S7_EEDaPvRmT3_T4_T5_mT6_P12ihipStream_tbENKUlT_T0_E_clISt17integral_constantIbLb0EESY_IbLb1EEEEDaSU_SV_EUlSU_E_NS1_11comp_targetILNS1_3genE2ELNS1_11target_archE906ELNS1_3gpuE6ELNS1_3repE0EEENS1_30default_config_static_selectorELNS0_4arch9wavefront6targetE0EEEvT1_
	.p2align	8
	.type	_ZN7rocprim17ROCPRIM_400000_NS6detail17trampoline_kernelINS0_14default_configENS1_20scan_config_selectorIN3c107complexIdEEEEZZNS1_9scan_implILNS1_25lookback_scan_determinismE0ELb0ELb0ES3_PKS7_PS7_S7_ZZZN2at6native31launch_logcumsumexp_cuda_kernelERKNSE_10TensorBaseESI_lENKUlvE_clEvENKUlvE1_clEvEUlS7_S7_E_S7_EEDaPvRmT3_T4_T5_mT6_P12ihipStream_tbENKUlT_T0_E_clISt17integral_constantIbLb0EESY_IbLb1EEEEDaSU_SV_EUlSU_E_NS1_11comp_targetILNS1_3genE2ELNS1_11target_archE906ELNS1_3gpuE6ELNS1_3repE0EEENS1_30default_config_static_selectorELNS0_4arch9wavefront6targetE0EEEvT1_,@function
_ZN7rocprim17ROCPRIM_400000_NS6detail17trampoline_kernelINS0_14default_configENS1_20scan_config_selectorIN3c107complexIdEEEEZZNS1_9scan_implILNS1_25lookback_scan_determinismE0ELb0ELb0ES3_PKS7_PS7_S7_ZZZN2at6native31launch_logcumsumexp_cuda_kernelERKNSE_10TensorBaseESI_lENKUlvE_clEvENKUlvE1_clEvEUlS7_S7_E_S7_EEDaPvRmT3_T4_T5_mT6_P12ihipStream_tbENKUlT_T0_E_clISt17integral_constantIbLb0EESY_IbLb1EEEEDaSU_SV_EUlSU_E_NS1_11comp_targetILNS1_3genE2ELNS1_11target_archE906ELNS1_3gpuE6ELNS1_3repE0EEENS1_30default_config_static_selectorELNS0_4arch9wavefront6targetE0EEEvT1_: ; @_ZN7rocprim17ROCPRIM_400000_NS6detail17trampoline_kernelINS0_14default_configENS1_20scan_config_selectorIN3c107complexIdEEEEZZNS1_9scan_implILNS1_25lookback_scan_determinismE0ELb0ELb0ES3_PKS7_PS7_S7_ZZZN2at6native31launch_logcumsumexp_cuda_kernelERKNSE_10TensorBaseESI_lENKUlvE_clEvENKUlvE1_clEvEUlS7_S7_E_S7_EEDaPvRmT3_T4_T5_mT6_P12ihipStream_tbENKUlT_T0_E_clISt17integral_constantIbLb0EESY_IbLb1EEEEDaSU_SV_EUlSU_E_NS1_11comp_targetILNS1_3genE2ELNS1_11target_archE906ELNS1_3gpuE6ELNS1_3repE0EEENS1_30default_config_static_selectorELNS0_4arch9wavefront6targetE0EEEvT1_
; %bb.0:
	.section	.rodata,"a",@progbits
	.p2align	6, 0x0
	.amdhsa_kernel _ZN7rocprim17ROCPRIM_400000_NS6detail17trampoline_kernelINS0_14default_configENS1_20scan_config_selectorIN3c107complexIdEEEEZZNS1_9scan_implILNS1_25lookback_scan_determinismE0ELb0ELb0ES3_PKS7_PS7_S7_ZZZN2at6native31launch_logcumsumexp_cuda_kernelERKNSE_10TensorBaseESI_lENKUlvE_clEvENKUlvE1_clEvEUlS7_S7_E_S7_EEDaPvRmT3_T4_T5_mT6_P12ihipStream_tbENKUlT_T0_E_clISt17integral_constantIbLb0EESY_IbLb1EEEEDaSU_SV_EUlSU_E_NS1_11comp_targetILNS1_3genE2ELNS1_11target_archE906ELNS1_3gpuE6ELNS1_3repE0EEENS1_30default_config_static_selectorELNS0_4arch9wavefront6targetE0EEEvT1_
		.amdhsa_group_segment_fixed_size 0
		.amdhsa_private_segment_fixed_size 0
		.amdhsa_kernarg_size 128
		.amdhsa_user_sgpr_count 2
		.amdhsa_user_sgpr_dispatch_ptr 0
		.amdhsa_user_sgpr_queue_ptr 0
		.amdhsa_user_sgpr_kernarg_segment_ptr 1
		.amdhsa_user_sgpr_dispatch_id 0
		.amdhsa_user_sgpr_private_segment_size 0
		.amdhsa_wavefront_size32 1
		.amdhsa_uses_dynamic_stack 0
		.amdhsa_enable_private_segment 0
		.amdhsa_system_sgpr_workgroup_id_x 1
		.amdhsa_system_sgpr_workgroup_id_y 0
		.amdhsa_system_sgpr_workgroup_id_z 0
		.amdhsa_system_sgpr_workgroup_info 0
		.amdhsa_system_vgpr_workitem_id 0
		.amdhsa_next_free_vgpr 1
		.amdhsa_next_free_sgpr 1
		.amdhsa_reserve_vcc 0
		.amdhsa_float_round_mode_32 0
		.amdhsa_float_round_mode_16_64 0
		.amdhsa_float_denorm_mode_32 3
		.amdhsa_float_denorm_mode_16_64 3
		.amdhsa_fp16_overflow 0
		.amdhsa_workgroup_processor_mode 1
		.amdhsa_memory_ordered 1
		.amdhsa_forward_progress 1
		.amdhsa_inst_pref_size 0
		.amdhsa_round_robin_scheduling 0
		.amdhsa_exception_fp_ieee_invalid_op 0
		.amdhsa_exception_fp_denorm_src 0
		.amdhsa_exception_fp_ieee_div_zero 0
		.amdhsa_exception_fp_ieee_overflow 0
		.amdhsa_exception_fp_ieee_underflow 0
		.amdhsa_exception_fp_ieee_inexact 0
		.amdhsa_exception_int_div_zero 0
	.end_amdhsa_kernel
	.section	.text._ZN7rocprim17ROCPRIM_400000_NS6detail17trampoline_kernelINS0_14default_configENS1_20scan_config_selectorIN3c107complexIdEEEEZZNS1_9scan_implILNS1_25lookback_scan_determinismE0ELb0ELb0ES3_PKS7_PS7_S7_ZZZN2at6native31launch_logcumsumexp_cuda_kernelERKNSE_10TensorBaseESI_lENKUlvE_clEvENKUlvE1_clEvEUlS7_S7_E_S7_EEDaPvRmT3_T4_T5_mT6_P12ihipStream_tbENKUlT_T0_E_clISt17integral_constantIbLb0EESY_IbLb1EEEEDaSU_SV_EUlSU_E_NS1_11comp_targetILNS1_3genE2ELNS1_11target_archE906ELNS1_3gpuE6ELNS1_3repE0EEENS1_30default_config_static_selectorELNS0_4arch9wavefront6targetE0EEEvT1_,"axG",@progbits,_ZN7rocprim17ROCPRIM_400000_NS6detail17trampoline_kernelINS0_14default_configENS1_20scan_config_selectorIN3c107complexIdEEEEZZNS1_9scan_implILNS1_25lookback_scan_determinismE0ELb0ELb0ES3_PKS7_PS7_S7_ZZZN2at6native31launch_logcumsumexp_cuda_kernelERKNSE_10TensorBaseESI_lENKUlvE_clEvENKUlvE1_clEvEUlS7_S7_E_S7_EEDaPvRmT3_T4_T5_mT6_P12ihipStream_tbENKUlT_T0_E_clISt17integral_constantIbLb0EESY_IbLb1EEEEDaSU_SV_EUlSU_E_NS1_11comp_targetILNS1_3genE2ELNS1_11target_archE906ELNS1_3gpuE6ELNS1_3repE0EEENS1_30default_config_static_selectorELNS0_4arch9wavefront6targetE0EEEvT1_,comdat
.Lfunc_end245:
	.size	_ZN7rocprim17ROCPRIM_400000_NS6detail17trampoline_kernelINS0_14default_configENS1_20scan_config_selectorIN3c107complexIdEEEEZZNS1_9scan_implILNS1_25lookback_scan_determinismE0ELb0ELb0ES3_PKS7_PS7_S7_ZZZN2at6native31launch_logcumsumexp_cuda_kernelERKNSE_10TensorBaseESI_lENKUlvE_clEvENKUlvE1_clEvEUlS7_S7_E_S7_EEDaPvRmT3_T4_T5_mT6_P12ihipStream_tbENKUlT_T0_E_clISt17integral_constantIbLb0EESY_IbLb1EEEEDaSU_SV_EUlSU_E_NS1_11comp_targetILNS1_3genE2ELNS1_11target_archE906ELNS1_3gpuE6ELNS1_3repE0EEENS1_30default_config_static_selectorELNS0_4arch9wavefront6targetE0EEEvT1_, .Lfunc_end245-_ZN7rocprim17ROCPRIM_400000_NS6detail17trampoline_kernelINS0_14default_configENS1_20scan_config_selectorIN3c107complexIdEEEEZZNS1_9scan_implILNS1_25lookback_scan_determinismE0ELb0ELb0ES3_PKS7_PS7_S7_ZZZN2at6native31launch_logcumsumexp_cuda_kernelERKNSE_10TensorBaseESI_lENKUlvE_clEvENKUlvE1_clEvEUlS7_S7_E_S7_EEDaPvRmT3_T4_T5_mT6_P12ihipStream_tbENKUlT_T0_E_clISt17integral_constantIbLb0EESY_IbLb1EEEEDaSU_SV_EUlSU_E_NS1_11comp_targetILNS1_3genE2ELNS1_11target_archE906ELNS1_3gpuE6ELNS1_3repE0EEENS1_30default_config_static_selectorELNS0_4arch9wavefront6targetE0EEEvT1_
                                        ; -- End function
	.set _ZN7rocprim17ROCPRIM_400000_NS6detail17trampoline_kernelINS0_14default_configENS1_20scan_config_selectorIN3c107complexIdEEEEZZNS1_9scan_implILNS1_25lookback_scan_determinismE0ELb0ELb0ES3_PKS7_PS7_S7_ZZZN2at6native31launch_logcumsumexp_cuda_kernelERKNSE_10TensorBaseESI_lENKUlvE_clEvENKUlvE1_clEvEUlS7_S7_E_S7_EEDaPvRmT3_T4_T5_mT6_P12ihipStream_tbENKUlT_T0_E_clISt17integral_constantIbLb0EESY_IbLb1EEEEDaSU_SV_EUlSU_E_NS1_11comp_targetILNS1_3genE2ELNS1_11target_archE906ELNS1_3gpuE6ELNS1_3repE0EEENS1_30default_config_static_selectorELNS0_4arch9wavefront6targetE0EEEvT1_.num_vgpr, 0
	.set _ZN7rocprim17ROCPRIM_400000_NS6detail17trampoline_kernelINS0_14default_configENS1_20scan_config_selectorIN3c107complexIdEEEEZZNS1_9scan_implILNS1_25lookback_scan_determinismE0ELb0ELb0ES3_PKS7_PS7_S7_ZZZN2at6native31launch_logcumsumexp_cuda_kernelERKNSE_10TensorBaseESI_lENKUlvE_clEvENKUlvE1_clEvEUlS7_S7_E_S7_EEDaPvRmT3_T4_T5_mT6_P12ihipStream_tbENKUlT_T0_E_clISt17integral_constantIbLb0EESY_IbLb1EEEEDaSU_SV_EUlSU_E_NS1_11comp_targetILNS1_3genE2ELNS1_11target_archE906ELNS1_3gpuE6ELNS1_3repE0EEENS1_30default_config_static_selectorELNS0_4arch9wavefront6targetE0EEEvT1_.num_agpr, 0
	.set _ZN7rocprim17ROCPRIM_400000_NS6detail17trampoline_kernelINS0_14default_configENS1_20scan_config_selectorIN3c107complexIdEEEEZZNS1_9scan_implILNS1_25lookback_scan_determinismE0ELb0ELb0ES3_PKS7_PS7_S7_ZZZN2at6native31launch_logcumsumexp_cuda_kernelERKNSE_10TensorBaseESI_lENKUlvE_clEvENKUlvE1_clEvEUlS7_S7_E_S7_EEDaPvRmT3_T4_T5_mT6_P12ihipStream_tbENKUlT_T0_E_clISt17integral_constantIbLb0EESY_IbLb1EEEEDaSU_SV_EUlSU_E_NS1_11comp_targetILNS1_3genE2ELNS1_11target_archE906ELNS1_3gpuE6ELNS1_3repE0EEENS1_30default_config_static_selectorELNS0_4arch9wavefront6targetE0EEEvT1_.numbered_sgpr, 0
	.set _ZN7rocprim17ROCPRIM_400000_NS6detail17trampoline_kernelINS0_14default_configENS1_20scan_config_selectorIN3c107complexIdEEEEZZNS1_9scan_implILNS1_25lookback_scan_determinismE0ELb0ELb0ES3_PKS7_PS7_S7_ZZZN2at6native31launch_logcumsumexp_cuda_kernelERKNSE_10TensorBaseESI_lENKUlvE_clEvENKUlvE1_clEvEUlS7_S7_E_S7_EEDaPvRmT3_T4_T5_mT6_P12ihipStream_tbENKUlT_T0_E_clISt17integral_constantIbLb0EESY_IbLb1EEEEDaSU_SV_EUlSU_E_NS1_11comp_targetILNS1_3genE2ELNS1_11target_archE906ELNS1_3gpuE6ELNS1_3repE0EEENS1_30default_config_static_selectorELNS0_4arch9wavefront6targetE0EEEvT1_.num_named_barrier, 0
	.set _ZN7rocprim17ROCPRIM_400000_NS6detail17trampoline_kernelINS0_14default_configENS1_20scan_config_selectorIN3c107complexIdEEEEZZNS1_9scan_implILNS1_25lookback_scan_determinismE0ELb0ELb0ES3_PKS7_PS7_S7_ZZZN2at6native31launch_logcumsumexp_cuda_kernelERKNSE_10TensorBaseESI_lENKUlvE_clEvENKUlvE1_clEvEUlS7_S7_E_S7_EEDaPvRmT3_T4_T5_mT6_P12ihipStream_tbENKUlT_T0_E_clISt17integral_constantIbLb0EESY_IbLb1EEEEDaSU_SV_EUlSU_E_NS1_11comp_targetILNS1_3genE2ELNS1_11target_archE906ELNS1_3gpuE6ELNS1_3repE0EEENS1_30default_config_static_selectorELNS0_4arch9wavefront6targetE0EEEvT1_.private_seg_size, 0
	.set _ZN7rocprim17ROCPRIM_400000_NS6detail17trampoline_kernelINS0_14default_configENS1_20scan_config_selectorIN3c107complexIdEEEEZZNS1_9scan_implILNS1_25lookback_scan_determinismE0ELb0ELb0ES3_PKS7_PS7_S7_ZZZN2at6native31launch_logcumsumexp_cuda_kernelERKNSE_10TensorBaseESI_lENKUlvE_clEvENKUlvE1_clEvEUlS7_S7_E_S7_EEDaPvRmT3_T4_T5_mT6_P12ihipStream_tbENKUlT_T0_E_clISt17integral_constantIbLb0EESY_IbLb1EEEEDaSU_SV_EUlSU_E_NS1_11comp_targetILNS1_3genE2ELNS1_11target_archE906ELNS1_3gpuE6ELNS1_3repE0EEENS1_30default_config_static_selectorELNS0_4arch9wavefront6targetE0EEEvT1_.uses_vcc, 0
	.set _ZN7rocprim17ROCPRIM_400000_NS6detail17trampoline_kernelINS0_14default_configENS1_20scan_config_selectorIN3c107complexIdEEEEZZNS1_9scan_implILNS1_25lookback_scan_determinismE0ELb0ELb0ES3_PKS7_PS7_S7_ZZZN2at6native31launch_logcumsumexp_cuda_kernelERKNSE_10TensorBaseESI_lENKUlvE_clEvENKUlvE1_clEvEUlS7_S7_E_S7_EEDaPvRmT3_T4_T5_mT6_P12ihipStream_tbENKUlT_T0_E_clISt17integral_constantIbLb0EESY_IbLb1EEEEDaSU_SV_EUlSU_E_NS1_11comp_targetILNS1_3genE2ELNS1_11target_archE906ELNS1_3gpuE6ELNS1_3repE0EEENS1_30default_config_static_selectorELNS0_4arch9wavefront6targetE0EEEvT1_.uses_flat_scratch, 0
	.set _ZN7rocprim17ROCPRIM_400000_NS6detail17trampoline_kernelINS0_14default_configENS1_20scan_config_selectorIN3c107complexIdEEEEZZNS1_9scan_implILNS1_25lookback_scan_determinismE0ELb0ELb0ES3_PKS7_PS7_S7_ZZZN2at6native31launch_logcumsumexp_cuda_kernelERKNSE_10TensorBaseESI_lENKUlvE_clEvENKUlvE1_clEvEUlS7_S7_E_S7_EEDaPvRmT3_T4_T5_mT6_P12ihipStream_tbENKUlT_T0_E_clISt17integral_constantIbLb0EESY_IbLb1EEEEDaSU_SV_EUlSU_E_NS1_11comp_targetILNS1_3genE2ELNS1_11target_archE906ELNS1_3gpuE6ELNS1_3repE0EEENS1_30default_config_static_selectorELNS0_4arch9wavefront6targetE0EEEvT1_.has_dyn_sized_stack, 0
	.set _ZN7rocprim17ROCPRIM_400000_NS6detail17trampoline_kernelINS0_14default_configENS1_20scan_config_selectorIN3c107complexIdEEEEZZNS1_9scan_implILNS1_25lookback_scan_determinismE0ELb0ELb0ES3_PKS7_PS7_S7_ZZZN2at6native31launch_logcumsumexp_cuda_kernelERKNSE_10TensorBaseESI_lENKUlvE_clEvENKUlvE1_clEvEUlS7_S7_E_S7_EEDaPvRmT3_T4_T5_mT6_P12ihipStream_tbENKUlT_T0_E_clISt17integral_constantIbLb0EESY_IbLb1EEEEDaSU_SV_EUlSU_E_NS1_11comp_targetILNS1_3genE2ELNS1_11target_archE906ELNS1_3gpuE6ELNS1_3repE0EEENS1_30default_config_static_selectorELNS0_4arch9wavefront6targetE0EEEvT1_.has_recursion, 0
	.set _ZN7rocprim17ROCPRIM_400000_NS6detail17trampoline_kernelINS0_14default_configENS1_20scan_config_selectorIN3c107complexIdEEEEZZNS1_9scan_implILNS1_25lookback_scan_determinismE0ELb0ELb0ES3_PKS7_PS7_S7_ZZZN2at6native31launch_logcumsumexp_cuda_kernelERKNSE_10TensorBaseESI_lENKUlvE_clEvENKUlvE1_clEvEUlS7_S7_E_S7_EEDaPvRmT3_T4_T5_mT6_P12ihipStream_tbENKUlT_T0_E_clISt17integral_constantIbLb0EESY_IbLb1EEEEDaSU_SV_EUlSU_E_NS1_11comp_targetILNS1_3genE2ELNS1_11target_archE906ELNS1_3gpuE6ELNS1_3repE0EEENS1_30default_config_static_selectorELNS0_4arch9wavefront6targetE0EEEvT1_.has_indirect_call, 0
	.section	.AMDGPU.csdata,"",@progbits
; Kernel info:
; codeLenInByte = 0
; TotalNumSgprs: 0
; NumVgprs: 0
; ScratchSize: 0
; MemoryBound: 0
; FloatMode: 240
; IeeeMode: 1
; LDSByteSize: 0 bytes/workgroup (compile time only)
; SGPRBlocks: 0
; VGPRBlocks: 0
; NumSGPRsForWavesPerEU: 1
; NumVGPRsForWavesPerEU: 1
; Occupancy: 16
; WaveLimiterHint : 0
; COMPUTE_PGM_RSRC2:SCRATCH_EN: 0
; COMPUTE_PGM_RSRC2:USER_SGPR: 2
; COMPUTE_PGM_RSRC2:TRAP_HANDLER: 0
; COMPUTE_PGM_RSRC2:TGID_X_EN: 1
; COMPUTE_PGM_RSRC2:TGID_Y_EN: 0
; COMPUTE_PGM_RSRC2:TGID_Z_EN: 0
; COMPUTE_PGM_RSRC2:TIDIG_COMP_CNT: 0
	.section	.text._ZN7rocprim17ROCPRIM_400000_NS6detail17trampoline_kernelINS0_14default_configENS1_20scan_config_selectorIN3c107complexIdEEEEZZNS1_9scan_implILNS1_25lookback_scan_determinismE0ELb0ELb0ES3_PKS7_PS7_S7_ZZZN2at6native31launch_logcumsumexp_cuda_kernelERKNSE_10TensorBaseESI_lENKUlvE_clEvENKUlvE1_clEvEUlS7_S7_E_S7_EEDaPvRmT3_T4_T5_mT6_P12ihipStream_tbENKUlT_T0_E_clISt17integral_constantIbLb0EESY_IbLb1EEEEDaSU_SV_EUlSU_E_NS1_11comp_targetILNS1_3genE10ELNS1_11target_archE1201ELNS1_3gpuE5ELNS1_3repE0EEENS1_30default_config_static_selectorELNS0_4arch9wavefront6targetE0EEEvT1_,"axG",@progbits,_ZN7rocprim17ROCPRIM_400000_NS6detail17trampoline_kernelINS0_14default_configENS1_20scan_config_selectorIN3c107complexIdEEEEZZNS1_9scan_implILNS1_25lookback_scan_determinismE0ELb0ELb0ES3_PKS7_PS7_S7_ZZZN2at6native31launch_logcumsumexp_cuda_kernelERKNSE_10TensorBaseESI_lENKUlvE_clEvENKUlvE1_clEvEUlS7_S7_E_S7_EEDaPvRmT3_T4_T5_mT6_P12ihipStream_tbENKUlT_T0_E_clISt17integral_constantIbLb0EESY_IbLb1EEEEDaSU_SV_EUlSU_E_NS1_11comp_targetILNS1_3genE10ELNS1_11target_archE1201ELNS1_3gpuE5ELNS1_3repE0EEENS1_30default_config_static_selectorELNS0_4arch9wavefront6targetE0EEEvT1_,comdat
	.globl	_ZN7rocprim17ROCPRIM_400000_NS6detail17trampoline_kernelINS0_14default_configENS1_20scan_config_selectorIN3c107complexIdEEEEZZNS1_9scan_implILNS1_25lookback_scan_determinismE0ELb0ELb0ES3_PKS7_PS7_S7_ZZZN2at6native31launch_logcumsumexp_cuda_kernelERKNSE_10TensorBaseESI_lENKUlvE_clEvENKUlvE1_clEvEUlS7_S7_E_S7_EEDaPvRmT3_T4_T5_mT6_P12ihipStream_tbENKUlT_T0_E_clISt17integral_constantIbLb0EESY_IbLb1EEEEDaSU_SV_EUlSU_E_NS1_11comp_targetILNS1_3genE10ELNS1_11target_archE1201ELNS1_3gpuE5ELNS1_3repE0EEENS1_30default_config_static_selectorELNS0_4arch9wavefront6targetE0EEEvT1_ ; -- Begin function _ZN7rocprim17ROCPRIM_400000_NS6detail17trampoline_kernelINS0_14default_configENS1_20scan_config_selectorIN3c107complexIdEEEEZZNS1_9scan_implILNS1_25lookback_scan_determinismE0ELb0ELb0ES3_PKS7_PS7_S7_ZZZN2at6native31launch_logcumsumexp_cuda_kernelERKNSE_10TensorBaseESI_lENKUlvE_clEvENKUlvE1_clEvEUlS7_S7_E_S7_EEDaPvRmT3_T4_T5_mT6_P12ihipStream_tbENKUlT_T0_E_clISt17integral_constantIbLb0EESY_IbLb1EEEEDaSU_SV_EUlSU_E_NS1_11comp_targetILNS1_3genE10ELNS1_11target_archE1201ELNS1_3gpuE5ELNS1_3repE0EEENS1_30default_config_static_selectorELNS0_4arch9wavefront6targetE0EEEvT1_
	.p2align	8
	.type	_ZN7rocprim17ROCPRIM_400000_NS6detail17trampoline_kernelINS0_14default_configENS1_20scan_config_selectorIN3c107complexIdEEEEZZNS1_9scan_implILNS1_25lookback_scan_determinismE0ELb0ELb0ES3_PKS7_PS7_S7_ZZZN2at6native31launch_logcumsumexp_cuda_kernelERKNSE_10TensorBaseESI_lENKUlvE_clEvENKUlvE1_clEvEUlS7_S7_E_S7_EEDaPvRmT3_T4_T5_mT6_P12ihipStream_tbENKUlT_T0_E_clISt17integral_constantIbLb0EESY_IbLb1EEEEDaSU_SV_EUlSU_E_NS1_11comp_targetILNS1_3genE10ELNS1_11target_archE1201ELNS1_3gpuE5ELNS1_3repE0EEENS1_30default_config_static_selectorELNS0_4arch9wavefront6targetE0EEEvT1_,@function
_ZN7rocprim17ROCPRIM_400000_NS6detail17trampoline_kernelINS0_14default_configENS1_20scan_config_selectorIN3c107complexIdEEEEZZNS1_9scan_implILNS1_25lookback_scan_determinismE0ELb0ELb0ES3_PKS7_PS7_S7_ZZZN2at6native31launch_logcumsumexp_cuda_kernelERKNSE_10TensorBaseESI_lENKUlvE_clEvENKUlvE1_clEvEUlS7_S7_E_S7_EEDaPvRmT3_T4_T5_mT6_P12ihipStream_tbENKUlT_T0_E_clISt17integral_constantIbLb0EESY_IbLb1EEEEDaSU_SV_EUlSU_E_NS1_11comp_targetILNS1_3genE10ELNS1_11target_archE1201ELNS1_3gpuE5ELNS1_3repE0EEENS1_30default_config_static_selectorELNS0_4arch9wavefront6targetE0EEEvT1_: ; @_ZN7rocprim17ROCPRIM_400000_NS6detail17trampoline_kernelINS0_14default_configENS1_20scan_config_selectorIN3c107complexIdEEEEZZNS1_9scan_implILNS1_25lookback_scan_determinismE0ELb0ELb0ES3_PKS7_PS7_S7_ZZZN2at6native31launch_logcumsumexp_cuda_kernelERKNSE_10TensorBaseESI_lENKUlvE_clEvENKUlvE1_clEvEUlS7_S7_E_S7_EEDaPvRmT3_T4_T5_mT6_P12ihipStream_tbENKUlT_T0_E_clISt17integral_constantIbLb0EESY_IbLb1EEEEDaSU_SV_EUlSU_E_NS1_11comp_targetILNS1_3genE10ELNS1_11target_archE1201ELNS1_3gpuE5ELNS1_3repE0EEENS1_30default_config_static_selectorELNS0_4arch9wavefront6targetE0EEEvT1_
; %bb.0:
	s_clause 0x1
	s_load_b128 s[44:47], s[0:1], 0x38
	s_load_b64 s[34:35], s[0:1], 0x48
	v_mov_b32_e32 v180, v0
	s_mov_b32 s32, 0
	s_delay_alu instid0(VALU_DEP_1)
	v_cmp_ne_u32_e64 s19, 0, v180
	v_cmp_eq_u32_e64 s20, 0, v180
	s_and_saveexec_b32 s2, s20
	s_cbranch_execz .LBB246_4
; %bb.1:
	s_mov_b32 s4, exec_lo
	s_mov_b32 s3, exec_lo
	v_mbcnt_lo_u32_b32 v0, s4, 0
                                        ; implicit-def: $vgpr1
	s_delay_alu instid0(VALU_DEP_1)
	v_cmpx_eq_u32_e32 0, v0
	s_cbranch_execz .LBB246_3
; %bb.2:
	s_load_b64 s[6:7], s[0:1], 0x78
	s_bcnt1_i32_b32 s4, s4
	s_wait_alu 0xfffe
	v_dual_mov_b32 v1, 0 :: v_dual_mov_b32 v2, s4
	s_wait_kmcnt 0x0
	global_atomic_add_u32 v1, v1, v2, s[6:7] th:TH_ATOMIC_RETURN scope:SCOPE_DEV
.LBB246_3:
	s_or_b32 exec_lo, exec_lo, s3
	s_wait_loadcnt 0x0
	v_readfirstlane_b32 s3, v1
	s_delay_alu instid0(VALU_DEP_1)
	v_dual_mov_b32 v1, 0 :: v_dual_add_nc_u32 v0, s3, v0
	ds_store_b32 v1, v0
.LBB246_4:
	s_or_b32 exec_lo, exec_lo, s2
	v_mov_b32_e32 v0, 0
	s_clause 0x2
	s_load_b256 s[24:31], s[0:1], 0x0
	s_load_b32 s2, s[0:1], 0x50
	s_load_b256 s[36:43], s[0:1], 0x58
	s_wait_dscnt 0x0
	s_barrier_signal -1
	s_barrier_wait -1
	global_inv scope:SCOPE_SE
	ds_load_b32 v0, v0
	s_mov_b32 s1, 0
	v_lshlrev_b32_e32 v182, 4, v180
	s_mov_b32 s7, s1
	s_mov_b32 s4, -1
	s_wait_loadcnt_dscnt 0x0
	s_barrier_signal -1
	s_barrier_wait -1
	global_inv scope:SCOPE_SE
	s_wait_kmcnt 0x0
	s_lshl_b64 s[26:27], s[26:27], 4
	s_add_co_i32 s5, s2, -1
	s_add_nc_u64 s[2:3], s[24:25], s[26:27]
	s_wait_alu 0xfffe
	s_mul_i32 s0, s5, 0xb00
	v_readfirstlane_b32 s33, v0
	v_cmp_ne_u32_e64 s18, s5, v0
	s_mul_i32 s6, s33, 0xb00
	s_and_b32 vcc_lo, exec_lo, s18
	s_lshl_b64 s[48:49], s[6:7], 4
	s_delay_alu instid0(SALU_CYCLE_1)
	s_add_nc_u64 s[2:3], s[2:3], s[48:49]
	s_cbranch_vccz .LBB246_6
; %bb.5:
	s_clause 0xa
	global_load_b128 v[0:3], v182, s[2:3] offset:4096
	global_load_b128 v[4:7], v182, s[2:3] offset:8192
	;; [unrolled: 1-line block ×9, first 2 shown]
	global_load_b128 v[36:39], v182, s[2:3]
	global_load_b128 v[40:43], v182, s[2:3] offset:40960
	s_mov_b32 s4, s1
	s_wait_loadcnt 0xa
	ds_store_b128 v182, v[0:3] offset:4096
	s_wait_loadcnt 0x9
	ds_store_b128 v182, v[4:7] offset:8192
	;; [unrolled: 2-line block ×9, first 2 shown]
	s_wait_loadcnt 0x1
	ds_store_b128 v182, v[36:39]
	s_wait_loadcnt 0x0
	ds_store_b128 v182, v[40:43] offset:40960
	s_wait_dscnt 0x0
	s_barrier_signal -1
	s_barrier_wait -1
.LBB246_6:
	s_sub_nc_u64 s[24:25], s[30:31], s[0:1]
	s_wait_alu 0xfffe
	s_and_not1_b32 vcc_lo, exec_lo, s4
	v_cmp_gt_u32_e64 s0, s24, v180
	s_cbranch_vccnz .LBB246_30
; %bb.7:
	v_mov_b32_e32 v0, 0
	global_load_b128 v[0:3], v0, s[2:3]
	s_wait_loadcnt 0x0
	v_dual_mov_b32 v7, v3 :: v_dual_mov_b32 v6, v2
	v_dual_mov_b32 v5, v1 :: v_dual_mov_b32 v4, v0
	s_and_saveexec_b32 s1, s0
	s_cbranch_execz .LBB246_9
; %bb.8:
	global_load_b128 v[4:7], v182, s[2:3]
.LBB246_9:
	s_or_b32 exec_lo, exec_lo, s1
	v_or_b32_e32 v8, 0x100, v180
	v_dual_mov_b32 v11, v3 :: v_dual_mov_b32 v10, v2
	s_delay_alu instid0(VALU_DEP_2)
	v_cmp_gt_u32_e32 vcc_lo, s24, v8
	v_dual_mov_b32 v9, v1 :: v_dual_mov_b32 v8, v0
	s_and_saveexec_b32 s0, vcc_lo
	s_cbranch_execz .LBB246_11
; %bb.10:
	global_load_b128 v[8:11], v182, s[2:3] offset:4096
.LBB246_11:
	s_or_b32 exec_lo, exec_lo, s0
	v_or_b32_e32 v12, 0x200, v180
	v_dual_mov_b32 v15, v3 :: v_dual_mov_b32 v14, v2
	s_delay_alu instid0(VALU_DEP_2)
	v_cmp_gt_u32_e32 vcc_lo, s24, v12
	v_dual_mov_b32 v13, v1 :: v_dual_mov_b32 v12, v0
	s_and_saveexec_b32 s0, vcc_lo
	s_cbranch_execz .LBB246_13
; %bb.12:
	global_load_b128 v[12:15], v182, s[2:3] offset:8192
.LBB246_13:
	;; [unrolled: 11-line block ×9, first 2 shown]
	s_or_b32 exec_lo, exec_lo, s0
	v_or_b32_e32 v44, 0xa00, v180
	s_mov_b32 s0, exec_lo
	s_delay_alu instid0(VALU_DEP_1)
	v_cmpx_gt_u32_e64 s24, v44
	s_cbranch_execz .LBB246_29
; %bb.28:
	global_load_b128 v[0:3], v182, s[2:3] offset:40960
.LBB246_29:
	s_or_b32 exec_lo, exec_lo, s0
	s_wait_loadcnt 0x0
	ds_store_b128 v182, v[8:11] offset:4096
	ds_store_b128 v182, v[12:15] offset:8192
	;; [unrolled: 1-line block ×9, first 2 shown]
	ds_store_b128 v182, v[4:7]
	ds_store_b128 v182, v[0:3] offset:40960
	s_wait_dscnt 0x0
	s_barrier_signal -1
	s_barrier_wait -1
.LBB246_30:
	v_mul_u32_u24_e32 v181, 0xb0, v180
	s_wait_loadcnt 0x0
	global_inv scope:SCOPE_SE
	s_cmp_lg_u32 s33, 0
	ds_load_b128 v[40:43], v181
	ds_load_b128 v[120:123], v181 offset:16
	ds_load_b128 v[108:111], v181 offset:32
	ds_load_b128 v[104:107], v181 offset:48
	ds_load_b128 v[92:95], v181 offset:64
	ds_load_b128 v[88:91], v181 offset:80
	ds_load_b128 v[76:79], v181 offset:96
	ds_load_b128 v[72:75], v181 offset:112
	ds_load_b128 v[60:63], v181 offset:128
	ds_load_b128 v[56:59], v181 offset:144
	ds_load_b128 v[44:47], v181 offset:160
	s_wait_loadcnt_dscnt 0x0
	s_barrier_signal -1
	s_barrier_wait -1
	global_inv scope:SCOPE_SE
	s_cbranch_scc0 .LBB246_88
; %bb.31:
	v_dual_mov_b32 v0, v40 :: v_dual_mov_b32 v1, v41
	v_dual_mov_b32 v2, v42 :: v_dual_mov_b32 v3, v43
	;; [unrolled: 1-line block ×4, first 2 shown]
	s_getpc_b64 s[22:23]
	s_sext_i32_i16 s23, s23
	s_add_co_u32 s22, s22, _ZZZZN2at6native31launch_logcumsumexp_cuda_kernelERKNS_10TensorBaseES3_lENKUlvE_clEvENKUlvE1_clEvENKUlN3c107complexIdEES8_E_clES8_S8_@rel32@lo+8
	s_add_co_ci_u32 s23, s23, _ZZZZN2at6native31launch_logcumsumexp_cuda_kernelERKNS_10TensorBaseES3_lENKUlvE_clEvENKUlvE1_clEvENKUlN3c107complexIdEES8_E_clES8_S8_@rel32@hi+16
	s_delay_alu instid0(SALU_CYCLE_1)
	s_swappc_b64 s[30:31], s[22:23]
	v_dual_mov_b32 v4, v108 :: v_dual_mov_b32 v5, v109
	v_dual_mov_b32 v6, v110 :: v_dual_mov_b32 v7, v111
	s_wait_alu 0xfffe
	s_swappc_b64 s[30:31], s[22:23]
	v_dual_mov_b32 v4, v104 :: v_dual_mov_b32 v5, v105
	v_dual_mov_b32 v6, v106 :: v_dual_mov_b32 v7, v107
	s_wait_alu 0xfffe
	s_swappc_b64 s[30:31], s[22:23]
	v_dual_mov_b32 v4, v92 :: v_dual_mov_b32 v5, v93
	v_dual_mov_b32 v6, v94 :: v_dual_mov_b32 v7, v95
	s_wait_alu 0xfffe
	s_swappc_b64 s[30:31], s[22:23]
	v_dual_mov_b32 v4, v88 :: v_dual_mov_b32 v5, v89
	v_dual_mov_b32 v6, v90 :: v_dual_mov_b32 v7, v91
	s_wait_alu 0xfffe
	s_swappc_b64 s[30:31], s[22:23]
	v_dual_mov_b32 v4, v76 :: v_dual_mov_b32 v5, v77
	v_dual_mov_b32 v6, v78 :: v_dual_mov_b32 v7, v79
	s_wait_alu 0xfffe
	s_swappc_b64 s[30:31], s[22:23]
	v_dual_mov_b32 v4, v72 :: v_dual_mov_b32 v5, v73
	v_dual_mov_b32 v6, v74 :: v_dual_mov_b32 v7, v75
	s_wait_alu 0xfffe
	s_swappc_b64 s[30:31], s[22:23]
	v_dual_mov_b32 v4, v60 :: v_dual_mov_b32 v5, v61
	v_dual_mov_b32 v6, v62 :: v_dual_mov_b32 v7, v63
	s_wait_alu 0xfffe
	s_swappc_b64 s[30:31], s[22:23]
	v_dual_mov_b32 v4, v56 :: v_dual_mov_b32 v5, v57
	v_dual_mov_b32 v6, v58 :: v_dual_mov_b32 v7, v59
	s_wait_alu 0xfffe
	s_swappc_b64 s[30:31], s[22:23]
	v_dual_mov_b32 v4, v44 :: v_dual_mov_b32 v5, v45
	v_dual_mov_b32 v6, v46 :: v_dual_mov_b32 v7, v47
	s_wait_alu 0xfffe
	s_swappc_b64 s[30:31], s[22:23]
	v_dual_mov_b32 v136, v0 :: v_dual_mov_b32 v137, v1
	v_dual_mov_b32 v138, v2 :: v_dual_mov_b32 v139, v3
	v_mbcnt_lo_u32_b32 v146, -1, 0
	s_delay_alu instid0(VALU_DEP_3) | instskip(NEXT) | instid1(VALU_DEP_4)
	v_mov_b32_dpp v0, v136 row_shr:1 row_mask:0xf bank_mask:0xf
	v_mov_b32_dpp v1, v137 row_shr:1 row_mask:0xf bank_mask:0xf
	s_delay_alu instid0(VALU_DEP_4) | instskip(SKIP_3) | instid1(VALU_DEP_1)
	v_mov_b32_dpp v2, v138 row_shr:1 row_mask:0xf bank_mask:0xf
	v_mov_b32_dpp v3, v139 row_shr:1 row_mask:0xf bank_mask:0xf
	v_and_b32_e32 v124, 15, v146
	s_mov_b32 s21, exec_lo
	v_cmpx_ne_u32_e32 0, v124
	s_cbranch_execz .LBB246_33
; %bb.32:
	v_dual_mov_b32 v4, v136 :: v_dual_mov_b32 v5, v137
	v_dual_mov_b32 v6, v138 :: v_dual_mov_b32 v7, v139
	s_wait_alu 0xfffe
	s_swappc_b64 s[30:31], s[22:23]
	v_dual_mov_b32 v136, v0 :: v_dual_mov_b32 v137, v1
	v_dual_mov_b32 v138, v2 :: v_dual_mov_b32 v139, v3
.LBB246_33:
	s_wait_alu 0xfffe
	s_or_b32 exec_lo, exec_lo, s21
	s_delay_alu instid0(VALU_DEP_2)
	v_mov_b32_dpp v0, v136 row_shr:2 row_mask:0xf bank_mask:0xf
	v_mov_b32_dpp v1, v137 row_shr:2 row_mask:0xf bank_mask:0xf
	v_mov_b32_dpp v2, v138 row_shr:2 row_mask:0xf bank_mask:0xf
	v_mov_b32_dpp v3, v139 row_shr:2 row_mask:0xf bank_mask:0xf
	s_mov_b32 s21, exec_lo
	v_cmpx_lt_u32_e32 1, v124
	s_cbranch_execz .LBB246_35
; %bb.34:
	v_dual_mov_b32 v4, v136 :: v_dual_mov_b32 v5, v137
	v_dual_mov_b32 v6, v138 :: v_dual_mov_b32 v7, v139
	s_getpc_b64 s[0:1]
	s_wait_alu 0xfffe
	s_sext_i32_i16 s1, s1
	s_add_co_u32 s0, s0, _ZZZZN2at6native31launch_logcumsumexp_cuda_kernelERKNS_10TensorBaseES3_lENKUlvE_clEvENKUlvE1_clEvENKUlN3c107complexIdEES8_E_clES8_S8_@rel32@lo+12
	s_wait_alu 0xfffe
	s_add_co_ci_u32 s1, s1, _ZZZZN2at6native31launch_logcumsumexp_cuda_kernelERKNS_10TensorBaseES3_lENKUlvE_clEvENKUlvE1_clEvENKUlN3c107complexIdEES8_E_clES8_S8_@rel32@hi+24
	s_wait_alu 0xfffe
	s_swappc_b64 s[30:31], s[0:1]
	v_dual_mov_b32 v136, v0 :: v_dual_mov_b32 v137, v1
	v_dual_mov_b32 v138, v2 :: v_dual_mov_b32 v139, v3
.LBB246_35:
	s_wait_alu 0xfffe
	s_or_b32 exec_lo, exec_lo, s21
	s_delay_alu instid0(VALU_DEP_2)
	v_mov_b32_dpp v0, v136 row_shr:4 row_mask:0xf bank_mask:0xf
	v_mov_b32_dpp v1, v137 row_shr:4 row_mask:0xf bank_mask:0xf
	v_mov_b32_dpp v2, v138 row_shr:4 row_mask:0xf bank_mask:0xf
	v_mov_b32_dpp v3, v139 row_shr:4 row_mask:0xf bank_mask:0xf
	s_mov_b32 s21, exec_lo
	v_cmpx_lt_u32_e32 3, v124
	s_cbranch_execz .LBB246_37
; %bb.36:
	v_dual_mov_b32 v4, v136 :: v_dual_mov_b32 v5, v137
	v_dual_mov_b32 v6, v138 :: v_dual_mov_b32 v7, v139
	s_getpc_b64 s[0:1]
	s_wait_alu 0xfffe
	s_sext_i32_i16 s1, s1
	s_add_co_u32 s0, s0, _ZZZZN2at6native31launch_logcumsumexp_cuda_kernelERKNS_10TensorBaseES3_lENKUlvE_clEvENKUlvE1_clEvENKUlN3c107complexIdEES8_E_clES8_S8_@rel32@lo+12
	s_wait_alu 0xfffe
	s_add_co_ci_u32 s1, s1, _ZZZZN2at6native31launch_logcumsumexp_cuda_kernelERKNS_10TensorBaseES3_lENKUlvE_clEvENKUlvE1_clEvENKUlN3c107complexIdEES8_E_clES8_S8_@rel32@hi+24
	s_wait_alu 0xfffe
	s_swappc_b64 s[30:31], s[0:1]
	v_dual_mov_b32 v136, v0 :: v_dual_mov_b32 v137, v1
	v_dual_mov_b32 v138, v2 :: v_dual_mov_b32 v139, v3
.LBB246_37:
	;; [unrolled: 24-line block ×3, first 2 shown]
	s_wait_alu 0xfffe
	s_or_b32 exec_lo, exec_lo, s21
	ds_swizzle_b32 v0, v136 offset:swizzle(BROADCAST,32,15)
	ds_swizzle_b32 v1, v137 offset:swizzle(BROADCAST,32,15)
	;; [unrolled: 1-line block ×4, first 2 shown]
	v_and_b32_e32 v4, 16, v146
	s_mov_b32 s21, exec_lo
	s_delay_alu instid0(VALU_DEP_1)
	v_cmpx_ne_u32_e32 0, v4
	s_cbranch_execz .LBB246_41
; %bb.40:
	v_dual_mov_b32 v4, v136 :: v_dual_mov_b32 v5, v137
	v_dual_mov_b32 v6, v138 :: v_dual_mov_b32 v7, v139
	s_getpc_b64 s[0:1]
	s_wait_alu 0xfffe
	s_sext_i32_i16 s1, s1
	s_add_co_u32 s0, s0, _ZZZZN2at6native31launch_logcumsumexp_cuda_kernelERKNS_10TensorBaseES3_lENKUlvE_clEvENKUlvE1_clEvENKUlN3c107complexIdEES8_E_clES8_S8_@rel32@lo+12
	s_wait_alu 0xfffe
	s_add_co_ci_u32 s1, s1, _ZZZZN2at6native31launch_logcumsumexp_cuda_kernelERKNS_10TensorBaseES3_lENKUlvE_clEvENKUlvE1_clEvENKUlN3c107complexIdEES8_E_clES8_S8_@rel32@hi+24
	s_wait_alu 0xfffe
	s_swappc_b64 s[30:31], s[0:1]
	v_dual_mov_b32 v136, v0 :: v_dual_mov_b32 v137, v1
	v_dual_mov_b32 v138, v2 :: v_dual_mov_b32 v139, v3
.LBB246_41:
	s_wait_alu 0xfffe
	s_or_b32 exec_lo, exec_lo, s21
	s_wait_dscnt 0x3
	v_or_b32_e32 v0, 31, v180
	v_lshrrev_b32_e32 v140, 5, v180
	s_mov_b32 s0, exec_lo
	s_delay_alu instid0(VALU_DEP_2)
	v_cmpx_eq_u32_e64 v180, v0
; %bb.42:
	s_delay_alu instid0(VALU_DEP_2)
	v_lshlrev_b32_e32 v0, 4, v140
	ds_store_b128 v0, v[136:139]
; %bb.43:
	s_wait_alu 0xfffe
	s_or_b32 exec_lo, exec_lo, s0
	s_delay_alu instid0(SALU_CYCLE_1)
	s_mov_b32 s21, exec_lo
	s_wait_storecnt_dscnt 0x0
	s_barrier_signal -1
	s_barrier_wait -1
	global_inv scope:SCOPE_SE
	v_cmpx_gt_u32_e32 8, v180
	s_cbranch_execz .LBB246_51
; %bb.44:
	ds_load_b128 v[4:7], v182
	v_and_b32_e32 v124, 7, v146
	s_mov_b32 s22, exec_lo
	s_wait_dscnt 0x0
	v_mov_b32_dpp v0, v4 row_shr:1 row_mask:0xf bank_mask:0xf
	v_mov_b32_dpp v1, v5 row_shr:1 row_mask:0xf bank_mask:0xf
	;; [unrolled: 1-line block ×4, first 2 shown]
	v_cmpx_ne_u32_e32 0, v124
	s_cbranch_execz .LBB246_46
; %bb.45:
	s_getpc_b64 s[0:1]
	s_wait_alu 0xfffe
	s_sext_i32_i16 s1, s1
	s_add_co_u32 s0, s0, _ZZZZN2at6native31launch_logcumsumexp_cuda_kernelERKNS_10TensorBaseES3_lENKUlvE_clEvENKUlvE1_clEvENKUlN3c107complexIdEES8_E_clES8_S8_@rel32@lo+12
	s_wait_alu 0xfffe
	s_add_co_ci_u32 s1, s1, _ZZZZN2at6native31launch_logcumsumexp_cuda_kernelERKNS_10TensorBaseES3_lENKUlvE_clEvENKUlvE1_clEvENKUlN3c107complexIdEES8_E_clES8_S8_@rel32@hi+24
	s_wait_alu 0xfffe
	s_swappc_b64 s[30:31], s[0:1]
	v_dual_mov_b32 v4, v0 :: v_dual_mov_b32 v5, v1
	v_dual_mov_b32 v6, v2 :: v_dual_mov_b32 v7, v3
.LBB246_46:
	s_wait_alu 0xfffe
	s_or_b32 exec_lo, exec_lo, s22
	s_delay_alu instid0(VALU_DEP_2)
	v_mov_b32_dpp v0, v4 row_shr:2 row_mask:0xf bank_mask:0xf
	v_mov_b32_dpp v1, v5 row_shr:2 row_mask:0xf bank_mask:0xf
	;; [unrolled: 1-line block ×4, first 2 shown]
	s_mov_b32 s22, exec_lo
	v_cmpx_lt_u32_e32 1, v124
	s_cbranch_execz .LBB246_48
; %bb.47:
	s_getpc_b64 s[0:1]
	s_wait_alu 0xfffe
	s_sext_i32_i16 s1, s1
	s_add_co_u32 s0, s0, _ZZZZN2at6native31launch_logcumsumexp_cuda_kernelERKNS_10TensorBaseES3_lENKUlvE_clEvENKUlvE1_clEvENKUlN3c107complexIdEES8_E_clES8_S8_@rel32@lo+12
	s_wait_alu 0xfffe
	s_add_co_ci_u32 s1, s1, _ZZZZN2at6native31launch_logcumsumexp_cuda_kernelERKNS_10TensorBaseES3_lENKUlvE_clEvENKUlvE1_clEvENKUlN3c107complexIdEES8_E_clES8_S8_@rel32@hi+24
	s_wait_alu 0xfffe
	s_swappc_b64 s[30:31], s[0:1]
	v_dual_mov_b32 v4, v0 :: v_dual_mov_b32 v5, v1
	v_dual_mov_b32 v6, v2 :: v_dual_mov_b32 v7, v3
.LBB246_48:
	s_wait_alu 0xfffe
	s_or_b32 exec_lo, exec_lo, s22
	s_delay_alu instid0(VALU_DEP_2)
	v_mov_b32_dpp v0, v4 row_shr:4 row_mask:0xf bank_mask:0xf
	v_mov_b32_dpp v1, v5 row_shr:4 row_mask:0xf bank_mask:0xf
	;; [unrolled: 1-line block ×4, first 2 shown]
	s_mov_b32 s22, exec_lo
	v_cmpx_lt_u32_e32 3, v124
	s_cbranch_execz .LBB246_50
; %bb.49:
	s_getpc_b64 s[0:1]
	s_wait_alu 0xfffe
	s_sext_i32_i16 s1, s1
	s_add_co_u32 s0, s0, _ZZZZN2at6native31launch_logcumsumexp_cuda_kernelERKNS_10TensorBaseES3_lENKUlvE_clEvENKUlvE1_clEvENKUlN3c107complexIdEES8_E_clES8_S8_@rel32@lo+12
	s_wait_alu 0xfffe
	s_add_co_ci_u32 s1, s1, _ZZZZN2at6native31launch_logcumsumexp_cuda_kernelERKNS_10TensorBaseES3_lENKUlvE_clEvENKUlvE1_clEvENKUlN3c107complexIdEES8_E_clES8_S8_@rel32@hi+24
	s_wait_alu 0xfffe
	s_swappc_b64 s[30:31], s[0:1]
	v_dual_mov_b32 v4, v0 :: v_dual_mov_b32 v5, v1
	v_dual_mov_b32 v6, v2 :: v_dual_mov_b32 v7, v3
.LBB246_50:
	s_wait_alu 0xfffe
	s_or_b32 exec_lo, exec_lo, s22
	ds_store_b128 v182, v[4:7]
.LBB246_51:
	s_wait_alu 0xfffe
	s_or_b32 exec_lo, exec_lo, s21
	v_mov_b32_e32 v126, 0
	v_dual_mov_b32 v127, 0 :: v_dual_mov_b32 v124, 0
	v_cmp_gt_u32_e64 s22, 32, v180
	v_mov_b32_e32 v125, 0
	s_mov_b32 s21, exec_lo
	s_wait_storecnt 0x0
	s_wait_loadcnt_dscnt 0x0
	s_barrier_signal -1
	s_barrier_wait -1
	global_inv scope:SCOPE_SE
	v_cmpx_lt_u32_e32 31, v180
	s_cbranch_execz .LBB246_53
; %bb.52:
	v_lshl_add_u32 v0, v140, 4, -16
	v_dual_mov_b32 v4, v136 :: v_dual_mov_b32 v5, v137
	s_getpc_b64 s[0:1]
	s_wait_alu 0xfffe
	s_sext_i32_i16 s1, s1
	s_add_co_u32 s0, s0, _ZZZZN2at6native31launch_logcumsumexp_cuda_kernelERKNS_10TensorBaseES3_lENKUlvE_clEvENKUlvE1_clEvENKUlN3c107complexIdEES8_E_clES8_S8_@rel32@lo+12
	s_wait_alu 0xfffe
	s_add_co_ci_u32 s1, s1, _ZZZZN2at6native31launch_logcumsumexp_cuda_kernelERKNS_10TensorBaseES3_lENKUlvE_clEvENKUlvE1_clEvENKUlN3c107complexIdEES8_E_clES8_S8_@rel32@hi+24
	v_mov_b32_e32 v7, v139
	ds_load_b128 v[124:127], v0
	s_wait_dscnt 0x0
	v_dual_mov_b32 v6, v138 :: v_dual_mov_b32 v1, v125
	v_dual_mov_b32 v0, v124 :: v_dual_mov_b32 v3, v127
	v_mov_b32_e32 v2, v126
	s_wait_alu 0xfffe
	s_swappc_b64 s[30:31], s[0:1]
	s_delay_alu instid0(VALU_DEP_2) | instskip(NEXT) | instid1(VALU_DEP_2)
	v_dual_mov_b32 v136, v0 :: v_dual_mov_b32 v137, v1
	v_dual_mov_b32 v138, v2 :: v_dual_mov_b32 v139, v3
.LBB246_53:
	s_wait_alu 0xfffe
	s_or_b32 exec_lo, exec_lo, s21
	v_sub_co_u32 v0, s21, v146, 1
	s_delay_alu instid0(VALU_DEP_1) | instskip(SKIP_2) | instid1(VALU_DEP_1)
	v_cmp_gt_i32_e32 vcc_lo, 0, v0
	s_wait_alu 0xfffd
	v_cndmask_b32_e32 v0, v0, v146, vcc_lo
	v_lshlrev_b32_e32 v0, 2, v0
	ds_bpermute_b32 v147, v0, v136
	ds_bpermute_b32 v148, v0, v137
	;; [unrolled: 1-line block ×4, first 2 shown]
	s_and_saveexec_b32 s23, s22
	s_cbranch_execz .LBB246_93
; %bb.54:
	v_mov_b32_e32 v1, 0
	ds_load_b128 v[136:139], v1 offset:112
	s_and_saveexec_b32 s0, s21
	s_cbranch_execz .LBB246_56
; %bb.55:
	s_add_co_i32 s2, s33, 32
	s_mov_b32 s3, 0
	v_mov_b32_e32 v0, 1
	s_wait_alu 0xfffe
	v_mov_b32_e32 v2, s2
	s_lshl_b64 s[4:5], s[2:3], 4
	s_wait_alu 0xfffe
	s_add_nc_u64 s[2:3], s[44:45], s[4:5]
	s_wait_dscnt 0x0
	global_store_b128 v1, v[136:139], s[2:3]
	s_wait_loadcnt 0x0
	s_wait_storecnt 0x0
	global_inv scope:SCOPE_DEV
	global_store_b8 v2, v0, s[34:35] scope:SCOPE_DEV
.LBB246_56:
	s_wait_alu 0xfffe
	s_or_b32 exec_lo, exec_lo, s0
	v_xad_u32 v144, v146, -1, s33
	s_mov_b32 s1, 0
	s_mov_b32 s0, exec_lo
	s_delay_alu instid0(VALU_DEP_1)
	v_add_nc_u32_e32 v0, 32, v144
	global_load_u8 v151, v0, s[34:35] scope:SCOPE_DEV
	s_wait_loadcnt 0x0
	v_cmpx_eq_u16_e64 0, v151
	s_cbranch_execz .LBB246_60
; %bb.57:
	v_add_co_u32 v2, s2, s34, v0
	s_wait_alu 0xf1ff
	v_add_co_ci_u32_e64 v3, null, s35, 0, s2
.LBB246_58:                             ; =>This Inner Loop Header: Depth=1
	global_load_u8 v151, v[2:3], off scope:SCOPE_DEV
	s_wait_loadcnt 0x0
	v_cmp_ne_u16_e64 vcc_lo, 0, v151
	s_wait_alu 0xfffe
	s_or_b32 s1, vcc_lo, s1
	s_wait_alu 0xfffe
	s_and_not1_b32 exec_lo, exec_lo, s1
	s_cbranch_execnz .LBB246_58
; %bb.59:
	s_or_b32 exec_lo, exec_lo, s1
.LBB246_60:
	s_wait_alu 0xfffe
	s_or_b32 exec_lo, exec_lo, s0
	v_dual_mov_b32 v2, s45 :: v_dual_mov_b32 v3, s44
	v_cmp_eq_u16_e64 vcc_lo, 1, v151
	v_lshlrev_b64_e32 v[0:1], 4, v[0:1]
	s_wait_storecnt_dscnt 0x0
	global_inv scope:SCOPE_DEV
	v_lshlrev_b32_e64 v153, v146, -1
	s_mov_b32 s22, exec_lo
	s_wait_alu 0xfffd
	v_cndmask_b32_e32 v3, s46, v3, vcc_lo
	v_cndmask_b32_e32 v2, s47, v2, vcc_lo
	s_delay_alu instid0(VALU_DEP_2) | instskip(SKIP_1) | instid1(VALU_DEP_2)
	v_add_co_u32 v0, vcc_lo, v3, v0
	s_wait_alu 0xfffd
	v_add_co_ci_u32_e64 v1, null, v2, v1, vcc_lo
	v_cmp_ne_u32_e32 vcc_lo, 31, v146
	global_load_b128 v[4:7], v[0:1], off
	s_wait_alu 0xfffd
	v_add_co_ci_u32_e64 v0, null, 0, v146, vcc_lo
	v_cmp_eq_u16_e64 vcc_lo, 2, v151
	s_delay_alu instid0(VALU_DEP_2) | instskip(SKIP_1) | instid1(VALU_DEP_2)
	v_lshlrev_b32_e32 v152, 2, v0
	s_wait_alu 0xfffd
	v_and_or_b32 v8, vcc_lo, v153, 0x80000000
	s_delay_alu instid0(VALU_DEP_1)
	v_ctz_i32_b32_e32 v140, v8
	s_wait_loadcnt 0x0
	ds_bpermute_b32 v0, v152, v4
	ds_bpermute_b32 v1, v152, v5
	;; [unrolled: 1-line block ×4, first 2 shown]
	v_cmpx_lt_u32_e64 v146, v140
	s_cbranch_execz .LBB246_62
; %bb.61:
	s_getpc_b64 s[0:1]
	s_wait_alu 0xfffe
	s_sext_i32_i16 s1, s1
	s_add_co_u32 s0, s0, _ZZZZN2at6native31launch_logcumsumexp_cuda_kernelERKNS_10TensorBaseES3_lENKUlvE_clEvENKUlvE1_clEvENKUlN3c107complexIdEES8_E_clES8_S8_@rel32@lo+12
	s_wait_alu 0xfffe
	s_add_co_ci_u32 s1, s1, _ZZZZN2at6native31launch_logcumsumexp_cuda_kernelERKNS_10TensorBaseES3_lENKUlvE_clEvENKUlvE1_clEvENKUlN3c107complexIdEES8_E_clES8_S8_@rel32@hi+24
	s_wait_alu 0xfffe
	s_swappc_b64 s[30:31], s[0:1]
	v_dual_mov_b32 v4, v0 :: v_dual_mov_b32 v5, v1
	v_dual_mov_b32 v6, v2 :: v_dual_mov_b32 v7, v3
.LBB246_62:
	s_wait_alu 0xfffe
	s_or_b32 exec_lo, exec_lo, s22
	v_cmp_gt_u32_e32 vcc_lo, 30, v146
	v_add_nc_u32_e32 v155, 2, v146
	s_mov_b32 s22, exec_lo
	s_wait_dscnt 0x3
	s_wait_alu 0xfffd
	v_cndmask_b32_e64 v0, 0, 2, vcc_lo
	s_delay_alu instid0(VALU_DEP_1)
	v_add_lshl_u32 v154, v0, v146, 2
	ds_bpermute_b32 v0, v154, v4
	s_wait_dscnt 0x3
	ds_bpermute_b32 v1, v154, v5
	s_wait_dscnt 0x3
	ds_bpermute_b32 v2, v154, v6
	s_wait_dscnt 0x3
	ds_bpermute_b32 v3, v154, v7
	v_cmpx_le_u32_e64 v155, v140
	s_cbranch_execz .LBB246_64
; %bb.63:
	s_getpc_b64 s[0:1]
	s_wait_alu 0xfffe
	s_sext_i32_i16 s1, s1
	s_add_co_u32 s0, s0, _ZZZZN2at6native31launch_logcumsumexp_cuda_kernelERKNS_10TensorBaseES3_lENKUlvE_clEvENKUlvE1_clEvENKUlN3c107complexIdEES8_E_clES8_S8_@rel32@lo+12
	s_wait_alu 0xfffe
	s_add_co_ci_u32 s1, s1, _ZZZZN2at6native31launch_logcumsumexp_cuda_kernelERKNS_10TensorBaseES3_lENKUlvE_clEvENKUlvE1_clEvENKUlN3c107complexIdEES8_E_clES8_S8_@rel32@hi+24
	s_wait_alu 0xfffe
	s_swappc_b64 s[30:31], s[0:1]
	v_dual_mov_b32 v4, v0 :: v_dual_mov_b32 v5, v1
	v_dual_mov_b32 v6, v2 :: v_dual_mov_b32 v7, v3
.LBB246_64:
	s_wait_alu 0xfffe
	s_or_b32 exec_lo, exec_lo, s22
	v_cmp_gt_u32_e32 vcc_lo, 28, v146
	v_add_nc_u32_e32 v157, 4, v146
	s_mov_b32 s22, exec_lo
	s_wait_dscnt 0x3
	s_wait_alu 0xfffd
	v_cndmask_b32_e64 v0, 0, 4, vcc_lo
	s_delay_alu instid0(VALU_DEP_1)
	v_add_lshl_u32 v156, v0, v146, 2
	ds_bpermute_b32 v0, v156, v4
	s_wait_dscnt 0x3
	ds_bpermute_b32 v1, v156, v5
	s_wait_dscnt 0x3
	ds_bpermute_b32 v2, v156, v6
	s_wait_dscnt 0x3
	ds_bpermute_b32 v3, v156, v7
	v_cmpx_le_u32_e64 v157, v140
	;; [unrolled: 31-line block ×3, first 2 shown]
	s_cbranch_execz .LBB246_68
; %bb.67:
	s_getpc_b64 s[0:1]
	s_wait_alu 0xfffe
	s_sext_i32_i16 s1, s1
	s_add_co_u32 s0, s0, _ZZZZN2at6native31launch_logcumsumexp_cuda_kernelERKNS_10TensorBaseES3_lENKUlvE_clEvENKUlvE1_clEvENKUlN3c107complexIdEES8_E_clES8_S8_@rel32@lo+12
	s_wait_alu 0xfffe
	s_add_co_ci_u32 s1, s1, _ZZZZN2at6native31launch_logcumsumexp_cuda_kernelERKNS_10TensorBaseES3_lENKUlvE_clEvENKUlvE1_clEvENKUlN3c107complexIdEES8_E_clES8_S8_@rel32@hi+24
	s_wait_alu 0xfffe
	s_swappc_b64 s[30:31], s[0:1]
	v_dual_mov_b32 v4, v0 :: v_dual_mov_b32 v5, v1
	v_dual_mov_b32 v6, v2 :: v_dual_mov_b32 v7, v3
.LBB246_68:
	s_wait_alu 0xfffe
	s_or_b32 exec_lo, exec_lo, s22
	v_lshl_or_b32 v160, v146, 2, 64
	v_add_nc_u32_e32 v161, 16, v146
	s_mov_b32 s22, exec_lo
	s_wait_dscnt 0x3
	ds_bpermute_b32 v0, v160, v4
	s_wait_dscnt 0x3
	ds_bpermute_b32 v1, v160, v5
	;; [unrolled: 2-line block ×4, first 2 shown]
	v_cmpx_le_u32_e64 v161, v140
	s_cbranch_execz .LBB246_70
; %bb.69:
	s_getpc_b64 s[0:1]
	s_wait_alu 0xfffe
	s_sext_i32_i16 s1, s1
	s_add_co_u32 s0, s0, _ZZZZN2at6native31launch_logcumsumexp_cuda_kernelERKNS_10TensorBaseES3_lENKUlvE_clEvENKUlvE1_clEvENKUlN3c107complexIdEES8_E_clES8_S8_@rel32@lo+12
	s_wait_alu 0xfffe
	s_add_co_ci_u32 s1, s1, _ZZZZN2at6native31launch_logcumsumexp_cuda_kernelERKNS_10TensorBaseES3_lENKUlvE_clEvENKUlvE1_clEvENKUlN3c107complexIdEES8_E_clES8_S8_@rel32@hi+24
	s_wait_alu 0xfffe
	s_swappc_b64 s[30:31], s[0:1]
	v_dual_mov_b32 v4, v0 :: v_dual_mov_b32 v5, v1
	v_dual_mov_b32 v6, v2 :: v_dual_mov_b32 v7, v3
.LBB246_70:
	s_wait_alu 0xfffe
	s_or_b32 exec_lo, exec_lo, s22
	v_mov_b32_e32 v145, 0
	s_branch .LBB246_73
.LBB246_71:                             ;   in Loop: Header=BB246_73 Depth=1
	s_wait_alu 0xfffe
	s_or_b32 exec_lo, exec_lo, s22
	s_wait_dscnt 0x2
	v_dual_mov_b32 v0, v4 :: v_dual_mov_b32 v1, v5
	s_wait_dscnt 0x0
	v_dual_mov_b32 v2, v6 :: v_dual_mov_b32 v3, v7
	v_dual_mov_b32 v4, v140 :: v_dual_mov_b32 v5, v141
	;; [unrolled: 1-line block ×3, first 2 shown]
	s_getpc_b64 s[0:1]
	s_wait_alu 0xfffe
	s_sext_i32_i16 s1, s1
	s_add_co_u32 s0, s0, _ZZZZN2at6native31launch_logcumsumexp_cuda_kernelERKNS_10TensorBaseES3_lENKUlvE_clEvENKUlvE1_clEvENKUlN3c107complexIdEES8_E_clES8_S8_@rel32@lo+12
	s_wait_alu 0xfffe
	s_add_co_ci_u32 s1, s1, _ZZZZN2at6native31launch_logcumsumexp_cuda_kernelERKNS_10TensorBaseES3_lENKUlvE_clEvENKUlvE1_clEvENKUlN3c107complexIdEES8_E_clES8_S8_@rel32@hi+24
	v_subrev_nc_u32_e32 v144, 32, v144
	s_wait_alu 0xfffe
	s_swappc_b64 s[30:31], s[0:1]
	v_dual_mov_b32 v4, v0 :: v_dual_mov_b32 v5, v1
	v_dual_mov_b32 v6, v2 :: v_dual_mov_b32 v7, v3
	s_mov_b32 s0, 0
.LBB246_72:                             ;   in Loop: Header=BB246_73 Depth=1
	s_wait_alu 0xfffe
	s_and_b32 vcc_lo, exec_lo, s0
	s_wait_alu 0xfffe
	s_cbranch_vccnz .LBB246_89
.LBB246_73:                             ; =>This Loop Header: Depth=1
                                        ;     Child Loop BB246_76 Depth 2
	s_wait_dscnt 0x3
	v_dual_mov_b32 v143, v7 :: v_dual_and_b32 v0, 0xff, v151
	v_dual_mov_b32 v142, v6 :: v_dual_mov_b32 v141, v5
	v_mov_b32_e32 v140, v4
	s_delay_alu instid0(VALU_DEP_3)
	v_cmp_ne_u16_e32 vcc_lo, 2, v0
	s_mov_b32 s0, -1
                                        ; implicit-def: $vgpr6_vgpr7
                                        ; implicit-def: $vgpr151
	s_cmp_lg_u32 vcc_lo, exec_lo
	s_cbranch_scc1 .LBB246_72
; %bb.74:                               ;   in Loop: Header=BB246_73 Depth=1
	global_load_u8 v151, v144, s[34:35] scope:SCOPE_DEV
	s_mov_b32 s0, exec_lo
	s_wait_loadcnt 0x0
	v_cmpx_eq_u16_e64 0, v151
	s_cbranch_execz .LBB246_78
; %bb.75:                               ;   in Loop: Header=BB246_73 Depth=1
	v_add_co_u32 v0, s1, s34, v144
	s_wait_dscnt 0x2
	s_wait_alu 0xf1ff
	v_add_co_ci_u32_e64 v1, null, s35, 0, s1
	s_mov_b32 s1, 0
.LBB246_76:                             ;   Parent Loop BB246_73 Depth=1
                                        ; =>  This Inner Loop Header: Depth=2
	global_load_u8 v151, v[0:1], off scope:SCOPE_DEV
	s_wait_loadcnt 0x0
	v_cmp_ne_u16_e64 vcc_lo, 0, v151
	s_wait_alu 0xfffe
	s_or_b32 s1, vcc_lo, s1
	s_wait_alu 0xfffe
	s_and_not1_b32 exec_lo, exec_lo, s1
	s_cbranch_execnz .LBB246_76
; %bb.77:                               ;   in Loop: Header=BB246_73 Depth=1
	s_or_b32 exec_lo, exec_lo, s1
.LBB246_78:                             ;   in Loop: Header=BB246_73 Depth=1
	s_wait_alu 0xfffe
	s_or_b32 exec_lo, exec_lo, s0
	s_wait_dscnt 0x0
	v_dual_mov_b32 v2, s45 :: v_dual_mov_b32 v3, s44
	v_cmp_eq_u16_e64 vcc_lo, 1, v151
	v_lshlrev_b64_e32 v[0:1], 4, v[144:145]
	s_wait_storecnt 0x0
	global_inv scope:SCOPE_DEV
	s_mov_b32 s22, exec_lo
	s_wait_alu 0xfffd
	v_cndmask_b32_e32 v3, s46, v3, vcc_lo
	v_cndmask_b32_e32 v2, s47, v2, vcc_lo
	s_delay_alu instid0(VALU_DEP_2) | instskip(SKIP_1) | instid1(VALU_DEP_2)
	v_add_co_u32 v0, vcc_lo, v3, v0
	s_wait_alu 0xfffd
	v_add_co_ci_u32_e64 v1, null, v2, v1, vcc_lo
	v_cmp_eq_u16_e64 vcc_lo, 2, v151
	global_load_b128 v[4:7], v[0:1], off
	s_wait_alu 0xfffd
	v_and_or_b32 v8, vcc_lo, v153, 0x80000000
	s_delay_alu instid0(VALU_DEP_1)
	v_ctz_i32_b32_e32 v162, v8
	s_wait_loadcnt 0x0
	ds_bpermute_b32 v0, v152, v4
	ds_bpermute_b32 v1, v152, v5
	;; [unrolled: 1-line block ×4, first 2 shown]
	v_cmpx_lt_u32_e64 v146, v162
	s_cbranch_execz .LBB246_80
; %bb.79:                               ;   in Loop: Header=BB246_73 Depth=1
	s_getpc_b64 s[0:1]
	s_wait_alu 0xfffe
	s_sext_i32_i16 s1, s1
	s_add_co_u32 s0, s0, _ZZZZN2at6native31launch_logcumsumexp_cuda_kernelERKNS_10TensorBaseES3_lENKUlvE_clEvENKUlvE1_clEvENKUlN3c107complexIdEES8_E_clES8_S8_@rel32@lo+12
	s_wait_alu 0xfffe
	s_add_co_ci_u32 s1, s1, _ZZZZN2at6native31launch_logcumsumexp_cuda_kernelERKNS_10TensorBaseES3_lENKUlvE_clEvENKUlvE1_clEvENKUlN3c107complexIdEES8_E_clES8_S8_@rel32@hi+24
	s_wait_alu 0xfffe
	s_swappc_b64 s[30:31], s[0:1]
	v_dual_mov_b32 v4, v0 :: v_dual_mov_b32 v5, v1
	v_dual_mov_b32 v6, v2 :: v_dual_mov_b32 v7, v3
.LBB246_80:                             ;   in Loop: Header=BB246_73 Depth=1
	s_wait_alu 0xfffe
	s_or_b32 exec_lo, exec_lo, s22
	s_wait_dscnt 0x3
	ds_bpermute_b32 v0, v154, v4
	s_wait_dscnt 0x3
	ds_bpermute_b32 v1, v154, v5
	s_wait_dscnt 0x3
	ds_bpermute_b32 v2, v154, v6
	s_wait_dscnt 0x3
	ds_bpermute_b32 v3, v154, v7
	s_mov_b32 s22, exec_lo
	v_cmpx_le_u32_e64 v155, v162
	s_cbranch_execz .LBB246_82
; %bb.81:                               ;   in Loop: Header=BB246_73 Depth=1
	s_getpc_b64 s[0:1]
	s_wait_alu 0xfffe
	s_sext_i32_i16 s1, s1
	s_add_co_u32 s0, s0, _ZZZZN2at6native31launch_logcumsumexp_cuda_kernelERKNS_10TensorBaseES3_lENKUlvE_clEvENKUlvE1_clEvENKUlN3c107complexIdEES8_E_clES8_S8_@rel32@lo+12
	s_wait_alu 0xfffe
	s_add_co_ci_u32 s1, s1, _ZZZZN2at6native31launch_logcumsumexp_cuda_kernelERKNS_10TensorBaseES3_lENKUlvE_clEvENKUlvE1_clEvENKUlN3c107complexIdEES8_E_clES8_S8_@rel32@hi+24
	s_wait_alu 0xfffe
	s_swappc_b64 s[30:31], s[0:1]
	v_dual_mov_b32 v4, v0 :: v_dual_mov_b32 v5, v1
	v_dual_mov_b32 v6, v2 :: v_dual_mov_b32 v7, v3
.LBB246_82:                             ;   in Loop: Header=BB246_73 Depth=1
	s_wait_alu 0xfffe
	s_or_b32 exec_lo, exec_lo, s22
	s_wait_dscnt 0x3
	ds_bpermute_b32 v0, v156, v4
	s_wait_dscnt 0x3
	ds_bpermute_b32 v1, v156, v5
	s_wait_dscnt 0x3
	ds_bpermute_b32 v2, v156, v6
	s_wait_dscnt 0x3
	ds_bpermute_b32 v3, v156, v7
	s_mov_b32 s22, exec_lo
	v_cmpx_le_u32_e64 v157, v162
	;; [unrolled: 25-line block ×4, first 2 shown]
	s_cbranch_execz .LBB246_71
; %bb.87:                               ;   in Loop: Header=BB246_73 Depth=1
	s_getpc_b64 s[0:1]
	s_wait_alu 0xfffe
	s_sext_i32_i16 s1, s1
	s_add_co_u32 s0, s0, _ZZZZN2at6native31launch_logcumsumexp_cuda_kernelERKNS_10TensorBaseES3_lENKUlvE_clEvENKUlvE1_clEvENKUlN3c107complexIdEES8_E_clES8_S8_@rel32@lo+12
	s_wait_alu 0xfffe
	s_add_co_ci_u32 s1, s1, _ZZZZN2at6native31launch_logcumsumexp_cuda_kernelERKNS_10TensorBaseES3_lENKUlvE_clEvENKUlvE1_clEvENKUlN3c107complexIdEES8_E_clES8_S8_@rel32@hi+24
	s_wait_alu 0xfffe
	s_swappc_b64 s[30:31], s[0:1]
	v_dual_mov_b32 v4, v0 :: v_dual_mov_b32 v5, v1
	v_dual_mov_b32 v6, v2 :: v_dual_mov_b32 v7, v3
	s_branch .LBB246_71
.LBB246_88:
                                        ; implicit-def: $vgpr172_vgpr173
                                        ; implicit-def: $vgpr124_vgpr125
                                        ; implicit-def: $vgpr136_vgpr137
                                        ; implicit-def: $vgpr140_vgpr141
                                        ; implicit-def: $vgpr144_vgpr145
                                        ; implicit-def: $vgpr148_vgpr149
                                        ; implicit-def: $vgpr152_vgpr153
                                        ; implicit-def: $vgpr156_vgpr157
                                        ; implicit-def: $vgpr160_vgpr161
                                        ; implicit-def: $vgpr164_vgpr165
                                        ; implicit-def: $vgpr168_vgpr169
	s_cbranch_execnz .LBB246_96
	s_branch .LBB246_125
.LBB246_89:
	s_and_saveexec_b32 s22, s21
	s_cbranch_execz .LBB246_91
; %bb.90:
	s_wait_dscnt 0x2
	v_dual_mov_b32 v0, v140 :: v_dual_mov_b32 v1, v141
	s_wait_dscnt 0x0
	v_dual_mov_b32 v2, v142 :: v_dual_mov_b32 v3, v143
	v_dual_mov_b32 v4, v136 :: v_dual_mov_b32 v5, v137
	v_dual_mov_b32 v6, v138 :: v_dual_mov_b32 v7, v139
	s_getpc_b64 s[0:1]
	s_wait_alu 0xfffe
	s_sext_i32_i16 s1, s1
	s_add_co_u32 s0, s0, _ZZZZN2at6native31launch_logcumsumexp_cuda_kernelERKNS_10TensorBaseES3_lENKUlvE_clEvENKUlvE1_clEvENKUlN3c107complexIdEES8_E_clES8_S8_@rel32@lo+12
	s_wait_alu 0xfffe
	s_add_co_ci_u32 s1, s1, _ZZZZN2at6native31launch_logcumsumexp_cuda_kernelERKNS_10TensorBaseES3_lENKUlvE_clEvENKUlvE1_clEvENKUlN3c107complexIdEES8_E_clES8_S8_@rel32@hi+24
	s_wait_alu 0xfffe
	s_swappc_b64 s[30:31], s[0:1]
	s_add_co_i32 s0, s33, 32
	s_mov_b32 s1, 0
	v_dual_mov_b32 v4, 0 :: v_dual_mov_b32 v5, 2
	s_wait_alu 0xfffe
	v_mov_b32_e32 v6, s0
	s_lshl_b64 s[2:3], s[0:1], 4
	s_wait_alu 0xfffe
	s_add_nc_u64 s[0:1], s[46:47], s[2:3]
	global_store_b128 v4, v[0:3], s[0:1]
	s_wait_storecnt 0x0
	global_inv scope:SCOPE_DEV
	global_store_b8 v6, v5, s[34:35] scope:SCOPE_DEV
.LBB246_91:
	s_wait_alu 0xfffe
	s_or_b32 exec_lo, exec_lo, s22
	s_delay_alu instid0(SALU_CYCLE_1)
	s_and_b32 exec_lo, exec_lo, s20
; %bb.92:
	v_mov_b32_e32 v0, 0
	ds_store_b128 v0, v[140:143] offset:112
.LBB246_93:
	s_wait_alu 0xfffe
	s_or_b32 exec_lo, exec_lo, s23
	v_mov_b32_e32 v0, 0
	v_mov_b32_e32 v6, v42
	s_wait_storecnt 0x0
	s_wait_loadcnt_dscnt 0x0
	s_barrier_signal -1
	s_barrier_wait -1
	global_inv scope:SCOPE_SE
	v_mov_b32_e32 v7, v43
	ds_load_b128 v[8:11], v0 offset:112
	v_dual_mov_b32 v4, v40 :: v_dual_mov_b32 v5, v41
	s_and_saveexec_b32 s22, s19
	s_cbranch_execz .LBB246_95
; %bb.94:
	v_cndmask_b32_e64 v2, v150, v126, s21
	v_cndmask_b32_e64 v0, v147, v124, s21
	;; [unrolled: 1-line block ×4, first 2 shown]
	v_dual_mov_b32 v4, v40 :: v_dual_mov_b32 v5, v41
	v_dual_mov_b32 v6, v42 :: v_dual_mov_b32 v7, v43
	s_getpc_b64 s[0:1]
	s_wait_alu 0xfffe
	s_sext_i32_i16 s1, s1
	s_add_co_u32 s0, s0, _ZZZZN2at6native31launch_logcumsumexp_cuda_kernelERKNS_10TensorBaseES3_lENKUlvE_clEvENKUlvE1_clEvENKUlN3c107complexIdEES8_E_clES8_S8_@rel32@lo+12
	s_wait_alu 0xfffe
	s_add_co_ci_u32 s1, s1, _ZZZZN2at6native31launch_logcumsumexp_cuda_kernelERKNS_10TensorBaseES3_lENKUlvE_clEvENKUlvE1_clEvENKUlN3c107complexIdEES8_E_clES8_S8_@rel32@hi+24
	s_wait_dscnt 0x0
	v_dual_mov_b32 v127, v11 :: v_dual_mov_b32 v126, v10
	v_dual_mov_b32 v125, v9 :: v_dual_mov_b32 v124, v8
	s_wait_alu 0xfffe
	s_swappc_b64 s[30:31], s[0:1]
	s_delay_alu instid0(VALU_DEP_1)
	v_dual_mov_b32 v8, v124 :: v_dual_mov_b32 v9, v125
	v_dual_mov_b32 v4, v0 :: v_dual_mov_b32 v5, v1
	;; [unrolled: 1-line block ×4, first 2 shown]
.LBB246_95:
	s_wait_alu 0xfffe
	s_or_b32 exec_lo, exec_lo, s22
	s_wait_dscnt 0x0
	v_dual_mov_b32 v0, v8 :: v_dual_mov_b32 v1, v9
	v_dual_mov_b32 v2, v10 :: v_dual_mov_b32 v3, v11
	s_getpc_b64 s[22:23]
	s_wait_alu 0xfffe
	s_sext_i32_i16 s23, s23
	s_add_co_u32 s22, s22, _ZZZZN2at6native31launch_logcumsumexp_cuda_kernelERKNS_10TensorBaseES3_lENKUlvE_clEvENKUlvE1_clEvENKUlN3c107complexIdEES8_E_clES8_S8_@rel32@lo+12
	s_wait_alu 0xfffe
	s_add_co_ci_u32 s23, s23, _ZZZZN2at6native31launch_logcumsumexp_cuda_kernelERKNS_10TensorBaseES3_lENKUlvE_clEvENKUlvE1_clEvENKUlN3c107complexIdEES8_E_clES8_S8_@rel32@hi+24
	s_wait_alu 0xfffe
	s_swappc_b64 s[30:31], s[22:23]
	v_dual_mov_b32 v4, v120 :: v_dual_mov_b32 v5, v121
	v_dual_mov_b32 v6, v122 :: v_dual_mov_b32 v7, v123
	v_dual_mov_b32 v172, v0 :: v_dual_mov_b32 v173, v1
	v_dual_mov_b32 v174, v2 :: v_dual_mov_b32 v175, v3
	s_wait_alu 0xfffe
	s_swappc_b64 s[30:31], s[22:23]
	v_dual_mov_b32 v4, v108 :: v_dual_mov_b32 v5, v109
	v_dual_mov_b32 v6, v110 :: v_dual_mov_b32 v7, v111
	v_dual_mov_b32 v124, v0 :: v_dual_mov_b32 v125, v1
	v_dual_mov_b32 v126, v2 :: v_dual_mov_b32 v127, v3
	;; [unrolled: 6-line block ×10, first 2 shown]
	s_wait_alu 0xfffe
	s_swappc_b64 s[30:31], s[22:23]
	v_dual_mov_b32 v168, v0 :: v_dual_mov_b32 v169, v1
	v_dual_mov_b32 v170, v2 :: v_dual_mov_b32 v171, v3
	s_branch .LBB246_125
.LBB246_96:
	s_cmp_lg_u64 s[40:41], 0
	s_cselect_b32 s0, -1, 0
	s_delay_alu instid0(SALU_CYCLE_1) | instskip(NEXT) | instid1(SALU_CYCLE_1)
	s_and_b32 s0, s20, s0
	s_and_saveexec_b32 s20, s0
	s_cbranch_execz .LBB246_98
; %bb.97:
	v_dual_mov_b32 v0, 0 :: v_dual_mov_b32 v5, v41
	v_dual_mov_b32 v4, v40 :: v_dual_mov_b32 v7, v43
	v_mov_b32_e32 v6, v42
	global_load_b128 v[0:3], v0, s[36:37]
	s_getpc_b64 s[0:1]
	s_sext_i32_i16 s1, s1
	s_add_co_u32 s0, s0, _ZZZZN2at6native31launch_logcumsumexp_cuda_kernelERKNS_10TensorBaseES3_lENKUlvE_clEvENKUlvE1_clEvENKUlN3c107complexIdEES8_E_clES8_S8_@rel32@lo+8
	s_add_co_ci_u32 s1, s1, _ZZZZN2at6native31launch_logcumsumexp_cuda_kernelERKNS_10TensorBaseES3_lENKUlvE_clEvENKUlvE1_clEvENKUlN3c107complexIdEES8_E_clES8_S8_@rel32@hi+16
	s_delay_alu instid0(SALU_CYCLE_1)
	s_swappc_b64 s[30:31], s[0:1]
	v_dual_mov_b32 v40, v0 :: v_dual_mov_b32 v41, v1
	v_dual_mov_b32 v42, v2 :: v_dual_mov_b32 v43, v3
.LBB246_98:
	s_or_b32 exec_lo, exec_lo, s20
	s_delay_alu instid0(VALU_DEP_2) | instskip(NEXT) | instid1(VALU_DEP_2)
	v_dual_mov_b32 v0, v40 :: v_dual_mov_b32 v1, v41
	v_dual_mov_b32 v2, v42 :: v_dual_mov_b32 v3, v43
	;; [unrolled: 1-line block ×4, first 2 shown]
	s_getpc_b64 s[20:21]
	s_wait_alu 0xfffe
	s_sext_i32_i16 s21, s21
	s_add_co_u32 s20, s20, _ZZZZN2at6native31launch_logcumsumexp_cuda_kernelERKNS_10TensorBaseES3_lENKUlvE_clEvENKUlvE1_clEvENKUlN3c107complexIdEES8_E_clES8_S8_@rel32@lo+12
	s_wait_alu 0xfffe
	s_add_co_ci_u32 s21, s21, _ZZZZN2at6native31launch_logcumsumexp_cuda_kernelERKNS_10TensorBaseES3_lENKUlvE_clEvENKUlvE1_clEvENKUlN3c107complexIdEES8_E_clES8_S8_@rel32@hi+24
	s_wait_alu 0xfffe
	s_swappc_b64 s[30:31], s[20:21]
	v_dual_mov_b32 v4, v108 :: v_dual_mov_b32 v5, v109
	v_dual_mov_b32 v6, v110 :: v_dual_mov_b32 v7, v111
	v_dual_mov_b32 v124, v0 :: v_dual_mov_b32 v125, v1
	v_dual_mov_b32 v126, v2 :: v_dual_mov_b32 v127, v3
	s_wait_alu 0xfffe
	s_swappc_b64 s[30:31], s[20:21]
	v_dual_mov_b32 v4, v104 :: v_dual_mov_b32 v5, v105
	v_dual_mov_b32 v6, v106 :: v_dual_mov_b32 v7, v107
	v_dual_mov_b32 v136, v0 :: v_dual_mov_b32 v137, v1
	v_dual_mov_b32 v138, v2 :: v_dual_mov_b32 v139, v3
	;; [unrolled: 6-line block ×9, first 2 shown]
	s_wait_alu 0xfffe
	s_swappc_b64 s[30:31], s[20:21]
	v_dual_mov_b32 v170, v2 :: v_dual_mov_b32 v171, v3
	v_mbcnt_lo_u32_b32 v183, -1, 0
	v_dual_mov_b32 v168, v0 :: v_dual_mov_b32 v169, v1
	s_delay_alu instid0(VALU_DEP_3) | instskip(NEXT) | instid1(VALU_DEP_3)
	v_mov_b32_dpp v6, v170 row_shr:1 row_mask:0xf bank_mask:0xf
	v_dual_mov_b32 v175, v171 :: v_dual_and_b32 v176, 15, v183
	s_delay_alu instid0(VALU_DEP_3) | instskip(NEXT) | instid1(VALU_DEP_4)
	v_dual_mov_b32 v174, v170 :: v_dual_mov_b32 v173, v169
	v_mov_b32_dpp v4, v168 row_shr:1 row_mask:0xf bank_mask:0xf
	v_mov_b32_dpp v5, v169 row_shr:1 row_mask:0xf bank_mask:0xf
	;; [unrolled: 1-line block ×3, first 2 shown]
	v_mov_b32_e32 v172, v168
	s_mov_b32 s22, exec_lo
	v_cmpx_ne_u32_e32 0, v176
	s_cbranch_execz .LBB246_100
; %bb.99:
	v_dual_mov_b32 v0, v4 :: v_dual_mov_b32 v1, v5
	v_dual_mov_b32 v2, v6 :: v_dual_mov_b32 v3, v7
	v_dual_mov_b32 v4, v168 :: v_dual_mov_b32 v5, v169
	v_dual_mov_b32 v6, v170 :: v_dual_mov_b32 v7, v171
	s_wait_alu 0xfffe
	s_swappc_b64 s[30:31], s[20:21]
	v_dual_mov_b32 v172, v0 :: v_dual_mov_b32 v173, v1
	v_dual_mov_b32 v174, v2 :: v_dual_mov_b32 v175, v3
.LBB246_100:
	s_wait_alu 0xfffe
	s_or_b32 exec_lo, exec_lo, s22
	v_mov_b32_dpp v4, v0 row_shr:2 row_mask:0xf bank_mask:0xf
	v_mov_b32_dpp v5, v1 row_shr:2 row_mask:0xf bank_mask:0xf
	v_mov_b32_dpp v6, v2 row_shr:2 row_mask:0xf bank_mask:0xf
	v_mov_b32_dpp v7, v3 row_shr:2 row_mask:0xf bank_mask:0xf
	s_mov_b32 s20, exec_lo
	v_cmpx_lt_u32_e32 1, v176
	s_cbranch_execz .LBB246_102
; %bb.101:
	v_dual_mov_b32 v0, v4 :: v_dual_mov_b32 v1, v5
	v_dual_mov_b32 v2, v6 :: v_dual_mov_b32 v3, v7
	v_dual_mov_b32 v4, v172 :: v_dual_mov_b32 v5, v173
	v_dual_mov_b32 v6, v174 :: v_dual_mov_b32 v7, v175
	s_getpc_b64 s[0:1]
	s_wait_alu 0xfffe
	s_sext_i32_i16 s1, s1
	s_add_co_u32 s0, s0, _ZZZZN2at6native31launch_logcumsumexp_cuda_kernelERKNS_10TensorBaseES3_lENKUlvE_clEvENKUlvE1_clEvENKUlN3c107complexIdEES8_E_clES8_S8_@rel32@lo+12
	s_wait_alu 0xfffe
	s_add_co_ci_u32 s1, s1, _ZZZZN2at6native31launch_logcumsumexp_cuda_kernelERKNS_10TensorBaseES3_lENKUlvE_clEvENKUlvE1_clEvENKUlN3c107complexIdEES8_E_clES8_S8_@rel32@hi+24
	s_wait_alu 0xfffe
	s_swappc_b64 s[30:31], s[0:1]
	v_dual_mov_b32 v175, v3 :: v_dual_mov_b32 v174, v2
	v_dual_mov_b32 v173, v1 :: v_dual_mov_b32 v172, v0
.LBB246_102:
	s_wait_alu 0xfffe
	s_or_b32 exec_lo, exec_lo, s20
	v_mov_b32_dpp v4, v0 row_shr:4 row_mask:0xf bank_mask:0xf
	v_mov_b32_dpp v5, v1 row_shr:4 row_mask:0xf bank_mask:0xf
	v_mov_b32_dpp v6, v2 row_shr:4 row_mask:0xf bank_mask:0xf
	v_mov_b32_dpp v7, v3 row_shr:4 row_mask:0xf bank_mask:0xf
	s_mov_b32 s20, exec_lo
	v_cmpx_lt_u32_e32 3, v176
	s_cbranch_execz .LBB246_104
; %bb.103:
	v_dual_mov_b32 v0, v4 :: v_dual_mov_b32 v1, v5
	v_dual_mov_b32 v2, v6 :: v_dual_mov_b32 v3, v7
	v_dual_mov_b32 v4, v172 :: v_dual_mov_b32 v5, v173
	v_dual_mov_b32 v6, v174 :: v_dual_mov_b32 v7, v175
	s_getpc_b64 s[0:1]
	s_wait_alu 0xfffe
	s_sext_i32_i16 s1, s1
	s_add_co_u32 s0, s0, _ZZZZN2at6native31launch_logcumsumexp_cuda_kernelERKNS_10TensorBaseES3_lENKUlvE_clEvENKUlvE1_clEvENKUlN3c107complexIdEES8_E_clES8_S8_@rel32@lo+12
	s_wait_alu 0xfffe
	s_add_co_ci_u32 s1, s1, _ZZZZN2at6native31launch_logcumsumexp_cuda_kernelERKNS_10TensorBaseES3_lENKUlvE_clEvENKUlvE1_clEvENKUlN3c107complexIdEES8_E_clES8_S8_@rel32@hi+24
	s_wait_alu 0xfffe
	s_swappc_b64 s[30:31], s[0:1]
	v_dual_mov_b32 v175, v3 :: v_dual_mov_b32 v174, v2
	v_dual_mov_b32 v173, v1 :: v_dual_mov_b32 v172, v0
.LBB246_104:
	s_wait_alu 0xfffe
	s_or_b32 exec_lo, exec_lo, s20
	v_mov_b32_dpp v4, v0 row_shr:8 row_mask:0xf bank_mask:0xf
	v_mov_b32_dpp v5, v1 row_shr:8 row_mask:0xf bank_mask:0xf
	v_mov_b32_dpp v6, v2 row_shr:8 row_mask:0xf bank_mask:0xf
	v_mov_b32_dpp v7, v3 row_shr:8 row_mask:0xf bank_mask:0xf
	s_mov_b32 s20, exec_lo
	v_cmpx_lt_u32_e32 7, v176
	s_cbranch_execz .LBB246_106
; %bb.105:
	v_dual_mov_b32 v0, v4 :: v_dual_mov_b32 v1, v5
	v_dual_mov_b32 v2, v6 :: v_dual_mov_b32 v3, v7
	v_dual_mov_b32 v4, v172 :: v_dual_mov_b32 v5, v173
	v_dual_mov_b32 v6, v174 :: v_dual_mov_b32 v7, v175
	s_getpc_b64 s[0:1]
	s_wait_alu 0xfffe
	s_sext_i32_i16 s1, s1
	s_add_co_u32 s0, s0, _ZZZZN2at6native31launch_logcumsumexp_cuda_kernelERKNS_10TensorBaseES3_lENKUlvE_clEvENKUlvE1_clEvENKUlN3c107complexIdEES8_E_clES8_S8_@rel32@lo+12
	s_wait_alu 0xfffe
	s_add_co_ci_u32 s1, s1, _ZZZZN2at6native31launch_logcumsumexp_cuda_kernelERKNS_10TensorBaseES3_lENKUlvE_clEvENKUlvE1_clEvENKUlN3c107complexIdEES8_E_clES8_S8_@rel32@hi+24
	s_wait_alu 0xfffe
	s_swappc_b64 s[30:31], s[0:1]
	v_dual_mov_b32 v172, v0 :: v_dual_mov_b32 v173, v1
	v_dual_mov_b32 v174, v2 :: v_dual_mov_b32 v175, v3
.LBB246_106:
	s_wait_alu 0xfffe
	s_or_b32 exec_lo, exec_lo, s20
	ds_swizzle_b32 v0, v0 offset:swizzle(BROADCAST,32,15)
	ds_swizzle_b32 v1, v1 offset:swizzle(BROADCAST,32,15)
	;; [unrolled: 1-line block ×4, first 2 shown]
	v_and_b32_e32 v4, 16, v183
	s_mov_b32 s20, exec_lo
	s_delay_alu instid0(VALU_DEP_1)
	v_cmpx_ne_u32_e32 0, v4
	s_cbranch_execz .LBB246_108
; %bb.107:
	v_dual_mov_b32 v4, v172 :: v_dual_mov_b32 v5, v173
	v_dual_mov_b32 v6, v174 :: v_dual_mov_b32 v7, v175
	s_getpc_b64 s[0:1]
	s_wait_alu 0xfffe
	s_sext_i32_i16 s1, s1
	s_add_co_u32 s0, s0, _ZZZZN2at6native31launch_logcumsumexp_cuda_kernelERKNS_10TensorBaseES3_lENKUlvE_clEvENKUlvE1_clEvENKUlN3c107complexIdEES8_E_clES8_S8_@rel32@lo+12
	s_wait_alu 0xfffe
	s_add_co_ci_u32 s1, s1, _ZZZZN2at6native31launch_logcumsumexp_cuda_kernelERKNS_10TensorBaseES3_lENKUlvE_clEvENKUlvE1_clEvENKUlN3c107complexIdEES8_E_clES8_S8_@rel32@hi+24
	s_wait_alu 0xfffe
	s_swappc_b64 s[30:31], s[0:1]
	v_dual_mov_b32 v172, v0 :: v_dual_mov_b32 v173, v1
	v_dual_mov_b32 v174, v2 :: v_dual_mov_b32 v175, v3
.LBB246_108:
	s_wait_alu 0xfffe
	s_or_b32 exec_lo, exec_lo, s20
	s_wait_dscnt 0x3
	v_or_b32_e32 v0, 31, v180
	v_lshrrev_b32_e32 v184, 5, v180
	s_mov_b32 s0, exec_lo
	s_delay_alu instid0(VALU_DEP_2)
	v_cmpx_eq_u32_e64 v180, v0
; %bb.109:
	s_delay_alu instid0(VALU_DEP_2)
	v_lshlrev_b32_e32 v0, 4, v184
	ds_store_b128 v0, v[172:175]
; %bb.110:
	s_wait_alu 0xfffe
	s_or_b32 exec_lo, exec_lo, s0
	s_delay_alu instid0(SALU_CYCLE_1)
	s_mov_b32 s20, exec_lo
	s_wait_storecnt_dscnt 0x0
	s_barrier_signal -1
	s_barrier_wait -1
	global_inv scope:SCOPE_SE
	v_cmpx_gt_u32_e32 8, v180
	s_cbranch_execz .LBB246_118
; %bb.111:
	v_mad_i32_i24 v0, 0xffffff60, v180, v181
	v_and_b32_e32 v176, 7, v183
	s_mov_b32 s21, exec_lo
	ds_load_b128 v[4:7], v0
	s_wait_dscnt 0x0
	v_mov_b32_dpp v0, v4 row_shr:1 row_mask:0xf bank_mask:0xf
	v_mov_b32_dpp v1, v5 row_shr:1 row_mask:0xf bank_mask:0xf
	;; [unrolled: 1-line block ×4, first 2 shown]
	v_cmpx_ne_u32_e32 0, v176
	s_cbranch_execz .LBB246_113
; %bb.112:
	s_getpc_b64 s[0:1]
	s_wait_alu 0xfffe
	s_sext_i32_i16 s1, s1
	s_add_co_u32 s0, s0, _ZZZZN2at6native31launch_logcumsumexp_cuda_kernelERKNS_10TensorBaseES3_lENKUlvE_clEvENKUlvE1_clEvENKUlN3c107complexIdEES8_E_clES8_S8_@rel32@lo+12
	s_wait_alu 0xfffe
	s_add_co_ci_u32 s1, s1, _ZZZZN2at6native31launch_logcumsumexp_cuda_kernelERKNS_10TensorBaseES3_lENKUlvE_clEvENKUlvE1_clEvENKUlN3c107complexIdEES8_E_clES8_S8_@rel32@hi+24
	s_wait_alu 0xfffe
	s_swappc_b64 s[30:31], s[0:1]
	v_dual_mov_b32 v4, v0 :: v_dual_mov_b32 v5, v1
	v_dual_mov_b32 v6, v2 :: v_dual_mov_b32 v7, v3
.LBB246_113:
	s_wait_alu 0xfffe
	s_or_b32 exec_lo, exec_lo, s21
	s_delay_alu instid0(VALU_DEP_2)
	v_mov_b32_dpp v0, v4 row_shr:2 row_mask:0xf bank_mask:0xf
	v_mov_b32_dpp v1, v5 row_shr:2 row_mask:0xf bank_mask:0xf
	;; [unrolled: 1-line block ×4, first 2 shown]
	s_mov_b32 s21, exec_lo
	v_cmpx_lt_u32_e32 1, v176
	s_cbranch_execz .LBB246_115
; %bb.114:
	s_getpc_b64 s[0:1]
	s_wait_alu 0xfffe
	s_sext_i32_i16 s1, s1
	s_add_co_u32 s0, s0, _ZZZZN2at6native31launch_logcumsumexp_cuda_kernelERKNS_10TensorBaseES3_lENKUlvE_clEvENKUlvE1_clEvENKUlN3c107complexIdEES8_E_clES8_S8_@rel32@lo+12
	s_wait_alu 0xfffe
	s_add_co_ci_u32 s1, s1, _ZZZZN2at6native31launch_logcumsumexp_cuda_kernelERKNS_10TensorBaseES3_lENKUlvE_clEvENKUlvE1_clEvENKUlN3c107complexIdEES8_E_clES8_S8_@rel32@hi+24
	s_wait_alu 0xfffe
	s_swappc_b64 s[30:31], s[0:1]
	v_dual_mov_b32 v4, v0 :: v_dual_mov_b32 v5, v1
	v_dual_mov_b32 v6, v2 :: v_dual_mov_b32 v7, v3
.LBB246_115:
	s_wait_alu 0xfffe
	s_or_b32 exec_lo, exec_lo, s21
	v_mul_i32_i24_e32 v177, 0xffffff60, v180
	v_mov_b32_dpp v0, v4 row_shr:4 row_mask:0xf bank_mask:0xf
	v_mov_b32_dpp v1, v5 row_shr:4 row_mask:0xf bank_mask:0xf
	;; [unrolled: 1-line block ×4, first 2 shown]
	s_mov_b32 s21, exec_lo
	v_cmpx_lt_u32_e32 3, v176
	s_cbranch_execz .LBB246_117
; %bb.116:
	s_getpc_b64 s[0:1]
	s_wait_alu 0xfffe
	s_sext_i32_i16 s1, s1
	s_add_co_u32 s0, s0, _ZZZZN2at6native31launch_logcumsumexp_cuda_kernelERKNS_10TensorBaseES3_lENKUlvE_clEvENKUlvE1_clEvENKUlN3c107complexIdEES8_E_clES8_S8_@rel32@lo+12
	s_wait_alu 0xfffe
	s_add_co_ci_u32 s1, s1, _ZZZZN2at6native31launch_logcumsumexp_cuda_kernelERKNS_10TensorBaseES3_lENKUlvE_clEvENKUlvE1_clEvENKUlN3c107complexIdEES8_E_clES8_S8_@rel32@hi+24
	s_wait_alu 0xfffe
	s_swappc_b64 s[30:31], s[0:1]
	v_dual_mov_b32 v4, v0 :: v_dual_mov_b32 v5, v1
	v_dual_mov_b32 v6, v2 :: v_dual_mov_b32 v7, v3
.LBB246_117:
	s_wait_alu 0xfffe
	s_or_b32 exec_lo, exec_lo, s21
	v_add_nc_u32_e32 v0, v181, v177
	ds_store_b128 v0, v[4:7]
.LBB246_118:
	s_wait_alu 0xfffe
	s_or_b32 exec_lo, exec_lo, s20
	v_mov_b32_e32 v178, 0
	v_dual_mov_b32 v179, 0 :: v_dual_mov_b32 v176, 0
	v_mov_b32_e32 v177, 0
	s_mov_b32 s20, exec_lo
	s_wait_storecnt 0x0
	s_wait_loadcnt_dscnt 0x0
	s_barrier_signal -1
	s_barrier_wait -1
	global_inv scope:SCOPE_SE
	v_cmpx_lt_u32_e32 31, v180
	s_cbranch_execz .LBB246_120
; %bb.119:
	v_lshl_add_u32 v0, v184, 4, -16
	v_dual_mov_b32 v4, v172 :: v_dual_mov_b32 v5, v173
	s_getpc_b64 s[0:1]
	s_wait_alu 0xfffe
	s_sext_i32_i16 s1, s1
	s_add_co_u32 s0, s0, _ZZZZN2at6native31launch_logcumsumexp_cuda_kernelERKNS_10TensorBaseES3_lENKUlvE_clEvENKUlvE1_clEvENKUlN3c107complexIdEES8_E_clES8_S8_@rel32@lo+12
	s_wait_alu 0xfffe
	s_add_co_ci_u32 s1, s1, _ZZZZN2at6native31launch_logcumsumexp_cuda_kernelERKNS_10TensorBaseES3_lENKUlvE_clEvENKUlvE1_clEvENKUlN3c107complexIdEES8_E_clES8_S8_@rel32@hi+24
	v_mov_b32_e32 v7, v175
	ds_load_b128 v[176:179], v0
	s_wait_dscnt 0x0
	v_dual_mov_b32 v6, v174 :: v_dual_mov_b32 v1, v177
	v_dual_mov_b32 v0, v176 :: v_dual_mov_b32 v3, v179
	v_mov_b32_e32 v2, v178
	s_wait_alu 0xfffe
	s_swappc_b64 s[30:31], s[0:1]
	s_delay_alu instid0(VALU_DEP_2) | instskip(NEXT) | instid1(VALU_DEP_2)
	v_dual_mov_b32 v172, v0 :: v_dual_mov_b32 v173, v1
	v_dual_mov_b32 v174, v2 :: v_dual_mov_b32 v175, v3
.LBB246_120:
	s_wait_alu 0xfffe
	s_or_b32 exec_lo, exec_lo, s20
	v_add_nc_u32_e32 v0, -1, v183
	s_delay_alu instid0(VALU_DEP_1) | instskip(SKIP_2) | instid1(VALU_DEP_1)
	v_cmp_gt_i32_e32 vcc_lo, 0, v0
	s_wait_alu 0xfffd
	v_cndmask_b32_e32 v0, v0, v183, vcc_lo
	v_lshlrev_b32_e32 v3, 2, v0
	ds_bpermute_b32 v0, v3, v172
	ds_bpermute_b32 v1, v3, v173
	;; [unrolled: 1-line block ×4, first 2 shown]
	s_and_saveexec_b32 s22, s19
	s_cbranch_execz .LBB246_122
; %bb.121:
	v_cmp_eq_u32_e32 vcc_lo, 0, v183
	v_dual_mov_b32 v4, v40 :: v_dual_mov_b32 v5, v41
	v_dual_mov_b32 v6, v42 :: v_dual_mov_b32 v7, v43
	s_wait_dscnt 0x2
	s_wait_alu 0xfffd
	v_dual_cndmask_b32 v0, v0, v176 :: v_dual_cndmask_b32 v1, v1, v177
	s_wait_dscnt 0x0
	v_dual_cndmask_b32 v2, v2, v178 :: v_dual_cndmask_b32 v3, v3, v179
	s_getpc_b64 s[20:21]
	s_wait_alu 0xfffe
	s_sext_i32_i16 s21, s21
	s_add_co_u32 s20, s20, _ZZZZN2at6native31launch_logcumsumexp_cuda_kernelERKNS_10TensorBaseES3_lENKUlvE_clEvENKUlvE1_clEvENKUlN3c107complexIdEES8_E_clES8_S8_@rel32@lo+12
	s_wait_alu 0xfffe
	s_add_co_ci_u32 s21, s21, _ZZZZN2at6native31launch_logcumsumexp_cuda_kernelERKNS_10TensorBaseES3_lENKUlvE_clEvENKUlvE1_clEvENKUlN3c107complexIdEES8_E_clES8_S8_@rel32@hi+24
	s_wait_alu 0xfffe
	s_swappc_b64 s[30:31], s[20:21]
	v_dual_mov_b32 v4, v120 :: v_dual_mov_b32 v5, v121
	v_dual_mov_b32 v6, v122 :: v_dual_mov_b32 v7, v123
	;; [unrolled: 1-line block ×4, first 2 shown]
	;;#ASMSTART
	;;#ASMEND
	s_wait_alu 0xfffe
	s_swappc_b64 s[30:31], s[20:21]
	v_dual_mov_b32 v4, v108 :: v_dual_mov_b32 v5, v109
	v_dual_mov_b32 v6, v110 :: v_dual_mov_b32 v7, v111
	v_dual_mov_b32 v124, v0 :: v_dual_mov_b32 v125, v1
	v_dual_mov_b32 v126, v2 :: v_dual_mov_b32 v127, v3
	s_wait_alu 0xfffe
	s_swappc_b64 s[30:31], s[20:21]
	v_dual_mov_b32 v4, v104 :: v_dual_mov_b32 v5, v105
	v_dual_mov_b32 v6, v106 :: v_dual_mov_b32 v7, v107
	v_dual_mov_b32 v136, v0 :: v_dual_mov_b32 v137, v1
	v_dual_mov_b32 v138, v2 :: v_dual_mov_b32 v139, v3
	;; [unrolled: 6-line block ×9, first 2 shown]
	s_wait_alu 0xfffe
	s_swappc_b64 s[30:31], s[20:21]
	v_dual_mov_b32 v168, v0 :: v_dual_mov_b32 v169, v1
	v_dual_mov_b32 v170, v2 :: v_dual_mov_b32 v171, v3
.LBB246_122:
	s_wait_alu 0xfffe
	s_or_b32 exec_lo, exec_lo, s22
	s_delay_alu instid0(SALU_CYCLE_1)
	s_mov_b32 s0, exec_lo
	v_cmpx_eq_u32_e32 0xff, v180
	s_cbranch_execz .LBB246_124
; %bb.123:
	s_wait_dscnt 0x2
	v_dual_mov_b32 v0, 0 :: v_dual_mov_b32 v1, 2
	global_store_b128 v0, v[168:171], s[46:47] offset:512
	s_wait_storecnt 0x0
	s_wait_loadcnt_dscnt 0x0
	global_inv scope:SCOPE_DEV
	global_store_b8 v0, v1, s[34:35] offset:32 scope:SCOPE_DEV
.LBB246_124:
	s_wait_alu 0xfffe
	s_or_b32 exec_lo, exec_lo, s0
	v_dual_mov_b32 v173, v41 :: v_dual_mov_b32 v172, v40
	v_dual_mov_b32 v175, v43 :: v_dual_mov_b32 v174, v42
.LBB246_125:
	s_add_nc_u64 s[0:1], s[28:29], s[26:27]
	s_and_b32 vcc_lo, exec_lo, s18
	s_wait_alu 0xfffe
	s_add_nc_u64 s[0:1], s[0:1], s[48:49]
	s_mov_b32 s2, -1
	s_wait_storecnt 0x0
	s_wait_loadcnt_dscnt 0x0
	s_barrier_signal -1
	s_barrier_wait -1
	global_inv scope:SCOPE_SE
	s_cbranch_vccz .LBB246_127
; %bb.126:
	ds_store_b128 v181, v[172:175]
	ds_store_b128 v181, v[124:127] offset:16
	ds_store_b128 v181, v[136:139] offset:32
	;; [unrolled: 1-line block ×10, first 2 shown]
	s_wait_loadcnt_dscnt 0x0
	s_barrier_signal -1
	s_barrier_wait -1
	global_inv scope:SCOPE_SE
	ds_load_b128 v[0:3], v182
	ds_load_b128 v[4:7], v182 offset:4096
	ds_load_b128 v[8:11], v182 offset:8192
	;; [unrolled: 1-line block ×10, first 2 shown]
	s_mov_b32 s2, 0
	s_wait_dscnt 0xa
	global_store_b128 v182, v[0:3], s[0:1]
	s_wait_dscnt 0x9
	global_store_b128 v182, v[4:7], s[0:1] offset:4096
	s_wait_dscnt 0x8
	global_store_b128 v182, v[8:11], s[0:1] offset:8192
	;; [unrolled: 2-line block ×10, first 2 shown]
.LBB246_127:
	s_wait_alu 0xfffe
	s_and_not1_b32 vcc_lo, exec_lo, s2
	s_wait_alu 0xfffe
	s_cbranch_vccnz .LBB246_189
; %bb.128:
	v_mad_i32_i24 v40, 0xffffff60, v180, v181
	ds_store_b128 v181, v[172:175]
	ds_store_b128 v181, v[124:127] offset:16
	ds_store_b128 v181, v[136:139] offset:32
	;; [unrolled: 1-line block ×10, first 2 shown]
	s_wait_storecnt 0x0
	s_wait_loadcnt_dscnt 0x0
	s_barrier_signal -1
	s_barrier_wait -1
	global_inv scope:SCOPE_SE
	ds_load_b128 v[0:3], v40 offset:4096
	ds_load_b128 v[8:11], v40 offset:8192
	;; [unrolled: 1-line block ×9, first 2 shown]
	ds_load_b128 v[4:7], v40
	ds_load_b128 v[40:43], v40 offset:40960
	v_add_co_u32 v44, s0, s0, v182
	v_mov_b32_e32 v181, 0
	s_wait_alu 0xf1ff
	v_add_co_ci_u32_e64 v45, null, s1, 0, s0
	s_mov_b32 s0, exec_lo
	v_cmpx_gt_u32_e64 s24, v180
	s_cbranch_execz .LBB246_130
; %bb.129:
	s_wait_dscnt 0x1
	global_store_b128 v[44:45], v[4:7], off
.LBB246_130:
	s_wait_alu 0xfffe
	s_or_b32 exec_lo, exec_lo, s0
	v_or_b32_e32 v46, 0x100, v180
	s_mov_b32 s0, exec_lo
	s_delay_alu instid0(VALU_DEP_1)
	v_cmpx_gt_u32_e64 s24, v46
	s_cbranch_execz .LBB246_132
; %bb.131:
	s_wait_dscnt 0xa
	global_store_b128 v[44:45], v[0:3], off offset:4096
.LBB246_132:
	s_wait_alu 0xfffe
	s_or_b32 exec_lo, exec_lo, s0
	v_or_b32_e32 v46, 0x200, v180
	s_mov_b32 s0, exec_lo
	s_delay_alu instid0(VALU_DEP_1)
	v_cmpx_gt_u32_e64 s24, v46
	s_cbranch_execz .LBB246_134
; %bb.133:
	s_wait_dscnt 0x9
	global_store_b128 v[44:45], v[8:11], off offset:8192
.LBB246_134:
	;; [unrolled: 11-line block ×10, first 2 shown]
	s_wait_alu 0xfffe
	s_or_b32 exec_lo, exec_lo, s0
	v_cmp_lt_u64_e64 s0, s[42:43], 2
	s_and_b32 vcc_lo, exec_lo, s0
	s_wait_alu 0xfffe
	s_cbranch_vccnz .LBB246_189
; %bb.151:
	s_add_nc_u64 s[0:1], s[24:25], -1
	s_mov_b32 s3, 0
	s_mov_b64 s[4:5], 0xba2e8ba3
	s_wait_alu 0xfffe
	s_mov_b32 s6, s0
	s_mov_b32 s7, s3
	;; [unrolled: 1-line block ×3, first 2 shown]
	s_wait_alu 0xfffe
	s_mul_u64 s[8:9], s[6:7], s[4:5]
	s_mul_u64 s[4:5], s[2:3], s[4:5]
	s_wait_alu 0xfffe
	s_mov_b32 s8, s9
	s_mov_b32 s9, s3
	s_mul_u64 s[6:7], s[6:7], 0x2e8ba2e8
	s_wait_alu 0xfffe
	s_add_nc_u64 s[4:5], s[4:5], s[8:9]
	s_wait_alu 0xfffe
	s_mov_b32 s8, s5
	s_mov_b32 s5, s3
	s_wait_alu 0xfffe
	s_add_nc_u64 s[4:5], s[6:7], s[4:5]
	s_mul_u64 s[6:7], s[2:3], 0x2e8ba2e8
	s_wait_alu 0xfffe
	s_mov_b32 s4, s5
	s_mov_b32 s5, s3
	s_wait_alu 0xfffe
	s_add_nc_u64 s[2:3], s[8:9], s[4:5]
	s_wait_alu 0xfffe
	s_add_nc_u64 s[2:3], s[6:7], s[2:3]
	s_wait_alu 0xfffe
	s_lshr_b64 s[2:3], s[2:3], 1
	s_wait_alu 0xfffe
	v_cmp_eq_u64_e32 vcc_lo, s[2:3], v[180:181]
	s_and_saveexec_b32 s2, vcc_lo
	s_cbranch_execz .LBB246_189
; %bb.152:
	v_mul_u32_u24_e32 v44, 11, v180
	v_mul_hi_u32_u24_e32 v45, 11, v180
	s_delay_alu instid0(VALU_DEP_2) | instskip(SKIP_1) | instid1(VALU_DEP_2)
	v_sub_co_u32 v44, vcc_lo, s0, v44
	s_wait_alu 0xfffd
	v_sub_co_ci_u32_e64 v45, null, s1, v45, vcc_lo
	s_mov_b32 s0, exec_lo
	v_cmpx_lt_i64_e32 5, v[44:45]
	s_wait_alu 0xfffe
	s_xor_b32 s0, exec_lo, s0
	s_cbranch_execz .LBB246_170
; %bb.153:
	s_mov_b32 s1, exec_lo
	v_cmpx_lt_i64_e32 7, v[44:45]
	s_wait_alu 0xfffe
	s_xor_b32 s1, exec_lo, s1
	s_cbranch_execz .LBB246_163
; %bb.154:
	;; [unrolled: 6-line block ×4, first 2 shown]
	s_wait_dscnt 0xa
	v_mov_b32_e32 v0, 0
                                        ; implicit-def: $vgpr28_vgpr29_vgpr30_vgpr31
	s_wait_dscnt 0x0
	global_store_b128 v0, v[40:43], s[38:39]
.LBB246_157:
	s_wait_alu 0xfffe
	s_and_not1_saveexec_b32 s3, s3
	s_cbranch_execz .LBB246_159
; %bb.158:
	s_wait_dscnt 0xa
	v_mov_b32_e32 v0, 0
	s_wait_dscnt 0x2
	global_store_b128 v0, v[28:31], s[38:39]
.LBB246_159:
	s_wait_alu 0xfffe
	s_or_b32 exec_lo, exec_lo, s3
                                        ; implicit-def: $vgpr36_vgpr37_vgpr38_vgpr39
.LBB246_160:
	s_wait_alu 0xfffe
	s_and_not1_saveexec_b32 s2, s2
	s_cbranch_execz .LBB246_162
; %bb.161:
	s_wait_dscnt 0xa
	v_mov_b32_e32 v0, 0
	s_wait_dscnt 0x3
	global_store_b128 v0, v[36:39], s[38:39]
.LBB246_162:
	s_wait_alu 0xfffe
	s_or_b32 exec_lo, exec_lo, s2
                                        ; implicit-def: $vgpr24_vgpr25_vgpr26_vgpr27
                                        ; implicit-def: $vgpr44_vgpr45
                                        ; implicit-def: $vgpr32_vgpr33_vgpr34_vgpr35
.LBB246_163:
	s_wait_alu 0xfffe
	s_and_not1_saveexec_b32 s1, s1
	s_cbranch_execz .LBB246_169
; %bb.164:
	s_mov_b32 s2, exec_lo
	v_cmpx_lt_i64_e32 6, v[44:45]
	s_wait_alu 0xfffe
	s_xor_b32 s2, exec_lo, s2
	s_cbranch_execz .LBB246_166
; %bb.165:
	s_wait_dscnt 0xa
	v_mov_b32_e32 v0, 0
                                        ; implicit-def: $vgpr24_vgpr25_vgpr26_vgpr27
	s_wait_dscnt 0x4
	global_store_b128 v0, v[32:35], s[38:39]
.LBB246_166:
	s_wait_alu 0xfffe
	s_and_not1_saveexec_b32 s2, s2
	s_cbranch_execz .LBB246_168
; %bb.167:
	s_wait_dscnt 0xa
	v_mov_b32_e32 v0, 0
	s_wait_dscnt 0x5
	global_store_b128 v0, v[24:27], s[38:39]
.LBB246_168:
	s_wait_alu 0xfffe
	s_or_b32 exec_lo, exec_lo, s2
.LBB246_169:
	s_wait_alu 0xfffe
	s_or_b32 exec_lo, exec_lo, s1
                                        ; implicit-def: $vgpr44_vgpr45
                                        ; implicit-def: $vgpr16_vgpr17_vgpr18_vgpr19
                                        ; implicit-def: $vgpr8_vgpr9_vgpr10_vgpr11
                                        ; implicit-def: $vgpr0_vgpr1_vgpr2_vgpr3
                                        ; implicit-def: $vgpr4_vgpr5_vgpr6_vgpr7
                                        ; implicit-def: $vgpr12_vgpr13_vgpr14_vgpr15
                                        ; implicit-def: $vgpr20_vgpr21_vgpr22_vgpr23
.LBB246_170:
	s_wait_alu 0xfffe
	s_and_not1_saveexec_b32 s0, s0
	s_cbranch_execz .LBB246_189
; %bb.171:
	s_mov_b32 s0, exec_lo
	v_cmpx_lt_i64_e32 2, v[44:45]
	s_wait_alu 0xfffe
	s_xor_b32 s0, exec_lo, s0
	s_cbranch_execz .LBB246_181
; %bb.172:
	s_mov_b32 s1, exec_lo
	v_cmpx_lt_i64_e32 3, v[44:45]
	s_wait_alu 0xfffe
	s_xor_b32 s1, exec_lo, s1
	;; [unrolled: 6-line block ×3, first 2 shown]
	s_cbranch_execz .LBB246_175
; %bb.174:
	s_wait_dscnt 0xa
	v_mov_b32_e32 v0, 0
                                        ; implicit-def: $vgpr12_vgpr13_vgpr14_vgpr15
	s_wait_dscnt 0x6
	global_store_b128 v0, v[20:23], s[38:39]
.LBB246_175:
	s_wait_alu 0xfffe
	s_and_not1_saveexec_b32 s2, s2
	s_cbranch_execz .LBB246_177
; %bb.176:
	s_wait_dscnt 0xa
	v_mov_b32_e32 v0, 0
	s_wait_dscnt 0x7
	global_store_b128 v0, v[12:15], s[38:39]
.LBB246_177:
	s_wait_alu 0xfffe
	s_or_b32 exec_lo, exec_lo, s2
                                        ; implicit-def: $vgpr16_vgpr17_vgpr18_vgpr19
.LBB246_178:
	s_wait_alu 0xfffe
	s_and_not1_saveexec_b32 s1, s1
	s_cbranch_execz .LBB246_180
; %bb.179:
	s_wait_dscnt 0xa
	v_mov_b32_e32 v0, 0
	s_wait_dscnt 0x8
	global_store_b128 v0, v[16:19], s[38:39]
.LBB246_180:
	s_wait_alu 0xfffe
	s_or_b32 exec_lo, exec_lo, s1
                                        ; implicit-def: $vgpr44_vgpr45
                                        ; implicit-def: $vgpr8_vgpr9_vgpr10_vgpr11
                                        ; implicit-def: $vgpr0_vgpr1_vgpr2_vgpr3
                                        ; implicit-def: $vgpr4_vgpr5_vgpr6_vgpr7
.LBB246_181:
	s_wait_alu 0xfffe
	s_and_not1_saveexec_b32 s0, s0
	s_cbranch_execz .LBB246_189
; %bb.182:
	s_mov_b32 s0, exec_lo
	v_cmpx_lt_i64_e32 1, v[44:45]
	s_wait_alu 0xfffe
	s_xor_b32 s0, exec_lo, s0
	s_cbranch_execz .LBB246_184
; %bb.183:
	s_wait_dscnt 0xa
	v_mov_b32_e32 v0, 0
                                        ; implicit-def: $vgpr44_vgpr45
                                        ; implicit-def: $vgpr4_vgpr5_vgpr6_vgpr7
	s_wait_dscnt 0x9
	global_store_b128 v0, v[8:11], s[38:39]
                                        ; implicit-def: $vgpr0_vgpr1_vgpr2_vgpr3
.LBB246_184:
	s_wait_alu 0xfffe
	s_and_not1_saveexec_b32 s0, s0
	s_cbranch_execz .LBB246_189
; %bb.185:
	s_mov_b32 s0, exec_lo
	v_cmpx_ne_u64_e32 1, v[44:45]
	s_wait_alu 0xfffe
	s_xor_b32 s0, exec_lo, s0
	s_cbranch_execz .LBB246_187
; %bb.186:
	s_wait_dscnt 0xa
	v_mov_b32_e32 v0, 0
	s_wait_dscnt 0x1
	global_store_b128 v0, v[4:7], s[38:39]
                                        ; implicit-def: $vgpr0_vgpr1_vgpr2_vgpr3
.LBB246_187:
	s_wait_alu 0xfffe
	s_and_not1_saveexec_b32 s0, s0
	s_cbranch_execz .LBB246_189
; %bb.188:
	s_wait_dscnt 0x1
	v_mov_b32_e32 v4, 0
	global_store_b128 v4, v[0:3], s[38:39]
.LBB246_189:
	s_nop 0
	s_sendmsg sendmsg(MSG_DEALLOC_VGPRS)
	s_endpgm
	.section	.rodata,"a",@progbits
	.p2align	6, 0x0
	.amdhsa_kernel _ZN7rocprim17ROCPRIM_400000_NS6detail17trampoline_kernelINS0_14default_configENS1_20scan_config_selectorIN3c107complexIdEEEEZZNS1_9scan_implILNS1_25lookback_scan_determinismE0ELb0ELb0ES3_PKS7_PS7_S7_ZZZN2at6native31launch_logcumsumexp_cuda_kernelERKNSE_10TensorBaseESI_lENKUlvE_clEvENKUlvE1_clEvEUlS7_S7_E_S7_EEDaPvRmT3_T4_T5_mT6_P12ihipStream_tbENKUlT_T0_E_clISt17integral_constantIbLb0EESY_IbLb1EEEEDaSU_SV_EUlSU_E_NS1_11comp_targetILNS1_3genE10ELNS1_11target_archE1201ELNS1_3gpuE5ELNS1_3repE0EEENS1_30default_config_static_selectorELNS0_4arch9wavefront6targetE0EEEvT1_
		.amdhsa_group_segment_fixed_size 45056
		.amdhsa_private_segment_fixed_size 0
		.amdhsa_kernarg_size 128
		.amdhsa_user_sgpr_count 2
		.amdhsa_user_sgpr_dispatch_ptr 0
		.amdhsa_user_sgpr_queue_ptr 0
		.amdhsa_user_sgpr_kernarg_segment_ptr 1
		.amdhsa_user_sgpr_dispatch_id 0
		.amdhsa_user_sgpr_private_segment_size 0
		.amdhsa_wavefront_size32 1
		.amdhsa_uses_dynamic_stack 0
		.amdhsa_enable_private_segment 0
		.amdhsa_system_sgpr_workgroup_id_x 1
		.amdhsa_system_sgpr_workgroup_id_y 0
		.amdhsa_system_sgpr_workgroup_id_z 0
		.amdhsa_system_sgpr_workgroup_info 0
		.amdhsa_system_vgpr_workitem_id 0
		.amdhsa_next_free_vgpr 241
		.amdhsa_next_free_sgpr 50
		.amdhsa_reserve_vcc 1
		.amdhsa_float_round_mode_32 0
		.amdhsa_float_round_mode_16_64 0
		.amdhsa_float_denorm_mode_32 3
		.amdhsa_float_denorm_mode_16_64 3
		.amdhsa_fp16_overflow 0
		.amdhsa_workgroup_processor_mode 1
		.amdhsa_memory_ordered 1
		.amdhsa_forward_progress 1
		.amdhsa_inst_pref_size 85
		.amdhsa_round_robin_scheduling 0
		.amdhsa_exception_fp_ieee_invalid_op 0
		.amdhsa_exception_fp_denorm_src 0
		.amdhsa_exception_fp_ieee_div_zero 0
		.amdhsa_exception_fp_ieee_overflow 0
		.amdhsa_exception_fp_ieee_underflow 0
		.amdhsa_exception_fp_ieee_inexact 0
		.amdhsa_exception_int_div_zero 0
	.end_amdhsa_kernel
	.section	.text._ZN7rocprim17ROCPRIM_400000_NS6detail17trampoline_kernelINS0_14default_configENS1_20scan_config_selectorIN3c107complexIdEEEEZZNS1_9scan_implILNS1_25lookback_scan_determinismE0ELb0ELb0ES3_PKS7_PS7_S7_ZZZN2at6native31launch_logcumsumexp_cuda_kernelERKNSE_10TensorBaseESI_lENKUlvE_clEvENKUlvE1_clEvEUlS7_S7_E_S7_EEDaPvRmT3_T4_T5_mT6_P12ihipStream_tbENKUlT_T0_E_clISt17integral_constantIbLb0EESY_IbLb1EEEEDaSU_SV_EUlSU_E_NS1_11comp_targetILNS1_3genE10ELNS1_11target_archE1201ELNS1_3gpuE5ELNS1_3repE0EEENS1_30default_config_static_selectorELNS0_4arch9wavefront6targetE0EEEvT1_,"axG",@progbits,_ZN7rocprim17ROCPRIM_400000_NS6detail17trampoline_kernelINS0_14default_configENS1_20scan_config_selectorIN3c107complexIdEEEEZZNS1_9scan_implILNS1_25lookback_scan_determinismE0ELb0ELb0ES3_PKS7_PS7_S7_ZZZN2at6native31launch_logcumsumexp_cuda_kernelERKNSE_10TensorBaseESI_lENKUlvE_clEvENKUlvE1_clEvEUlS7_S7_E_S7_EEDaPvRmT3_T4_T5_mT6_P12ihipStream_tbENKUlT_T0_E_clISt17integral_constantIbLb0EESY_IbLb1EEEEDaSU_SV_EUlSU_E_NS1_11comp_targetILNS1_3genE10ELNS1_11target_archE1201ELNS1_3gpuE5ELNS1_3repE0EEENS1_30default_config_static_selectorELNS0_4arch9wavefront6targetE0EEEvT1_,comdat
.Lfunc_end246:
	.size	_ZN7rocprim17ROCPRIM_400000_NS6detail17trampoline_kernelINS0_14default_configENS1_20scan_config_selectorIN3c107complexIdEEEEZZNS1_9scan_implILNS1_25lookback_scan_determinismE0ELb0ELb0ES3_PKS7_PS7_S7_ZZZN2at6native31launch_logcumsumexp_cuda_kernelERKNSE_10TensorBaseESI_lENKUlvE_clEvENKUlvE1_clEvEUlS7_S7_E_S7_EEDaPvRmT3_T4_T5_mT6_P12ihipStream_tbENKUlT_T0_E_clISt17integral_constantIbLb0EESY_IbLb1EEEEDaSU_SV_EUlSU_E_NS1_11comp_targetILNS1_3genE10ELNS1_11target_archE1201ELNS1_3gpuE5ELNS1_3repE0EEENS1_30default_config_static_selectorELNS0_4arch9wavefront6targetE0EEEvT1_, .Lfunc_end246-_ZN7rocprim17ROCPRIM_400000_NS6detail17trampoline_kernelINS0_14default_configENS1_20scan_config_selectorIN3c107complexIdEEEEZZNS1_9scan_implILNS1_25lookback_scan_determinismE0ELb0ELb0ES3_PKS7_PS7_S7_ZZZN2at6native31launch_logcumsumexp_cuda_kernelERKNSE_10TensorBaseESI_lENKUlvE_clEvENKUlvE1_clEvEUlS7_S7_E_S7_EEDaPvRmT3_T4_T5_mT6_P12ihipStream_tbENKUlT_T0_E_clISt17integral_constantIbLb0EESY_IbLb1EEEEDaSU_SV_EUlSU_E_NS1_11comp_targetILNS1_3genE10ELNS1_11target_archE1201ELNS1_3gpuE5ELNS1_3repE0EEENS1_30default_config_static_selectorELNS0_4arch9wavefront6targetE0EEEvT1_
                                        ; -- End function
	.set _ZN7rocprim17ROCPRIM_400000_NS6detail17trampoline_kernelINS0_14default_configENS1_20scan_config_selectorIN3c107complexIdEEEEZZNS1_9scan_implILNS1_25lookback_scan_determinismE0ELb0ELb0ES3_PKS7_PS7_S7_ZZZN2at6native31launch_logcumsumexp_cuda_kernelERKNSE_10TensorBaseESI_lENKUlvE_clEvENKUlvE1_clEvEUlS7_S7_E_S7_EEDaPvRmT3_T4_T5_mT6_P12ihipStream_tbENKUlT_T0_E_clISt17integral_constantIbLb0EESY_IbLb1EEEEDaSU_SV_EUlSU_E_NS1_11comp_targetILNS1_3genE10ELNS1_11target_archE1201ELNS1_3gpuE5ELNS1_3repE0EEENS1_30default_config_static_selectorELNS0_4arch9wavefront6targetE0EEEvT1_.num_vgpr, max(185, .L_ZZZZN2at6native31launch_logcumsumexp_cuda_kernelERKNS_10TensorBaseES3_lENKUlvE_clEvENKUlvE1_clEvENKUlN3c107complexIdEES8_E_clES8_S8_.num_vgpr)
	.set _ZN7rocprim17ROCPRIM_400000_NS6detail17trampoline_kernelINS0_14default_configENS1_20scan_config_selectorIN3c107complexIdEEEEZZNS1_9scan_implILNS1_25lookback_scan_determinismE0ELb0ELb0ES3_PKS7_PS7_S7_ZZZN2at6native31launch_logcumsumexp_cuda_kernelERKNSE_10TensorBaseESI_lENKUlvE_clEvENKUlvE1_clEvEUlS7_S7_E_S7_EEDaPvRmT3_T4_T5_mT6_P12ihipStream_tbENKUlT_T0_E_clISt17integral_constantIbLb0EESY_IbLb1EEEEDaSU_SV_EUlSU_E_NS1_11comp_targetILNS1_3genE10ELNS1_11target_archE1201ELNS1_3gpuE5ELNS1_3repE0EEENS1_30default_config_static_selectorELNS0_4arch9wavefront6targetE0EEEvT1_.num_agpr, max(0, .L_ZZZZN2at6native31launch_logcumsumexp_cuda_kernelERKNS_10TensorBaseES3_lENKUlvE_clEvENKUlvE1_clEvENKUlN3c107complexIdEES8_E_clES8_S8_.num_agpr)
	.set _ZN7rocprim17ROCPRIM_400000_NS6detail17trampoline_kernelINS0_14default_configENS1_20scan_config_selectorIN3c107complexIdEEEEZZNS1_9scan_implILNS1_25lookback_scan_determinismE0ELb0ELb0ES3_PKS7_PS7_S7_ZZZN2at6native31launch_logcumsumexp_cuda_kernelERKNSE_10TensorBaseESI_lENKUlvE_clEvENKUlvE1_clEvEUlS7_S7_E_S7_EEDaPvRmT3_T4_T5_mT6_P12ihipStream_tbENKUlT_T0_E_clISt17integral_constantIbLb0EESY_IbLb1EEEEDaSU_SV_EUlSU_E_NS1_11comp_targetILNS1_3genE10ELNS1_11target_archE1201ELNS1_3gpuE5ELNS1_3repE0EEENS1_30default_config_static_selectorELNS0_4arch9wavefront6targetE0EEEvT1_.numbered_sgpr, max(50, .L_ZZZZN2at6native31launch_logcumsumexp_cuda_kernelERKNS_10TensorBaseES3_lENKUlvE_clEvENKUlvE1_clEvENKUlN3c107complexIdEES8_E_clES8_S8_.numbered_sgpr)
	.set _ZN7rocprim17ROCPRIM_400000_NS6detail17trampoline_kernelINS0_14default_configENS1_20scan_config_selectorIN3c107complexIdEEEEZZNS1_9scan_implILNS1_25lookback_scan_determinismE0ELb0ELb0ES3_PKS7_PS7_S7_ZZZN2at6native31launch_logcumsumexp_cuda_kernelERKNSE_10TensorBaseESI_lENKUlvE_clEvENKUlvE1_clEvEUlS7_S7_E_S7_EEDaPvRmT3_T4_T5_mT6_P12ihipStream_tbENKUlT_T0_E_clISt17integral_constantIbLb0EESY_IbLb1EEEEDaSU_SV_EUlSU_E_NS1_11comp_targetILNS1_3genE10ELNS1_11target_archE1201ELNS1_3gpuE5ELNS1_3repE0EEENS1_30default_config_static_selectorELNS0_4arch9wavefront6targetE0EEEvT1_.num_named_barrier, max(0, .L_ZZZZN2at6native31launch_logcumsumexp_cuda_kernelERKNS_10TensorBaseES3_lENKUlvE_clEvENKUlvE1_clEvENKUlN3c107complexIdEES8_E_clES8_S8_.num_named_barrier)
	.set _ZN7rocprim17ROCPRIM_400000_NS6detail17trampoline_kernelINS0_14default_configENS1_20scan_config_selectorIN3c107complexIdEEEEZZNS1_9scan_implILNS1_25lookback_scan_determinismE0ELb0ELb0ES3_PKS7_PS7_S7_ZZZN2at6native31launch_logcumsumexp_cuda_kernelERKNSE_10TensorBaseESI_lENKUlvE_clEvENKUlvE1_clEvEUlS7_S7_E_S7_EEDaPvRmT3_T4_T5_mT6_P12ihipStream_tbENKUlT_T0_E_clISt17integral_constantIbLb0EESY_IbLb1EEEEDaSU_SV_EUlSU_E_NS1_11comp_targetILNS1_3genE10ELNS1_11target_archE1201ELNS1_3gpuE5ELNS1_3repE0EEENS1_30default_config_static_selectorELNS0_4arch9wavefront6targetE0EEEvT1_.private_seg_size, 0+max(.L_ZZZZN2at6native31launch_logcumsumexp_cuda_kernelERKNS_10TensorBaseES3_lENKUlvE_clEvENKUlvE1_clEvENKUlN3c107complexIdEES8_E_clES8_S8_.private_seg_size)
	.set _ZN7rocprim17ROCPRIM_400000_NS6detail17trampoline_kernelINS0_14default_configENS1_20scan_config_selectorIN3c107complexIdEEEEZZNS1_9scan_implILNS1_25lookback_scan_determinismE0ELb0ELb0ES3_PKS7_PS7_S7_ZZZN2at6native31launch_logcumsumexp_cuda_kernelERKNSE_10TensorBaseESI_lENKUlvE_clEvENKUlvE1_clEvEUlS7_S7_E_S7_EEDaPvRmT3_T4_T5_mT6_P12ihipStream_tbENKUlT_T0_E_clISt17integral_constantIbLb0EESY_IbLb1EEEEDaSU_SV_EUlSU_E_NS1_11comp_targetILNS1_3genE10ELNS1_11target_archE1201ELNS1_3gpuE5ELNS1_3repE0EEENS1_30default_config_static_selectorELNS0_4arch9wavefront6targetE0EEEvT1_.uses_vcc, or(1, .L_ZZZZN2at6native31launch_logcumsumexp_cuda_kernelERKNS_10TensorBaseES3_lENKUlvE_clEvENKUlvE1_clEvENKUlN3c107complexIdEES8_E_clES8_S8_.uses_vcc)
	.set _ZN7rocprim17ROCPRIM_400000_NS6detail17trampoline_kernelINS0_14default_configENS1_20scan_config_selectorIN3c107complexIdEEEEZZNS1_9scan_implILNS1_25lookback_scan_determinismE0ELb0ELb0ES3_PKS7_PS7_S7_ZZZN2at6native31launch_logcumsumexp_cuda_kernelERKNSE_10TensorBaseESI_lENKUlvE_clEvENKUlvE1_clEvEUlS7_S7_E_S7_EEDaPvRmT3_T4_T5_mT6_P12ihipStream_tbENKUlT_T0_E_clISt17integral_constantIbLb0EESY_IbLb1EEEEDaSU_SV_EUlSU_E_NS1_11comp_targetILNS1_3genE10ELNS1_11target_archE1201ELNS1_3gpuE5ELNS1_3repE0EEENS1_30default_config_static_selectorELNS0_4arch9wavefront6targetE0EEEvT1_.uses_flat_scratch, or(0, .L_ZZZZN2at6native31launch_logcumsumexp_cuda_kernelERKNS_10TensorBaseES3_lENKUlvE_clEvENKUlvE1_clEvENKUlN3c107complexIdEES8_E_clES8_S8_.uses_flat_scratch)
	.set _ZN7rocprim17ROCPRIM_400000_NS6detail17trampoline_kernelINS0_14default_configENS1_20scan_config_selectorIN3c107complexIdEEEEZZNS1_9scan_implILNS1_25lookback_scan_determinismE0ELb0ELb0ES3_PKS7_PS7_S7_ZZZN2at6native31launch_logcumsumexp_cuda_kernelERKNSE_10TensorBaseESI_lENKUlvE_clEvENKUlvE1_clEvEUlS7_S7_E_S7_EEDaPvRmT3_T4_T5_mT6_P12ihipStream_tbENKUlT_T0_E_clISt17integral_constantIbLb0EESY_IbLb1EEEEDaSU_SV_EUlSU_E_NS1_11comp_targetILNS1_3genE10ELNS1_11target_archE1201ELNS1_3gpuE5ELNS1_3repE0EEENS1_30default_config_static_selectorELNS0_4arch9wavefront6targetE0EEEvT1_.has_dyn_sized_stack, or(0, .L_ZZZZN2at6native31launch_logcumsumexp_cuda_kernelERKNS_10TensorBaseES3_lENKUlvE_clEvENKUlvE1_clEvENKUlN3c107complexIdEES8_E_clES8_S8_.has_dyn_sized_stack)
	.set _ZN7rocprim17ROCPRIM_400000_NS6detail17trampoline_kernelINS0_14default_configENS1_20scan_config_selectorIN3c107complexIdEEEEZZNS1_9scan_implILNS1_25lookback_scan_determinismE0ELb0ELb0ES3_PKS7_PS7_S7_ZZZN2at6native31launch_logcumsumexp_cuda_kernelERKNSE_10TensorBaseESI_lENKUlvE_clEvENKUlvE1_clEvEUlS7_S7_E_S7_EEDaPvRmT3_T4_T5_mT6_P12ihipStream_tbENKUlT_T0_E_clISt17integral_constantIbLb0EESY_IbLb1EEEEDaSU_SV_EUlSU_E_NS1_11comp_targetILNS1_3genE10ELNS1_11target_archE1201ELNS1_3gpuE5ELNS1_3repE0EEENS1_30default_config_static_selectorELNS0_4arch9wavefront6targetE0EEEvT1_.has_recursion, or(0, .L_ZZZZN2at6native31launch_logcumsumexp_cuda_kernelERKNS_10TensorBaseES3_lENKUlvE_clEvENKUlvE1_clEvENKUlN3c107complexIdEES8_E_clES8_S8_.has_recursion)
	.set _ZN7rocprim17ROCPRIM_400000_NS6detail17trampoline_kernelINS0_14default_configENS1_20scan_config_selectorIN3c107complexIdEEEEZZNS1_9scan_implILNS1_25lookback_scan_determinismE0ELb0ELb0ES3_PKS7_PS7_S7_ZZZN2at6native31launch_logcumsumexp_cuda_kernelERKNSE_10TensorBaseESI_lENKUlvE_clEvENKUlvE1_clEvEUlS7_S7_E_S7_EEDaPvRmT3_T4_T5_mT6_P12ihipStream_tbENKUlT_T0_E_clISt17integral_constantIbLb0EESY_IbLb1EEEEDaSU_SV_EUlSU_E_NS1_11comp_targetILNS1_3genE10ELNS1_11target_archE1201ELNS1_3gpuE5ELNS1_3repE0EEENS1_30default_config_static_selectorELNS0_4arch9wavefront6targetE0EEEvT1_.has_indirect_call, or(0, .L_ZZZZN2at6native31launch_logcumsumexp_cuda_kernelERKNS_10TensorBaseES3_lENKUlvE_clEvENKUlvE1_clEvENKUlN3c107complexIdEES8_E_clES8_S8_.has_indirect_call)
	.section	.AMDGPU.csdata,"",@progbits
; Kernel info:
; codeLenInByte = 10872
; TotalNumSgprs: 52
; NumVgprs: 185
; ScratchSize: 0
; MemoryBound: 1
; FloatMode: 240
; IeeeMode: 1
; LDSByteSize: 45056 bytes/workgroup (compile time only)
; SGPRBlocks: 0
; VGPRBlocks: 30
; NumSGPRsForWavesPerEU: 52
; NumVGPRsForWavesPerEU: 241
; Occupancy: 4
; WaveLimiterHint : 1
; COMPUTE_PGM_RSRC2:SCRATCH_EN: 0
; COMPUTE_PGM_RSRC2:USER_SGPR: 2
; COMPUTE_PGM_RSRC2:TRAP_HANDLER: 0
; COMPUTE_PGM_RSRC2:TGID_X_EN: 1
; COMPUTE_PGM_RSRC2:TGID_Y_EN: 0
; COMPUTE_PGM_RSRC2:TGID_Z_EN: 0
; COMPUTE_PGM_RSRC2:TIDIG_COMP_CNT: 0
	.section	.text._ZN7rocprim17ROCPRIM_400000_NS6detail17trampoline_kernelINS0_14default_configENS1_20scan_config_selectorIN3c107complexIdEEEEZZNS1_9scan_implILNS1_25lookback_scan_determinismE0ELb0ELb0ES3_PKS7_PS7_S7_ZZZN2at6native31launch_logcumsumexp_cuda_kernelERKNSE_10TensorBaseESI_lENKUlvE_clEvENKUlvE1_clEvEUlS7_S7_E_S7_EEDaPvRmT3_T4_T5_mT6_P12ihipStream_tbENKUlT_T0_E_clISt17integral_constantIbLb0EESY_IbLb1EEEEDaSU_SV_EUlSU_E_NS1_11comp_targetILNS1_3genE10ELNS1_11target_archE1200ELNS1_3gpuE4ELNS1_3repE0EEENS1_30default_config_static_selectorELNS0_4arch9wavefront6targetE0EEEvT1_,"axG",@progbits,_ZN7rocprim17ROCPRIM_400000_NS6detail17trampoline_kernelINS0_14default_configENS1_20scan_config_selectorIN3c107complexIdEEEEZZNS1_9scan_implILNS1_25lookback_scan_determinismE0ELb0ELb0ES3_PKS7_PS7_S7_ZZZN2at6native31launch_logcumsumexp_cuda_kernelERKNSE_10TensorBaseESI_lENKUlvE_clEvENKUlvE1_clEvEUlS7_S7_E_S7_EEDaPvRmT3_T4_T5_mT6_P12ihipStream_tbENKUlT_T0_E_clISt17integral_constantIbLb0EESY_IbLb1EEEEDaSU_SV_EUlSU_E_NS1_11comp_targetILNS1_3genE10ELNS1_11target_archE1200ELNS1_3gpuE4ELNS1_3repE0EEENS1_30default_config_static_selectorELNS0_4arch9wavefront6targetE0EEEvT1_,comdat
	.globl	_ZN7rocprim17ROCPRIM_400000_NS6detail17trampoline_kernelINS0_14default_configENS1_20scan_config_selectorIN3c107complexIdEEEEZZNS1_9scan_implILNS1_25lookback_scan_determinismE0ELb0ELb0ES3_PKS7_PS7_S7_ZZZN2at6native31launch_logcumsumexp_cuda_kernelERKNSE_10TensorBaseESI_lENKUlvE_clEvENKUlvE1_clEvEUlS7_S7_E_S7_EEDaPvRmT3_T4_T5_mT6_P12ihipStream_tbENKUlT_T0_E_clISt17integral_constantIbLb0EESY_IbLb1EEEEDaSU_SV_EUlSU_E_NS1_11comp_targetILNS1_3genE10ELNS1_11target_archE1200ELNS1_3gpuE4ELNS1_3repE0EEENS1_30default_config_static_selectorELNS0_4arch9wavefront6targetE0EEEvT1_ ; -- Begin function _ZN7rocprim17ROCPRIM_400000_NS6detail17trampoline_kernelINS0_14default_configENS1_20scan_config_selectorIN3c107complexIdEEEEZZNS1_9scan_implILNS1_25lookback_scan_determinismE0ELb0ELb0ES3_PKS7_PS7_S7_ZZZN2at6native31launch_logcumsumexp_cuda_kernelERKNSE_10TensorBaseESI_lENKUlvE_clEvENKUlvE1_clEvEUlS7_S7_E_S7_EEDaPvRmT3_T4_T5_mT6_P12ihipStream_tbENKUlT_T0_E_clISt17integral_constantIbLb0EESY_IbLb1EEEEDaSU_SV_EUlSU_E_NS1_11comp_targetILNS1_3genE10ELNS1_11target_archE1200ELNS1_3gpuE4ELNS1_3repE0EEENS1_30default_config_static_selectorELNS0_4arch9wavefront6targetE0EEEvT1_
	.p2align	8
	.type	_ZN7rocprim17ROCPRIM_400000_NS6detail17trampoline_kernelINS0_14default_configENS1_20scan_config_selectorIN3c107complexIdEEEEZZNS1_9scan_implILNS1_25lookback_scan_determinismE0ELb0ELb0ES3_PKS7_PS7_S7_ZZZN2at6native31launch_logcumsumexp_cuda_kernelERKNSE_10TensorBaseESI_lENKUlvE_clEvENKUlvE1_clEvEUlS7_S7_E_S7_EEDaPvRmT3_T4_T5_mT6_P12ihipStream_tbENKUlT_T0_E_clISt17integral_constantIbLb0EESY_IbLb1EEEEDaSU_SV_EUlSU_E_NS1_11comp_targetILNS1_3genE10ELNS1_11target_archE1200ELNS1_3gpuE4ELNS1_3repE0EEENS1_30default_config_static_selectorELNS0_4arch9wavefront6targetE0EEEvT1_,@function
_ZN7rocprim17ROCPRIM_400000_NS6detail17trampoline_kernelINS0_14default_configENS1_20scan_config_selectorIN3c107complexIdEEEEZZNS1_9scan_implILNS1_25lookback_scan_determinismE0ELb0ELb0ES3_PKS7_PS7_S7_ZZZN2at6native31launch_logcumsumexp_cuda_kernelERKNSE_10TensorBaseESI_lENKUlvE_clEvENKUlvE1_clEvEUlS7_S7_E_S7_EEDaPvRmT3_T4_T5_mT6_P12ihipStream_tbENKUlT_T0_E_clISt17integral_constantIbLb0EESY_IbLb1EEEEDaSU_SV_EUlSU_E_NS1_11comp_targetILNS1_3genE10ELNS1_11target_archE1200ELNS1_3gpuE4ELNS1_3repE0EEENS1_30default_config_static_selectorELNS0_4arch9wavefront6targetE0EEEvT1_: ; @_ZN7rocprim17ROCPRIM_400000_NS6detail17trampoline_kernelINS0_14default_configENS1_20scan_config_selectorIN3c107complexIdEEEEZZNS1_9scan_implILNS1_25lookback_scan_determinismE0ELb0ELb0ES3_PKS7_PS7_S7_ZZZN2at6native31launch_logcumsumexp_cuda_kernelERKNSE_10TensorBaseESI_lENKUlvE_clEvENKUlvE1_clEvEUlS7_S7_E_S7_EEDaPvRmT3_T4_T5_mT6_P12ihipStream_tbENKUlT_T0_E_clISt17integral_constantIbLb0EESY_IbLb1EEEEDaSU_SV_EUlSU_E_NS1_11comp_targetILNS1_3genE10ELNS1_11target_archE1200ELNS1_3gpuE4ELNS1_3repE0EEENS1_30default_config_static_selectorELNS0_4arch9wavefront6targetE0EEEvT1_
; %bb.0:
	.section	.rodata,"a",@progbits
	.p2align	6, 0x0
	.amdhsa_kernel _ZN7rocprim17ROCPRIM_400000_NS6detail17trampoline_kernelINS0_14default_configENS1_20scan_config_selectorIN3c107complexIdEEEEZZNS1_9scan_implILNS1_25lookback_scan_determinismE0ELb0ELb0ES3_PKS7_PS7_S7_ZZZN2at6native31launch_logcumsumexp_cuda_kernelERKNSE_10TensorBaseESI_lENKUlvE_clEvENKUlvE1_clEvEUlS7_S7_E_S7_EEDaPvRmT3_T4_T5_mT6_P12ihipStream_tbENKUlT_T0_E_clISt17integral_constantIbLb0EESY_IbLb1EEEEDaSU_SV_EUlSU_E_NS1_11comp_targetILNS1_3genE10ELNS1_11target_archE1200ELNS1_3gpuE4ELNS1_3repE0EEENS1_30default_config_static_selectorELNS0_4arch9wavefront6targetE0EEEvT1_
		.amdhsa_group_segment_fixed_size 0
		.amdhsa_private_segment_fixed_size 0
		.amdhsa_kernarg_size 128
		.amdhsa_user_sgpr_count 2
		.amdhsa_user_sgpr_dispatch_ptr 0
		.amdhsa_user_sgpr_queue_ptr 0
		.amdhsa_user_sgpr_kernarg_segment_ptr 1
		.amdhsa_user_sgpr_dispatch_id 0
		.amdhsa_user_sgpr_private_segment_size 0
		.amdhsa_wavefront_size32 1
		.amdhsa_uses_dynamic_stack 0
		.amdhsa_enable_private_segment 0
		.amdhsa_system_sgpr_workgroup_id_x 1
		.amdhsa_system_sgpr_workgroup_id_y 0
		.amdhsa_system_sgpr_workgroup_id_z 0
		.amdhsa_system_sgpr_workgroup_info 0
		.amdhsa_system_vgpr_workitem_id 0
		.amdhsa_next_free_vgpr 1
		.amdhsa_next_free_sgpr 1
		.amdhsa_reserve_vcc 0
		.amdhsa_float_round_mode_32 0
		.amdhsa_float_round_mode_16_64 0
		.amdhsa_float_denorm_mode_32 3
		.amdhsa_float_denorm_mode_16_64 3
		.amdhsa_fp16_overflow 0
		.amdhsa_workgroup_processor_mode 1
		.amdhsa_memory_ordered 1
		.amdhsa_forward_progress 1
		.amdhsa_inst_pref_size 0
		.amdhsa_round_robin_scheduling 0
		.amdhsa_exception_fp_ieee_invalid_op 0
		.amdhsa_exception_fp_denorm_src 0
		.amdhsa_exception_fp_ieee_div_zero 0
		.amdhsa_exception_fp_ieee_overflow 0
		.amdhsa_exception_fp_ieee_underflow 0
		.amdhsa_exception_fp_ieee_inexact 0
		.amdhsa_exception_int_div_zero 0
	.end_amdhsa_kernel
	.section	.text._ZN7rocprim17ROCPRIM_400000_NS6detail17trampoline_kernelINS0_14default_configENS1_20scan_config_selectorIN3c107complexIdEEEEZZNS1_9scan_implILNS1_25lookback_scan_determinismE0ELb0ELb0ES3_PKS7_PS7_S7_ZZZN2at6native31launch_logcumsumexp_cuda_kernelERKNSE_10TensorBaseESI_lENKUlvE_clEvENKUlvE1_clEvEUlS7_S7_E_S7_EEDaPvRmT3_T4_T5_mT6_P12ihipStream_tbENKUlT_T0_E_clISt17integral_constantIbLb0EESY_IbLb1EEEEDaSU_SV_EUlSU_E_NS1_11comp_targetILNS1_3genE10ELNS1_11target_archE1200ELNS1_3gpuE4ELNS1_3repE0EEENS1_30default_config_static_selectorELNS0_4arch9wavefront6targetE0EEEvT1_,"axG",@progbits,_ZN7rocprim17ROCPRIM_400000_NS6detail17trampoline_kernelINS0_14default_configENS1_20scan_config_selectorIN3c107complexIdEEEEZZNS1_9scan_implILNS1_25lookback_scan_determinismE0ELb0ELb0ES3_PKS7_PS7_S7_ZZZN2at6native31launch_logcumsumexp_cuda_kernelERKNSE_10TensorBaseESI_lENKUlvE_clEvENKUlvE1_clEvEUlS7_S7_E_S7_EEDaPvRmT3_T4_T5_mT6_P12ihipStream_tbENKUlT_T0_E_clISt17integral_constantIbLb0EESY_IbLb1EEEEDaSU_SV_EUlSU_E_NS1_11comp_targetILNS1_3genE10ELNS1_11target_archE1200ELNS1_3gpuE4ELNS1_3repE0EEENS1_30default_config_static_selectorELNS0_4arch9wavefront6targetE0EEEvT1_,comdat
.Lfunc_end247:
	.size	_ZN7rocprim17ROCPRIM_400000_NS6detail17trampoline_kernelINS0_14default_configENS1_20scan_config_selectorIN3c107complexIdEEEEZZNS1_9scan_implILNS1_25lookback_scan_determinismE0ELb0ELb0ES3_PKS7_PS7_S7_ZZZN2at6native31launch_logcumsumexp_cuda_kernelERKNSE_10TensorBaseESI_lENKUlvE_clEvENKUlvE1_clEvEUlS7_S7_E_S7_EEDaPvRmT3_T4_T5_mT6_P12ihipStream_tbENKUlT_T0_E_clISt17integral_constantIbLb0EESY_IbLb1EEEEDaSU_SV_EUlSU_E_NS1_11comp_targetILNS1_3genE10ELNS1_11target_archE1200ELNS1_3gpuE4ELNS1_3repE0EEENS1_30default_config_static_selectorELNS0_4arch9wavefront6targetE0EEEvT1_, .Lfunc_end247-_ZN7rocprim17ROCPRIM_400000_NS6detail17trampoline_kernelINS0_14default_configENS1_20scan_config_selectorIN3c107complexIdEEEEZZNS1_9scan_implILNS1_25lookback_scan_determinismE0ELb0ELb0ES3_PKS7_PS7_S7_ZZZN2at6native31launch_logcumsumexp_cuda_kernelERKNSE_10TensorBaseESI_lENKUlvE_clEvENKUlvE1_clEvEUlS7_S7_E_S7_EEDaPvRmT3_T4_T5_mT6_P12ihipStream_tbENKUlT_T0_E_clISt17integral_constantIbLb0EESY_IbLb1EEEEDaSU_SV_EUlSU_E_NS1_11comp_targetILNS1_3genE10ELNS1_11target_archE1200ELNS1_3gpuE4ELNS1_3repE0EEENS1_30default_config_static_selectorELNS0_4arch9wavefront6targetE0EEEvT1_
                                        ; -- End function
	.set _ZN7rocprim17ROCPRIM_400000_NS6detail17trampoline_kernelINS0_14default_configENS1_20scan_config_selectorIN3c107complexIdEEEEZZNS1_9scan_implILNS1_25lookback_scan_determinismE0ELb0ELb0ES3_PKS7_PS7_S7_ZZZN2at6native31launch_logcumsumexp_cuda_kernelERKNSE_10TensorBaseESI_lENKUlvE_clEvENKUlvE1_clEvEUlS7_S7_E_S7_EEDaPvRmT3_T4_T5_mT6_P12ihipStream_tbENKUlT_T0_E_clISt17integral_constantIbLb0EESY_IbLb1EEEEDaSU_SV_EUlSU_E_NS1_11comp_targetILNS1_3genE10ELNS1_11target_archE1200ELNS1_3gpuE4ELNS1_3repE0EEENS1_30default_config_static_selectorELNS0_4arch9wavefront6targetE0EEEvT1_.num_vgpr, 0
	.set _ZN7rocprim17ROCPRIM_400000_NS6detail17trampoline_kernelINS0_14default_configENS1_20scan_config_selectorIN3c107complexIdEEEEZZNS1_9scan_implILNS1_25lookback_scan_determinismE0ELb0ELb0ES3_PKS7_PS7_S7_ZZZN2at6native31launch_logcumsumexp_cuda_kernelERKNSE_10TensorBaseESI_lENKUlvE_clEvENKUlvE1_clEvEUlS7_S7_E_S7_EEDaPvRmT3_T4_T5_mT6_P12ihipStream_tbENKUlT_T0_E_clISt17integral_constantIbLb0EESY_IbLb1EEEEDaSU_SV_EUlSU_E_NS1_11comp_targetILNS1_3genE10ELNS1_11target_archE1200ELNS1_3gpuE4ELNS1_3repE0EEENS1_30default_config_static_selectorELNS0_4arch9wavefront6targetE0EEEvT1_.num_agpr, 0
	.set _ZN7rocprim17ROCPRIM_400000_NS6detail17trampoline_kernelINS0_14default_configENS1_20scan_config_selectorIN3c107complexIdEEEEZZNS1_9scan_implILNS1_25lookback_scan_determinismE0ELb0ELb0ES3_PKS7_PS7_S7_ZZZN2at6native31launch_logcumsumexp_cuda_kernelERKNSE_10TensorBaseESI_lENKUlvE_clEvENKUlvE1_clEvEUlS7_S7_E_S7_EEDaPvRmT3_T4_T5_mT6_P12ihipStream_tbENKUlT_T0_E_clISt17integral_constantIbLb0EESY_IbLb1EEEEDaSU_SV_EUlSU_E_NS1_11comp_targetILNS1_3genE10ELNS1_11target_archE1200ELNS1_3gpuE4ELNS1_3repE0EEENS1_30default_config_static_selectorELNS0_4arch9wavefront6targetE0EEEvT1_.numbered_sgpr, 0
	.set _ZN7rocprim17ROCPRIM_400000_NS6detail17trampoline_kernelINS0_14default_configENS1_20scan_config_selectorIN3c107complexIdEEEEZZNS1_9scan_implILNS1_25lookback_scan_determinismE0ELb0ELb0ES3_PKS7_PS7_S7_ZZZN2at6native31launch_logcumsumexp_cuda_kernelERKNSE_10TensorBaseESI_lENKUlvE_clEvENKUlvE1_clEvEUlS7_S7_E_S7_EEDaPvRmT3_T4_T5_mT6_P12ihipStream_tbENKUlT_T0_E_clISt17integral_constantIbLb0EESY_IbLb1EEEEDaSU_SV_EUlSU_E_NS1_11comp_targetILNS1_3genE10ELNS1_11target_archE1200ELNS1_3gpuE4ELNS1_3repE0EEENS1_30default_config_static_selectorELNS0_4arch9wavefront6targetE0EEEvT1_.num_named_barrier, 0
	.set _ZN7rocprim17ROCPRIM_400000_NS6detail17trampoline_kernelINS0_14default_configENS1_20scan_config_selectorIN3c107complexIdEEEEZZNS1_9scan_implILNS1_25lookback_scan_determinismE0ELb0ELb0ES3_PKS7_PS7_S7_ZZZN2at6native31launch_logcumsumexp_cuda_kernelERKNSE_10TensorBaseESI_lENKUlvE_clEvENKUlvE1_clEvEUlS7_S7_E_S7_EEDaPvRmT3_T4_T5_mT6_P12ihipStream_tbENKUlT_T0_E_clISt17integral_constantIbLb0EESY_IbLb1EEEEDaSU_SV_EUlSU_E_NS1_11comp_targetILNS1_3genE10ELNS1_11target_archE1200ELNS1_3gpuE4ELNS1_3repE0EEENS1_30default_config_static_selectorELNS0_4arch9wavefront6targetE0EEEvT1_.private_seg_size, 0
	.set _ZN7rocprim17ROCPRIM_400000_NS6detail17trampoline_kernelINS0_14default_configENS1_20scan_config_selectorIN3c107complexIdEEEEZZNS1_9scan_implILNS1_25lookback_scan_determinismE0ELb0ELb0ES3_PKS7_PS7_S7_ZZZN2at6native31launch_logcumsumexp_cuda_kernelERKNSE_10TensorBaseESI_lENKUlvE_clEvENKUlvE1_clEvEUlS7_S7_E_S7_EEDaPvRmT3_T4_T5_mT6_P12ihipStream_tbENKUlT_T0_E_clISt17integral_constantIbLb0EESY_IbLb1EEEEDaSU_SV_EUlSU_E_NS1_11comp_targetILNS1_3genE10ELNS1_11target_archE1200ELNS1_3gpuE4ELNS1_3repE0EEENS1_30default_config_static_selectorELNS0_4arch9wavefront6targetE0EEEvT1_.uses_vcc, 0
	.set _ZN7rocprim17ROCPRIM_400000_NS6detail17trampoline_kernelINS0_14default_configENS1_20scan_config_selectorIN3c107complexIdEEEEZZNS1_9scan_implILNS1_25lookback_scan_determinismE0ELb0ELb0ES3_PKS7_PS7_S7_ZZZN2at6native31launch_logcumsumexp_cuda_kernelERKNSE_10TensorBaseESI_lENKUlvE_clEvENKUlvE1_clEvEUlS7_S7_E_S7_EEDaPvRmT3_T4_T5_mT6_P12ihipStream_tbENKUlT_T0_E_clISt17integral_constantIbLb0EESY_IbLb1EEEEDaSU_SV_EUlSU_E_NS1_11comp_targetILNS1_3genE10ELNS1_11target_archE1200ELNS1_3gpuE4ELNS1_3repE0EEENS1_30default_config_static_selectorELNS0_4arch9wavefront6targetE0EEEvT1_.uses_flat_scratch, 0
	.set _ZN7rocprim17ROCPRIM_400000_NS6detail17trampoline_kernelINS0_14default_configENS1_20scan_config_selectorIN3c107complexIdEEEEZZNS1_9scan_implILNS1_25lookback_scan_determinismE0ELb0ELb0ES3_PKS7_PS7_S7_ZZZN2at6native31launch_logcumsumexp_cuda_kernelERKNSE_10TensorBaseESI_lENKUlvE_clEvENKUlvE1_clEvEUlS7_S7_E_S7_EEDaPvRmT3_T4_T5_mT6_P12ihipStream_tbENKUlT_T0_E_clISt17integral_constantIbLb0EESY_IbLb1EEEEDaSU_SV_EUlSU_E_NS1_11comp_targetILNS1_3genE10ELNS1_11target_archE1200ELNS1_3gpuE4ELNS1_3repE0EEENS1_30default_config_static_selectorELNS0_4arch9wavefront6targetE0EEEvT1_.has_dyn_sized_stack, 0
	.set _ZN7rocprim17ROCPRIM_400000_NS6detail17trampoline_kernelINS0_14default_configENS1_20scan_config_selectorIN3c107complexIdEEEEZZNS1_9scan_implILNS1_25lookback_scan_determinismE0ELb0ELb0ES3_PKS7_PS7_S7_ZZZN2at6native31launch_logcumsumexp_cuda_kernelERKNSE_10TensorBaseESI_lENKUlvE_clEvENKUlvE1_clEvEUlS7_S7_E_S7_EEDaPvRmT3_T4_T5_mT6_P12ihipStream_tbENKUlT_T0_E_clISt17integral_constantIbLb0EESY_IbLb1EEEEDaSU_SV_EUlSU_E_NS1_11comp_targetILNS1_3genE10ELNS1_11target_archE1200ELNS1_3gpuE4ELNS1_3repE0EEENS1_30default_config_static_selectorELNS0_4arch9wavefront6targetE0EEEvT1_.has_recursion, 0
	.set _ZN7rocprim17ROCPRIM_400000_NS6detail17trampoline_kernelINS0_14default_configENS1_20scan_config_selectorIN3c107complexIdEEEEZZNS1_9scan_implILNS1_25lookback_scan_determinismE0ELb0ELb0ES3_PKS7_PS7_S7_ZZZN2at6native31launch_logcumsumexp_cuda_kernelERKNSE_10TensorBaseESI_lENKUlvE_clEvENKUlvE1_clEvEUlS7_S7_E_S7_EEDaPvRmT3_T4_T5_mT6_P12ihipStream_tbENKUlT_T0_E_clISt17integral_constantIbLb0EESY_IbLb1EEEEDaSU_SV_EUlSU_E_NS1_11comp_targetILNS1_3genE10ELNS1_11target_archE1200ELNS1_3gpuE4ELNS1_3repE0EEENS1_30default_config_static_selectorELNS0_4arch9wavefront6targetE0EEEvT1_.has_indirect_call, 0
	.section	.AMDGPU.csdata,"",@progbits
; Kernel info:
; codeLenInByte = 0
; TotalNumSgprs: 0
; NumVgprs: 0
; ScratchSize: 0
; MemoryBound: 0
; FloatMode: 240
; IeeeMode: 1
; LDSByteSize: 0 bytes/workgroup (compile time only)
; SGPRBlocks: 0
; VGPRBlocks: 0
; NumSGPRsForWavesPerEU: 1
; NumVGPRsForWavesPerEU: 1
; Occupancy: 16
; WaveLimiterHint : 0
; COMPUTE_PGM_RSRC2:SCRATCH_EN: 0
; COMPUTE_PGM_RSRC2:USER_SGPR: 2
; COMPUTE_PGM_RSRC2:TRAP_HANDLER: 0
; COMPUTE_PGM_RSRC2:TGID_X_EN: 1
; COMPUTE_PGM_RSRC2:TGID_Y_EN: 0
; COMPUTE_PGM_RSRC2:TGID_Z_EN: 0
; COMPUTE_PGM_RSRC2:TIDIG_COMP_CNT: 0
	.section	.text._ZN7rocprim17ROCPRIM_400000_NS6detail17trampoline_kernelINS0_14default_configENS1_20scan_config_selectorIN3c107complexIdEEEEZZNS1_9scan_implILNS1_25lookback_scan_determinismE0ELb0ELb0ES3_PKS7_PS7_S7_ZZZN2at6native31launch_logcumsumexp_cuda_kernelERKNSE_10TensorBaseESI_lENKUlvE_clEvENKUlvE1_clEvEUlS7_S7_E_S7_EEDaPvRmT3_T4_T5_mT6_P12ihipStream_tbENKUlT_T0_E_clISt17integral_constantIbLb0EESY_IbLb1EEEEDaSU_SV_EUlSU_E_NS1_11comp_targetILNS1_3genE9ELNS1_11target_archE1100ELNS1_3gpuE3ELNS1_3repE0EEENS1_30default_config_static_selectorELNS0_4arch9wavefront6targetE0EEEvT1_,"axG",@progbits,_ZN7rocprim17ROCPRIM_400000_NS6detail17trampoline_kernelINS0_14default_configENS1_20scan_config_selectorIN3c107complexIdEEEEZZNS1_9scan_implILNS1_25lookback_scan_determinismE0ELb0ELb0ES3_PKS7_PS7_S7_ZZZN2at6native31launch_logcumsumexp_cuda_kernelERKNSE_10TensorBaseESI_lENKUlvE_clEvENKUlvE1_clEvEUlS7_S7_E_S7_EEDaPvRmT3_T4_T5_mT6_P12ihipStream_tbENKUlT_T0_E_clISt17integral_constantIbLb0EESY_IbLb1EEEEDaSU_SV_EUlSU_E_NS1_11comp_targetILNS1_3genE9ELNS1_11target_archE1100ELNS1_3gpuE3ELNS1_3repE0EEENS1_30default_config_static_selectorELNS0_4arch9wavefront6targetE0EEEvT1_,comdat
	.globl	_ZN7rocprim17ROCPRIM_400000_NS6detail17trampoline_kernelINS0_14default_configENS1_20scan_config_selectorIN3c107complexIdEEEEZZNS1_9scan_implILNS1_25lookback_scan_determinismE0ELb0ELb0ES3_PKS7_PS7_S7_ZZZN2at6native31launch_logcumsumexp_cuda_kernelERKNSE_10TensorBaseESI_lENKUlvE_clEvENKUlvE1_clEvEUlS7_S7_E_S7_EEDaPvRmT3_T4_T5_mT6_P12ihipStream_tbENKUlT_T0_E_clISt17integral_constantIbLb0EESY_IbLb1EEEEDaSU_SV_EUlSU_E_NS1_11comp_targetILNS1_3genE9ELNS1_11target_archE1100ELNS1_3gpuE3ELNS1_3repE0EEENS1_30default_config_static_selectorELNS0_4arch9wavefront6targetE0EEEvT1_ ; -- Begin function _ZN7rocprim17ROCPRIM_400000_NS6detail17trampoline_kernelINS0_14default_configENS1_20scan_config_selectorIN3c107complexIdEEEEZZNS1_9scan_implILNS1_25lookback_scan_determinismE0ELb0ELb0ES3_PKS7_PS7_S7_ZZZN2at6native31launch_logcumsumexp_cuda_kernelERKNSE_10TensorBaseESI_lENKUlvE_clEvENKUlvE1_clEvEUlS7_S7_E_S7_EEDaPvRmT3_T4_T5_mT6_P12ihipStream_tbENKUlT_T0_E_clISt17integral_constantIbLb0EESY_IbLb1EEEEDaSU_SV_EUlSU_E_NS1_11comp_targetILNS1_3genE9ELNS1_11target_archE1100ELNS1_3gpuE3ELNS1_3repE0EEENS1_30default_config_static_selectorELNS0_4arch9wavefront6targetE0EEEvT1_
	.p2align	8
	.type	_ZN7rocprim17ROCPRIM_400000_NS6detail17trampoline_kernelINS0_14default_configENS1_20scan_config_selectorIN3c107complexIdEEEEZZNS1_9scan_implILNS1_25lookback_scan_determinismE0ELb0ELb0ES3_PKS7_PS7_S7_ZZZN2at6native31launch_logcumsumexp_cuda_kernelERKNSE_10TensorBaseESI_lENKUlvE_clEvENKUlvE1_clEvEUlS7_S7_E_S7_EEDaPvRmT3_T4_T5_mT6_P12ihipStream_tbENKUlT_T0_E_clISt17integral_constantIbLb0EESY_IbLb1EEEEDaSU_SV_EUlSU_E_NS1_11comp_targetILNS1_3genE9ELNS1_11target_archE1100ELNS1_3gpuE3ELNS1_3repE0EEENS1_30default_config_static_selectorELNS0_4arch9wavefront6targetE0EEEvT1_,@function
_ZN7rocprim17ROCPRIM_400000_NS6detail17trampoline_kernelINS0_14default_configENS1_20scan_config_selectorIN3c107complexIdEEEEZZNS1_9scan_implILNS1_25lookback_scan_determinismE0ELb0ELb0ES3_PKS7_PS7_S7_ZZZN2at6native31launch_logcumsumexp_cuda_kernelERKNSE_10TensorBaseESI_lENKUlvE_clEvENKUlvE1_clEvEUlS7_S7_E_S7_EEDaPvRmT3_T4_T5_mT6_P12ihipStream_tbENKUlT_T0_E_clISt17integral_constantIbLb0EESY_IbLb1EEEEDaSU_SV_EUlSU_E_NS1_11comp_targetILNS1_3genE9ELNS1_11target_archE1100ELNS1_3gpuE3ELNS1_3repE0EEENS1_30default_config_static_selectorELNS0_4arch9wavefront6targetE0EEEvT1_: ; @_ZN7rocprim17ROCPRIM_400000_NS6detail17trampoline_kernelINS0_14default_configENS1_20scan_config_selectorIN3c107complexIdEEEEZZNS1_9scan_implILNS1_25lookback_scan_determinismE0ELb0ELb0ES3_PKS7_PS7_S7_ZZZN2at6native31launch_logcumsumexp_cuda_kernelERKNSE_10TensorBaseESI_lENKUlvE_clEvENKUlvE1_clEvEUlS7_S7_E_S7_EEDaPvRmT3_T4_T5_mT6_P12ihipStream_tbENKUlT_T0_E_clISt17integral_constantIbLb0EESY_IbLb1EEEEDaSU_SV_EUlSU_E_NS1_11comp_targetILNS1_3genE9ELNS1_11target_archE1100ELNS1_3gpuE3ELNS1_3repE0EEENS1_30default_config_static_selectorELNS0_4arch9wavefront6targetE0EEEvT1_
; %bb.0:
	.section	.rodata,"a",@progbits
	.p2align	6, 0x0
	.amdhsa_kernel _ZN7rocprim17ROCPRIM_400000_NS6detail17trampoline_kernelINS0_14default_configENS1_20scan_config_selectorIN3c107complexIdEEEEZZNS1_9scan_implILNS1_25lookback_scan_determinismE0ELb0ELb0ES3_PKS7_PS7_S7_ZZZN2at6native31launch_logcumsumexp_cuda_kernelERKNSE_10TensorBaseESI_lENKUlvE_clEvENKUlvE1_clEvEUlS7_S7_E_S7_EEDaPvRmT3_T4_T5_mT6_P12ihipStream_tbENKUlT_T0_E_clISt17integral_constantIbLb0EESY_IbLb1EEEEDaSU_SV_EUlSU_E_NS1_11comp_targetILNS1_3genE9ELNS1_11target_archE1100ELNS1_3gpuE3ELNS1_3repE0EEENS1_30default_config_static_selectorELNS0_4arch9wavefront6targetE0EEEvT1_
		.amdhsa_group_segment_fixed_size 0
		.amdhsa_private_segment_fixed_size 0
		.amdhsa_kernarg_size 128
		.amdhsa_user_sgpr_count 2
		.amdhsa_user_sgpr_dispatch_ptr 0
		.amdhsa_user_sgpr_queue_ptr 0
		.amdhsa_user_sgpr_kernarg_segment_ptr 1
		.amdhsa_user_sgpr_dispatch_id 0
		.amdhsa_user_sgpr_private_segment_size 0
		.amdhsa_wavefront_size32 1
		.amdhsa_uses_dynamic_stack 0
		.amdhsa_enable_private_segment 0
		.amdhsa_system_sgpr_workgroup_id_x 1
		.amdhsa_system_sgpr_workgroup_id_y 0
		.amdhsa_system_sgpr_workgroup_id_z 0
		.amdhsa_system_sgpr_workgroup_info 0
		.amdhsa_system_vgpr_workitem_id 0
		.amdhsa_next_free_vgpr 1
		.amdhsa_next_free_sgpr 1
		.amdhsa_reserve_vcc 0
		.amdhsa_float_round_mode_32 0
		.amdhsa_float_round_mode_16_64 0
		.amdhsa_float_denorm_mode_32 3
		.amdhsa_float_denorm_mode_16_64 3
		.amdhsa_fp16_overflow 0
		.amdhsa_workgroup_processor_mode 1
		.amdhsa_memory_ordered 1
		.amdhsa_forward_progress 1
		.amdhsa_inst_pref_size 0
		.amdhsa_round_robin_scheduling 0
		.amdhsa_exception_fp_ieee_invalid_op 0
		.amdhsa_exception_fp_denorm_src 0
		.amdhsa_exception_fp_ieee_div_zero 0
		.amdhsa_exception_fp_ieee_overflow 0
		.amdhsa_exception_fp_ieee_underflow 0
		.amdhsa_exception_fp_ieee_inexact 0
		.amdhsa_exception_int_div_zero 0
	.end_amdhsa_kernel
	.section	.text._ZN7rocprim17ROCPRIM_400000_NS6detail17trampoline_kernelINS0_14default_configENS1_20scan_config_selectorIN3c107complexIdEEEEZZNS1_9scan_implILNS1_25lookback_scan_determinismE0ELb0ELb0ES3_PKS7_PS7_S7_ZZZN2at6native31launch_logcumsumexp_cuda_kernelERKNSE_10TensorBaseESI_lENKUlvE_clEvENKUlvE1_clEvEUlS7_S7_E_S7_EEDaPvRmT3_T4_T5_mT6_P12ihipStream_tbENKUlT_T0_E_clISt17integral_constantIbLb0EESY_IbLb1EEEEDaSU_SV_EUlSU_E_NS1_11comp_targetILNS1_3genE9ELNS1_11target_archE1100ELNS1_3gpuE3ELNS1_3repE0EEENS1_30default_config_static_selectorELNS0_4arch9wavefront6targetE0EEEvT1_,"axG",@progbits,_ZN7rocprim17ROCPRIM_400000_NS6detail17trampoline_kernelINS0_14default_configENS1_20scan_config_selectorIN3c107complexIdEEEEZZNS1_9scan_implILNS1_25lookback_scan_determinismE0ELb0ELb0ES3_PKS7_PS7_S7_ZZZN2at6native31launch_logcumsumexp_cuda_kernelERKNSE_10TensorBaseESI_lENKUlvE_clEvENKUlvE1_clEvEUlS7_S7_E_S7_EEDaPvRmT3_T4_T5_mT6_P12ihipStream_tbENKUlT_T0_E_clISt17integral_constantIbLb0EESY_IbLb1EEEEDaSU_SV_EUlSU_E_NS1_11comp_targetILNS1_3genE9ELNS1_11target_archE1100ELNS1_3gpuE3ELNS1_3repE0EEENS1_30default_config_static_selectorELNS0_4arch9wavefront6targetE0EEEvT1_,comdat
.Lfunc_end248:
	.size	_ZN7rocprim17ROCPRIM_400000_NS6detail17trampoline_kernelINS0_14default_configENS1_20scan_config_selectorIN3c107complexIdEEEEZZNS1_9scan_implILNS1_25lookback_scan_determinismE0ELb0ELb0ES3_PKS7_PS7_S7_ZZZN2at6native31launch_logcumsumexp_cuda_kernelERKNSE_10TensorBaseESI_lENKUlvE_clEvENKUlvE1_clEvEUlS7_S7_E_S7_EEDaPvRmT3_T4_T5_mT6_P12ihipStream_tbENKUlT_T0_E_clISt17integral_constantIbLb0EESY_IbLb1EEEEDaSU_SV_EUlSU_E_NS1_11comp_targetILNS1_3genE9ELNS1_11target_archE1100ELNS1_3gpuE3ELNS1_3repE0EEENS1_30default_config_static_selectorELNS0_4arch9wavefront6targetE0EEEvT1_, .Lfunc_end248-_ZN7rocprim17ROCPRIM_400000_NS6detail17trampoline_kernelINS0_14default_configENS1_20scan_config_selectorIN3c107complexIdEEEEZZNS1_9scan_implILNS1_25lookback_scan_determinismE0ELb0ELb0ES3_PKS7_PS7_S7_ZZZN2at6native31launch_logcumsumexp_cuda_kernelERKNSE_10TensorBaseESI_lENKUlvE_clEvENKUlvE1_clEvEUlS7_S7_E_S7_EEDaPvRmT3_T4_T5_mT6_P12ihipStream_tbENKUlT_T0_E_clISt17integral_constantIbLb0EESY_IbLb1EEEEDaSU_SV_EUlSU_E_NS1_11comp_targetILNS1_3genE9ELNS1_11target_archE1100ELNS1_3gpuE3ELNS1_3repE0EEENS1_30default_config_static_selectorELNS0_4arch9wavefront6targetE0EEEvT1_
                                        ; -- End function
	.set _ZN7rocprim17ROCPRIM_400000_NS6detail17trampoline_kernelINS0_14default_configENS1_20scan_config_selectorIN3c107complexIdEEEEZZNS1_9scan_implILNS1_25lookback_scan_determinismE0ELb0ELb0ES3_PKS7_PS7_S7_ZZZN2at6native31launch_logcumsumexp_cuda_kernelERKNSE_10TensorBaseESI_lENKUlvE_clEvENKUlvE1_clEvEUlS7_S7_E_S7_EEDaPvRmT3_T4_T5_mT6_P12ihipStream_tbENKUlT_T0_E_clISt17integral_constantIbLb0EESY_IbLb1EEEEDaSU_SV_EUlSU_E_NS1_11comp_targetILNS1_3genE9ELNS1_11target_archE1100ELNS1_3gpuE3ELNS1_3repE0EEENS1_30default_config_static_selectorELNS0_4arch9wavefront6targetE0EEEvT1_.num_vgpr, 0
	.set _ZN7rocprim17ROCPRIM_400000_NS6detail17trampoline_kernelINS0_14default_configENS1_20scan_config_selectorIN3c107complexIdEEEEZZNS1_9scan_implILNS1_25lookback_scan_determinismE0ELb0ELb0ES3_PKS7_PS7_S7_ZZZN2at6native31launch_logcumsumexp_cuda_kernelERKNSE_10TensorBaseESI_lENKUlvE_clEvENKUlvE1_clEvEUlS7_S7_E_S7_EEDaPvRmT3_T4_T5_mT6_P12ihipStream_tbENKUlT_T0_E_clISt17integral_constantIbLb0EESY_IbLb1EEEEDaSU_SV_EUlSU_E_NS1_11comp_targetILNS1_3genE9ELNS1_11target_archE1100ELNS1_3gpuE3ELNS1_3repE0EEENS1_30default_config_static_selectorELNS0_4arch9wavefront6targetE0EEEvT1_.num_agpr, 0
	.set _ZN7rocprim17ROCPRIM_400000_NS6detail17trampoline_kernelINS0_14default_configENS1_20scan_config_selectorIN3c107complexIdEEEEZZNS1_9scan_implILNS1_25lookback_scan_determinismE0ELb0ELb0ES3_PKS7_PS7_S7_ZZZN2at6native31launch_logcumsumexp_cuda_kernelERKNSE_10TensorBaseESI_lENKUlvE_clEvENKUlvE1_clEvEUlS7_S7_E_S7_EEDaPvRmT3_T4_T5_mT6_P12ihipStream_tbENKUlT_T0_E_clISt17integral_constantIbLb0EESY_IbLb1EEEEDaSU_SV_EUlSU_E_NS1_11comp_targetILNS1_3genE9ELNS1_11target_archE1100ELNS1_3gpuE3ELNS1_3repE0EEENS1_30default_config_static_selectorELNS0_4arch9wavefront6targetE0EEEvT1_.numbered_sgpr, 0
	.set _ZN7rocprim17ROCPRIM_400000_NS6detail17trampoline_kernelINS0_14default_configENS1_20scan_config_selectorIN3c107complexIdEEEEZZNS1_9scan_implILNS1_25lookback_scan_determinismE0ELb0ELb0ES3_PKS7_PS7_S7_ZZZN2at6native31launch_logcumsumexp_cuda_kernelERKNSE_10TensorBaseESI_lENKUlvE_clEvENKUlvE1_clEvEUlS7_S7_E_S7_EEDaPvRmT3_T4_T5_mT6_P12ihipStream_tbENKUlT_T0_E_clISt17integral_constantIbLb0EESY_IbLb1EEEEDaSU_SV_EUlSU_E_NS1_11comp_targetILNS1_3genE9ELNS1_11target_archE1100ELNS1_3gpuE3ELNS1_3repE0EEENS1_30default_config_static_selectorELNS0_4arch9wavefront6targetE0EEEvT1_.num_named_barrier, 0
	.set _ZN7rocprim17ROCPRIM_400000_NS6detail17trampoline_kernelINS0_14default_configENS1_20scan_config_selectorIN3c107complexIdEEEEZZNS1_9scan_implILNS1_25lookback_scan_determinismE0ELb0ELb0ES3_PKS7_PS7_S7_ZZZN2at6native31launch_logcumsumexp_cuda_kernelERKNSE_10TensorBaseESI_lENKUlvE_clEvENKUlvE1_clEvEUlS7_S7_E_S7_EEDaPvRmT3_T4_T5_mT6_P12ihipStream_tbENKUlT_T0_E_clISt17integral_constantIbLb0EESY_IbLb1EEEEDaSU_SV_EUlSU_E_NS1_11comp_targetILNS1_3genE9ELNS1_11target_archE1100ELNS1_3gpuE3ELNS1_3repE0EEENS1_30default_config_static_selectorELNS0_4arch9wavefront6targetE0EEEvT1_.private_seg_size, 0
	.set _ZN7rocprim17ROCPRIM_400000_NS6detail17trampoline_kernelINS0_14default_configENS1_20scan_config_selectorIN3c107complexIdEEEEZZNS1_9scan_implILNS1_25lookback_scan_determinismE0ELb0ELb0ES3_PKS7_PS7_S7_ZZZN2at6native31launch_logcumsumexp_cuda_kernelERKNSE_10TensorBaseESI_lENKUlvE_clEvENKUlvE1_clEvEUlS7_S7_E_S7_EEDaPvRmT3_T4_T5_mT6_P12ihipStream_tbENKUlT_T0_E_clISt17integral_constantIbLb0EESY_IbLb1EEEEDaSU_SV_EUlSU_E_NS1_11comp_targetILNS1_3genE9ELNS1_11target_archE1100ELNS1_3gpuE3ELNS1_3repE0EEENS1_30default_config_static_selectorELNS0_4arch9wavefront6targetE0EEEvT1_.uses_vcc, 0
	.set _ZN7rocprim17ROCPRIM_400000_NS6detail17trampoline_kernelINS0_14default_configENS1_20scan_config_selectorIN3c107complexIdEEEEZZNS1_9scan_implILNS1_25lookback_scan_determinismE0ELb0ELb0ES3_PKS7_PS7_S7_ZZZN2at6native31launch_logcumsumexp_cuda_kernelERKNSE_10TensorBaseESI_lENKUlvE_clEvENKUlvE1_clEvEUlS7_S7_E_S7_EEDaPvRmT3_T4_T5_mT6_P12ihipStream_tbENKUlT_T0_E_clISt17integral_constantIbLb0EESY_IbLb1EEEEDaSU_SV_EUlSU_E_NS1_11comp_targetILNS1_3genE9ELNS1_11target_archE1100ELNS1_3gpuE3ELNS1_3repE0EEENS1_30default_config_static_selectorELNS0_4arch9wavefront6targetE0EEEvT1_.uses_flat_scratch, 0
	.set _ZN7rocprim17ROCPRIM_400000_NS6detail17trampoline_kernelINS0_14default_configENS1_20scan_config_selectorIN3c107complexIdEEEEZZNS1_9scan_implILNS1_25lookback_scan_determinismE0ELb0ELb0ES3_PKS7_PS7_S7_ZZZN2at6native31launch_logcumsumexp_cuda_kernelERKNSE_10TensorBaseESI_lENKUlvE_clEvENKUlvE1_clEvEUlS7_S7_E_S7_EEDaPvRmT3_T4_T5_mT6_P12ihipStream_tbENKUlT_T0_E_clISt17integral_constantIbLb0EESY_IbLb1EEEEDaSU_SV_EUlSU_E_NS1_11comp_targetILNS1_3genE9ELNS1_11target_archE1100ELNS1_3gpuE3ELNS1_3repE0EEENS1_30default_config_static_selectorELNS0_4arch9wavefront6targetE0EEEvT1_.has_dyn_sized_stack, 0
	.set _ZN7rocprim17ROCPRIM_400000_NS6detail17trampoline_kernelINS0_14default_configENS1_20scan_config_selectorIN3c107complexIdEEEEZZNS1_9scan_implILNS1_25lookback_scan_determinismE0ELb0ELb0ES3_PKS7_PS7_S7_ZZZN2at6native31launch_logcumsumexp_cuda_kernelERKNSE_10TensorBaseESI_lENKUlvE_clEvENKUlvE1_clEvEUlS7_S7_E_S7_EEDaPvRmT3_T4_T5_mT6_P12ihipStream_tbENKUlT_T0_E_clISt17integral_constantIbLb0EESY_IbLb1EEEEDaSU_SV_EUlSU_E_NS1_11comp_targetILNS1_3genE9ELNS1_11target_archE1100ELNS1_3gpuE3ELNS1_3repE0EEENS1_30default_config_static_selectorELNS0_4arch9wavefront6targetE0EEEvT1_.has_recursion, 0
	.set _ZN7rocprim17ROCPRIM_400000_NS6detail17trampoline_kernelINS0_14default_configENS1_20scan_config_selectorIN3c107complexIdEEEEZZNS1_9scan_implILNS1_25lookback_scan_determinismE0ELb0ELb0ES3_PKS7_PS7_S7_ZZZN2at6native31launch_logcumsumexp_cuda_kernelERKNSE_10TensorBaseESI_lENKUlvE_clEvENKUlvE1_clEvEUlS7_S7_E_S7_EEDaPvRmT3_T4_T5_mT6_P12ihipStream_tbENKUlT_T0_E_clISt17integral_constantIbLb0EESY_IbLb1EEEEDaSU_SV_EUlSU_E_NS1_11comp_targetILNS1_3genE9ELNS1_11target_archE1100ELNS1_3gpuE3ELNS1_3repE0EEENS1_30default_config_static_selectorELNS0_4arch9wavefront6targetE0EEEvT1_.has_indirect_call, 0
	.section	.AMDGPU.csdata,"",@progbits
; Kernel info:
; codeLenInByte = 0
; TotalNumSgprs: 0
; NumVgprs: 0
; ScratchSize: 0
; MemoryBound: 0
; FloatMode: 240
; IeeeMode: 1
; LDSByteSize: 0 bytes/workgroup (compile time only)
; SGPRBlocks: 0
; VGPRBlocks: 0
; NumSGPRsForWavesPerEU: 1
; NumVGPRsForWavesPerEU: 1
; Occupancy: 16
; WaveLimiterHint : 0
; COMPUTE_PGM_RSRC2:SCRATCH_EN: 0
; COMPUTE_PGM_RSRC2:USER_SGPR: 2
; COMPUTE_PGM_RSRC2:TRAP_HANDLER: 0
; COMPUTE_PGM_RSRC2:TGID_X_EN: 1
; COMPUTE_PGM_RSRC2:TGID_Y_EN: 0
; COMPUTE_PGM_RSRC2:TGID_Z_EN: 0
; COMPUTE_PGM_RSRC2:TIDIG_COMP_CNT: 0
	.section	.text._ZN7rocprim17ROCPRIM_400000_NS6detail17trampoline_kernelINS0_14default_configENS1_20scan_config_selectorIN3c107complexIdEEEEZZNS1_9scan_implILNS1_25lookback_scan_determinismE0ELb0ELb0ES3_PKS7_PS7_S7_ZZZN2at6native31launch_logcumsumexp_cuda_kernelERKNSE_10TensorBaseESI_lENKUlvE_clEvENKUlvE1_clEvEUlS7_S7_E_S7_EEDaPvRmT3_T4_T5_mT6_P12ihipStream_tbENKUlT_T0_E_clISt17integral_constantIbLb0EESY_IbLb1EEEEDaSU_SV_EUlSU_E_NS1_11comp_targetILNS1_3genE8ELNS1_11target_archE1030ELNS1_3gpuE2ELNS1_3repE0EEENS1_30default_config_static_selectorELNS0_4arch9wavefront6targetE0EEEvT1_,"axG",@progbits,_ZN7rocprim17ROCPRIM_400000_NS6detail17trampoline_kernelINS0_14default_configENS1_20scan_config_selectorIN3c107complexIdEEEEZZNS1_9scan_implILNS1_25lookback_scan_determinismE0ELb0ELb0ES3_PKS7_PS7_S7_ZZZN2at6native31launch_logcumsumexp_cuda_kernelERKNSE_10TensorBaseESI_lENKUlvE_clEvENKUlvE1_clEvEUlS7_S7_E_S7_EEDaPvRmT3_T4_T5_mT6_P12ihipStream_tbENKUlT_T0_E_clISt17integral_constantIbLb0EESY_IbLb1EEEEDaSU_SV_EUlSU_E_NS1_11comp_targetILNS1_3genE8ELNS1_11target_archE1030ELNS1_3gpuE2ELNS1_3repE0EEENS1_30default_config_static_selectorELNS0_4arch9wavefront6targetE0EEEvT1_,comdat
	.globl	_ZN7rocprim17ROCPRIM_400000_NS6detail17trampoline_kernelINS0_14default_configENS1_20scan_config_selectorIN3c107complexIdEEEEZZNS1_9scan_implILNS1_25lookback_scan_determinismE0ELb0ELb0ES3_PKS7_PS7_S7_ZZZN2at6native31launch_logcumsumexp_cuda_kernelERKNSE_10TensorBaseESI_lENKUlvE_clEvENKUlvE1_clEvEUlS7_S7_E_S7_EEDaPvRmT3_T4_T5_mT6_P12ihipStream_tbENKUlT_T0_E_clISt17integral_constantIbLb0EESY_IbLb1EEEEDaSU_SV_EUlSU_E_NS1_11comp_targetILNS1_3genE8ELNS1_11target_archE1030ELNS1_3gpuE2ELNS1_3repE0EEENS1_30default_config_static_selectorELNS0_4arch9wavefront6targetE0EEEvT1_ ; -- Begin function _ZN7rocprim17ROCPRIM_400000_NS6detail17trampoline_kernelINS0_14default_configENS1_20scan_config_selectorIN3c107complexIdEEEEZZNS1_9scan_implILNS1_25lookback_scan_determinismE0ELb0ELb0ES3_PKS7_PS7_S7_ZZZN2at6native31launch_logcumsumexp_cuda_kernelERKNSE_10TensorBaseESI_lENKUlvE_clEvENKUlvE1_clEvEUlS7_S7_E_S7_EEDaPvRmT3_T4_T5_mT6_P12ihipStream_tbENKUlT_T0_E_clISt17integral_constantIbLb0EESY_IbLb1EEEEDaSU_SV_EUlSU_E_NS1_11comp_targetILNS1_3genE8ELNS1_11target_archE1030ELNS1_3gpuE2ELNS1_3repE0EEENS1_30default_config_static_selectorELNS0_4arch9wavefront6targetE0EEEvT1_
	.p2align	8
	.type	_ZN7rocprim17ROCPRIM_400000_NS6detail17trampoline_kernelINS0_14default_configENS1_20scan_config_selectorIN3c107complexIdEEEEZZNS1_9scan_implILNS1_25lookback_scan_determinismE0ELb0ELb0ES3_PKS7_PS7_S7_ZZZN2at6native31launch_logcumsumexp_cuda_kernelERKNSE_10TensorBaseESI_lENKUlvE_clEvENKUlvE1_clEvEUlS7_S7_E_S7_EEDaPvRmT3_T4_T5_mT6_P12ihipStream_tbENKUlT_T0_E_clISt17integral_constantIbLb0EESY_IbLb1EEEEDaSU_SV_EUlSU_E_NS1_11comp_targetILNS1_3genE8ELNS1_11target_archE1030ELNS1_3gpuE2ELNS1_3repE0EEENS1_30default_config_static_selectorELNS0_4arch9wavefront6targetE0EEEvT1_,@function
_ZN7rocprim17ROCPRIM_400000_NS6detail17trampoline_kernelINS0_14default_configENS1_20scan_config_selectorIN3c107complexIdEEEEZZNS1_9scan_implILNS1_25lookback_scan_determinismE0ELb0ELb0ES3_PKS7_PS7_S7_ZZZN2at6native31launch_logcumsumexp_cuda_kernelERKNSE_10TensorBaseESI_lENKUlvE_clEvENKUlvE1_clEvEUlS7_S7_E_S7_EEDaPvRmT3_T4_T5_mT6_P12ihipStream_tbENKUlT_T0_E_clISt17integral_constantIbLb0EESY_IbLb1EEEEDaSU_SV_EUlSU_E_NS1_11comp_targetILNS1_3genE8ELNS1_11target_archE1030ELNS1_3gpuE2ELNS1_3repE0EEENS1_30default_config_static_selectorELNS0_4arch9wavefront6targetE0EEEvT1_: ; @_ZN7rocprim17ROCPRIM_400000_NS6detail17trampoline_kernelINS0_14default_configENS1_20scan_config_selectorIN3c107complexIdEEEEZZNS1_9scan_implILNS1_25lookback_scan_determinismE0ELb0ELb0ES3_PKS7_PS7_S7_ZZZN2at6native31launch_logcumsumexp_cuda_kernelERKNSE_10TensorBaseESI_lENKUlvE_clEvENKUlvE1_clEvEUlS7_S7_E_S7_EEDaPvRmT3_T4_T5_mT6_P12ihipStream_tbENKUlT_T0_E_clISt17integral_constantIbLb0EESY_IbLb1EEEEDaSU_SV_EUlSU_E_NS1_11comp_targetILNS1_3genE8ELNS1_11target_archE1030ELNS1_3gpuE2ELNS1_3repE0EEENS1_30default_config_static_selectorELNS0_4arch9wavefront6targetE0EEEvT1_
; %bb.0:
	.section	.rodata,"a",@progbits
	.p2align	6, 0x0
	.amdhsa_kernel _ZN7rocprim17ROCPRIM_400000_NS6detail17trampoline_kernelINS0_14default_configENS1_20scan_config_selectorIN3c107complexIdEEEEZZNS1_9scan_implILNS1_25lookback_scan_determinismE0ELb0ELb0ES3_PKS7_PS7_S7_ZZZN2at6native31launch_logcumsumexp_cuda_kernelERKNSE_10TensorBaseESI_lENKUlvE_clEvENKUlvE1_clEvEUlS7_S7_E_S7_EEDaPvRmT3_T4_T5_mT6_P12ihipStream_tbENKUlT_T0_E_clISt17integral_constantIbLb0EESY_IbLb1EEEEDaSU_SV_EUlSU_E_NS1_11comp_targetILNS1_3genE8ELNS1_11target_archE1030ELNS1_3gpuE2ELNS1_3repE0EEENS1_30default_config_static_selectorELNS0_4arch9wavefront6targetE0EEEvT1_
		.amdhsa_group_segment_fixed_size 0
		.amdhsa_private_segment_fixed_size 0
		.amdhsa_kernarg_size 128
		.amdhsa_user_sgpr_count 2
		.amdhsa_user_sgpr_dispatch_ptr 0
		.amdhsa_user_sgpr_queue_ptr 0
		.amdhsa_user_sgpr_kernarg_segment_ptr 1
		.amdhsa_user_sgpr_dispatch_id 0
		.amdhsa_user_sgpr_private_segment_size 0
		.amdhsa_wavefront_size32 1
		.amdhsa_uses_dynamic_stack 0
		.amdhsa_enable_private_segment 0
		.amdhsa_system_sgpr_workgroup_id_x 1
		.amdhsa_system_sgpr_workgroup_id_y 0
		.amdhsa_system_sgpr_workgroup_id_z 0
		.amdhsa_system_sgpr_workgroup_info 0
		.amdhsa_system_vgpr_workitem_id 0
		.amdhsa_next_free_vgpr 1
		.amdhsa_next_free_sgpr 1
		.amdhsa_reserve_vcc 0
		.amdhsa_float_round_mode_32 0
		.amdhsa_float_round_mode_16_64 0
		.amdhsa_float_denorm_mode_32 3
		.amdhsa_float_denorm_mode_16_64 3
		.amdhsa_fp16_overflow 0
		.amdhsa_workgroup_processor_mode 1
		.amdhsa_memory_ordered 1
		.amdhsa_forward_progress 1
		.amdhsa_inst_pref_size 0
		.amdhsa_round_robin_scheduling 0
		.amdhsa_exception_fp_ieee_invalid_op 0
		.amdhsa_exception_fp_denorm_src 0
		.amdhsa_exception_fp_ieee_div_zero 0
		.amdhsa_exception_fp_ieee_overflow 0
		.amdhsa_exception_fp_ieee_underflow 0
		.amdhsa_exception_fp_ieee_inexact 0
		.amdhsa_exception_int_div_zero 0
	.end_amdhsa_kernel
	.section	.text._ZN7rocprim17ROCPRIM_400000_NS6detail17trampoline_kernelINS0_14default_configENS1_20scan_config_selectorIN3c107complexIdEEEEZZNS1_9scan_implILNS1_25lookback_scan_determinismE0ELb0ELb0ES3_PKS7_PS7_S7_ZZZN2at6native31launch_logcumsumexp_cuda_kernelERKNSE_10TensorBaseESI_lENKUlvE_clEvENKUlvE1_clEvEUlS7_S7_E_S7_EEDaPvRmT3_T4_T5_mT6_P12ihipStream_tbENKUlT_T0_E_clISt17integral_constantIbLb0EESY_IbLb1EEEEDaSU_SV_EUlSU_E_NS1_11comp_targetILNS1_3genE8ELNS1_11target_archE1030ELNS1_3gpuE2ELNS1_3repE0EEENS1_30default_config_static_selectorELNS0_4arch9wavefront6targetE0EEEvT1_,"axG",@progbits,_ZN7rocprim17ROCPRIM_400000_NS6detail17trampoline_kernelINS0_14default_configENS1_20scan_config_selectorIN3c107complexIdEEEEZZNS1_9scan_implILNS1_25lookback_scan_determinismE0ELb0ELb0ES3_PKS7_PS7_S7_ZZZN2at6native31launch_logcumsumexp_cuda_kernelERKNSE_10TensorBaseESI_lENKUlvE_clEvENKUlvE1_clEvEUlS7_S7_E_S7_EEDaPvRmT3_T4_T5_mT6_P12ihipStream_tbENKUlT_T0_E_clISt17integral_constantIbLb0EESY_IbLb1EEEEDaSU_SV_EUlSU_E_NS1_11comp_targetILNS1_3genE8ELNS1_11target_archE1030ELNS1_3gpuE2ELNS1_3repE0EEENS1_30default_config_static_selectorELNS0_4arch9wavefront6targetE0EEEvT1_,comdat
.Lfunc_end249:
	.size	_ZN7rocprim17ROCPRIM_400000_NS6detail17trampoline_kernelINS0_14default_configENS1_20scan_config_selectorIN3c107complexIdEEEEZZNS1_9scan_implILNS1_25lookback_scan_determinismE0ELb0ELb0ES3_PKS7_PS7_S7_ZZZN2at6native31launch_logcumsumexp_cuda_kernelERKNSE_10TensorBaseESI_lENKUlvE_clEvENKUlvE1_clEvEUlS7_S7_E_S7_EEDaPvRmT3_T4_T5_mT6_P12ihipStream_tbENKUlT_T0_E_clISt17integral_constantIbLb0EESY_IbLb1EEEEDaSU_SV_EUlSU_E_NS1_11comp_targetILNS1_3genE8ELNS1_11target_archE1030ELNS1_3gpuE2ELNS1_3repE0EEENS1_30default_config_static_selectorELNS0_4arch9wavefront6targetE0EEEvT1_, .Lfunc_end249-_ZN7rocprim17ROCPRIM_400000_NS6detail17trampoline_kernelINS0_14default_configENS1_20scan_config_selectorIN3c107complexIdEEEEZZNS1_9scan_implILNS1_25lookback_scan_determinismE0ELb0ELb0ES3_PKS7_PS7_S7_ZZZN2at6native31launch_logcumsumexp_cuda_kernelERKNSE_10TensorBaseESI_lENKUlvE_clEvENKUlvE1_clEvEUlS7_S7_E_S7_EEDaPvRmT3_T4_T5_mT6_P12ihipStream_tbENKUlT_T0_E_clISt17integral_constantIbLb0EESY_IbLb1EEEEDaSU_SV_EUlSU_E_NS1_11comp_targetILNS1_3genE8ELNS1_11target_archE1030ELNS1_3gpuE2ELNS1_3repE0EEENS1_30default_config_static_selectorELNS0_4arch9wavefront6targetE0EEEvT1_
                                        ; -- End function
	.set _ZN7rocprim17ROCPRIM_400000_NS6detail17trampoline_kernelINS0_14default_configENS1_20scan_config_selectorIN3c107complexIdEEEEZZNS1_9scan_implILNS1_25lookback_scan_determinismE0ELb0ELb0ES3_PKS7_PS7_S7_ZZZN2at6native31launch_logcumsumexp_cuda_kernelERKNSE_10TensorBaseESI_lENKUlvE_clEvENKUlvE1_clEvEUlS7_S7_E_S7_EEDaPvRmT3_T4_T5_mT6_P12ihipStream_tbENKUlT_T0_E_clISt17integral_constantIbLb0EESY_IbLb1EEEEDaSU_SV_EUlSU_E_NS1_11comp_targetILNS1_3genE8ELNS1_11target_archE1030ELNS1_3gpuE2ELNS1_3repE0EEENS1_30default_config_static_selectorELNS0_4arch9wavefront6targetE0EEEvT1_.num_vgpr, 0
	.set _ZN7rocprim17ROCPRIM_400000_NS6detail17trampoline_kernelINS0_14default_configENS1_20scan_config_selectorIN3c107complexIdEEEEZZNS1_9scan_implILNS1_25lookback_scan_determinismE0ELb0ELb0ES3_PKS7_PS7_S7_ZZZN2at6native31launch_logcumsumexp_cuda_kernelERKNSE_10TensorBaseESI_lENKUlvE_clEvENKUlvE1_clEvEUlS7_S7_E_S7_EEDaPvRmT3_T4_T5_mT6_P12ihipStream_tbENKUlT_T0_E_clISt17integral_constantIbLb0EESY_IbLb1EEEEDaSU_SV_EUlSU_E_NS1_11comp_targetILNS1_3genE8ELNS1_11target_archE1030ELNS1_3gpuE2ELNS1_3repE0EEENS1_30default_config_static_selectorELNS0_4arch9wavefront6targetE0EEEvT1_.num_agpr, 0
	.set _ZN7rocprim17ROCPRIM_400000_NS6detail17trampoline_kernelINS0_14default_configENS1_20scan_config_selectorIN3c107complexIdEEEEZZNS1_9scan_implILNS1_25lookback_scan_determinismE0ELb0ELb0ES3_PKS7_PS7_S7_ZZZN2at6native31launch_logcumsumexp_cuda_kernelERKNSE_10TensorBaseESI_lENKUlvE_clEvENKUlvE1_clEvEUlS7_S7_E_S7_EEDaPvRmT3_T4_T5_mT6_P12ihipStream_tbENKUlT_T0_E_clISt17integral_constantIbLb0EESY_IbLb1EEEEDaSU_SV_EUlSU_E_NS1_11comp_targetILNS1_3genE8ELNS1_11target_archE1030ELNS1_3gpuE2ELNS1_3repE0EEENS1_30default_config_static_selectorELNS0_4arch9wavefront6targetE0EEEvT1_.numbered_sgpr, 0
	.set _ZN7rocprim17ROCPRIM_400000_NS6detail17trampoline_kernelINS0_14default_configENS1_20scan_config_selectorIN3c107complexIdEEEEZZNS1_9scan_implILNS1_25lookback_scan_determinismE0ELb0ELb0ES3_PKS7_PS7_S7_ZZZN2at6native31launch_logcumsumexp_cuda_kernelERKNSE_10TensorBaseESI_lENKUlvE_clEvENKUlvE1_clEvEUlS7_S7_E_S7_EEDaPvRmT3_T4_T5_mT6_P12ihipStream_tbENKUlT_T0_E_clISt17integral_constantIbLb0EESY_IbLb1EEEEDaSU_SV_EUlSU_E_NS1_11comp_targetILNS1_3genE8ELNS1_11target_archE1030ELNS1_3gpuE2ELNS1_3repE0EEENS1_30default_config_static_selectorELNS0_4arch9wavefront6targetE0EEEvT1_.num_named_barrier, 0
	.set _ZN7rocprim17ROCPRIM_400000_NS6detail17trampoline_kernelINS0_14default_configENS1_20scan_config_selectorIN3c107complexIdEEEEZZNS1_9scan_implILNS1_25lookback_scan_determinismE0ELb0ELb0ES3_PKS7_PS7_S7_ZZZN2at6native31launch_logcumsumexp_cuda_kernelERKNSE_10TensorBaseESI_lENKUlvE_clEvENKUlvE1_clEvEUlS7_S7_E_S7_EEDaPvRmT3_T4_T5_mT6_P12ihipStream_tbENKUlT_T0_E_clISt17integral_constantIbLb0EESY_IbLb1EEEEDaSU_SV_EUlSU_E_NS1_11comp_targetILNS1_3genE8ELNS1_11target_archE1030ELNS1_3gpuE2ELNS1_3repE0EEENS1_30default_config_static_selectorELNS0_4arch9wavefront6targetE0EEEvT1_.private_seg_size, 0
	.set _ZN7rocprim17ROCPRIM_400000_NS6detail17trampoline_kernelINS0_14default_configENS1_20scan_config_selectorIN3c107complexIdEEEEZZNS1_9scan_implILNS1_25lookback_scan_determinismE0ELb0ELb0ES3_PKS7_PS7_S7_ZZZN2at6native31launch_logcumsumexp_cuda_kernelERKNSE_10TensorBaseESI_lENKUlvE_clEvENKUlvE1_clEvEUlS7_S7_E_S7_EEDaPvRmT3_T4_T5_mT6_P12ihipStream_tbENKUlT_T0_E_clISt17integral_constantIbLb0EESY_IbLb1EEEEDaSU_SV_EUlSU_E_NS1_11comp_targetILNS1_3genE8ELNS1_11target_archE1030ELNS1_3gpuE2ELNS1_3repE0EEENS1_30default_config_static_selectorELNS0_4arch9wavefront6targetE0EEEvT1_.uses_vcc, 0
	.set _ZN7rocprim17ROCPRIM_400000_NS6detail17trampoline_kernelINS0_14default_configENS1_20scan_config_selectorIN3c107complexIdEEEEZZNS1_9scan_implILNS1_25lookback_scan_determinismE0ELb0ELb0ES3_PKS7_PS7_S7_ZZZN2at6native31launch_logcumsumexp_cuda_kernelERKNSE_10TensorBaseESI_lENKUlvE_clEvENKUlvE1_clEvEUlS7_S7_E_S7_EEDaPvRmT3_T4_T5_mT6_P12ihipStream_tbENKUlT_T0_E_clISt17integral_constantIbLb0EESY_IbLb1EEEEDaSU_SV_EUlSU_E_NS1_11comp_targetILNS1_3genE8ELNS1_11target_archE1030ELNS1_3gpuE2ELNS1_3repE0EEENS1_30default_config_static_selectorELNS0_4arch9wavefront6targetE0EEEvT1_.uses_flat_scratch, 0
	.set _ZN7rocprim17ROCPRIM_400000_NS6detail17trampoline_kernelINS0_14default_configENS1_20scan_config_selectorIN3c107complexIdEEEEZZNS1_9scan_implILNS1_25lookback_scan_determinismE0ELb0ELb0ES3_PKS7_PS7_S7_ZZZN2at6native31launch_logcumsumexp_cuda_kernelERKNSE_10TensorBaseESI_lENKUlvE_clEvENKUlvE1_clEvEUlS7_S7_E_S7_EEDaPvRmT3_T4_T5_mT6_P12ihipStream_tbENKUlT_T0_E_clISt17integral_constantIbLb0EESY_IbLb1EEEEDaSU_SV_EUlSU_E_NS1_11comp_targetILNS1_3genE8ELNS1_11target_archE1030ELNS1_3gpuE2ELNS1_3repE0EEENS1_30default_config_static_selectorELNS0_4arch9wavefront6targetE0EEEvT1_.has_dyn_sized_stack, 0
	.set _ZN7rocprim17ROCPRIM_400000_NS6detail17trampoline_kernelINS0_14default_configENS1_20scan_config_selectorIN3c107complexIdEEEEZZNS1_9scan_implILNS1_25lookback_scan_determinismE0ELb0ELb0ES3_PKS7_PS7_S7_ZZZN2at6native31launch_logcumsumexp_cuda_kernelERKNSE_10TensorBaseESI_lENKUlvE_clEvENKUlvE1_clEvEUlS7_S7_E_S7_EEDaPvRmT3_T4_T5_mT6_P12ihipStream_tbENKUlT_T0_E_clISt17integral_constantIbLb0EESY_IbLb1EEEEDaSU_SV_EUlSU_E_NS1_11comp_targetILNS1_3genE8ELNS1_11target_archE1030ELNS1_3gpuE2ELNS1_3repE0EEENS1_30default_config_static_selectorELNS0_4arch9wavefront6targetE0EEEvT1_.has_recursion, 0
	.set _ZN7rocprim17ROCPRIM_400000_NS6detail17trampoline_kernelINS0_14default_configENS1_20scan_config_selectorIN3c107complexIdEEEEZZNS1_9scan_implILNS1_25lookback_scan_determinismE0ELb0ELb0ES3_PKS7_PS7_S7_ZZZN2at6native31launch_logcumsumexp_cuda_kernelERKNSE_10TensorBaseESI_lENKUlvE_clEvENKUlvE1_clEvEUlS7_S7_E_S7_EEDaPvRmT3_T4_T5_mT6_P12ihipStream_tbENKUlT_T0_E_clISt17integral_constantIbLb0EESY_IbLb1EEEEDaSU_SV_EUlSU_E_NS1_11comp_targetILNS1_3genE8ELNS1_11target_archE1030ELNS1_3gpuE2ELNS1_3repE0EEENS1_30default_config_static_selectorELNS0_4arch9wavefront6targetE0EEEvT1_.has_indirect_call, 0
	.section	.AMDGPU.csdata,"",@progbits
; Kernel info:
; codeLenInByte = 0
; TotalNumSgprs: 0
; NumVgprs: 0
; ScratchSize: 0
; MemoryBound: 0
; FloatMode: 240
; IeeeMode: 1
; LDSByteSize: 0 bytes/workgroup (compile time only)
; SGPRBlocks: 0
; VGPRBlocks: 0
; NumSGPRsForWavesPerEU: 1
; NumVGPRsForWavesPerEU: 1
; Occupancy: 16
; WaveLimiterHint : 0
; COMPUTE_PGM_RSRC2:SCRATCH_EN: 0
; COMPUTE_PGM_RSRC2:USER_SGPR: 2
; COMPUTE_PGM_RSRC2:TRAP_HANDLER: 0
; COMPUTE_PGM_RSRC2:TGID_X_EN: 1
; COMPUTE_PGM_RSRC2:TGID_Y_EN: 0
; COMPUTE_PGM_RSRC2:TGID_Z_EN: 0
; COMPUTE_PGM_RSRC2:TIDIG_COMP_CNT: 0
	.section	.text._ZN7rocprim17ROCPRIM_400000_NS6detail17trampoline_kernelINS0_14default_configENS1_20scan_config_selectorIN3c107complexIdEEEEZZNS1_9scan_implILNS1_25lookback_scan_determinismE0ELb0ELb0ES3_PKS7_PS7_S7_ZZZN2at6native31launch_logcumsumexp_cuda_kernelERKNSE_10TensorBaseESI_lENKUlvE_clEvENKUlvE1_clEvEUlS7_S7_E_S7_EEDaPvRmT3_T4_T5_mT6_P12ihipStream_tbENKUlT_T0_E_clISt17integral_constantIbLb0EESY_IbLb1EEEEDaSU_SV_EUlSU_E0_NS1_11comp_targetILNS1_3genE0ELNS1_11target_archE4294967295ELNS1_3gpuE0ELNS1_3repE0EEENS1_30default_config_static_selectorELNS0_4arch9wavefront6targetE0EEEvT1_,"axG",@progbits,_ZN7rocprim17ROCPRIM_400000_NS6detail17trampoline_kernelINS0_14default_configENS1_20scan_config_selectorIN3c107complexIdEEEEZZNS1_9scan_implILNS1_25lookback_scan_determinismE0ELb0ELb0ES3_PKS7_PS7_S7_ZZZN2at6native31launch_logcumsumexp_cuda_kernelERKNSE_10TensorBaseESI_lENKUlvE_clEvENKUlvE1_clEvEUlS7_S7_E_S7_EEDaPvRmT3_T4_T5_mT6_P12ihipStream_tbENKUlT_T0_E_clISt17integral_constantIbLb0EESY_IbLb1EEEEDaSU_SV_EUlSU_E0_NS1_11comp_targetILNS1_3genE0ELNS1_11target_archE4294967295ELNS1_3gpuE0ELNS1_3repE0EEENS1_30default_config_static_selectorELNS0_4arch9wavefront6targetE0EEEvT1_,comdat
	.globl	_ZN7rocprim17ROCPRIM_400000_NS6detail17trampoline_kernelINS0_14default_configENS1_20scan_config_selectorIN3c107complexIdEEEEZZNS1_9scan_implILNS1_25lookback_scan_determinismE0ELb0ELb0ES3_PKS7_PS7_S7_ZZZN2at6native31launch_logcumsumexp_cuda_kernelERKNSE_10TensorBaseESI_lENKUlvE_clEvENKUlvE1_clEvEUlS7_S7_E_S7_EEDaPvRmT3_T4_T5_mT6_P12ihipStream_tbENKUlT_T0_E_clISt17integral_constantIbLb0EESY_IbLb1EEEEDaSU_SV_EUlSU_E0_NS1_11comp_targetILNS1_3genE0ELNS1_11target_archE4294967295ELNS1_3gpuE0ELNS1_3repE0EEENS1_30default_config_static_selectorELNS0_4arch9wavefront6targetE0EEEvT1_ ; -- Begin function _ZN7rocprim17ROCPRIM_400000_NS6detail17trampoline_kernelINS0_14default_configENS1_20scan_config_selectorIN3c107complexIdEEEEZZNS1_9scan_implILNS1_25lookback_scan_determinismE0ELb0ELb0ES3_PKS7_PS7_S7_ZZZN2at6native31launch_logcumsumexp_cuda_kernelERKNSE_10TensorBaseESI_lENKUlvE_clEvENKUlvE1_clEvEUlS7_S7_E_S7_EEDaPvRmT3_T4_T5_mT6_P12ihipStream_tbENKUlT_T0_E_clISt17integral_constantIbLb0EESY_IbLb1EEEEDaSU_SV_EUlSU_E0_NS1_11comp_targetILNS1_3genE0ELNS1_11target_archE4294967295ELNS1_3gpuE0ELNS1_3repE0EEENS1_30default_config_static_selectorELNS0_4arch9wavefront6targetE0EEEvT1_
	.p2align	8
	.type	_ZN7rocprim17ROCPRIM_400000_NS6detail17trampoline_kernelINS0_14default_configENS1_20scan_config_selectorIN3c107complexIdEEEEZZNS1_9scan_implILNS1_25lookback_scan_determinismE0ELb0ELb0ES3_PKS7_PS7_S7_ZZZN2at6native31launch_logcumsumexp_cuda_kernelERKNSE_10TensorBaseESI_lENKUlvE_clEvENKUlvE1_clEvEUlS7_S7_E_S7_EEDaPvRmT3_T4_T5_mT6_P12ihipStream_tbENKUlT_T0_E_clISt17integral_constantIbLb0EESY_IbLb1EEEEDaSU_SV_EUlSU_E0_NS1_11comp_targetILNS1_3genE0ELNS1_11target_archE4294967295ELNS1_3gpuE0ELNS1_3repE0EEENS1_30default_config_static_selectorELNS0_4arch9wavefront6targetE0EEEvT1_,@function
_ZN7rocprim17ROCPRIM_400000_NS6detail17trampoline_kernelINS0_14default_configENS1_20scan_config_selectorIN3c107complexIdEEEEZZNS1_9scan_implILNS1_25lookback_scan_determinismE0ELb0ELb0ES3_PKS7_PS7_S7_ZZZN2at6native31launch_logcumsumexp_cuda_kernelERKNSE_10TensorBaseESI_lENKUlvE_clEvENKUlvE1_clEvEUlS7_S7_E_S7_EEDaPvRmT3_T4_T5_mT6_P12ihipStream_tbENKUlT_T0_E_clISt17integral_constantIbLb0EESY_IbLb1EEEEDaSU_SV_EUlSU_E0_NS1_11comp_targetILNS1_3genE0ELNS1_11target_archE4294967295ELNS1_3gpuE0ELNS1_3repE0EEENS1_30default_config_static_selectorELNS0_4arch9wavefront6targetE0EEEvT1_: ; @_ZN7rocprim17ROCPRIM_400000_NS6detail17trampoline_kernelINS0_14default_configENS1_20scan_config_selectorIN3c107complexIdEEEEZZNS1_9scan_implILNS1_25lookback_scan_determinismE0ELb0ELb0ES3_PKS7_PS7_S7_ZZZN2at6native31launch_logcumsumexp_cuda_kernelERKNSE_10TensorBaseESI_lENKUlvE_clEvENKUlvE1_clEvEUlS7_S7_E_S7_EEDaPvRmT3_T4_T5_mT6_P12ihipStream_tbENKUlT_T0_E_clISt17integral_constantIbLb0EESY_IbLb1EEEEDaSU_SV_EUlSU_E0_NS1_11comp_targetILNS1_3genE0ELNS1_11target_archE4294967295ELNS1_3gpuE0ELNS1_3repE0EEENS1_30default_config_static_selectorELNS0_4arch9wavefront6targetE0EEEvT1_
; %bb.0:
	.section	.rodata,"a",@progbits
	.p2align	6, 0x0
	.amdhsa_kernel _ZN7rocprim17ROCPRIM_400000_NS6detail17trampoline_kernelINS0_14default_configENS1_20scan_config_selectorIN3c107complexIdEEEEZZNS1_9scan_implILNS1_25lookback_scan_determinismE0ELb0ELb0ES3_PKS7_PS7_S7_ZZZN2at6native31launch_logcumsumexp_cuda_kernelERKNSE_10TensorBaseESI_lENKUlvE_clEvENKUlvE1_clEvEUlS7_S7_E_S7_EEDaPvRmT3_T4_T5_mT6_P12ihipStream_tbENKUlT_T0_E_clISt17integral_constantIbLb0EESY_IbLb1EEEEDaSU_SV_EUlSU_E0_NS1_11comp_targetILNS1_3genE0ELNS1_11target_archE4294967295ELNS1_3gpuE0ELNS1_3repE0EEENS1_30default_config_static_selectorELNS0_4arch9wavefront6targetE0EEEvT1_
		.amdhsa_group_segment_fixed_size 0
		.amdhsa_private_segment_fixed_size 0
		.amdhsa_kernarg_size 48
		.amdhsa_user_sgpr_count 2
		.amdhsa_user_sgpr_dispatch_ptr 0
		.amdhsa_user_sgpr_queue_ptr 0
		.amdhsa_user_sgpr_kernarg_segment_ptr 1
		.amdhsa_user_sgpr_dispatch_id 0
		.amdhsa_user_sgpr_private_segment_size 0
		.amdhsa_wavefront_size32 1
		.amdhsa_uses_dynamic_stack 0
		.amdhsa_enable_private_segment 0
		.amdhsa_system_sgpr_workgroup_id_x 1
		.amdhsa_system_sgpr_workgroup_id_y 0
		.amdhsa_system_sgpr_workgroup_id_z 0
		.amdhsa_system_sgpr_workgroup_info 0
		.amdhsa_system_vgpr_workitem_id 0
		.amdhsa_next_free_vgpr 1
		.amdhsa_next_free_sgpr 1
		.amdhsa_reserve_vcc 0
		.amdhsa_float_round_mode_32 0
		.amdhsa_float_round_mode_16_64 0
		.amdhsa_float_denorm_mode_32 3
		.amdhsa_float_denorm_mode_16_64 3
		.amdhsa_fp16_overflow 0
		.amdhsa_workgroup_processor_mode 1
		.amdhsa_memory_ordered 1
		.amdhsa_forward_progress 1
		.amdhsa_inst_pref_size 0
		.amdhsa_round_robin_scheduling 0
		.amdhsa_exception_fp_ieee_invalid_op 0
		.amdhsa_exception_fp_denorm_src 0
		.amdhsa_exception_fp_ieee_div_zero 0
		.amdhsa_exception_fp_ieee_overflow 0
		.amdhsa_exception_fp_ieee_underflow 0
		.amdhsa_exception_fp_ieee_inexact 0
		.amdhsa_exception_int_div_zero 0
	.end_amdhsa_kernel
	.section	.text._ZN7rocprim17ROCPRIM_400000_NS6detail17trampoline_kernelINS0_14default_configENS1_20scan_config_selectorIN3c107complexIdEEEEZZNS1_9scan_implILNS1_25lookback_scan_determinismE0ELb0ELb0ES3_PKS7_PS7_S7_ZZZN2at6native31launch_logcumsumexp_cuda_kernelERKNSE_10TensorBaseESI_lENKUlvE_clEvENKUlvE1_clEvEUlS7_S7_E_S7_EEDaPvRmT3_T4_T5_mT6_P12ihipStream_tbENKUlT_T0_E_clISt17integral_constantIbLb0EESY_IbLb1EEEEDaSU_SV_EUlSU_E0_NS1_11comp_targetILNS1_3genE0ELNS1_11target_archE4294967295ELNS1_3gpuE0ELNS1_3repE0EEENS1_30default_config_static_selectorELNS0_4arch9wavefront6targetE0EEEvT1_,"axG",@progbits,_ZN7rocprim17ROCPRIM_400000_NS6detail17trampoline_kernelINS0_14default_configENS1_20scan_config_selectorIN3c107complexIdEEEEZZNS1_9scan_implILNS1_25lookback_scan_determinismE0ELb0ELb0ES3_PKS7_PS7_S7_ZZZN2at6native31launch_logcumsumexp_cuda_kernelERKNSE_10TensorBaseESI_lENKUlvE_clEvENKUlvE1_clEvEUlS7_S7_E_S7_EEDaPvRmT3_T4_T5_mT6_P12ihipStream_tbENKUlT_T0_E_clISt17integral_constantIbLb0EESY_IbLb1EEEEDaSU_SV_EUlSU_E0_NS1_11comp_targetILNS1_3genE0ELNS1_11target_archE4294967295ELNS1_3gpuE0ELNS1_3repE0EEENS1_30default_config_static_selectorELNS0_4arch9wavefront6targetE0EEEvT1_,comdat
.Lfunc_end250:
	.size	_ZN7rocprim17ROCPRIM_400000_NS6detail17trampoline_kernelINS0_14default_configENS1_20scan_config_selectorIN3c107complexIdEEEEZZNS1_9scan_implILNS1_25lookback_scan_determinismE0ELb0ELb0ES3_PKS7_PS7_S7_ZZZN2at6native31launch_logcumsumexp_cuda_kernelERKNSE_10TensorBaseESI_lENKUlvE_clEvENKUlvE1_clEvEUlS7_S7_E_S7_EEDaPvRmT3_T4_T5_mT6_P12ihipStream_tbENKUlT_T0_E_clISt17integral_constantIbLb0EESY_IbLb1EEEEDaSU_SV_EUlSU_E0_NS1_11comp_targetILNS1_3genE0ELNS1_11target_archE4294967295ELNS1_3gpuE0ELNS1_3repE0EEENS1_30default_config_static_selectorELNS0_4arch9wavefront6targetE0EEEvT1_, .Lfunc_end250-_ZN7rocprim17ROCPRIM_400000_NS6detail17trampoline_kernelINS0_14default_configENS1_20scan_config_selectorIN3c107complexIdEEEEZZNS1_9scan_implILNS1_25lookback_scan_determinismE0ELb0ELb0ES3_PKS7_PS7_S7_ZZZN2at6native31launch_logcumsumexp_cuda_kernelERKNSE_10TensorBaseESI_lENKUlvE_clEvENKUlvE1_clEvEUlS7_S7_E_S7_EEDaPvRmT3_T4_T5_mT6_P12ihipStream_tbENKUlT_T0_E_clISt17integral_constantIbLb0EESY_IbLb1EEEEDaSU_SV_EUlSU_E0_NS1_11comp_targetILNS1_3genE0ELNS1_11target_archE4294967295ELNS1_3gpuE0ELNS1_3repE0EEENS1_30default_config_static_selectorELNS0_4arch9wavefront6targetE0EEEvT1_
                                        ; -- End function
	.set _ZN7rocprim17ROCPRIM_400000_NS6detail17trampoline_kernelINS0_14default_configENS1_20scan_config_selectorIN3c107complexIdEEEEZZNS1_9scan_implILNS1_25lookback_scan_determinismE0ELb0ELb0ES3_PKS7_PS7_S7_ZZZN2at6native31launch_logcumsumexp_cuda_kernelERKNSE_10TensorBaseESI_lENKUlvE_clEvENKUlvE1_clEvEUlS7_S7_E_S7_EEDaPvRmT3_T4_T5_mT6_P12ihipStream_tbENKUlT_T0_E_clISt17integral_constantIbLb0EESY_IbLb1EEEEDaSU_SV_EUlSU_E0_NS1_11comp_targetILNS1_3genE0ELNS1_11target_archE4294967295ELNS1_3gpuE0ELNS1_3repE0EEENS1_30default_config_static_selectorELNS0_4arch9wavefront6targetE0EEEvT1_.num_vgpr, 0
	.set _ZN7rocprim17ROCPRIM_400000_NS6detail17trampoline_kernelINS0_14default_configENS1_20scan_config_selectorIN3c107complexIdEEEEZZNS1_9scan_implILNS1_25lookback_scan_determinismE0ELb0ELb0ES3_PKS7_PS7_S7_ZZZN2at6native31launch_logcumsumexp_cuda_kernelERKNSE_10TensorBaseESI_lENKUlvE_clEvENKUlvE1_clEvEUlS7_S7_E_S7_EEDaPvRmT3_T4_T5_mT6_P12ihipStream_tbENKUlT_T0_E_clISt17integral_constantIbLb0EESY_IbLb1EEEEDaSU_SV_EUlSU_E0_NS1_11comp_targetILNS1_3genE0ELNS1_11target_archE4294967295ELNS1_3gpuE0ELNS1_3repE0EEENS1_30default_config_static_selectorELNS0_4arch9wavefront6targetE0EEEvT1_.num_agpr, 0
	.set _ZN7rocprim17ROCPRIM_400000_NS6detail17trampoline_kernelINS0_14default_configENS1_20scan_config_selectorIN3c107complexIdEEEEZZNS1_9scan_implILNS1_25lookback_scan_determinismE0ELb0ELb0ES3_PKS7_PS7_S7_ZZZN2at6native31launch_logcumsumexp_cuda_kernelERKNSE_10TensorBaseESI_lENKUlvE_clEvENKUlvE1_clEvEUlS7_S7_E_S7_EEDaPvRmT3_T4_T5_mT6_P12ihipStream_tbENKUlT_T0_E_clISt17integral_constantIbLb0EESY_IbLb1EEEEDaSU_SV_EUlSU_E0_NS1_11comp_targetILNS1_3genE0ELNS1_11target_archE4294967295ELNS1_3gpuE0ELNS1_3repE0EEENS1_30default_config_static_selectorELNS0_4arch9wavefront6targetE0EEEvT1_.numbered_sgpr, 0
	.set _ZN7rocprim17ROCPRIM_400000_NS6detail17trampoline_kernelINS0_14default_configENS1_20scan_config_selectorIN3c107complexIdEEEEZZNS1_9scan_implILNS1_25lookback_scan_determinismE0ELb0ELb0ES3_PKS7_PS7_S7_ZZZN2at6native31launch_logcumsumexp_cuda_kernelERKNSE_10TensorBaseESI_lENKUlvE_clEvENKUlvE1_clEvEUlS7_S7_E_S7_EEDaPvRmT3_T4_T5_mT6_P12ihipStream_tbENKUlT_T0_E_clISt17integral_constantIbLb0EESY_IbLb1EEEEDaSU_SV_EUlSU_E0_NS1_11comp_targetILNS1_3genE0ELNS1_11target_archE4294967295ELNS1_3gpuE0ELNS1_3repE0EEENS1_30default_config_static_selectorELNS0_4arch9wavefront6targetE0EEEvT1_.num_named_barrier, 0
	.set _ZN7rocprim17ROCPRIM_400000_NS6detail17trampoline_kernelINS0_14default_configENS1_20scan_config_selectorIN3c107complexIdEEEEZZNS1_9scan_implILNS1_25lookback_scan_determinismE0ELb0ELb0ES3_PKS7_PS7_S7_ZZZN2at6native31launch_logcumsumexp_cuda_kernelERKNSE_10TensorBaseESI_lENKUlvE_clEvENKUlvE1_clEvEUlS7_S7_E_S7_EEDaPvRmT3_T4_T5_mT6_P12ihipStream_tbENKUlT_T0_E_clISt17integral_constantIbLb0EESY_IbLb1EEEEDaSU_SV_EUlSU_E0_NS1_11comp_targetILNS1_3genE0ELNS1_11target_archE4294967295ELNS1_3gpuE0ELNS1_3repE0EEENS1_30default_config_static_selectorELNS0_4arch9wavefront6targetE0EEEvT1_.private_seg_size, 0
	.set _ZN7rocprim17ROCPRIM_400000_NS6detail17trampoline_kernelINS0_14default_configENS1_20scan_config_selectorIN3c107complexIdEEEEZZNS1_9scan_implILNS1_25lookback_scan_determinismE0ELb0ELb0ES3_PKS7_PS7_S7_ZZZN2at6native31launch_logcumsumexp_cuda_kernelERKNSE_10TensorBaseESI_lENKUlvE_clEvENKUlvE1_clEvEUlS7_S7_E_S7_EEDaPvRmT3_T4_T5_mT6_P12ihipStream_tbENKUlT_T0_E_clISt17integral_constantIbLb0EESY_IbLb1EEEEDaSU_SV_EUlSU_E0_NS1_11comp_targetILNS1_3genE0ELNS1_11target_archE4294967295ELNS1_3gpuE0ELNS1_3repE0EEENS1_30default_config_static_selectorELNS0_4arch9wavefront6targetE0EEEvT1_.uses_vcc, 0
	.set _ZN7rocprim17ROCPRIM_400000_NS6detail17trampoline_kernelINS0_14default_configENS1_20scan_config_selectorIN3c107complexIdEEEEZZNS1_9scan_implILNS1_25lookback_scan_determinismE0ELb0ELb0ES3_PKS7_PS7_S7_ZZZN2at6native31launch_logcumsumexp_cuda_kernelERKNSE_10TensorBaseESI_lENKUlvE_clEvENKUlvE1_clEvEUlS7_S7_E_S7_EEDaPvRmT3_T4_T5_mT6_P12ihipStream_tbENKUlT_T0_E_clISt17integral_constantIbLb0EESY_IbLb1EEEEDaSU_SV_EUlSU_E0_NS1_11comp_targetILNS1_3genE0ELNS1_11target_archE4294967295ELNS1_3gpuE0ELNS1_3repE0EEENS1_30default_config_static_selectorELNS0_4arch9wavefront6targetE0EEEvT1_.uses_flat_scratch, 0
	.set _ZN7rocprim17ROCPRIM_400000_NS6detail17trampoline_kernelINS0_14default_configENS1_20scan_config_selectorIN3c107complexIdEEEEZZNS1_9scan_implILNS1_25lookback_scan_determinismE0ELb0ELb0ES3_PKS7_PS7_S7_ZZZN2at6native31launch_logcumsumexp_cuda_kernelERKNSE_10TensorBaseESI_lENKUlvE_clEvENKUlvE1_clEvEUlS7_S7_E_S7_EEDaPvRmT3_T4_T5_mT6_P12ihipStream_tbENKUlT_T0_E_clISt17integral_constantIbLb0EESY_IbLb1EEEEDaSU_SV_EUlSU_E0_NS1_11comp_targetILNS1_3genE0ELNS1_11target_archE4294967295ELNS1_3gpuE0ELNS1_3repE0EEENS1_30default_config_static_selectorELNS0_4arch9wavefront6targetE0EEEvT1_.has_dyn_sized_stack, 0
	.set _ZN7rocprim17ROCPRIM_400000_NS6detail17trampoline_kernelINS0_14default_configENS1_20scan_config_selectorIN3c107complexIdEEEEZZNS1_9scan_implILNS1_25lookback_scan_determinismE0ELb0ELb0ES3_PKS7_PS7_S7_ZZZN2at6native31launch_logcumsumexp_cuda_kernelERKNSE_10TensorBaseESI_lENKUlvE_clEvENKUlvE1_clEvEUlS7_S7_E_S7_EEDaPvRmT3_T4_T5_mT6_P12ihipStream_tbENKUlT_T0_E_clISt17integral_constantIbLb0EESY_IbLb1EEEEDaSU_SV_EUlSU_E0_NS1_11comp_targetILNS1_3genE0ELNS1_11target_archE4294967295ELNS1_3gpuE0ELNS1_3repE0EEENS1_30default_config_static_selectorELNS0_4arch9wavefront6targetE0EEEvT1_.has_recursion, 0
	.set _ZN7rocprim17ROCPRIM_400000_NS6detail17trampoline_kernelINS0_14default_configENS1_20scan_config_selectorIN3c107complexIdEEEEZZNS1_9scan_implILNS1_25lookback_scan_determinismE0ELb0ELb0ES3_PKS7_PS7_S7_ZZZN2at6native31launch_logcumsumexp_cuda_kernelERKNSE_10TensorBaseESI_lENKUlvE_clEvENKUlvE1_clEvEUlS7_S7_E_S7_EEDaPvRmT3_T4_T5_mT6_P12ihipStream_tbENKUlT_T0_E_clISt17integral_constantIbLb0EESY_IbLb1EEEEDaSU_SV_EUlSU_E0_NS1_11comp_targetILNS1_3genE0ELNS1_11target_archE4294967295ELNS1_3gpuE0ELNS1_3repE0EEENS1_30default_config_static_selectorELNS0_4arch9wavefront6targetE0EEEvT1_.has_indirect_call, 0
	.section	.AMDGPU.csdata,"",@progbits
; Kernel info:
; codeLenInByte = 0
; TotalNumSgprs: 0
; NumVgprs: 0
; ScratchSize: 0
; MemoryBound: 0
; FloatMode: 240
; IeeeMode: 1
; LDSByteSize: 0 bytes/workgroup (compile time only)
; SGPRBlocks: 0
; VGPRBlocks: 0
; NumSGPRsForWavesPerEU: 1
; NumVGPRsForWavesPerEU: 1
; Occupancy: 16
; WaveLimiterHint : 0
; COMPUTE_PGM_RSRC2:SCRATCH_EN: 0
; COMPUTE_PGM_RSRC2:USER_SGPR: 2
; COMPUTE_PGM_RSRC2:TRAP_HANDLER: 0
; COMPUTE_PGM_RSRC2:TGID_X_EN: 1
; COMPUTE_PGM_RSRC2:TGID_Y_EN: 0
; COMPUTE_PGM_RSRC2:TGID_Z_EN: 0
; COMPUTE_PGM_RSRC2:TIDIG_COMP_CNT: 0
	.section	.text._ZN7rocprim17ROCPRIM_400000_NS6detail17trampoline_kernelINS0_14default_configENS1_20scan_config_selectorIN3c107complexIdEEEEZZNS1_9scan_implILNS1_25lookback_scan_determinismE0ELb0ELb0ES3_PKS7_PS7_S7_ZZZN2at6native31launch_logcumsumexp_cuda_kernelERKNSE_10TensorBaseESI_lENKUlvE_clEvENKUlvE1_clEvEUlS7_S7_E_S7_EEDaPvRmT3_T4_T5_mT6_P12ihipStream_tbENKUlT_T0_E_clISt17integral_constantIbLb0EESY_IbLb1EEEEDaSU_SV_EUlSU_E0_NS1_11comp_targetILNS1_3genE5ELNS1_11target_archE942ELNS1_3gpuE9ELNS1_3repE0EEENS1_30default_config_static_selectorELNS0_4arch9wavefront6targetE0EEEvT1_,"axG",@progbits,_ZN7rocprim17ROCPRIM_400000_NS6detail17trampoline_kernelINS0_14default_configENS1_20scan_config_selectorIN3c107complexIdEEEEZZNS1_9scan_implILNS1_25lookback_scan_determinismE0ELb0ELb0ES3_PKS7_PS7_S7_ZZZN2at6native31launch_logcumsumexp_cuda_kernelERKNSE_10TensorBaseESI_lENKUlvE_clEvENKUlvE1_clEvEUlS7_S7_E_S7_EEDaPvRmT3_T4_T5_mT6_P12ihipStream_tbENKUlT_T0_E_clISt17integral_constantIbLb0EESY_IbLb1EEEEDaSU_SV_EUlSU_E0_NS1_11comp_targetILNS1_3genE5ELNS1_11target_archE942ELNS1_3gpuE9ELNS1_3repE0EEENS1_30default_config_static_selectorELNS0_4arch9wavefront6targetE0EEEvT1_,comdat
	.globl	_ZN7rocprim17ROCPRIM_400000_NS6detail17trampoline_kernelINS0_14default_configENS1_20scan_config_selectorIN3c107complexIdEEEEZZNS1_9scan_implILNS1_25lookback_scan_determinismE0ELb0ELb0ES3_PKS7_PS7_S7_ZZZN2at6native31launch_logcumsumexp_cuda_kernelERKNSE_10TensorBaseESI_lENKUlvE_clEvENKUlvE1_clEvEUlS7_S7_E_S7_EEDaPvRmT3_T4_T5_mT6_P12ihipStream_tbENKUlT_T0_E_clISt17integral_constantIbLb0EESY_IbLb1EEEEDaSU_SV_EUlSU_E0_NS1_11comp_targetILNS1_3genE5ELNS1_11target_archE942ELNS1_3gpuE9ELNS1_3repE0EEENS1_30default_config_static_selectorELNS0_4arch9wavefront6targetE0EEEvT1_ ; -- Begin function _ZN7rocprim17ROCPRIM_400000_NS6detail17trampoline_kernelINS0_14default_configENS1_20scan_config_selectorIN3c107complexIdEEEEZZNS1_9scan_implILNS1_25lookback_scan_determinismE0ELb0ELb0ES3_PKS7_PS7_S7_ZZZN2at6native31launch_logcumsumexp_cuda_kernelERKNSE_10TensorBaseESI_lENKUlvE_clEvENKUlvE1_clEvEUlS7_S7_E_S7_EEDaPvRmT3_T4_T5_mT6_P12ihipStream_tbENKUlT_T0_E_clISt17integral_constantIbLb0EESY_IbLb1EEEEDaSU_SV_EUlSU_E0_NS1_11comp_targetILNS1_3genE5ELNS1_11target_archE942ELNS1_3gpuE9ELNS1_3repE0EEENS1_30default_config_static_selectorELNS0_4arch9wavefront6targetE0EEEvT1_
	.p2align	8
	.type	_ZN7rocprim17ROCPRIM_400000_NS6detail17trampoline_kernelINS0_14default_configENS1_20scan_config_selectorIN3c107complexIdEEEEZZNS1_9scan_implILNS1_25lookback_scan_determinismE0ELb0ELb0ES3_PKS7_PS7_S7_ZZZN2at6native31launch_logcumsumexp_cuda_kernelERKNSE_10TensorBaseESI_lENKUlvE_clEvENKUlvE1_clEvEUlS7_S7_E_S7_EEDaPvRmT3_T4_T5_mT6_P12ihipStream_tbENKUlT_T0_E_clISt17integral_constantIbLb0EESY_IbLb1EEEEDaSU_SV_EUlSU_E0_NS1_11comp_targetILNS1_3genE5ELNS1_11target_archE942ELNS1_3gpuE9ELNS1_3repE0EEENS1_30default_config_static_selectorELNS0_4arch9wavefront6targetE0EEEvT1_,@function
_ZN7rocprim17ROCPRIM_400000_NS6detail17trampoline_kernelINS0_14default_configENS1_20scan_config_selectorIN3c107complexIdEEEEZZNS1_9scan_implILNS1_25lookback_scan_determinismE0ELb0ELb0ES3_PKS7_PS7_S7_ZZZN2at6native31launch_logcumsumexp_cuda_kernelERKNSE_10TensorBaseESI_lENKUlvE_clEvENKUlvE1_clEvEUlS7_S7_E_S7_EEDaPvRmT3_T4_T5_mT6_P12ihipStream_tbENKUlT_T0_E_clISt17integral_constantIbLb0EESY_IbLb1EEEEDaSU_SV_EUlSU_E0_NS1_11comp_targetILNS1_3genE5ELNS1_11target_archE942ELNS1_3gpuE9ELNS1_3repE0EEENS1_30default_config_static_selectorELNS0_4arch9wavefront6targetE0EEEvT1_: ; @_ZN7rocprim17ROCPRIM_400000_NS6detail17trampoline_kernelINS0_14default_configENS1_20scan_config_selectorIN3c107complexIdEEEEZZNS1_9scan_implILNS1_25lookback_scan_determinismE0ELb0ELb0ES3_PKS7_PS7_S7_ZZZN2at6native31launch_logcumsumexp_cuda_kernelERKNSE_10TensorBaseESI_lENKUlvE_clEvENKUlvE1_clEvEUlS7_S7_E_S7_EEDaPvRmT3_T4_T5_mT6_P12ihipStream_tbENKUlT_T0_E_clISt17integral_constantIbLb0EESY_IbLb1EEEEDaSU_SV_EUlSU_E0_NS1_11comp_targetILNS1_3genE5ELNS1_11target_archE942ELNS1_3gpuE9ELNS1_3repE0EEENS1_30default_config_static_selectorELNS0_4arch9wavefront6targetE0EEEvT1_
; %bb.0:
	.section	.rodata,"a",@progbits
	.p2align	6, 0x0
	.amdhsa_kernel _ZN7rocprim17ROCPRIM_400000_NS6detail17trampoline_kernelINS0_14default_configENS1_20scan_config_selectorIN3c107complexIdEEEEZZNS1_9scan_implILNS1_25lookback_scan_determinismE0ELb0ELb0ES3_PKS7_PS7_S7_ZZZN2at6native31launch_logcumsumexp_cuda_kernelERKNSE_10TensorBaseESI_lENKUlvE_clEvENKUlvE1_clEvEUlS7_S7_E_S7_EEDaPvRmT3_T4_T5_mT6_P12ihipStream_tbENKUlT_T0_E_clISt17integral_constantIbLb0EESY_IbLb1EEEEDaSU_SV_EUlSU_E0_NS1_11comp_targetILNS1_3genE5ELNS1_11target_archE942ELNS1_3gpuE9ELNS1_3repE0EEENS1_30default_config_static_selectorELNS0_4arch9wavefront6targetE0EEEvT1_
		.amdhsa_group_segment_fixed_size 0
		.amdhsa_private_segment_fixed_size 0
		.amdhsa_kernarg_size 48
		.amdhsa_user_sgpr_count 2
		.amdhsa_user_sgpr_dispatch_ptr 0
		.amdhsa_user_sgpr_queue_ptr 0
		.amdhsa_user_sgpr_kernarg_segment_ptr 1
		.amdhsa_user_sgpr_dispatch_id 0
		.amdhsa_user_sgpr_private_segment_size 0
		.amdhsa_wavefront_size32 1
		.amdhsa_uses_dynamic_stack 0
		.amdhsa_enable_private_segment 0
		.amdhsa_system_sgpr_workgroup_id_x 1
		.amdhsa_system_sgpr_workgroup_id_y 0
		.amdhsa_system_sgpr_workgroup_id_z 0
		.amdhsa_system_sgpr_workgroup_info 0
		.amdhsa_system_vgpr_workitem_id 0
		.amdhsa_next_free_vgpr 1
		.amdhsa_next_free_sgpr 1
		.amdhsa_reserve_vcc 0
		.amdhsa_float_round_mode_32 0
		.amdhsa_float_round_mode_16_64 0
		.amdhsa_float_denorm_mode_32 3
		.amdhsa_float_denorm_mode_16_64 3
		.amdhsa_fp16_overflow 0
		.amdhsa_workgroup_processor_mode 1
		.amdhsa_memory_ordered 1
		.amdhsa_forward_progress 1
		.amdhsa_inst_pref_size 0
		.amdhsa_round_robin_scheduling 0
		.amdhsa_exception_fp_ieee_invalid_op 0
		.amdhsa_exception_fp_denorm_src 0
		.amdhsa_exception_fp_ieee_div_zero 0
		.amdhsa_exception_fp_ieee_overflow 0
		.amdhsa_exception_fp_ieee_underflow 0
		.amdhsa_exception_fp_ieee_inexact 0
		.amdhsa_exception_int_div_zero 0
	.end_amdhsa_kernel
	.section	.text._ZN7rocprim17ROCPRIM_400000_NS6detail17trampoline_kernelINS0_14default_configENS1_20scan_config_selectorIN3c107complexIdEEEEZZNS1_9scan_implILNS1_25lookback_scan_determinismE0ELb0ELb0ES3_PKS7_PS7_S7_ZZZN2at6native31launch_logcumsumexp_cuda_kernelERKNSE_10TensorBaseESI_lENKUlvE_clEvENKUlvE1_clEvEUlS7_S7_E_S7_EEDaPvRmT3_T4_T5_mT6_P12ihipStream_tbENKUlT_T0_E_clISt17integral_constantIbLb0EESY_IbLb1EEEEDaSU_SV_EUlSU_E0_NS1_11comp_targetILNS1_3genE5ELNS1_11target_archE942ELNS1_3gpuE9ELNS1_3repE0EEENS1_30default_config_static_selectorELNS0_4arch9wavefront6targetE0EEEvT1_,"axG",@progbits,_ZN7rocprim17ROCPRIM_400000_NS6detail17trampoline_kernelINS0_14default_configENS1_20scan_config_selectorIN3c107complexIdEEEEZZNS1_9scan_implILNS1_25lookback_scan_determinismE0ELb0ELb0ES3_PKS7_PS7_S7_ZZZN2at6native31launch_logcumsumexp_cuda_kernelERKNSE_10TensorBaseESI_lENKUlvE_clEvENKUlvE1_clEvEUlS7_S7_E_S7_EEDaPvRmT3_T4_T5_mT6_P12ihipStream_tbENKUlT_T0_E_clISt17integral_constantIbLb0EESY_IbLb1EEEEDaSU_SV_EUlSU_E0_NS1_11comp_targetILNS1_3genE5ELNS1_11target_archE942ELNS1_3gpuE9ELNS1_3repE0EEENS1_30default_config_static_selectorELNS0_4arch9wavefront6targetE0EEEvT1_,comdat
.Lfunc_end251:
	.size	_ZN7rocprim17ROCPRIM_400000_NS6detail17trampoline_kernelINS0_14default_configENS1_20scan_config_selectorIN3c107complexIdEEEEZZNS1_9scan_implILNS1_25lookback_scan_determinismE0ELb0ELb0ES3_PKS7_PS7_S7_ZZZN2at6native31launch_logcumsumexp_cuda_kernelERKNSE_10TensorBaseESI_lENKUlvE_clEvENKUlvE1_clEvEUlS7_S7_E_S7_EEDaPvRmT3_T4_T5_mT6_P12ihipStream_tbENKUlT_T0_E_clISt17integral_constantIbLb0EESY_IbLb1EEEEDaSU_SV_EUlSU_E0_NS1_11comp_targetILNS1_3genE5ELNS1_11target_archE942ELNS1_3gpuE9ELNS1_3repE0EEENS1_30default_config_static_selectorELNS0_4arch9wavefront6targetE0EEEvT1_, .Lfunc_end251-_ZN7rocprim17ROCPRIM_400000_NS6detail17trampoline_kernelINS0_14default_configENS1_20scan_config_selectorIN3c107complexIdEEEEZZNS1_9scan_implILNS1_25lookback_scan_determinismE0ELb0ELb0ES3_PKS7_PS7_S7_ZZZN2at6native31launch_logcumsumexp_cuda_kernelERKNSE_10TensorBaseESI_lENKUlvE_clEvENKUlvE1_clEvEUlS7_S7_E_S7_EEDaPvRmT3_T4_T5_mT6_P12ihipStream_tbENKUlT_T0_E_clISt17integral_constantIbLb0EESY_IbLb1EEEEDaSU_SV_EUlSU_E0_NS1_11comp_targetILNS1_3genE5ELNS1_11target_archE942ELNS1_3gpuE9ELNS1_3repE0EEENS1_30default_config_static_selectorELNS0_4arch9wavefront6targetE0EEEvT1_
                                        ; -- End function
	.set _ZN7rocprim17ROCPRIM_400000_NS6detail17trampoline_kernelINS0_14default_configENS1_20scan_config_selectorIN3c107complexIdEEEEZZNS1_9scan_implILNS1_25lookback_scan_determinismE0ELb0ELb0ES3_PKS7_PS7_S7_ZZZN2at6native31launch_logcumsumexp_cuda_kernelERKNSE_10TensorBaseESI_lENKUlvE_clEvENKUlvE1_clEvEUlS7_S7_E_S7_EEDaPvRmT3_T4_T5_mT6_P12ihipStream_tbENKUlT_T0_E_clISt17integral_constantIbLb0EESY_IbLb1EEEEDaSU_SV_EUlSU_E0_NS1_11comp_targetILNS1_3genE5ELNS1_11target_archE942ELNS1_3gpuE9ELNS1_3repE0EEENS1_30default_config_static_selectorELNS0_4arch9wavefront6targetE0EEEvT1_.num_vgpr, 0
	.set _ZN7rocprim17ROCPRIM_400000_NS6detail17trampoline_kernelINS0_14default_configENS1_20scan_config_selectorIN3c107complexIdEEEEZZNS1_9scan_implILNS1_25lookback_scan_determinismE0ELb0ELb0ES3_PKS7_PS7_S7_ZZZN2at6native31launch_logcumsumexp_cuda_kernelERKNSE_10TensorBaseESI_lENKUlvE_clEvENKUlvE1_clEvEUlS7_S7_E_S7_EEDaPvRmT3_T4_T5_mT6_P12ihipStream_tbENKUlT_T0_E_clISt17integral_constantIbLb0EESY_IbLb1EEEEDaSU_SV_EUlSU_E0_NS1_11comp_targetILNS1_3genE5ELNS1_11target_archE942ELNS1_3gpuE9ELNS1_3repE0EEENS1_30default_config_static_selectorELNS0_4arch9wavefront6targetE0EEEvT1_.num_agpr, 0
	.set _ZN7rocprim17ROCPRIM_400000_NS6detail17trampoline_kernelINS0_14default_configENS1_20scan_config_selectorIN3c107complexIdEEEEZZNS1_9scan_implILNS1_25lookback_scan_determinismE0ELb0ELb0ES3_PKS7_PS7_S7_ZZZN2at6native31launch_logcumsumexp_cuda_kernelERKNSE_10TensorBaseESI_lENKUlvE_clEvENKUlvE1_clEvEUlS7_S7_E_S7_EEDaPvRmT3_T4_T5_mT6_P12ihipStream_tbENKUlT_T0_E_clISt17integral_constantIbLb0EESY_IbLb1EEEEDaSU_SV_EUlSU_E0_NS1_11comp_targetILNS1_3genE5ELNS1_11target_archE942ELNS1_3gpuE9ELNS1_3repE0EEENS1_30default_config_static_selectorELNS0_4arch9wavefront6targetE0EEEvT1_.numbered_sgpr, 0
	.set _ZN7rocprim17ROCPRIM_400000_NS6detail17trampoline_kernelINS0_14default_configENS1_20scan_config_selectorIN3c107complexIdEEEEZZNS1_9scan_implILNS1_25lookback_scan_determinismE0ELb0ELb0ES3_PKS7_PS7_S7_ZZZN2at6native31launch_logcumsumexp_cuda_kernelERKNSE_10TensorBaseESI_lENKUlvE_clEvENKUlvE1_clEvEUlS7_S7_E_S7_EEDaPvRmT3_T4_T5_mT6_P12ihipStream_tbENKUlT_T0_E_clISt17integral_constantIbLb0EESY_IbLb1EEEEDaSU_SV_EUlSU_E0_NS1_11comp_targetILNS1_3genE5ELNS1_11target_archE942ELNS1_3gpuE9ELNS1_3repE0EEENS1_30default_config_static_selectorELNS0_4arch9wavefront6targetE0EEEvT1_.num_named_barrier, 0
	.set _ZN7rocprim17ROCPRIM_400000_NS6detail17trampoline_kernelINS0_14default_configENS1_20scan_config_selectorIN3c107complexIdEEEEZZNS1_9scan_implILNS1_25lookback_scan_determinismE0ELb0ELb0ES3_PKS7_PS7_S7_ZZZN2at6native31launch_logcumsumexp_cuda_kernelERKNSE_10TensorBaseESI_lENKUlvE_clEvENKUlvE1_clEvEUlS7_S7_E_S7_EEDaPvRmT3_T4_T5_mT6_P12ihipStream_tbENKUlT_T0_E_clISt17integral_constantIbLb0EESY_IbLb1EEEEDaSU_SV_EUlSU_E0_NS1_11comp_targetILNS1_3genE5ELNS1_11target_archE942ELNS1_3gpuE9ELNS1_3repE0EEENS1_30default_config_static_selectorELNS0_4arch9wavefront6targetE0EEEvT1_.private_seg_size, 0
	.set _ZN7rocprim17ROCPRIM_400000_NS6detail17trampoline_kernelINS0_14default_configENS1_20scan_config_selectorIN3c107complexIdEEEEZZNS1_9scan_implILNS1_25lookback_scan_determinismE0ELb0ELb0ES3_PKS7_PS7_S7_ZZZN2at6native31launch_logcumsumexp_cuda_kernelERKNSE_10TensorBaseESI_lENKUlvE_clEvENKUlvE1_clEvEUlS7_S7_E_S7_EEDaPvRmT3_T4_T5_mT6_P12ihipStream_tbENKUlT_T0_E_clISt17integral_constantIbLb0EESY_IbLb1EEEEDaSU_SV_EUlSU_E0_NS1_11comp_targetILNS1_3genE5ELNS1_11target_archE942ELNS1_3gpuE9ELNS1_3repE0EEENS1_30default_config_static_selectorELNS0_4arch9wavefront6targetE0EEEvT1_.uses_vcc, 0
	.set _ZN7rocprim17ROCPRIM_400000_NS6detail17trampoline_kernelINS0_14default_configENS1_20scan_config_selectorIN3c107complexIdEEEEZZNS1_9scan_implILNS1_25lookback_scan_determinismE0ELb0ELb0ES3_PKS7_PS7_S7_ZZZN2at6native31launch_logcumsumexp_cuda_kernelERKNSE_10TensorBaseESI_lENKUlvE_clEvENKUlvE1_clEvEUlS7_S7_E_S7_EEDaPvRmT3_T4_T5_mT6_P12ihipStream_tbENKUlT_T0_E_clISt17integral_constantIbLb0EESY_IbLb1EEEEDaSU_SV_EUlSU_E0_NS1_11comp_targetILNS1_3genE5ELNS1_11target_archE942ELNS1_3gpuE9ELNS1_3repE0EEENS1_30default_config_static_selectorELNS0_4arch9wavefront6targetE0EEEvT1_.uses_flat_scratch, 0
	.set _ZN7rocprim17ROCPRIM_400000_NS6detail17trampoline_kernelINS0_14default_configENS1_20scan_config_selectorIN3c107complexIdEEEEZZNS1_9scan_implILNS1_25lookback_scan_determinismE0ELb0ELb0ES3_PKS7_PS7_S7_ZZZN2at6native31launch_logcumsumexp_cuda_kernelERKNSE_10TensorBaseESI_lENKUlvE_clEvENKUlvE1_clEvEUlS7_S7_E_S7_EEDaPvRmT3_T4_T5_mT6_P12ihipStream_tbENKUlT_T0_E_clISt17integral_constantIbLb0EESY_IbLb1EEEEDaSU_SV_EUlSU_E0_NS1_11comp_targetILNS1_3genE5ELNS1_11target_archE942ELNS1_3gpuE9ELNS1_3repE0EEENS1_30default_config_static_selectorELNS0_4arch9wavefront6targetE0EEEvT1_.has_dyn_sized_stack, 0
	.set _ZN7rocprim17ROCPRIM_400000_NS6detail17trampoline_kernelINS0_14default_configENS1_20scan_config_selectorIN3c107complexIdEEEEZZNS1_9scan_implILNS1_25lookback_scan_determinismE0ELb0ELb0ES3_PKS7_PS7_S7_ZZZN2at6native31launch_logcumsumexp_cuda_kernelERKNSE_10TensorBaseESI_lENKUlvE_clEvENKUlvE1_clEvEUlS7_S7_E_S7_EEDaPvRmT3_T4_T5_mT6_P12ihipStream_tbENKUlT_T0_E_clISt17integral_constantIbLb0EESY_IbLb1EEEEDaSU_SV_EUlSU_E0_NS1_11comp_targetILNS1_3genE5ELNS1_11target_archE942ELNS1_3gpuE9ELNS1_3repE0EEENS1_30default_config_static_selectorELNS0_4arch9wavefront6targetE0EEEvT1_.has_recursion, 0
	.set _ZN7rocprim17ROCPRIM_400000_NS6detail17trampoline_kernelINS0_14default_configENS1_20scan_config_selectorIN3c107complexIdEEEEZZNS1_9scan_implILNS1_25lookback_scan_determinismE0ELb0ELb0ES3_PKS7_PS7_S7_ZZZN2at6native31launch_logcumsumexp_cuda_kernelERKNSE_10TensorBaseESI_lENKUlvE_clEvENKUlvE1_clEvEUlS7_S7_E_S7_EEDaPvRmT3_T4_T5_mT6_P12ihipStream_tbENKUlT_T0_E_clISt17integral_constantIbLb0EESY_IbLb1EEEEDaSU_SV_EUlSU_E0_NS1_11comp_targetILNS1_3genE5ELNS1_11target_archE942ELNS1_3gpuE9ELNS1_3repE0EEENS1_30default_config_static_selectorELNS0_4arch9wavefront6targetE0EEEvT1_.has_indirect_call, 0
	.section	.AMDGPU.csdata,"",@progbits
; Kernel info:
; codeLenInByte = 0
; TotalNumSgprs: 0
; NumVgprs: 0
; ScratchSize: 0
; MemoryBound: 0
; FloatMode: 240
; IeeeMode: 1
; LDSByteSize: 0 bytes/workgroup (compile time only)
; SGPRBlocks: 0
; VGPRBlocks: 0
; NumSGPRsForWavesPerEU: 1
; NumVGPRsForWavesPerEU: 1
; Occupancy: 16
; WaveLimiterHint : 0
; COMPUTE_PGM_RSRC2:SCRATCH_EN: 0
; COMPUTE_PGM_RSRC2:USER_SGPR: 2
; COMPUTE_PGM_RSRC2:TRAP_HANDLER: 0
; COMPUTE_PGM_RSRC2:TGID_X_EN: 1
; COMPUTE_PGM_RSRC2:TGID_Y_EN: 0
; COMPUTE_PGM_RSRC2:TGID_Z_EN: 0
; COMPUTE_PGM_RSRC2:TIDIG_COMP_CNT: 0
	.section	.text._ZN7rocprim17ROCPRIM_400000_NS6detail17trampoline_kernelINS0_14default_configENS1_20scan_config_selectorIN3c107complexIdEEEEZZNS1_9scan_implILNS1_25lookback_scan_determinismE0ELb0ELb0ES3_PKS7_PS7_S7_ZZZN2at6native31launch_logcumsumexp_cuda_kernelERKNSE_10TensorBaseESI_lENKUlvE_clEvENKUlvE1_clEvEUlS7_S7_E_S7_EEDaPvRmT3_T4_T5_mT6_P12ihipStream_tbENKUlT_T0_E_clISt17integral_constantIbLb0EESY_IbLb1EEEEDaSU_SV_EUlSU_E0_NS1_11comp_targetILNS1_3genE4ELNS1_11target_archE910ELNS1_3gpuE8ELNS1_3repE0EEENS1_30default_config_static_selectorELNS0_4arch9wavefront6targetE0EEEvT1_,"axG",@progbits,_ZN7rocprim17ROCPRIM_400000_NS6detail17trampoline_kernelINS0_14default_configENS1_20scan_config_selectorIN3c107complexIdEEEEZZNS1_9scan_implILNS1_25lookback_scan_determinismE0ELb0ELb0ES3_PKS7_PS7_S7_ZZZN2at6native31launch_logcumsumexp_cuda_kernelERKNSE_10TensorBaseESI_lENKUlvE_clEvENKUlvE1_clEvEUlS7_S7_E_S7_EEDaPvRmT3_T4_T5_mT6_P12ihipStream_tbENKUlT_T0_E_clISt17integral_constantIbLb0EESY_IbLb1EEEEDaSU_SV_EUlSU_E0_NS1_11comp_targetILNS1_3genE4ELNS1_11target_archE910ELNS1_3gpuE8ELNS1_3repE0EEENS1_30default_config_static_selectorELNS0_4arch9wavefront6targetE0EEEvT1_,comdat
	.globl	_ZN7rocprim17ROCPRIM_400000_NS6detail17trampoline_kernelINS0_14default_configENS1_20scan_config_selectorIN3c107complexIdEEEEZZNS1_9scan_implILNS1_25lookback_scan_determinismE0ELb0ELb0ES3_PKS7_PS7_S7_ZZZN2at6native31launch_logcumsumexp_cuda_kernelERKNSE_10TensorBaseESI_lENKUlvE_clEvENKUlvE1_clEvEUlS7_S7_E_S7_EEDaPvRmT3_T4_T5_mT6_P12ihipStream_tbENKUlT_T0_E_clISt17integral_constantIbLb0EESY_IbLb1EEEEDaSU_SV_EUlSU_E0_NS1_11comp_targetILNS1_3genE4ELNS1_11target_archE910ELNS1_3gpuE8ELNS1_3repE0EEENS1_30default_config_static_selectorELNS0_4arch9wavefront6targetE0EEEvT1_ ; -- Begin function _ZN7rocprim17ROCPRIM_400000_NS6detail17trampoline_kernelINS0_14default_configENS1_20scan_config_selectorIN3c107complexIdEEEEZZNS1_9scan_implILNS1_25lookback_scan_determinismE0ELb0ELb0ES3_PKS7_PS7_S7_ZZZN2at6native31launch_logcumsumexp_cuda_kernelERKNSE_10TensorBaseESI_lENKUlvE_clEvENKUlvE1_clEvEUlS7_S7_E_S7_EEDaPvRmT3_T4_T5_mT6_P12ihipStream_tbENKUlT_T0_E_clISt17integral_constantIbLb0EESY_IbLb1EEEEDaSU_SV_EUlSU_E0_NS1_11comp_targetILNS1_3genE4ELNS1_11target_archE910ELNS1_3gpuE8ELNS1_3repE0EEENS1_30default_config_static_selectorELNS0_4arch9wavefront6targetE0EEEvT1_
	.p2align	8
	.type	_ZN7rocprim17ROCPRIM_400000_NS6detail17trampoline_kernelINS0_14default_configENS1_20scan_config_selectorIN3c107complexIdEEEEZZNS1_9scan_implILNS1_25lookback_scan_determinismE0ELb0ELb0ES3_PKS7_PS7_S7_ZZZN2at6native31launch_logcumsumexp_cuda_kernelERKNSE_10TensorBaseESI_lENKUlvE_clEvENKUlvE1_clEvEUlS7_S7_E_S7_EEDaPvRmT3_T4_T5_mT6_P12ihipStream_tbENKUlT_T0_E_clISt17integral_constantIbLb0EESY_IbLb1EEEEDaSU_SV_EUlSU_E0_NS1_11comp_targetILNS1_3genE4ELNS1_11target_archE910ELNS1_3gpuE8ELNS1_3repE0EEENS1_30default_config_static_selectorELNS0_4arch9wavefront6targetE0EEEvT1_,@function
_ZN7rocprim17ROCPRIM_400000_NS6detail17trampoline_kernelINS0_14default_configENS1_20scan_config_selectorIN3c107complexIdEEEEZZNS1_9scan_implILNS1_25lookback_scan_determinismE0ELb0ELb0ES3_PKS7_PS7_S7_ZZZN2at6native31launch_logcumsumexp_cuda_kernelERKNSE_10TensorBaseESI_lENKUlvE_clEvENKUlvE1_clEvEUlS7_S7_E_S7_EEDaPvRmT3_T4_T5_mT6_P12ihipStream_tbENKUlT_T0_E_clISt17integral_constantIbLb0EESY_IbLb1EEEEDaSU_SV_EUlSU_E0_NS1_11comp_targetILNS1_3genE4ELNS1_11target_archE910ELNS1_3gpuE8ELNS1_3repE0EEENS1_30default_config_static_selectorELNS0_4arch9wavefront6targetE0EEEvT1_: ; @_ZN7rocprim17ROCPRIM_400000_NS6detail17trampoline_kernelINS0_14default_configENS1_20scan_config_selectorIN3c107complexIdEEEEZZNS1_9scan_implILNS1_25lookback_scan_determinismE0ELb0ELb0ES3_PKS7_PS7_S7_ZZZN2at6native31launch_logcumsumexp_cuda_kernelERKNSE_10TensorBaseESI_lENKUlvE_clEvENKUlvE1_clEvEUlS7_S7_E_S7_EEDaPvRmT3_T4_T5_mT6_P12ihipStream_tbENKUlT_T0_E_clISt17integral_constantIbLb0EESY_IbLb1EEEEDaSU_SV_EUlSU_E0_NS1_11comp_targetILNS1_3genE4ELNS1_11target_archE910ELNS1_3gpuE8ELNS1_3repE0EEENS1_30default_config_static_selectorELNS0_4arch9wavefront6targetE0EEEvT1_
; %bb.0:
	.section	.rodata,"a",@progbits
	.p2align	6, 0x0
	.amdhsa_kernel _ZN7rocprim17ROCPRIM_400000_NS6detail17trampoline_kernelINS0_14default_configENS1_20scan_config_selectorIN3c107complexIdEEEEZZNS1_9scan_implILNS1_25lookback_scan_determinismE0ELb0ELb0ES3_PKS7_PS7_S7_ZZZN2at6native31launch_logcumsumexp_cuda_kernelERKNSE_10TensorBaseESI_lENKUlvE_clEvENKUlvE1_clEvEUlS7_S7_E_S7_EEDaPvRmT3_T4_T5_mT6_P12ihipStream_tbENKUlT_T0_E_clISt17integral_constantIbLb0EESY_IbLb1EEEEDaSU_SV_EUlSU_E0_NS1_11comp_targetILNS1_3genE4ELNS1_11target_archE910ELNS1_3gpuE8ELNS1_3repE0EEENS1_30default_config_static_selectorELNS0_4arch9wavefront6targetE0EEEvT1_
		.amdhsa_group_segment_fixed_size 0
		.amdhsa_private_segment_fixed_size 0
		.amdhsa_kernarg_size 48
		.amdhsa_user_sgpr_count 2
		.amdhsa_user_sgpr_dispatch_ptr 0
		.amdhsa_user_sgpr_queue_ptr 0
		.amdhsa_user_sgpr_kernarg_segment_ptr 1
		.amdhsa_user_sgpr_dispatch_id 0
		.amdhsa_user_sgpr_private_segment_size 0
		.amdhsa_wavefront_size32 1
		.amdhsa_uses_dynamic_stack 0
		.amdhsa_enable_private_segment 0
		.amdhsa_system_sgpr_workgroup_id_x 1
		.amdhsa_system_sgpr_workgroup_id_y 0
		.amdhsa_system_sgpr_workgroup_id_z 0
		.amdhsa_system_sgpr_workgroup_info 0
		.amdhsa_system_vgpr_workitem_id 0
		.amdhsa_next_free_vgpr 1
		.amdhsa_next_free_sgpr 1
		.amdhsa_reserve_vcc 0
		.amdhsa_float_round_mode_32 0
		.amdhsa_float_round_mode_16_64 0
		.amdhsa_float_denorm_mode_32 3
		.amdhsa_float_denorm_mode_16_64 3
		.amdhsa_fp16_overflow 0
		.amdhsa_workgroup_processor_mode 1
		.amdhsa_memory_ordered 1
		.amdhsa_forward_progress 1
		.amdhsa_inst_pref_size 0
		.amdhsa_round_robin_scheduling 0
		.amdhsa_exception_fp_ieee_invalid_op 0
		.amdhsa_exception_fp_denorm_src 0
		.amdhsa_exception_fp_ieee_div_zero 0
		.amdhsa_exception_fp_ieee_overflow 0
		.amdhsa_exception_fp_ieee_underflow 0
		.amdhsa_exception_fp_ieee_inexact 0
		.amdhsa_exception_int_div_zero 0
	.end_amdhsa_kernel
	.section	.text._ZN7rocprim17ROCPRIM_400000_NS6detail17trampoline_kernelINS0_14default_configENS1_20scan_config_selectorIN3c107complexIdEEEEZZNS1_9scan_implILNS1_25lookback_scan_determinismE0ELb0ELb0ES3_PKS7_PS7_S7_ZZZN2at6native31launch_logcumsumexp_cuda_kernelERKNSE_10TensorBaseESI_lENKUlvE_clEvENKUlvE1_clEvEUlS7_S7_E_S7_EEDaPvRmT3_T4_T5_mT6_P12ihipStream_tbENKUlT_T0_E_clISt17integral_constantIbLb0EESY_IbLb1EEEEDaSU_SV_EUlSU_E0_NS1_11comp_targetILNS1_3genE4ELNS1_11target_archE910ELNS1_3gpuE8ELNS1_3repE0EEENS1_30default_config_static_selectorELNS0_4arch9wavefront6targetE0EEEvT1_,"axG",@progbits,_ZN7rocprim17ROCPRIM_400000_NS6detail17trampoline_kernelINS0_14default_configENS1_20scan_config_selectorIN3c107complexIdEEEEZZNS1_9scan_implILNS1_25lookback_scan_determinismE0ELb0ELb0ES3_PKS7_PS7_S7_ZZZN2at6native31launch_logcumsumexp_cuda_kernelERKNSE_10TensorBaseESI_lENKUlvE_clEvENKUlvE1_clEvEUlS7_S7_E_S7_EEDaPvRmT3_T4_T5_mT6_P12ihipStream_tbENKUlT_T0_E_clISt17integral_constantIbLb0EESY_IbLb1EEEEDaSU_SV_EUlSU_E0_NS1_11comp_targetILNS1_3genE4ELNS1_11target_archE910ELNS1_3gpuE8ELNS1_3repE0EEENS1_30default_config_static_selectorELNS0_4arch9wavefront6targetE0EEEvT1_,comdat
.Lfunc_end252:
	.size	_ZN7rocprim17ROCPRIM_400000_NS6detail17trampoline_kernelINS0_14default_configENS1_20scan_config_selectorIN3c107complexIdEEEEZZNS1_9scan_implILNS1_25lookback_scan_determinismE0ELb0ELb0ES3_PKS7_PS7_S7_ZZZN2at6native31launch_logcumsumexp_cuda_kernelERKNSE_10TensorBaseESI_lENKUlvE_clEvENKUlvE1_clEvEUlS7_S7_E_S7_EEDaPvRmT3_T4_T5_mT6_P12ihipStream_tbENKUlT_T0_E_clISt17integral_constantIbLb0EESY_IbLb1EEEEDaSU_SV_EUlSU_E0_NS1_11comp_targetILNS1_3genE4ELNS1_11target_archE910ELNS1_3gpuE8ELNS1_3repE0EEENS1_30default_config_static_selectorELNS0_4arch9wavefront6targetE0EEEvT1_, .Lfunc_end252-_ZN7rocprim17ROCPRIM_400000_NS6detail17trampoline_kernelINS0_14default_configENS1_20scan_config_selectorIN3c107complexIdEEEEZZNS1_9scan_implILNS1_25lookback_scan_determinismE0ELb0ELb0ES3_PKS7_PS7_S7_ZZZN2at6native31launch_logcumsumexp_cuda_kernelERKNSE_10TensorBaseESI_lENKUlvE_clEvENKUlvE1_clEvEUlS7_S7_E_S7_EEDaPvRmT3_T4_T5_mT6_P12ihipStream_tbENKUlT_T0_E_clISt17integral_constantIbLb0EESY_IbLb1EEEEDaSU_SV_EUlSU_E0_NS1_11comp_targetILNS1_3genE4ELNS1_11target_archE910ELNS1_3gpuE8ELNS1_3repE0EEENS1_30default_config_static_selectorELNS0_4arch9wavefront6targetE0EEEvT1_
                                        ; -- End function
	.set _ZN7rocprim17ROCPRIM_400000_NS6detail17trampoline_kernelINS0_14default_configENS1_20scan_config_selectorIN3c107complexIdEEEEZZNS1_9scan_implILNS1_25lookback_scan_determinismE0ELb0ELb0ES3_PKS7_PS7_S7_ZZZN2at6native31launch_logcumsumexp_cuda_kernelERKNSE_10TensorBaseESI_lENKUlvE_clEvENKUlvE1_clEvEUlS7_S7_E_S7_EEDaPvRmT3_T4_T5_mT6_P12ihipStream_tbENKUlT_T0_E_clISt17integral_constantIbLb0EESY_IbLb1EEEEDaSU_SV_EUlSU_E0_NS1_11comp_targetILNS1_3genE4ELNS1_11target_archE910ELNS1_3gpuE8ELNS1_3repE0EEENS1_30default_config_static_selectorELNS0_4arch9wavefront6targetE0EEEvT1_.num_vgpr, 0
	.set _ZN7rocprim17ROCPRIM_400000_NS6detail17trampoline_kernelINS0_14default_configENS1_20scan_config_selectorIN3c107complexIdEEEEZZNS1_9scan_implILNS1_25lookback_scan_determinismE0ELb0ELb0ES3_PKS7_PS7_S7_ZZZN2at6native31launch_logcumsumexp_cuda_kernelERKNSE_10TensorBaseESI_lENKUlvE_clEvENKUlvE1_clEvEUlS7_S7_E_S7_EEDaPvRmT3_T4_T5_mT6_P12ihipStream_tbENKUlT_T0_E_clISt17integral_constantIbLb0EESY_IbLb1EEEEDaSU_SV_EUlSU_E0_NS1_11comp_targetILNS1_3genE4ELNS1_11target_archE910ELNS1_3gpuE8ELNS1_3repE0EEENS1_30default_config_static_selectorELNS0_4arch9wavefront6targetE0EEEvT1_.num_agpr, 0
	.set _ZN7rocprim17ROCPRIM_400000_NS6detail17trampoline_kernelINS0_14default_configENS1_20scan_config_selectorIN3c107complexIdEEEEZZNS1_9scan_implILNS1_25lookback_scan_determinismE0ELb0ELb0ES3_PKS7_PS7_S7_ZZZN2at6native31launch_logcumsumexp_cuda_kernelERKNSE_10TensorBaseESI_lENKUlvE_clEvENKUlvE1_clEvEUlS7_S7_E_S7_EEDaPvRmT3_T4_T5_mT6_P12ihipStream_tbENKUlT_T0_E_clISt17integral_constantIbLb0EESY_IbLb1EEEEDaSU_SV_EUlSU_E0_NS1_11comp_targetILNS1_3genE4ELNS1_11target_archE910ELNS1_3gpuE8ELNS1_3repE0EEENS1_30default_config_static_selectorELNS0_4arch9wavefront6targetE0EEEvT1_.numbered_sgpr, 0
	.set _ZN7rocprim17ROCPRIM_400000_NS6detail17trampoline_kernelINS0_14default_configENS1_20scan_config_selectorIN3c107complexIdEEEEZZNS1_9scan_implILNS1_25lookback_scan_determinismE0ELb0ELb0ES3_PKS7_PS7_S7_ZZZN2at6native31launch_logcumsumexp_cuda_kernelERKNSE_10TensorBaseESI_lENKUlvE_clEvENKUlvE1_clEvEUlS7_S7_E_S7_EEDaPvRmT3_T4_T5_mT6_P12ihipStream_tbENKUlT_T0_E_clISt17integral_constantIbLb0EESY_IbLb1EEEEDaSU_SV_EUlSU_E0_NS1_11comp_targetILNS1_3genE4ELNS1_11target_archE910ELNS1_3gpuE8ELNS1_3repE0EEENS1_30default_config_static_selectorELNS0_4arch9wavefront6targetE0EEEvT1_.num_named_barrier, 0
	.set _ZN7rocprim17ROCPRIM_400000_NS6detail17trampoline_kernelINS0_14default_configENS1_20scan_config_selectorIN3c107complexIdEEEEZZNS1_9scan_implILNS1_25lookback_scan_determinismE0ELb0ELb0ES3_PKS7_PS7_S7_ZZZN2at6native31launch_logcumsumexp_cuda_kernelERKNSE_10TensorBaseESI_lENKUlvE_clEvENKUlvE1_clEvEUlS7_S7_E_S7_EEDaPvRmT3_T4_T5_mT6_P12ihipStream_tbENKUlT_T0_E_clISt17integral_constantIbLb0EESY_IbLb1EEEEDaSU_SV_EUlSU_E0_NS1_11comp_targetILNS1_3genE4ELNS1_11target_archE910ELNS1_3gpuE8ELNS1_3repE0EEENS1_30default_config_static_selectorELNS0_4arch9wavefront6targetE0EEEvT1_.private_seg_size, 0
	.set _ZN7rocprim17ROCPRIM_400000_NS6detail17trampoline_kernelINS0_14default_configENS1_20scan_config_selectorIN3c107complexIdEEEEZZNS1_9scan_implILNS1_25lookback_scan_determinismE0ELb0ELb0ES3_PKS7_PS7_S7_ZZZN2at6native31launch_logcumsumexp_cuda_kernelERKNSE_10TensorBaseESI_lENKUlvE_clEvENKUlvE1_clEvEUlS7_S7_E_S7_EEDaPvRmT3_T4_T5_mT6_P12ihipStream_tbENKUlT_T0_E_clISt17integral_constantIbLb0EESY_IbLb1EEEEDaSU_SV_EUlSU_E0_NS1_11comp_targetILNS1_3genE4ELNS1_11target_archE910ELNS1_3gpuE8ELNS1_3repE0EEENS1_30default_config_static_selectorELNS0_4arch9wavefront6targetE0EEEvT1_.uses_vcc, 0
	.set _ZN7rocprim17ROCPRIM_400000_NS6detail17trampoline_kernelINS0_14default_configENS1_20scan_config_selectorIN3c107complexIdEEEEZZNS1_9scan_implILNS1_25lookback_scan_determinismE0ELb0ELb0ES3_PKS7_PS7_S7_ZZZN2at6native31launch_logcumsumexp_cuda_kernelERKNSE_10TensorBaseESI_lENKUlvE_clEvENKUlvE1_clEvEUlS7_S7_E_S7_EEDaPvRmT3_T4_T5_mT6_P12ihipStream_tbENKUlT_T0_E_clISt17integral_constantIbLb0EESY_IbLb1EEEEDaSU_SV_EUlSU_E0_NS1_11comp_targetILNS1_3genE4ELNS1_11target_archE910ELNS1_3gpuE8ELNS1_3repE0EEENS1_30default_config_static_selectorELNS0_4arch9wavefront6targetE0EEEvT1_.uses_flat_scratch, 0
	.set _ZN7rocprim17ROCPRIM_400000_NS6detail17trampoline_kernelINS0_14default_configENS1_20scan_config_selectorIN3c107complexIdEEEEZZNS1_9scan_implILNS1_25lookback_scan_determinismE0ELb0ELb0ES3_PKS7_PS7_S7_ZZZN2at6native31launch_logcumsumexp_cuda_kernelERKNSE_10TensorBaseESI_lENKUlvE_clEvENKUlvE1_clEvEUlS7_S7_E_S7_EEDaPvRmT3_T4_T5_mT6_P12ihipStream_tbENKUlT_T0_E_clISt17integral_constantIbLb0EESY_IbLb1EEEEDaSU_SV_EUlSU_E0_NS1_11comp_targetILNS1_3genE4ELNS1_11target_archE910ELNS1_3gpuE8ELNS1_3repE0EEENS1_30default_config_static_selectorELNS0_4arch9wavefront6targetE0EEEvT1_.has_dyn_sized_stack, 0
	.set _ZN7rocprim17ROCPRIM_400000_NS6detail17trampoline_kernelINS0_14default_configENS1_20scan_config_selectorIN3c107complexIdEEEEZZNS1_9scan_implILNS1_25lookback_scan_determinismE0ELb0ELb0ES3_PKS7_PS7_S7_ZZZN2at6native31launch_logcumsumexp_cuda_kernelERKNSE_10TensorBaseESI_lENKUlvE_clEvENKUlvE1_clEvEUlS7_S7_E_S7_EEDaPvRmT3_T4_T5_mT6_P12ihipStream_tbENKUlT_T0_E_clISt17integral_constantIbLb0EESY_IbLb1EEEEDaSU_SV_EUlSU_E0_NS1_11comp_targetILNS1_3genE4ELNS1_11target_archE910ELNS1_3gpuE8ELNS1_3repE0EEENS1_30default_config_static_selectorELNS0_4arch9wavefront6targetE0EEEvT1_.has_recursion, 0
	.set _ZN7rocprim17ROCPRIM_400000_NS6detail17trampoline_kernelINS0_14default_configENS1_20scan_config_selectorIN3c107complexIdEEEEZZNS1_9scan_implILNS1_25lookback_scan_determinismE0ELb0ELb0ES3_PKS7_PS7_S7_ZZZN2at6native31launch_logcumsumexp_cuda_kernelERKNSE_10TensorBaseESI_lENKUlvE_clEvENKUlvE1_clEvEUlS7_S7_E_S7_EEDaPvRmT3_T4_T5_mT6_P12ihipStream_tbENKUlT_T0_E_clISt17integral_constantIbLb0EESY_IbLb1EEEEDaSU_SV_EUlSU_E0_NS1_11comp_targetILNS1_3genE4ELNS1_11target_archE910ELNS1_3gpuE8ELNS1_3repE0EEENS1_30default_config_static_selectorELNS0_4arch9wavefront6targetE0EEEvT1_.has_indirect_call, 0
	.section	.AMDGPU.csdata,"",@progbits
; Kernel info:
; codeLenInByte = 0
; TotalNumSgprs: 0
; NumVgprs: 0
; ScratchSize: 0
; MemoryBound: 0
; FloatMode: 240
; IeeeMode: 1
; LDSByteSize: 0 bytes/workgroup (compile time only)
; SGPRBlocks: 0
; VGPRBlocks: 0
; NumSGPRsForWavesPerEU: 1
; NumVGPRsForWavesPerEU: 1
; Occupancy: 16
; WaveLimiterHint : 0
; COMPUTE_PGM_RSRC2:SCRATCH_EN: 0
; COMPUTE_PGM_RSRC2:USER_SGPR: 2
; COMPUTE_PGM_RSRC2:TRAP_HANDLER: 0
; COMPUTE_PGM_RSRC2:TGID_X_EN: 1
; COMPUTE_PGM_RSRC2:TGID_Y_EN: 0
; COMPUTE_PGM_RSRC2:TGID_Z_EN: 0
; COMPUTE_PGM_RSRC2:TIDIG_COMP_CNT: 0
	.section	.text._ZN7rocprim17ROCPRIM_400000_NS6detail17trampoline_kernelINS0_14default_configENS1_20scan_config_selectorIN3c107complexIdEEEEZZNS1_9scan_implILNS1_25lookback_scan_determinismE0ELb0ELb0ES3_PKS7_PS7_S7_ZZZN2at6native31launch_logcumsumexp_cuda_kernelERKNSE_10TensorBaseESI_lENKUlvE_clEvENKUlvE1_clEvEUlS7_S7_E_S7_EEDaPvRmT3_T4_T5_mT6_P12ihipStream_tbENKUlT_T0_E_clISt17integral_constantIbLb0EESY_IbLb1EEEEDaSU_SV_EUlSU_E0_NS1_11comp_targetILNS1_3genE3ELNS1_11target_archE908ELNS1_3gpuE7ELNS1_3repE0EEENS1_30default_config_static_selectorELNS0_4arch9wavefront6targetE0EEEvT1_,"axG",@progbits,_ZN7rocprim17ROCPRIM_400000_NS6detail17trampoline_kernelINS0_14default_configENS1_20scan_config_selectorIN3c107complexIdEEEEZZNS1_9scan_implILNS1_25lookback_scan_determinismE0ELb0ELb0ES3_PKS7_PS7_S7_ZZZN2at6native31launch_logcumsumexp_cuda_kernelERKNSE_10TensorBaseESI_lENKUlvE_clEvENKUlvE1_clEvEUlS7_S7_E_S7_EEDaPvRmT3_T4_T5_mT6_P12ihipStream_tbENKUlT_T0_E_clISt17integral_constantIbLb0EESY_IbLb1EEEEDaSU_SV_EUlSU_E0_NS1_11comp_targetILNS1_3genE3ELNS1_11target_archE908ELNS1_3gpuE7ELNS1_3repE0EEENS1_30default_config_static_selectorELNS0_4arch9wavefront6targetE0EEEvT1_,comdat
	.globl	_ZN7rocprim17ROCPRIM_400000_NS6detail17trampoline_kernelINS0_14default_configENS1_20scan_config_selectorIN3c107complexIdEEEEZZNS1_9scan_implILNS1_25lookback_scan_determinismE0ELb0ELb0ES3_PKS7_PS7_S7_ZZZN2at6native31launch_logcumsumexp_cuda_kernelERKNSE_10TensorBaseESI_lENKUlvE_clEvENKUlvE1_clEvEUlS7_S7_E_S7_EEDaPvRmT3_T4_T5_mT6_P12ihipStream_tbENKUlT_T0_E_clISt17integral_constantIbLb0EESY_IbLb1EEEEDaSU_SV_EUlSU_E0_NS1_11comp_targetILNS1_3genE3ELNS1_11target_archE908ELNS1_3gpuE7ELNS1_3repE0EEENS1_30default_config_static_selectorELNS0_4arch9wavefront6targetE0EEEvT1_ ; -- Begin function _ZN7rocprim17ROCPRIM_400000_NS6detail17trampoline_kernelINS0_14default_configENS1_20scan_config_selectorIN3c107complexIdEEEEZZNS1_9scan_implILNS1_25lookback_scan_determinismE0ELb0ELb0ES3_PKS7_PS7_S7_ZZZN2at6native31launch_logcumsumexp_cuda_kernelERKNSE_10TensorBaseESI_lENKUlvE_clEvENKUlvE1_clEvEUlS7_S7_E_S7_EEDaPvRmT3_T4_T5_mT6_P12ihipStream_tbENKUlT_T0_E_clISt17integral_constantIbLb0EESY_IbLb1EEEEDaSU_SV_EUlSU_E0_NS1_11comp_targetILNS1_3genE3ELNS1_11target_archE908ELNS1_3gpuE7ELNS1_3repE0EEENS1_30default_config_static_selectorELNS0_4arch9wavefront6targetE0EEEvT1_
	.p2align	8
	.type	_ZN7rocprim17ROCPRIM_400000_NS6detail17trampoline_kernelINS0_14default_configENS1_20scan_config_selectorIN3c107complexIdEEEEZZNS1_9scan_implILNS1_25lookback_scan_determinismE0ELb0ELb0ES3_PKS7_PS7_S7_ZZZN2at6native31launch_logcumsumexp_cuda_kernelERKNSE_10TensorBaseESI_lENKUlvE_clEvENKUlvE1_clEvEUlS7_S7_E_S7_EEDaPvRmT3_T4_T5_mT6_P12ihipStream_tbENKUlT_T0_E_clISt17integral_constantIbLb0EESY_IbLb1EEEEDaSU_SV_EUlSU_E0_NS1_11comp_targetILNS1_3genE3ELNS1_11target_archE908ELNS1_3gpuE7ELNS1_3repE0EEENS1_30default_config_static_selectorELNS0_4arch9wavefront6targetE0EEEvT1_,@function
_ZN7rocprim17ROCPRIM_400000_NS6detail17trampoline_kernelINS0_14default_configENS1_20scan_config_selectorIN3c107complexIdEEEEZZNS1_9scan_implILNS1_25lookback_scan_determinismE0ELb0ELb0ES3_PKS7_PS7_S7_ZZZN2at6native31launch_logcumsumexp_cuda_kernelERKNSE_10TensorBaseESI_lENKUlvE_clEvENKUlvE1_clEvEUlS7_S7_E_S7_EEDaPvRmT3_T4_T5_mT6_P12ihipStream_tbENKUlT_T0_E_clISt17integral_constantIbLb0EESY_IbLb1EEEEDaSU_SV_EUlSU_E0_NS1_11comp_targetILNS1_3genE3ELNS1_11target_archE908ELNS1_3gpuE7ELNS1_3repE0EEENS1_30default_config_static_selectorELNS0_4arch9wavefront6targetE0EEEvT1_: ; @_ZN7rocprim17ROCPRIM_400000_NS6detail17trampoline_kernelINS0_14default_configENS1_20scan_config_selectorIN3c107complexIdEEEEZZNS1_9scan_implILNS1_25lookback_scan_determinismE0ELb0ELb0ES3_PKS7_PS7_S7_ZZZN2at6native31launch_logcumsumexp_cuda_kernelERKNSE_10TensorBaseESI_lENKUlvE_clEvENKUlvE1_clEvEUlS7_S7_E_S7_EEDaPvRmT3_T4_T5_mT6_P12ihipStream_tbENKUlT_T0_E_clISt17integral_constantIbLb0EESY_IbLb1EEEEDaSU_SV_EUlSU_E0_NS1_11comp_targetILNS1_3genE3ELNS1_11target_archE908ELNS1_3gpuE7ELNS1_3repE0EEENS1_30default_config_static_selectorELNS0_4arch9wavefront6targetE0EEEvT1_
; %bb.0:
	.section	.rodata,"a",@progbits
	.p2align	6, 0x0
	.amdhsa_kernel _ZN7rocprim17ROCPRIM_400000_NS6detail17trampoline_kernelINS0_14default_configENS1_20scan_config_selectorIN3c107complexIdEEEEZZNS1_9scan_implILNS1_25lookback_scan_determinismE0ELb0ELb0ES3_PKS7_PS7_S7_ZZZN2at6native31launch_logcumsumexp_cuda_kernelERKNSE_10TensorBaseESI_lENKUlvE_clEvENKUlvE1_clEvEUlS7_S7_E_S7_EEDaPvRmT3_T4_T5_mT6_P12ihipStream_tbENKUlT_T0_E_clISt17integral_constantIbLb0EESY_IbLb1EEEEDaSU_SV_EUlSU_E0_NS1_11comp_targetILNS1_3genE3ELNS1_11target_archE908ELNS1_3gpuE7ELNS1_3repE0EEENS1_30default_config_static_selectorELNS0_4arch9wavefront6targetE0EEEvT1_
		.amdhsa_group_segment_fixed_size 0
		.amdhsa_private_segment_fixed_size 0
		.amdhsa_kernarg_size 48
		.amdhsa_user_sgpr_count 2
		.amdhsa_user_sgpr_dispatch_ptr 0
		.amdhsa_user_sgpr_queue_ptr 0
		.amdhsa_user_sgpr_kernarg_segment_ptr 1
		.amdhsa_user_sgpr_dispatch_id 0
		.amdhsa_user_sgpr_private_segment_size 0
		.amdhsa_wavefront_size32 1
		.amdhsa_uses_dynamic_stack 0
		.amdhsa_enable_private_segment 0
		.amdhsa_system_sgpr_workgroup_id_x 1
		.amdhsa_system_sgpr_workgroup_id_y 0
		.amdhsa_system_sgpr_workgroup_id_z 0
		.amdhsa_system_sgpr_workgroup_info 0
		.amdhsa_system_vgpr_workitem_id 0
		.amdhsa_next_free_vgpr 1
		.amdhsa_next_free_sgpr 1
		.amdhsa_reserve_vcc 0
		.amdhsa_float_round_mode_32 0
		.amdhsa_float_round_mode_16_64 0
		.amdhsa_float_denorm_mode_32 3
		.amdhsa_float_denorm_mode_16_64 3
		.amdhsa_fp16_overflow 0
		.amdhsa_workgroup_processor_mode 1
		.amdhsa_memory_ordered 1
		.amdhsa_forward_progress 1
		.amdhsa_inst_pref_size 0
		.amdhsa_round_robin_scheduling 0
		.amdhsa_exception_fp_ieee_invalid_op 0
		.amdhsa_exception_fp_denorm_src 0
		.amdhsa_exception_fp_ieee_div_zero 0
		.amdhsa_exception_fp_ieee_overflow 0
		.amdhsa_exception_fp_ieee_underflow 0
		.amdhsa_exception_fp_ieee_inexact 0
		.amdhsa_exception_int_div_zero 0
	.end_amdhsa_kernel
	.section	.text._ZN7rocprim17ROCPRIM_400000_NS6detail17trampoline_kernelINS0_14default_configENS1_20scan_config_selectorIN3c107complexIdEEEEZZNS1_9scan_implILNS1_25lookback_scan_determinismE0ELb0ELb0ES3_PKS7_PS7_S7_ZZZN2at6native31launch_logcumsumexp_cuda_kernelERKNSE_10TensorBaseESI_lENKUlvE_clEvENKUlvE1_clEvEUlS7_S7_E_S7_EEDaPvRmT3_T4_T5_mT6_P12ihipStream_tbENKUlT_T0_E_clISt17integral_constantIbLb0EESY_IbLb1EEEEDaSU_SV_EUlSU_E0_NS1_11comp_targetILNS1_3genE3ELNS1_11target_archE908ELNS1_3gpuE7ELNS1_3repE0EEENS1_30default_config_static_selectorELNS0_4arch9wavefront6targetE0EEEvT1_,"axG",@progbits,_ZN7rocprim17ROCPRIM_400000_NS6detail17trampoline_kernelINS0_14default_configENS1_20scan_config_selectorIN3c107complexIdEEEEZZNS1_9scan_implILNS1_25lookback_scan_determinismE0ELb0ELb0ES3_PKS7_PS7_S7_ZZZN2at6native31launch_logcumsumexp_cuda_kernelERKNSE_10TensorBaseESI_lENKUlvE_clEvENKUlvE1_clEvEUlS7_S7_E_S7_EEDaPvRmT3_T4_T5_mT6_P12ihipStream_tbENKUlT_T0_E_clISt17integral_constantIbLb0EESY_IbLb1EEEEDaSU_SV_EUlSU_E0_NS1_11comp_targetILNS1_3genE3ELNS1_11target_archE908ELNS1_3gpuE7ELNS1_3repE0EEENS1_30default_config_static_selectorELNS0_4arch9wavefront6targetE0EEEvT1_,comdat
.Lfunc_end253:
	.size	_ZN7rocprim17ROCPRIM_400000_NS6detail17trampoline_kernelINS0_14default_configENS1_20scan_config_selectorIN3c107complexIdEEEEZZNS1_9scan_implILNS1_25lookback_scan_determinismE0ELb0ELb0ES3_PKS7_PS7_S7_ZZZN2at6native31launch_logcumsumexp_cuda_kernelERKNSE_10TensorBaseESI_lENKUlvE_clEvENKUlvE1_clEvEUlS7_S7_E_S7_EEDaPvRmT3_T4_T5_mT6_P12ihipStream_tbENKUlT_T0_E_clISt17integral_constantIbLb0EESY_IbLb1EEEEDaSU_SV_EUlSU_E0_NS1_11comp_targetILNS1_3genE3ELNS1_11target_archE908ELNS1_3gpuE7ELNS1_3repE0EEENS1_30default_config_static_selectorELNS0_4arch9wavefront6targetE0EEEvT1_, .Lfunc_end253-_ZN7rocprim17ROCPRIM_400000_NS6detail17trampoline_kernelINS0_14default_configENS1_20scan_config_selectorIN3c107complexIdEEEEZZNS1_9scan_implILNS1_25lookback_scan_determinismE0ELb0ELb0ES3_PKS7_PS7_S7_ZZZN2at6native31launch_logcumsumexp_cuda_kernelERKNSE_10TensorBaseESI_lENKUlvE_clEvENKUlvE1_clEvEUlS7_S7_E_S7_EEDaPvRmT3_T4_T5_mT6_P12ihipStream_tbENKUlT_T0_E_clISt17integral_constantIbLb0EESY_IbLb1EEEEDaSU_SV_EUlSU_E0_NS1_11comp_targetILNS1_3genE3ELNS1_11target_archE908ELNS1_3gpuE7ELNS1_3repE0EEENS1_30default_config_static_selectorELNS0_4arch9wavefront6targetE0EEEvT1_
                                        ; -- End function
	.set _ZN7rocprim17ROCPRIM_400000_NS6detail17trampoline_kernelINS0_14default_configENS1_20scan_config_selectorIN3c107complexIdEEEEZZNS1_9scan_implILNS1_25lookback_scan_determinismE0ELb0ELb0ES3_PKS7_PS7_S7_ZZZN2at6native31launch_logcumsumexp_cuda_kernelERKNSE_10TensorBaseESI_lENKUlvE_clEvENKUlvE1_clEvEUlS7_S7_E_S7_EEDaPvRmT3_T4_T5_mT6_P12ihipStream_tbENKUlT_T0_E_clISt17integral_constantIbLb0EESY_IbLb1EEEEDaSU_SV_EUlSU_E0_NS1_11comp_targetILNS1_3genE3ELNS1_11target_archE908ELNS1_3gpuE7ELNS1_3repE0EEENS1_30default_config_static_selectorELNS0_4arch9wavefront6targetE0EEEvT1_.num_vgpr, 0
	.set _ZN7rocprim17ROCPRIM_400000_NS6detail17trampoline_kernelINS0_14default_configENS1_20scan_config_selectorIN3c107complexIdEEEEZZNS1_9scan_implILNS1_25lookback_scan_determinismE0ELb0ELb0ES3_PKS7_PS7_S7_ZZZN2at6native31launch_logcumsumexp_cuda_kernelERKNSE_10TensorBaseESI_lENKUlvE_clEvENKUlvE1_clEvEUlS7_S7_E_S7_EEDaPvRmT3_T4_T5_mT6_P12ihipStream_tbENKUlT_T0_E_clISt17integral_constantIbLb0EESY_IbLb1EEEEDaSU_SV_EUlSU_E0_NS1_11comp_targetILNS1_3genE3ELNS1_11target_archE908ELNS1_3gpuE7ELNS1_3repE0EEENS1_30default_config_static_selectorELNS0_4arch9wavefront6targetE0EEEvT1_.num_agpr, 0
	.set _ZN7rocprim17ROCPRIM_400000_NS6detail17trampoline_kernelINS0_14default_configENS1_20scan_config_selectorIN3c107complexIdEEEEZZNS1_9scan_implILNS1_25lookback_scan_determinismE0ELb0ELb0ES3_PKS7_PS7_S7_ZZZN2at6native31launch_logcumsumexp_cuda_kernelERKNSE_10TensorBaseESI_lENKUlvE_clEvENKUlvE1_clEvEUlS7_S7_E_S7_EEDaPvRmT3_T4_T5_mT6_P12ihipStream_tbENKUlT_T0_E_clISt17integral_constantIbLb0EESY_IbLb1EEEEDaSU_SV_EUlSU_E0_NS1_11comp_targetILNS1_3genE3ELNS1_11target_archE908ELNS1_3gpuE7ELNS1_3repE0EEENS1_30default_config_static_selectorELNS0_4arch9wavefront6targetE0EEEvT1_.numbered_sgpr, 0
	.set _ZN7rocprim17ROCPRIM_400000_NS6detail17trampoline_kernelINS0_14default_configENS1_20scan_config_selectorIN3c107complexIdEEEEZZNS1_9scan_implILNS1_25lookback_scan_determinismE0ELb0ELb0ES3_PKS7_PS7_S7_ZZZN2at6native31launch_logcumsumexp_cuda_kernelERKNSE_10TensorBaseESI_lENKUlvE_clEvENKUlvE1_clEvEUlS7_S7_E_S7_EEDaPvRmT3_T4_T5_mT6_P12ihipStream_tbENKUlT_T0_E_clISt17integral_constantIbLb0EESY_IbLb1EEEEDaSU_SV_EUlSU_E0_NS1_11comp_targetILNS1_3genE3ELNS1_11target_archE908ELNS1_3gpuE7ELNS1_3repE0EEENS1_30default_config_static_selectorELNS0_4arch9wavefront6targetE0EEEvT1_.num_named_barrier, 0
	.set _ZN7rocprim17ROCPRIM_400000_NS6detail17trampoline_kernelINS0_14default_configENS1_20scan_config_selectorIN3c107complexIdEEEEZZNS1_9scan_implILNS1_25lookback_scan_determinismE0ELb0ELb0ES3_PKS7_PS7_S7_ZZZN2at6native31launch_logcumsumexp_cuda_kernelERKNSE_10TensorBaseESI_lENKUlvE_clEvENKUlvE1_clEvEUlS7_S7_E_S7_EEDaPvRmT3_T4_T5_mT6_P12ihipStream_tbENKUlT_T0_E_clISt17integral_constantIbLb0EESY_IbLb1EEEEDaSU_SV_EUlSU_E0_NS1_11comp_targetILNS1_3genE3ELNS1_11target_archE908ELNS1_3gpuE7ELNS1_3repE0EEENS1_30default_config_static_selectorELNS0_4arch9wavefront6targetE0EEEvT1_.private_seg_size, 0
	.set _ZN7rocprim17ROCPRIM_400000_NS6detail17trampoline_kernelINS0_14default_configENS1_20scan_config_selectorIN3c107complexIdEEEEZZNS1_9scan_implILNS1_25lookback_scan_determinismE0ELb0ELb0ES3_PKS7_PS7_S7_ZZZN2at6native31launch_logcumsumexp_cuda_kernelERKNSE_10TensorBaseESI_lENKUlvE_clEvENKUlvE1_clEvEUlS7_S7_E_S7_EEDaPvRmT3_T4_T5_mT6_P12ihipStream_tbENKUlT_T0_E_clISt17integral_constantIbLb0EESY_IbLb1EEEEDaSU_SV_EUlSU_E0_NS1_11comp_targetILNS1_3genE3ELNS1_11target_archE908ELNS1_3gpuE7ELNS1_3repE0EEENS1_30default_config_static_selectorELNS0_4arch9wavefront6targetE0EEEvT1_.uses_vcc, 0
	.set _ZN7rocprim17ROCPRIM_400000_NS6detail17trampoline_kernelINS0_14default_configENS1_20scan_config_selectorIN3c107complexIdEEEEZZNS1_9scan_implILNS1_25lookback_scan_determinismE0ELb0ELb0ES3_PKS7_PS7_S7_ZZZN2at6native31launch_logcumsumexp_cuda_kernelERKNSE_10TensorBaseESI_lENKUlvE_clEvENKUlvE1_clEvEUlS7_S7_E_S7_EEDaPvRmT3_T4_T5_mT6_P12ihipStream_tbENKUlT_T0_E_clISt17integral_constantIbLb0EESY_IbLb1EEEEDaSU_SV_EUlSU_E0_NS1_11comp_targetILNS1_3genE3ELNS1_11target_archE908ELNS1_3gpuE7ELNS1_3repE0EEENS1_30default_config_static_selectorELNS0_4arch9wavefront6targetE0EEEvT1_.uses_flat_scratch, 0
	.set _ZN7rocprim17ROCPRIM_400000_NS6detail17trampoline_kernelINS0_14default_configENS1_20scan_config_selectorIN3c107complexIdEEEEZZNS1_9scan_implILNS1_25lookback_scan_determinismE0ELb0ELb0ES3_PKS7_PS7_S7_ZZZN2at6native31launch_logcumsumexp_cuda_kernelERKNSE_10TensorBaseESI_lENKUlvE_clEvENKUlvE1_clEvEUlS7_S7_E_S7_EEDaPvRmT3_T4_T5_mT6_P12ihipStream_tbENKUlT_T0_E_clISt17integral_constantIbLb0EESY_IbLb1EEEEDaSU_SV_EUlSU_E0_NS1_11comp_targetILNS1_3genE3ELNS1_11target_archE908ELNS1_3gpuE7ELNS1_3repE0EEENS1_30default_config_static_selectorELNS0_4arch9wavefront6targetE0EEEvT1_.has_dyn_sized_stack, 0
	.set _ZN7rocprim17ROCPRIM_400000_NS6detail17trampoline_kernelINS0_14default_configENS1_20scan_config_selectorIN3c107complexIdEEEEZZNS1_9scan_implILNS1_25lookback_scan_determinismE0ELb0ELb0ES3_PKS7_PS7_S7_ZZZN2at6native31launch_logcumsumexp_cuda_kernelERKNSE_10TensorBaseESI_lENKUlvE_clEvENKUlvE1_clEvEUlS7_S7_E_S7_EEDaPvRmT3_T4_T5_mT6_P12ihipStream_tbENKUlT_T0_E_clISt17integral_constantIbLb0EESY_IbLb1EEEEDaSU_SV_EUlSU_E0_NS1_11comp_targetILNS1_3genE3ELNS1_11target_archE908ELNS1_3gpuE7ELNS1_3repE0EEENS1_30default_config_static_selectorELNS0_4arch9wavefront6targetE0EEEvT1_.has_recursion, 0
	.set _ZN7rocprim17ROCPRIM_400000_NS6detail17trampoline_kernelINS0_14default_configENS1_20scan_config_selectorIN3c107complexIdEEEEZZNS1_9scan_implILNS1_25lookback_scan_determinismE0ELb0ELb0ES3_PKS7_PS7_S7_ZZZN2at6native31launch_logcumsumexp_cuda_kernelERKNSE_10TensorBaseESI_lENKUlvE_clEvENKUlvE1_clEvEUlS7_S7_E_S7_EEDaPvRmT3_T4_T5_mT6_P12ihipStream_tbENKUlT_T0_E_clISt17integral_constantIbLb0EESY_IbLb1EEEEDaSU_SV_EUlSU_E0_NS1_11comp_targetILNS1_3genE3ELNS1_11target_archE908ELNS1_3gpuE7ELNS1_3repE0EEENS1_30default_config_static_selectorELNS0_4arch9wavefront6targetE0EEEvT1_.has_indirect_call, 0
	.section	.AMDGPU.csdata,"",@progbits
; Kernel info:
; codeLenInByte = 0
; TotalNumSgprs: 0
; NumVgprs: 0
; ScratchSize: 0
; MemoryBound: 0
; FloatMode: 240
; IeeeMode: 1
; LDSByteSize: 0 bytes/workgroup (compile time only)
; SGPRBlocks: 0
; VGPRBlocks: 0
; NumSGPRsForWavesPerEU: 1
; NumVGPRsForWavesPerEU: 1
; Occupancy: 16
; WaveLimiterHint : 0
; COMPUTE_PGM_RSRC2:SCRATCH_EN: 0
; COMPUTE_PGM_RSRC2:USER_SGPR: 2
; COMPUTE_PGM_RSRC2:TRAP_HANDLER: 0
; COMPUTE_PGM_RSRC2:TGID_X_EN: 1
; COMPUTE_PGM_RSRC2:TGID_Y_EN: 0
; COMPUTE_PGM_RSRC2:TGID_Z_EN: 0
; COMPUTE_PGM_RSRC2:TIDIG_COMP_CNT: 0
	.section	.text._ZN7rocprim17ROCPRIM_400000_NS6detail17trampoline_kernelINS0_14default_configENS1_20scan_config_selectorIN3c107complexIdEEEEZZNS1_9scan_implILNS1_25lookback_scan_determinismE0ELb0ELb0ES3_PKS7_PS7_S7_ZZZN2at6native31launch_logcumsumexp_cuda_kernelERKNSE_10TensorBaseESI_lENKUlvE_clEvENKUlvE1_clEvEUlS7_S7_E_S7_EEDaPvRmT3_T4_T5_mT6_P12ihipStream_tbENKUlT_T0_E_clISt17integral_constantIbLb0EESY_IbLb1EEEEDaSU_SV_EUlSU_E0_NS1_11comp_targetILNS1_3genE2ELNS1_11target_archE906ELNS1_3gpuE6ELNS1_3repE0EEENS1_30default_config_static_selectorELNS0_4arch9wavefront6targetE0EEEvT1_,"axG",@progbits,_ZN7rocprim17ROCPRIM_400000_NS6detail17trampoline_kernelINS0_14default_configENS1_20scan_config_selectorIN3c107complexIdEEEEZZNS1_9scan_implILNS1_25lookback_scan_determinismE0ELb0ELb0ES3_PKS7_PS7_S7_ZZZN2at6native31launch_logcumsumexp_cuda_kernelERKNSE_10TensorBaseESI_lENKUlvE_clEvENKUlvE1_clEvEUlS7_S7_E_S7_EEDaPvRmT3_T4_T5_mT6_P12ihipStream_tbENKUlT_T0_E_clISt17integral_constantIbLb0EESY_IbLb1EEEEDaSU_SV_EUlSU_E0_NS1_11comp_targetILNS1_3genE2ELNS1_11target_archE906ELNS1_3gpuE6ELNS1_3repE0EEENS1_30default_config_static_selectorELNS0_4arch9wavefront6targetE0EEEvT1_,comdat
	.globl	_ZN7rocprim17ROCPRIM_400000_NS6detail17trampoline_kernelINS0_14default_configENS1_20scan_config_selectorIN3c107complexIdEEEEZZNS1_9scan_implILNS1_25lookback_scan_determinismE0ELb0ELb0ES3_PKS7_PS7_S7_ZZZN2at6native31launch_logcumsumexp_cuda_kernelERKNSE_10TensorBaseESI_lENKUlvE_clEvENKUlvE1_clEvEUlS7_S7_E_S7_EEDaPvRmT3_T4_T5_mT6_P12ihipStream_tbENKUlT_T0_E_clISt17integral_constantIbLb0EESY_IbLb1EEEEDaSU_SV_EUlSU_E0_NS1_11comp_targetILNS1_3genE2ELNS1_11target_archE906ELNS1_3gpuE6ELNS1_3repE0EEENS1_30default_config_static_selectorELNS0_4arch9wavefront6targetE0EEEvT1_ ; -- Begin function _ZN7rocprim17ROCPRIM_400000_NS6detail17trampoline_kernelINS0_14default_configENS1_20scan_config_selectorIN3c107complexIdEEEEZZNS1_9scan_implILNS1_25lookback_scan_determinismE0ELb0ELb0ES3_PKS7_PS7_S7_ZZZN2at6native31launch_logcumsumexp_cuda_kernelERKNSE_10TensorBaseESI_lENKUlvE_clEvENKUlvE1_clEvEUlS7_S7_E_S7_EEDaPvRmT3_T4_T5_mT6_P12ihipStream_tbENKUlT_T0_E_clISt17integral_constantIbLb0EESY_IbLb1EEEEDaSU_SV_EUlSU_E0_NS1_11comp_targetILNS1_3genE2ELNS1_11target_archE906ELNS1_3gpuE6ELNS1_3repE0EEENS1_30default_config_static_selectorELNS0_4arch9wavefront6targetE0EEEvT1_
	.p2align	8
	.type	_ZN7rocprim17ROCPRIM_400000_NS6detail17trampoline_kernelINS0_14default_configENS1_20scan_config_selectorIN3c107complexIdEEEEZZNS1_9scan_implILNS1_25lookback_scan_determinismE0ELb0ELb0ES3_PKS7_PS7_S7_ZZZN2at6native31launch_logcumsumexp_cuda_kernelERKNSE_10TensorBaseESI_lENKUlvE_clEvENKUlvE1_clEvEUlS7_S7_E_S7_EEDaPvRmT3_T4_T5_mT6_P12ihipStream_tbENKUlT_T0_E_clISt17integral_constantIbLb0EESY_IbLb1EEEEDaSU_SV_EUlSU_E0_NS1_11comp_targetILNS1_3genE2ELNS1_11target_archE906ELNS1_3gpuE6ELNS1_3repE0EEENS1_30default_config_static_selectorELNS0_4arch9wavefront6targetE0EEEvT1_,@function
_ZN7rocprim17ROCPRIM_400000_NS6detail17trampoline_kernelINS0_14default_configENS1_20scan_config_selectorIN3c107complexIdEEEEZZNS1_9scan_implILNS1_25lookback_scan_determinismE0ELb0ELb0ES3_PKS7_PS7_S7_ZZZN2at6native31launch_logcumsumexp_cuda_kernelERKNSE_10TensorBaseESI_lENKUlvE_clEvENKUlvE1_clEvEUlS7_S7_E_S7_EEDaPvRmT3_T4_T5_mT6_P12ihipStream_tbENKUlT_T0_E_clISt17integral_constantIbLb0EESY_IbLb1EEEEDaSU_SV_EUlSU_E0_NS1_11comp_targetILNS1_3genE2ELNS1_11target_archE906ELNS1_3gpuE6ELNS1_3repE0EEENS1_30default_config_static_selectorELNS0_4arch9wavefront6targetE0EEEvT1_: ; @_ZN7rocprim17ROCPRIM_400000_NS6detail17trampoline_kernelINS0_14default_configENS1_20scan_config_selectorIN3c107complexIdEEEEZZNS1_9scan_implILNS1_25lookback_scan_determinismE0ELb0ELb0ES3_PKS7_PS7_S7_ZZZN2at6native31launch_logcumsumexp_cuda_kernelERKNSE_10TensorBaseESI_lENKUlvE_clEvENKUlvE1_clEvEUlS7_S7_E_S7_EEDaPvRmT3_T4_T5_mT6_P12ihipStream_tbENKUlT_T0_E_clISt17integral_constantIbLb0EESY_IbLb1EEEEDaSU_SV_EUlSU_E0_NS1_11comp_targetILNS1_3genE2ELNS1_11target_archE906ELNS1_3gpuE6ELNS1_3repE0EEENS1_30default_config_static_selectorELNS0_4arch9wavefront6targetE0EEEvT1_
; %bb.0:
	.section	.rodata,"a",@progbits
	.p2align	6, 0x0
	.amdhsa_kernel _ZN7rocprim17ROCPRIM_400000_NS6detail17trampoline_kernelINS0_14default_configENS1_20scan_config_selectorIN3c107complexIdEEEEZZNS1_9scan_implILNS1_25lookback_scan_determinismE0ELb0ELb0ES3_PKS7_PS7_S7_ZZZN2at6native31launch_logcumsumexp_cuda_kernelERKNSE_10TensorBaseESI_lENKUlvE_clEvENKUlvE1_clEvEUlS7_S7_E_S7_EEDaPvRmT3_T4_T5_mT6_P12ihipStream_tbENKUlT_T0_E_clISt17integral_constantIbLb0EESY_IbLb1EEEEDaSU_SV_EUlSU_E0_NS1_11comp_targetILNS1_3genE2ELNS1_11target_archE906ELNS1_3gpuE6ELNS1_3repE0EEENS1_30default_config_static_selectorELNS0_4arch9wavefront6targetE0EEEvT1_
		.amdhsa_group_segment_fixed_size 0
		.amdhsa_private_segment_fixed_size 0
		.amdhsa_kernarg_size 48
		.amdhsa_user_sgpr_count 2
		.amdhsa_user_sgpr_dispatch_ptr 0
		.amdhsa_user_sgpr_queue_ptr 0
		.amdhsa_user_sgpr_kernarg_segment_ptr 1
		.amdhsa_user_sgpr_dispatch_id 0
		.amdhsa_user_sgpr_private_segment_size 0
		.amdhsa_wavefront_size32 1
		.amdhsa_uses_dynamic_stack 0
		.amdhsa_enable_private_segment 0
		.amdhsa_system_sgpr_workgroup_id_x 1
		.amdhsa_system_sgpr_workgroup_id_y 0
		.amdhsa_system_sgpr_workgroup_id_z 0
		.amdhsa_system_sgpr_workgroup_info 0
		.amdhsa_system_vgpr_workitem_id 0
		.amdhsa_next_free_vgpr 1
		.amdhsa_next_free_sgpr 1
		.amdhsa_reserve_vcc 0
		.amdhsa_float_round_mode_32 0
		.amdhsa_float_round_mode_16_64 0
		.amdhsa_float_denorm_mode_32 3
		.amdhsa_float_denorm_mode_16_64 3
		.amdhsa_fp16_overflow 0
		.amdhsa_workgroup_processor_mode 1
		.amdhsa_memory_ordered 1
		.amdhsa_forward_progress 1
		.amdhsa_inst_pref_size 0
		.amdhsa_round_robin_scheduling 0
		.amdhsa_exception_fp_ieee_invalid_op 0
		.amdhsa_exception_fp_denorm_src 0
		.amdhsa_exception_fp_ieee_div_zero 0
		.amdhsa_exception_fp_ieee_overflow 0
		.amdhsa_exception_fp_ieee_underflow 0
		.amdhsa_exception_fp_ieee_inexact 0
		.amdhsa_exception_int_div_zero 0
	.end_amdhsa_kernel
	.section	.text._ZN7rocprim17ROCPRIM_400000_NS6detail17trampoline_kernelINS0_14default_configENS1_20scan_config_selectorIN3c107complexIdEEEEZZNS1_9scan_implILNS1_25lookback_scan_determinismE0ELb0ELb0ES3_PKS7_PS7_S7_ZZZN2at6native31launch_logcumsumexp_cuda_kernelERKNSE_10TensorBaseESI_lENKUlvE_clEvENKUlvE1_clEvEUlS7_S7_E_S7_EEDaPvRmT3_T4_T5_mT6_P12ihipStream_tbENKUlT_T0_E_clISt17integral_constantIbLb0EESY_IbLb1EEEEDaSU_SV_EUlSU_E0_NS1_11comp_targetILNS1_3genE2ELNS1_11target_archE906ELNS1_3gpuE6ELNS1_3repE0EEENS1_30default_config_static_selectorELNS0_4arch9wavefront6targetE0EEEvT1_,"axG",@progbits,_ZN7rocprim17ROCPRIM_400000_NS6detail17trampoline_kernelINS0_14default_configENS1_20scan_config_selectorIN3c107complexIdEEEEZZNS1_9scan_implILNS1_25lookback_scan_determinismE0ELb0ELb0ES3_PKS7_PS7_S7_ZZZN2at6native31launch_logcumsumexp_cuda_kernelERKNSE_10TensorBaseESI_lENKUlvE_clEvENKUlvE1_clEvEUlS7_S7_E_S7_EEDaPvRmT3_T4_T5_mT6_P12ihipStream_tbENKUlT_T0_E_clISt17integral_constantIbLb0EESY_IbLb1EEEEDaSU_SV_EUlSU_E0_NS1_11comp_targetILNS1_3genE2ELNS1_11target_archE906ELNS1_3gpuE6ELNS1_3repE0EEENS1_30default_config_static_selectorELNS0_4arch9wavefront6targetE0EEEvT1_,comdat
.Lfunc_end254:
	.size	_ZN7rocprim17ROCPRIM_400000_NS6detail17trampoline_kernelINS0_14default_configENS1_20scan_config_selectorIN3c107complexIdEEEEZZNS1_9scan_implILNS1_25lookback_scan_determinismE0ELb0ELb0ES3_PKS7_PS7_S7_ZZZN2at6native31launch_logcumsumexp_cuda_kernelERKNSE_10TensorBaseESI_lENKUlvE_clEvENKUlvE1_clEvEUlS7_S7_E_S7_EEDaPvRmT3_T4_T5_mT6_P12ihipStream_tbENKUlT_T0_E_clISt17integral_constantIbLb0EESY_IbLb1EEEEDaSU_SV_EUlSU_E0_NS1_11comp_targetILNS1_3genE2ELNS1_11target_archE906ELNS1_3gpuE6ELNS1_3repE0EEENS1_30default_config_static_selectorELNS0_4arch9wavefront6targetE0EEEvT1_, .Lfunc_end254-_ZN7rocprim17ROCPRIM_400000_NS6detail17trampoline_kernelINS0_14default_configENS1_20scan_config_selectorIN3c107complexIdEEEEZZNS1_9scan_implILNS1_25lookback_scan_determinismE0ELb0ELb0ES3_PKS7_PS7_S7_ZZZN2at6native31launch_logcumsumexp_cuda_kernelERKNSE_10TensorBaseESI_lENKUlvE_clEvENKUlvE1_clEvEUlS7_S7_E_S7_EEDaPvRmT3_T4_T5_mT6_P12ihipStream_tbENKUlT_T0_E_clISt17integral_constantIbLb0EESY_IbLb1EEEEDaSU_SV_EUlSU_E0_NS1_11comp_targetILNS1_3genE2ELNS1_11target_archE906ELNS1_3gpuE6ELNS1_3repE0EEENS1_30default_config_static_selectorELNS0_4arch9wavefront6targetE0EEEvT1_
                                        ; -- End function
	.set _ZN7rocprim17ROCPRIM_400000_NS6detail17trampoline_kernelINS0_14default_configENS1_20scan_config_selectorIN3c107complexIdEEEEZZNS1_9scan_implILNS1_25lookback_scan_determinismE0ELb0ELb0ES3_PKS7_PS7_S7_ZZZN2at6native31launch_logcumsumexp_cuda_kernelERKNSE_10TensorBaseESI_lENKUlvE_clEvENKUlvE1_clEvEUlS7_S7_E_S7_EEDaPvRmT3_T4_T5_mT6_P12ihipStream_tbENKUlT_T0_E_clISt17integral_constantIbLb0EESY_IbLb1EEEEDaSU_SV_EUlSU_E0_NS1_11comp_targetILNS1_3genE2ELNS1_11target_archE906ELNS1_3gpuE6ELNS1_3repE0EEENS1_30default_config_static_selectorELNS0_4arch9wavefront6targetE0EEEvT1_.num_vgpr, 0
	.set _ZN7rocprim17ROCPRIM_400000_NS6detail17trampoline_kernelINS0_14default_configENS1_20scan_config_selectorIN3c107complexIdEEEEZZNS1_9scan_implILNS1_25lookback_scan_determinismE0ELb0ELb0ES3_PKS7_PS7_S7_ZZZN2at6native31launch_logcumsumexp_cuda_kernelERKNSE_10TensorBaseESI_lENKUlvE_clEvENKUlvE1_clEvEUlS7_S7_E_S7_EEDaPvRmT3_T4_T5_mT6_P12ihipStream_tbENKUlT_T0_E_clISt17integral_constantIbLb0EESY_IbLb1EEEEDaSU_SV_EUlSU_E0_NS1_11comp_targetILNS1_3genE2ELNS1_11target_archE906ELNS1_3gpuE6ELNS1_3repE0EEENS1_30default_config_static_selectorELNS0_4arch9wavefront6targetE0EEEvT1_.num_agpr, 0
	.set _ZN7rocprim17ROCPRIM_400000_NS6detail17trampoline_kernelINS0_14default_configENS1_20scan_config_selectorIN3c107complexIdEEEEZZNS1_9scan_implILNS1_25lookback_scan_determinismE0ELb0ELb0ES3_PKS7_PS7_S7_ZZZN2at6native31launch_logcumsumexp_cuda_kernelERKNSE_10TensorBaseESI_lENKUlvE_clEvENKUlvE1_clEvEUlS7_S7_E_S7_EEDaPvRmT3_T4_T5_mT6_P12ihipStream_tbENKUlT_T0_E_clISt17integral_constantIbLb0EESY_IbLb1EEEEDaSU_SV_EUlSU_E0_NS1_11comp_targetILNS1_3genE2ELNS1_11target_archE906ELNS1_3gpuE6ELNS1_3repE0EEENS1_30default_config_static_selectorELNS0_4arch9wavefront6targetE0EEEvT1_.numbered_sgpr, 0
	.set _ZN7rocprim17ROCPRIM_400000_NS6detail17trampoline_kernelINS0_14default_configENS1_20scan_config_selectorIN3c107complexIdEEEEZZNS1_9scan_implILNS1_25lookback_scan_determinismE0ELb0ELb0ES3_PKS7_PS7_S7_ZZZN2at6native31launch_logcumsumexp_cuda_kernelERKNSE_10TensorBaseESI_lENKUlvE_clEvENKUlvE1_clEvEUlS7_S7_E_S7_EEDaPvRmT3_T4_T5_mT6_P12ihipStream_tbENKUlT_T0_E_clISt17integral_constantIbLb0EESY_IbLb1EEEEDaSU_SV_EUlSU_E0_NS1_11comp_targetILNS1_3genE2ELNS1_11target_archE906ELNS1_3gpuE6ELNS1_3repE0EEENS1_30default_config_static_selectorELNS0_4arch9wavefront6targetE0EEEvT1_.num_named_barrier, 0
	.set _ZN7rocprim17ROCPRIM_400000_NS6detail17trampoline_kernelINS0_14default_configENS1_20scan_config_selectorIN3c107complexIdEEEEZZNS1_9scan_implILNS1_25lookback_scan_determinismE0ELb0ELb0ES3_PKS7_PS7_S7_ZZZN2at6native31launch_logcumsumexp_cuda_kernelERKNSE_10TensorBaseESI_lENKUlvE_clEvENKUlvE1_clEvEUlS7_S7_E_S7_EEDaPvRmT3_T4_T5_mT6_P12ihipStream_tbENKUlT_T0_E_clISt17integral_constantIbLb0EESY_IbLb1EEEEDaSU_SV_EUlSU_E0_NS1_11comp_targetILNS1_3genE2ELNS1_11target_archE906ELNS1_3gpuE6ELNS1_3repE0EEENS1_30default_config_static_selectorELNS0_4arch9wavefront6targetE0EEEvT1_.private_seg_size, 0
	.set _ZN7rocprim17ROCPRIM_400000_NS6detail17trampoline_kernelINS0_14default_configENS1_20scan_config_selectorIN3c107complexIdEEEEZZNS1_9scan_implILNS1_25lookback_scan_determinismE0ELb0ELb0ES3_PKS7_PS7_S7_ZZZN2at6native31launch_logcumsumexp_cuda_kernelERKNSE_10TensorBaseESI_lENKUlvE_clEvENKUlvE1_clEvEUlS7_S7_E_S7_EEDaPvRmT3_T4_T5_mT6_P12ihipStream_tbENKUlT_T0_E_clISt17integral_constantIbLb0EESY_IbLb1EEEEDaSU_SV_EUlSU_E0_NS1_11comp_targetILNS1_3genE2ELNS1_11target_archE906ELNS1_3gpuE6ELNS1_3repE0EEENS1_30default_config_static_selectorELNS0_4arch9wavefront6targetE0EEEvT1_.uses_vcc, 0
	.set _ZN7rocprim17ROCPRIM_400000_NS6detail17trampoline_kernelINS0_14default_configENS1_20scan_config_selectorIN3c107complexIdEEEEZZNS1_9scan_implILNS1_25lookback_scan_determinismE0ELb0ELb0ES3_PKS7_PS7_S7_ZZZN2at6native31launch_logcumsumexp_cuda_kernelERKNSE_10TensorBaseESI_lENKUlvE_clEvENKUlvE1_clEvEUlS7_S7_E_S7_EEDaPvRmT3_T4_T5_mT6_P12ihipStream_tbENKUlT_T0_E_clISt17integral_constantIbLb0EESY_IbLb1EEEEDaSU_SV_EUlSU_E0_NS1_11comp_targetILNS1_3genE2ELNS1_11target_archE906ELNS1_3gpuE6ELNS1_3repE0EEENS1_30default_config_static_selectorELNS0_4arch9wavefront6targetE0EEEvT1_.uses_flat_scratch, 0
	.set _ZN7rocprim17ROCPRIM_400000_NS6detail17trampoline_kernelINS0_14default_configENS1_20scan_config_selectorIN3c107complexIdEEEEZZNS1_9scan_implILNS1_25lookback_scan_determinismE0ELb0ELb0ES3_PKS7_PS7_S7_ZZZN2at6native31launch_logcumsumexp_cuda_kernelERKNSE_10TensorBaseESI_lENKUlvE_clEvENKUlvE1_clEvEUlS7_S7_E_S7_EEDaPvRmT3_T4_T5_mT6_P12ihipStream_tbENKUlT_T0_E_clISt17integral_constantIbLb0EESY_IbLb1EEEEDaSU_SV_EUlSU_E0_NS1_11comp_targetILNS1_3genE2ELNS1_11target_archE906ELNS1_3gpuE6ELNS1_3repE0EEENS1_30default_config_static_selectorELNS0_4arch9wavefront6targetE0EEEvT1_.has_dyn_sized_stack, 0
	.set _ZN7rocprim17ROCPRIM_400000_NS6detail17trampoline_kernelINS0_14default_configENS1_20scan_config_selectorIN3c107complexIdEEEEZZNS1_9scan_implILNS1_25lookback_scan_determinismE0ELb0ELb0ES3_PKS7_PS7_S7_ZZZN2at6native31launch_logcumsumexp_cuda_kernelERKNSE_10TensorBaseESI_lENKUlvE_clEvENKUlvE1_clEvEUlS7_S7_E_S7_EEDaPvRmT3_T4_T5_mT6_P12ihipStream_tbENKUlT_T0_E_clISt17integral_constantIbLb0EESY_IbLb1EEEEDaSU_SV_EUlSU_E0_NS1_11comp_targetILNS1_3genE2ELNS1_11target_archE906ELNS1_3gpuE6ELNS1_3repE0EEENS1_30default_config_static_selectorELNS0_4arch9wavefront6targetE0EEEvT1_.has_recursion, 0
	.set _ZN7rocprim17ROCPRIM_400000_NS6detail17trampoline_kernelINS0_14default_configENS1_20scan_config_selectorIN3c107complexIdEEEEZZNS1_9scan_implILNS1_25lookback_scan_determinismE0ELb0ELb0ES3_PKS7_PS7_S7_ZZZN2at6native31launch_logcumsumexp_cuda_kernelERKNSE_10TensorBaseESI_lENKUlvE_clEvENKUlvE1_clEvEUlS7_S7_E_S7_EEDaPvRmT3_T4_T5_mT6_P12ihipStream_tbENKUlT_T0_E_clISt17integral_constantIbLb0EESY_IbLb1EEEEDaSU_SV_EUlSU_E0_NS1_11comp_targetILNS1_3genE2ELNS1_11target_archE906ELNS1_3gpuE6ELNS1_3repE0EEENS1_30default_config_static_selectorELNS0_4arch9wavefront6targetE0EEEvT1_.has_indirect_call, 0
	.section	.AMDGPU.csdata,"",@progbits
; Kernel info:
; codeLenInByte = 0
; TotalNumSgprs: 0
; NumVgprs: 0
; ScratchSize: 0
; MemoryBound: 0
; FloatMode: 240
; IeeeMode: 1
; LDSByteSize: 0 bytes/workgroup (compile time only)
; SGPRBlocks: 0
; VGPRBlocks: 0
; NumSGPRsForWavesPerEU: 1
; NumVGPRsForWavesPerEU: 1
; Occupancy: 16
; WaveLimiterHint : 0
; COMPUTE_PGM_RSRC2:SCRATCH_EN: 0
; COMPUTE_PGM_RSRC2:USER_SGPR: 2
; COMPUTE_PGM_RSRC2:TRAP_HANDLER: 0
; COMPUTE_PGM_RSRC2:TGID_X_EN: 1
; COMPUTE_PGM_RSRC2:TGID_Y_EN: 0
; COMPUTE_PGM_RSRC2:TGID_Z_EN: 0
; COMPUTE_PGM_RSRC2:TIDIG_COMP_CNT: 0
	.section	.text._ZN7rocprim17ROCPRIM_400000_NS6detail17trampoline_kernelINS0_14default_configENS1_20scan_config_selectorIN3c107complexIdEEEEZZNS1_9scan_implILNS1_25lookback_scan_determinismE0ELb0ELb0ES3_PKS7_PS7_S7_ZZZN2at6native31launch_logcumsumexp_cuda_kernelERKNSE_10TensorBaseESI_lENKUlvE_clEvENKUlvE1_clEvEUlS7_S7_E_S7_EEDaPvRmT3_T4_T5_mT6_P12ihipStream_tbENKUlT_T0_E_clISt17integral_constantIbLb0EESY_IbLb1EEEEDaSU_SV_EUlSU_E0_NS1_11comp_targetILNS1_3genE10ELNS1_11target_archE1201ELNS1_3gpuE5ELNS1_3repE0EEENS1_30default_config_static_selectorELNS0_4arch9wavefront6targetE0EEEvT1_,"axG",@progbits,_ZN7rocprim17ROCPRIM_400000_NS6detail17trampoline_kernelINS0_14default_configENS1_20scan_config_selectorIN3c107complexIdEEEEZZNS1_9scan_implILNS1_25lookback_scan_determinismE0ELb0ELb0ES3_PKS7_PS7_S7_ZZZN2at6native31launch_logcumsumexp_cuda_kernelERKNSE_10TensorBaseESI_lENKUlvE_clEvENKUlvE1_clEvEUlS7_S7_E_S7_EEDaPvRmT3_T4_T5_mT6_P12ihipStream_tbENKUlT_T0_E_clISt17integral_constantIbLb0EESY_IbLb1EEEEDaSU_SV_EUlSU_E0_NS1_11comp_targetILNS1_3genE10ELNS1_11target_archE1201ELNS1_3gpuE5ELNS1_3repE0EEENS1_30default_config_static_selectorELNS0_4arch9wavefront6targetE0EEEvT1_,comdat
	.globl	_ZN7rocprim17ROCPRIM_400000_NS6detail17trampoline_kernelINS0_14default_configENS1_20scan_config_selectorIN3c107complexIdEEEEZZNS1_9scan_implILNS1_25lookback_scan_determinismE0ELb0ELb0ES3_PKS7_PS7_S7_ZZZN2at6native31launch_logcumsumexp_cuda_kernelERKNSE_10TensorBaseESI_lENKUlvE_clEvENKUlvE1_clEvEUlS7_S7_E_S7_EEDaPvRmT3_T4_T5_mT6_P12ihipStream_tbENKUlT_T0_E_clISt17integral_constantIbLb0EESY_IbLb1EEEEDaSU_SV_EUlSU_E0_NS1_11comp_targetILNS1_3genE10ELNS1_11target_archE1201ELNS1_3gpuE5ELNS1_3repE0EEENS1_30default_config_static_selectorELNS0_4arch9wavefront6targetE0EEEvT1_ ; -- Begin function _ZN7rocprim17ROCPRIM_400000_NS6detail17trampoline_kernelINS0_14default_configENS1_20scan_config_selectorIN3c107complexIdEEEEZZNS1_9scan_implILNS1_25lookback_scan_determinismE0ELb0ELb0ES3_PKS7_PS7_S7_ZZZN2at6native31launch_logcumsumexp_cuda_kernelERKNSE_10TensorBaseESI_lENKUlvE_clEvENKUlvE1_clEvEUlS7_S7_E_S7_EEDaPvRmT3_T4_T5_mT6_P12ihipStream_tbENKUlT_T0_E_clISt17integral_constantIbLb0EESY_IbLb1EEEEDaSU_SV_EUlSU_E0_NS1_11comp_targetILNS1_3genE10ELNS1_11target_archE1201ELNS1_3gpuE5ELNS1_3repE0EEENS1_30default_config_static_selectorELNS0_4arch9wavefront6targetE0EEEvT1_
	.p2align	8
	.type	_ZN7rocprim17ROCPRIM_400000_NS6detail17trampoline_kernelINS0_14default_configENS1_20scan_config_selectorIN3c107complexIdEEEEZZNS1_9scan_implILNS1_25lookback_scan_determinismE0ELb0ELb0ES3_PKS7_PS7_S7_ZZZN2at6native31launch_logcumsumexp_cuda_kernelERKNSE_10TensorBaseESI_lENKUlvE_clEvENKUlvE1_clEvEUlS7_S7_E_S7_EEDaPvRmT3_T4_T5_mT6_P12ihipStream_tbENKUlT_T0_E_clISt17integral_constantIbLb0EESY_IbLb1EEEEDaSU_SV_EUlSU_E0_NS1_11comp_targetILNS1_3genE10ELNS1_11target_archE1201ELNS1_3gpuE5ELNS1_3repE0EEENS1_30default_config_static_selectorELNS0_4arch9wavefront6targetE0EEEvT1_,@function
_ZN7rocprim17ROCPRIM_400000_NS6detail17trampoline_kernelINS0_14default_configENS1_20scan_config_selectorIN3c107complexIdEEEEZZNS1_9scan_implILNS1_25lookback_scan_determinismE0ELb0ELb0ES3_PKS7_PS7_S7_ZZZN2at6native31launch_logcumsumexp_cuda_kernelERKNSE_10TensorBaseESI_lENKUlvE_clEvENKUlvE1_clEvEUlS7_S7_E_S7_EEDaPvRmT3_T4_T5_mT6_P12ihipStream_tbENKUlT_T0_E_clISt17integral_constantIbLb0EESY_IbLb1EEEEDaSU_SV_EUlSU_E0_NS1_11comp_targetILNS1_3genE10ELNS1_11target_archE1201ELNS1_3gpuE5ELNS1_3repE0EEENS1_30default_config_static_selectorELNS0_4arch9wavefront6targetE0EEEvT1_: ; @_ZN7rocprim17ROCPRIM_400000_NS6detail17trampoline_kernelINS0_14default_configENS1_20scan_config_selectorIN3c107complexIdEEEEZZNS1_9scan_implILNS1_25lookback_scan_determinismE0ELb0ELb0ES3_PKS7_PS7_S7_ZZZN2at6native31launch_logcumsumexp_cuda_kernelERKNSE_10TensorBaseESI_lENKUlvE_clEvENKUlvE1_clEvEUlS7_S7_E_S7_EEDaPvRmT3_T4_T5_mT6_P12ihipStream_tbENKUlT_T0_E_clISt17integral_constantIbLb0EESY_IbLb1EEEEDaSU_SV_EUlSU_E0_NS1_11comp_targetILNS1_3genE10ELNS1_11target_archE1201ELNS1_3gpuE5ELNS1_3repE0EEENS1_30default_config_static_selectorELNS0_4arch9wavefront6targetE0EEEvT1_
; %bb.0:
	s_mov_b64 s[18:19], s[0:1]
	s_load_b128 s[0:3], s[0:1], 0x0
	s_mov_b32 s32, 0
	s_wait_kmcnt 0x0
	s_load_b128 s[4:7], s[0:1], 0x0
	v_mov_b32_e32 v180, v0
	s_wait_kmcnt 0x0
	v_dual_mov_b32 v2, s6 :: v_dual_mov_b32 v3, s7
	s_delay_alu instid0(VALU_DEP_2)
	v_dual_mov_b32 v0, s4 :: v_dual_lshlrev_b32 v181, 4, v180
	v_cmp_gt_u32_e64 s20, s2, v180
	v_mov_b32_e32 v1, s5
	s_and_saveexec_b32 s3, s20
	s_cbranch_execz .LBB255_2
; %bb.1:
	global_load_b128 v[0:3], v181, s[0:1]
.LBB255_2:
	s_wait_alu 0xfffe
	s_or_b32 exec_lo, exec_lo, s3
	v_or_b32_e32 v4, 0x100, v180
	v_dual_mov_b32 v6, s6 :: v_dual_mov_b32 v7, s7
	s_delay_alu instid0(VALU_DEP_2)
	v_cmp_gt_u32_e64 s21, s2, v4
	v_dual_mov_b32 v4, s4 :: v_dual_mov_b32 v5, s5
	s_and_saveexec_b32 s3, s21
	s_cbranch_execz .LBB255_4
; %bb.3:
	global_load_b128 v[4:7], v181, s[0:1] offset:4096
.LBB255_4:
	s_wait_alu 0xfffe
	s_or_b32 exec_lo, exec_lo, s3
	v_or_b32_e32 v8, 0x200, v180
	v_dual_mov_b32 v11, s7 :: v_dual_mov_b32 v10, s6
	s_delay_alu instid0(VALU_DEP_2)
	v_cmp_gt_u32_e64 s22, s2, v8
	v_dual_mov_b32 v9, s5 :: v_dual_mov_b32 v8, s4
	s_and_saveexec_b32 s3, s22
	s_cbranch_execz .LBB255_6
; %bb.5:
	global_load_b128 v[8:11], v181, s[0:1] offset:8192
.LBB255_6:
	s_wait_alu 0xfffe
	s_or_b32 exec_lo, exec_lo, s3
	v_or_b32_e32 v12, 0x300, v180
	v_dual_mov_b32 v15, s7 :: v_dual_mov_b32 v14, s6
	s_delay_alu instid0(VALU_DEP_2)
	v_cmp_gt_u32_e64 s23, s2, v12
	v_dual_mov_b32 v13, s5 :: v_dual_mov_b32 v12, s4
	s_and_saveexec_b32 s3, s23
	s_cbranch_execz .LBB255_8
; %bb.7:
	global_load_b128 v[12:15], v181, s[0:1] offset:12288
.LBB255_8:
	s_wait_alu 0xfffe
	s_or_b32 exec_lo, exec_lo, s3
	v_or_b32_e32 v16, 0x400, v180
	v_dual_mov_b32 v19, s7 :: v_dual_mov_b32 v18, s6
	s_delay_alu instid0(VALU_DEP_2)
	v_cmp_gt_u32_e64 s24, s2, v16
	v_dual_mov_b32 v17, s5 :: v_dual_mov_b32 v16, s4
	s_and_saveexec_b32 s3, s24
	s_cbranch_execz .LBB255_10
; %bb.9:
	global_load_b128 v[16:19], v181, s[0:1] offset:16384
.LBB255_10:
	s_wait_alu 0xfffe
	s_or_b32 exec_lo, exec_lo, s3
	v_or_b32_e32 v20, 0x500, v180
	v_dual_mov_b32 v23, s7 :: v_dual_mov_b32 v22, s6
	s_delay_alu instid0(VALU_DEP_2)
	v_cmp_gt_u32_e64 s25, s2, v20
	v_dual_mov_b32 v21, s5 :: v_dual_mov_b32 v20, s4
	s_and_saveexec_b32 s3, s25
	s_cbranch_execz .LBB255_12
; %bb.11:
	global_load_b128 v[20:23], v181, s[0:1] offset:20480
.LBB255_12:
	s_wait_alu 0xfffe
	s_or_b32 exec_lo, exec_lo, s3
	v_or_b32_e32 v24, 0x600, v180
	v_dual_mov_b32 v27, s7 :: v_dual_mov_b32 v26, s6
	s_delay_alu instid0(VALU_DEP_2)
	v_cmp_gt_u32_e64 s26, s2, v24
	v_dual_mov_b32 v25, s5 :: v_dual_mov_b32 v24, s4
	s_and_saveexec_b32 s3, s26
	s_cbranch_execz .LBB255_14
; %bb.13:
	global_load_b128 v[24:27], v181, s[0:1] offset:24576
.LBB255_14:
	s_wait_alu 0xfffe
	s_or_b32 exec_lo, exec_lo, s3
	v_or_b32_e32 v28, 0x700, v180
	v_dual_mov_b32 v31, s7 :: v_dual_mov_b32 v30, s6
	s_delay_alu instid0(VALU_DEP_2)
	v_cmp_gt_u32_e64 s27, s2, v28
	v_dual_mov_b32 v29, s5 :: v_dual_mov_b32 v28, s4
	s_and_saveexec_b32 s3, s27
	s_cbranch_execz .LBB255_16
; %bb.15:
	global_load_b128 v[28:31], v181, s[0:1] offset:28672
.LBB255_16:
	s_wait_alu 0xfffe
	s_or_b32 exec_lo, exec_lo, s3
	v_or_b32_e32 v32, 0x800, v180
	v_dual_mov_b32 v35, s7 :: v_dual_mov_b32 v34, s6
	s_delay_alu instid0(VALU_DEP_2)
	v_cmp_gt_u32_e64 s28, s2, v32
	v_dual_mov_b32 v33, s5 :: v_dual_mov_b32 v32, s4
	s_and_saveexec_b32 s3, s28
	s_cbranch_execz .LBB255_18
; %bb.17:
	global_load_b128 v[32:35], v181, s[0:1] offset:32768
.LBB255_18:
	s_wait_alu 0xfffe
	s_or_b32 exec_lo, exec_lo, s3
	v_or_b32_e32 v36, 0x900, v180
	v_dual_mov_b32 v39, s7 :: v_dual_mov_b32 v38, s6
	s_delay_alu instid0(VALU_DEP_2)
	v_cmp_gt_u32_e64 s29, s2, v36
	v_dual_mov_b32 v37, s5 :: v_dual_mov_b32 v36, s4
	s_and_saveexec_b32 s3, s29
	s_cbranch_execz .LBB255_20
; %bb.19:
	global_load_b128 v[36:39], v181, s[0:1] offset:36864
.LBB255_20:
	s_wait_alu 0xfffe
	s_or_b32 exec_lo, exec_lo, s3
	v_or_b32_e32 v40, 0xa00, v180
	s_delay_alu instid0(VALU_DEP_1)
	v_cmp_gt_u32_e64 s33, s2, v40
	v_cmp_le_u32_e32 vcc_lo, s2, v40
	s_and_saveexec_b32 s2, vcc_lo
	s_wait_alu 0xfffe
	s_xor_b32 s2, exec_lo, s2
	s_wait_alu 0xfffe
	s_or_saveexec_b32 s2, s2
	v_dual_mov_b32 v43, s7 :: v_dual_mov_b32 v42, s6
	v_dual_mov_b32 v41, s5 :: v_dual_mov_b32 v40, s4
	s_wait_alu 0xfffe
	s_xor_b32 exec_lo, exec_lo, s2
	s_cbranch_execz .LBB255_22
; %bb.21:
	v_lshlrev_b32_e32 v40, 4, v180
	global_load_b128 v[40:43], v40, s[0:1] offset:40960
.LBB255_22:
	s_or_b32 exec_lo, exec_lo, s2
	s_wait_loadcnt 0x0
	ds_store_b128 v181, v[4:7] offset:4096
	ds_store_b128 v181, v[8:11] offset:8192
	ds_store_b128 v181, v[12:15] offset:12288
	ds_store_b128 v181, v[16:19] offset:16384
	ds_store_b128 v181, v[20:23] offset:20480
	ds_store_b128 v181, v[24:27] offset:24576
	ds_store_b128 v181, v[28:31] offset:28672
	ds_store_b128 v181, v[32:35] offset:32768
	ds_store_b128 v181, v[36:39] offset:36864
	ds_store_b128 v181, v[0:3]
	ds_store_b128 v181, v[40:43] offset:40960
	v_mad_u32_u24 v0, 0xa0, v180, v181
	s_wait_dscnt 0x0
	s_barrier_signal -1
	s_barrier_wait -1
	global_inv scope:SCOPE_SE
	ds_load_b128 v[40:43], v0
	ds_load_b128 v[148:151], v0 offset:16
	ds_load_b128 v[140:143], v0 offset:32
	;; [unrolled: 1-line block ×10, first 2 shown]
	s_getpc_b64 s[34:35]
	s_sext_i32_i16 s35, s35
	s_add_co_u32 s34, s34, _ZZZZN2at6native31launch_logcumsumexp_cuda_kernelERKNS_10TensorBaseES3_lENKUlvE_clEvENKUlvE1_clEvENKUlN3c107complexIdEES8_E_clES8_S8_@rel32@lo+8
	s_add_co_ci_u32 s35, s35, _ZZZZN2at6native31launch_logcumsumexp_cuda_kernelERKNS_10TensorBaseES3_lENKUlvE_clEvENKUlvE1_clEvENKUlN3c107complexIdEES8_E_clES8_S8_@rel32@hi+16
	s_wait_loadcnt_dscnt 0x0
	s_barrier_signal -1
	s_barrier_wait -1
	global_inv scope:SCOPE_SE
	v_dual_mov_b32 v0, v40 :: v_dual_mov_b32 v1, v41
	v_dual_mov_b32 v2, v42 :: v_dual_mov_b32 v3, v43
	;; [unrolled: 1-line block ×4, first 2 shown]
	s_swappc_b64 s[30:31], s[34:35]
	v_dual_mov_b32 v4, v140 :: v_dual_mov_b32 v5, v141
	v_dual_mov_b32 v6, v142 :: v_dual_mov_b32 v7, v143
	v_dual_mov_b32 v44, v0 :: v_dual_mov_b32 v45, v1
	v_dual_mov_b32 v46, v2 :: v_dual_mov_b32 v47, v3
	s_wait_alu 0xfffe
	s_swappc_b64 s[30:31], s[34:35]
	v_dual_mov_b32 v4, v136 :: v_dual_mov_b32 v5, v137
	v_dual_mov_b32 v6, v138 :: v_dual_mov_b32 v7, v139
	v_dual_mov_b32 v72, v0 :: v_dual_mov_b32 v73, v1
	v_dual_mov_b32 v74, v2 :: v_dual_mov_b32 v75, v3
	s_wait_alu 0xfffe
	;; [unrolled: 6-line block ×9, first 2 shown]
	s_swappc_b64 s[30:31], s[34:35]
	v_dual_mov_b32 v170, v2 :: v_dual_mov_b32 v171, v3
	v_mbcnt_lo_u32_b32 v182, -1, 0
	v_dual_mov_b32 v168, v0 :: v_dual_mov_b32 v169, v1
	s_delay_alu instid0(VALU_DEP_3) | instskip(NEXT) | instid1(VALU_DEP_3)
	v_mov_b32_dpp v6, v170 row_shr:1 row_mask:0xf bank_mask:0xf
	v_dual_mov_b32 v175, v171 :: v_dual_and_b32 v176, 15, v182
	s_delay_alu instid0(VALU_DEP_3) | instskip(NEXT) | instid1(VALU_DEP_4)
	v_dual_mov_b32 v174, v170 :: v_dual_mov_b32 v173, v169
	v_mov_b32_dpp v4, v168 row_shr:1 row_mask:0xf bank_mask:0xf
	v_mov_b32_dpp v5, v169 row_shr:1 row_mask:0xf bank_mask:0xf
	;; [unrolled: 1-line block ×3, first 2 shown]
	v_mov_b32_e32 v172, v168
	s_mov_b32 s36, exec_lo
	v_cmpx_ne_u32_e32 0, v176
	s_cbranch_execz .LBB255_24
; %bb.23:
	v_dual_mov_b32 v0, v4 :: v_dual_mov_b32 v1, v5
	v_dual_mov_b32 v2, v6 :: v_dual_mov_b32 v3, v7
	;; [unrolled: 1-line block ×4, first 2 shown]
	s_wait_alu 0xfffe
	s_swappc_b64 s[30:31], s[34:35]
	v_dual_mov_b32 v172, v0 :: v_dual_mov_b32 v173, v1
	v_dual_mov_b32 v174, v2 :: v_dual_mov_b32 v175, v3
.LBB255_24:
	s_wait_alu 0xfffe
	s_or_b32 exec_lo, exec_lo, s36
	v_mov_b32_dpp v4, v0 row_shr:2 row_mask:0xf bank_mask:0xf
	v_mov_b32_dpp v5, v1 row_shr:2 row_mask:0xf bank_mask:0xf
	v_mov_b32_dpp v6, v2 row_shr:2 row_mask:0xf bank_mask:0xf
	v_mov_b32_dpp v7, v3 row_shr:2 row_mask:0xf bank_mask:0xf
	s_mov_b32 s34, exec_lo
	v_cmpx_lt_u32_e32 1, v176
	s_cbranch_execz .LBB255_26
; %bb.25:
	v_dual_mov_b32 v0, v4 :: v_dual_mov_b32 v1, v5
	v_dual_mov_b32 v2, v6 :: v_dual_mov_b32 v3, v7
	v_dual_mov_b32 v4, v172 :: v_dual_mov_b32 v5, v173
	v_dual_mov_b32 v6, v174 :: v_dual_mov_b32 v7, v175
	s_getpc_b64 s[0:1]
	s_wait_alu 0xfffe
	s_sext_i32_i16 s1, s1
	s_add_co_u32 s0, s0, _ZZZZN2at6native31launch_logcumsumexp_cuda_kernelERKNS_10TensorBaseES3_lENKUlvE_clEvENKUlvE1_clEvENKUlN3c107complexIdEES8_E_clES8_S8_@rel32@lo+12
	s_wait_alu 0xfffe
	s_add_co_ci_u32 s1, s1, _ZZZZN2at6native31launch_logcumsumexp_cuda_kernelERKNS_10TensorBaseES3_lENKUlvE_clEvENKUlvE1_clEvENKUlN3c107complexIdEES8_E_clES8_S8_@rel32@hi+24
	s_wait_alu 0xfffe
	s_swappc_b64 s[30:31], s[0:1]
	v_dual_mov_b32 v175, v3 :: v_dual_mov_b32 v174, v2
	v_dual_mov_b32 v173, v1 :: v_dual_mov_b32 v172, v0
.LBB255_26:
	s_wait_alu 0xfffe
	s_or_b32 exec_lo, exec_lo, s34
	v_mov_b32_dpp v4, v0 row_shr:4 row_mask:0xf bank_mask:0xf
	v_mov_b32_dpp v5, v1 row_shr:4 row_mask:0xf bank_mask:0xf
	v_mov_b32_dpp v6, v2 row_shr:4 row_mask:0xf bank_mask:0xf
	v_mov_b32_dpp v7, v3 row_shr:4 row_mask:0xf bank_mask:0xf
	s_mov_b32 s34, exec_lo
	v_cmpx_lt_u32_e32 3, v176
	s_cbranch_execz .LBB255_28
; %bb.27:
	v_dual_mov_b32 v0, v4 :: v_dual_mov_b32 v1, v5
	v_dual_mov_b32 v2, v6 :: v_dual_mov_b32 v3, v7
	v_dual_mov_b32 v4, v172 :: v_dual_mov_b32 v5, v173
	v_dual_mov_b32 v6, v174 :: v_dual_mov_b32 v7, v175
	s_getpc_b64 s[0:1]
	s_wait_alu 0xfffe
	s_sext_i32_i16 s1, s1
	s_add_co_u32 s0, s0, _ZZZZN2at6native31launch_logcumsumexp_cuda_kernelERKNS_10TensorBaseES3_lENKUlvE_clEvENKUlvE1_clEvENKUlN3c107complexIdEES8_E_clES8_S8_@rel32@lo+12
	s_wait_alu 0xfffe
	s_add_co_ci_u32 s1, s1, _ZZZZN2at6native31launch_logcumsumexp_cuda_kernelERKNS_10TensorBaseES3_lENKUlvE_clEvENKUlvE1_clEvENKUlN3c107complexIdEES8_E_clES8_S8_@rel32@hi+24
	s_wait_alu 0xfffe
	s_swappc_b64 s[30:31], s[0:1]
	v_dual_mov_b32 v175, v3 :: v_dual_mov_b32 v174, v2
	v_dual_mov_b32 v173, v1 :: v_dual_mov_b32 v172, v0
.LBB255_28:
	;; [unrolled: 25-line block ×3, first 2 shown]
	s_wait_alu 0xfffe
	s_or_b32 exec_lo, exec_lo, s34
	ds_swizzle_b32 v0, v0 offset:swizzle(BROADCAST,32,15)
	ds_swizzle_b32 v1, v1 offset:swizzle(BROADCAST,32,15)
	;; [unrolled: 1-line block ×4, first 2 shown]
	v_and_b32_e32 v4, 16, v182
	s_mov_b32 s34, exec_lo
	s_delay_alu instid0(VALU_DEP_1)
	v_cmpx_ne_u32_e32 0, v4
	s_cbranch_execz .LBB255_32
; %bb.31:
	v_dual_mov_b32 v4, v172 :: v_dual_mov_b32 v5, v173
	v_dual_mov_b32 v6, v174 :: v_dual_mov_b32 v7, v175
	s_getpc_b64 s[0:1]
	s_wait_alu 0xfffe
	s_sext_i32_i16 s1, s1
	s_add_co_u32 s0, s0, _ZZZZN2at6native31launch_logcumsumexp_cuda_kernelERKNS_10TensorBaseES3_lENKUlvE_clEvENKUlvE1_clEvENKUlN3c107complexIdEES8_E_clES8_S8_@rel32@lo+12
	s_wait_alu 0xfffe
	s_add_co_ci_u32 s1, s1, _ZZZZN2at6native31launch_logcumsumexp_cuda_kernelERKNS_10TensorBaseES3_lENKUlvE_clEvENKUlvE1_clEvENKUlN3c107complexIdEES8_E_clES8_S8_@rel32@hi+24
	s_wait_alu 0xfffe
	s_swappc_b64 s[30:31], s[0:1]
	v_dual_mov_b32 v172, v0 :: v_dual_mov_b32 v173, v1
	v_dual_mov_b32 v174, v2 :: v_dual_mov_b32 v175, v3
.LBB255_32:
	s_wait_alu 0xfffe
	s_or_b32 exec_lo, exec_lo, s34
	s_wait_dscnt 0x3
	v_or_b32_e32 v0, 31, v180
	v_lshrrev_b32_e32 v184, 5, v180
	s_mov_b32 s0, exec_lo
	s_delay_alu instid0(VALU_DEP_2)
	v_cmpx_eq_u32_e64 v180, v0
; %bb.33:
	s_delay_alu instid0(VALU_DEP_2)
	v_lshlrev_b32_e32 v0, 4, v184
	ds_store_b128 v0, v[172:175]
; %bb.34:
	s_wait_alu 0xfffe
	s_or_b32 exec_lo, exec_lo, s0
	s_load_b64 s[18:19], s[18:19], 0x28
	s_mov_b32 s34, exec_lo
	s_wait_storecnt_dscnt 0x0
	s_barrier_signal -1
	s_barrier_wait -1
	global_inv scope:SCOPE_SE
	v_cmpx_gt_u32_e32 8, v180
	s_cbranch_execz .LBB255_42
; %bb.35:
	ds_load_b128 v[4:7], v181
	v_and_b32_e32 v176, 7, v182
	s_mov_b32 s35, exec_lo
	s_wait_dscnt 0x0
	v_mov_b32_dpp v0, v4 row_shr:1 row_mask:0xf bank_mask:0xf
	v_mov_b32_dpp v1, v5 row_shr:1 row_mask:0xf bank_mask:0xf
	;; [unrolled: 1-line block ×4, first 2 shown]
	v_cmpx_ne_u32_e32 0, v176
	s_cbranch_execz .LBB255_37
; %bb.36:
	s_getpc_b64 s[0:1]
	s_wait_alu 0xfffe
	s_sext_i32_i16 s1, s1
	s_add_co_u32 s0, s0, _ZZZZN2at6native31launch_logcumsumexp_cuda_kernelERKNS_10TensorBaseES3_lENKUlvE_clEvENKUlvE1_clEvENKUlN3c107complexIdEES8_E_clES8_S8_@rel32@lo+12
	s_wait_alu 0xfffe
	s_add_co_ci_u32 s1, s1, _ZZZZN2at6native31launch_logcumsumexp_cuda_kernelERKNS_10TensorBaseES3_lENKUlvE_clEvENKUlvE1_clEvENKUlN3c107complexIdEES8_E_clES8_S8_@rel32@hi+24
	s_wait_alu 0xfffe
	s_swappc_b64 s[30:31], s[0:1]
	v_dual_mov_b32 v4, v0 :: v_dual_mov_b32 v5, v1
	v_dual_mov_b32 v6, v2 :: v_dual_mov_b32 v7, v3
.LBB255_37:
	s_wait_alu 0xfffe
	s_or_b32 exec_lo, exec_lo, s35
	s_delay_alu instid0(VALU_DEP_2)
	v_mov_b32_dpp v0, v4 row_shr:2 row_mask:0xf bank_mask:0xf
	v_mov_b32_dpp v1, v5 row_shr:2 row_mask:0xf bank_mask:0xf
	;; [unrolled: 1-line block ×4, first 2 shown]
	s_mov_b32 s35, exec_lo
	v_cmpx_lt_u32_e32 1, v176
	s_cbranch_execz .LBB255_39
; %bb.38:
	s_getpc_b64 s[0:1]
	s_wait_alu 0xfffe
	s_sext_i32_i16 s1, s1
	s_add_co_u32 s0, s0, _ZZZZN2at6native31launch_logcumsumexp_cuda_kernelERKNS_10TensorBaseES3_lENKUlvE_clEvENKUlvE1_clEvENKUlN3c107complexIdEES8_E_clES8_S8_@rel32@lo+12
	s_wait_alu 0xfffe
	s_add_co_ci_u32 s1, s1, _ZZZZN2at6native31launch_logcumsumexp_cuda_kernelERKNS_10TensorBaseES3_lENKUlvE_clEvENKUlvE1_clEvENKUlN3c107complexIdEES8_E_clES8_S8_@rel32@hi+24
	s_wait_alu 0xfffe
	s_swappc_b64 s[30:31], s[0:1]
	v_dual_mov_b32 v4, v0 :: v_dual_mov_b32 v5, v1
	v_dual_mov_b32 v6, v2 :: v_dual_mov_b32 v7, v3
.LBB255_39:
	s_wait_alu 0xfffe
	s_or_b32 exec_lo, exec_lo, s35
	s_delay_alu instid0(VALU_DEP_2)
	v_mov_b32_dpp v0, v4 row_shr:4 row_mask:0xf bank_mask:0xf
	v_mov_b32_dpp v1, v5 row_shr:4 row_mask:0xf bank_mask:0xf
	;; [unrolled: 1-line block ×4, first 2 shown]
	s_mov_b32 s35, exec_lo
	v_cmpx_lt_u32_e32 3, v176
	s_cbranch_execz .LBB255_41
; %bb.40:
	s_getpc_b64 s[0:1]
	s_wait_alu 0xfffe
	s_sext_i32_i16 s1, s1
	s_add_co_u32 s0, s0, _ZZZZN2at6native31launch_logcumsumexp_cuda_kernelERKNS_10TensorBaseES3_lENKUlvE_clEvENKUlvE1_clEvENKUlN3c107complexIdEES8_E_clES8_S8_@rel32@lo+12
	s_wait_alu 0xfffe
	s_add_co_ci_u32 s1, s1, _ZZZZN2at6native31launch_logcumsumexp_cuda_kernelERKNS_10TensorBaseES3_lENKUlvE_clEvENKUlvE1_clEvENKUlN3c107complexIdEES8_E_clES8_S8_@rel32@hi+24
	s_wait_alu 0xfffe
	s_swappc_b64 s[30:31], s[0:1]
	v_dual_mov_b32 v4, v0 :: v_dual_mov_b32 v5, v1
	v_dual_mov_b32 v6, v2 :: v_dual_mov_b32 v7, v3
.LBB255_41:
	s_wait_alu 0xfffe
	s_or_b32 exec_lo, exec_lo, s35
	ds_store_b128 v181, v[4:7]
.LBB255_42:
	s_wait_alu 0xfffe
	s_or_b32 exec_lo, exec_lo, s34
	v_mov_b32_e32 v178, 0
	v_dual_mov_b32 v179, 0 :: v_dual_mov_b32 v176, 0
	v_mul_u32_u24_e32 v183, 0xa0, v180
	v_mov_b32_e32 v177, 0
	s_mov_b32 s34, exec_lo
	s_wait_storecnt 0x0
	s_wait_loadcnt_dscnt 0x0
	s_barrier_signal -1
	s_barrier_wait -1
	global_inv scope:SCOPE_SE
	v_cmpx_lt_u32_e32 31, v180
	s_cbranch_execz .LBB255_44
; %bb.43:
	v_lshl_add_u32 v0, v184, 4, -16
	v_dual_mov_b32 v4, v172 :: v_dual_mov_b32 v5, v173
	s_getpc_b64 s[0:1]
	s_wait_alu 0xfffe
	s_sext_i32_i16 s1, s1
	s_add_co_u32 s0, s0, _ZZZZN2at6native31launch_logcumsumexp_cuda_kernelERKNS_10TensorBaseES3_lENKUlvE_clEvENKUlvE1_clEvENKUlN3c107complexIdEES8_E_clES8_S8_@rel32@lo+12
	s_wait_alu 0xfffe
	s_add_co_ci_u32 s1, s1, _ZZZZN2at6native31launch_logcumsumexp_cuda_kernelERKNS_10TensorBaseES3_lENKUlvE_clEvENKUlvE1_clEvENKUlN3c107complexIdEES8_E_clES8_S8_@rel32@hi+24
	v_mov_b32_e32 v7, v175
	ds_load_b128 v[176:179], v0
	s_wait_dscnt 0x0
	v_dual_mov_b32 v6, v174 :: v_dual_mov_b32 v1, v177
	v_dual_mov_b32 v0, v176 :: v_dual_mov_b32 v3, v179
	v_mov_b32_e32 v2, v178
	s_wait_alu 0xfffe
	s_swappc_b64 s[30:31], s[0:1]
	s_delay_alu instid0(VALU_DEP_2) | instskip(NEXT) | instid1(VALU_DEP_2)
	v_dual_mov_b32 v172, v0 :: v_dual_mov_b32 v173, v1
	v_dual_mov_b32 v174, v2 :: v_dual_mov_b32 v175, v3
.LBB255_44:
	s_wait_alu 0xfffe
	s_or_b32 exec_lo, exec_lo, s34
	v_add_nc_u32_e32 v0, -1, v182
	s_mov_b32 s36, exec_lo
	s_delay_alu instid0(VALU_DEP_1) | instskip(SKIP_2) | instid1(VALU_DEP_1)
	v_cmp_gt_i32_e32 vcc_lo, 0, v0
	s_wait_alu 0xfffd
	v_cndmask_b32_e32 v0, v0, v182, vcc_lo
	v_lshlrev_b32_e32 v3, 2, v0
	ds_bpermute_b32 v0, v3, v172
	ds_bpermute_b32 v1, v3, v173
	;; [unrolled: 1-line block ×4, first 2 shown]
	v_cmpx_ne_u32_e32 0, v180
	s_cbranch_execz .LBB255_46
; %bb.45:
	v_cmp_eq_u32_e32 vcc_lo, 0, v182
	v_dual_mov_b32 v4, v40 :: v_dual_mov_b32 v5, v41
	v_dual_mov_b32 v6, v42 :: v_dual_mov_b32 v7, v43
	s_wait_dscnt 0x2
	s_wait_alu 0xfffd
	v_dual_cndmask_b32 v0, v0, v176 :: v_dual_cndmask_b32 v1, v1, v177
	s_wait_dscnt 0x0
	v_dual_cndmask_b32 v2, v2, v178 :: v_dual_cndmask_b32 v3, v3, v179
	s_getpc_b64 s[34:35]
	s_wait_alu 0xfffe
	s_sext_i32_i16 s35, s35
	s_add_co_u32 s34, s34, _ZZZZN2at6native31launch_logcumsumexp_cuda_kernelERKNS_10TensorBaseES3_lENKUlvE_clEvENKUlvE1_clEvENKUlN3c107complexIdEES8_E_clES8_S8_@rel32@lo+12
	s_wait_alu 0xfffe
	s_add_co_ci_u32 s35, s35, _ZZZZN2at6native31launch_logcumsumexp_cuda_kernelERKNS_10TensorBaseES3_lENKUlvE_clEvENKUlvE1_clEvENKUlN3c107complexIdEES8_E_clES8_S8_@rel32@hi+24
	s_wait_alu 0xfffe
	s_swappc_b64 s[30:31], s[34:35]
	v_dual_mov_b32 v4, v148 :: v_dual_mov_b32 v5, v149
	v_dual_mov_b32 v6, v150 :: v_dual_mov_b32 v7, v151
	;; [unrolled: 1-line block ×4, first 2 shown]
	;;#ASMSTART
	;;#ASMEND
	s_wait_alu 0xfffe
	s_swappc_b64 s[30:31], s[34:35]
	v_dual_mov_b32 v4, v140 :: v_dual_mov_b32 v5, v141
	v_dual_mov_b32 v6, v142 :: v_dual_mov_b32 v7, v143
	v_dual_mov_b32 v44, v0 :: v_dual_mov_b32 v45, v1
	v_dual_mov_b32 v46, v2 :: v_dual_mov_b32 v47, v3
	s_wait_alu 0xfffe
	s_swappc_b64 s[30:31], s[34:35]
	v_dual_mov_b32 v4, v136 :: v_dual_mov_b32 v5, v137
	v_dual_mov_b32 v6, v138 :: v_dual_mov_b32 v7, v139
	v_dual_mov_b32 v72, v0 :: v_dual_mov_b32 v73, v1
	v_dual_mov_b32 v74, v2 :: v_dual_mov_b32 v75, v3
	;; [unrolled: 6-line block ×9, first 2 shown]
	s_wait_alu 0xfffe
	s_swappc_b64 s[30:31], s[34:35]
	v_dual_mov_b32 v168, v0 :: v_dual_mov_b32 v169, v1
	v_dual_mov_b32 v170, v2 :: v_dual_mov_b32 v171, v3
.LBB255_46:
	s_wait_alu 0xfffe
	s_or_b32 exec_lo, exec_lo, s36
	s_wait_dscnt 0x3
	v_add_nc_u32_e32 v0, v181, v183
	s_wait_storecnt 0x0
	s_wait_loadcnt_dscnt 0x0
	s_barrier_signal -1
	s_barrier_wait -1
	global_inv scope:SCOPE_SE
	ds_store_b128 v0, v[40:43]
	ds_store_b128 v0, v[44:47] offset:16
	ds_store_b128 v0, v[72:75] offset:32
	;; [unrolled: 1-line block ×10, first 2 shown]
	s_wait_loadcnt_dscnt 0x0
	s_barrier_signal -1
	s_barrier_wait -1
	global_inv scope:SCOPE_SE
	ds_load_b128 v[32:35], v181 offset:8192
	ds_load_b128 v[28:31], v181 offset:12288
	;; [unrolled: 1-line block ×10, first 2 shown]
	v_lshlrev_b32_e32 v40, 4, v180
	s_wait_kmcnt 0x0
	s_delay_alu instid0(VALU_DEP_1)
	v_add_co_u32 v40, s0, s18, v40
	s_wait_alu 0xf1ff
	v_add_co_ci_u32_e64 v41, null, s19, 0, s0
	s_and_saveexec_b32 s0, s20
	s_cbranch_execnz .LBB255_58
; %bb.47:
	s_wait_alu 0xfffe
	s_or_b32 exec_lo, exec_lo, s0
	s_and_saveexec_b32 s0, s21
	s_cbranch_execnz .LBB255_59
.LBB255_48:
	s_wait_alu 0xfffe
	s_or_b32 exec_lo, exec_lo, s0
	s_and_saveexec_b32 s0, s22
	s_cbranch_execnz .LBB255_60
.LBB255_49:
	s_wait_alu 0xfffe
	s_or_b32 exec_lo, exec_lo, s0
	s_and_saveexec_b32 s0, s23
	s_cbranch_execnz .LBB255_61
.LBB255_50:
	s_wait_alu 0xfffe
	s_or_b32 exec_lo, exec_lo, s0
	s_and_saveexec_b32 s0, s24
	s_cbranch_execnz .LBB255_62
.LBB255_51:
	s_wait_alu 0xfffe
	s_or_b32 exec_lo, exec_lo, s0
	s_and_saveexec_b32 s0, s25
	s_cbranch_execnz .LBB255_63
.LBB255_52:
	s_wait_alu 0xfffe
	s_or_b32 exec_lo, exec_lo, s0
	s_and_saveexec_b32 s0, s26
	s_cbranch_execnz .LBB255_64
.LBB255_53:
	s_wait_alu 0xfffe
	s_or_b32 exec_lo, exec_lo, s0
	s_and_saveexec_b32 s0, s27
	s_cbranch_execnz .LBB255_65
.LBB255_54:
	s_wait_alu 0xfffe
	s_or_b32 exec_lo, exec_lo, s0
	s_and_saveexec_b32 s0, s28
	s_cbranch_execnz .LBB255_66
.LBB255_55:
	s_wait_alu 0xfffe
	s_or_b32 exec_lo, exec_lo, s0
	s_and_saveexec_b32 s0, s29
	s_cbranch_execnz .LBB255_67
.LBB255_56:
	s_wait_alu 0xfffe
	s_or_b32 exec_lo, exec_lo, s0
	s_and_saveexec_b32 s0, s33
	s_cbranch_execnz .LBB255_68
.LBB255_57:
	s_nop 0
	s_sendmsg sendmsg(MSG_DEALLOC_VGPRS)
	s_endpgm
.LBB255_58:
	ds_load_b128 v[42:45], v181
	s_wait_dscnt 0x0
	global_store_b128 v[40:41], v[42:45], off
	s_wait_alu 0xfffe
	s_or_b32 exec_lo, exec_lo, s0
	s_and_saveexec_b32 s0, s21
	s_cbranch_execz .LBB255_48
.LBB255_59:
	s_wait_dscnt 0x1
	global_store_b128 v[40:41], v[36:39], off offset:4096
	s_wait_alu 0xfffe
	s_or_b32 exec_lo, exec_lo, s0
	s_and_saveexec_b32 s0, s22
	s_cbranch_execz .LBB255_49
.LBB255_60:
	s_wait_dscnt 0x9
	global_store_b128 v[40:41], v[32:35], off offset:8192
	s_wait_alu 0xfffe
	s_or_b32 exec_lo, exec_lo, s0
	s_and_saveexec_b32 s0, s23
	s_cbranch_execz .LBB255_50
.LBB255_61:
	s_wait_dscnt 0x8
	global_store_b128 v[40:41], v[28:31], off offset:12288
	s_wait_alu 0xfffe
	s_or_b32 exec_lo, exec_lo, s0
	s_and_saveexec_b32 s0, s24
	s_cbranch_execz .LBB255_51
.LBB255_62:
	s_wait_dscnt 0x7
	global_store_b128 v[40:41], v[24:27], off offset:16384
	s_wait_alu 0xfffe
	s_or_b32 exec_lo, exec_lo, s0
	s_and_saveexec_b32 s0, s25
	s_cbranch_execz .LBB255_52
.LBB255_63:
	s_wait_dscnt 0x6
	global_store_b128 v[40:41], v[20:23], off offset:20480
	s_wait_alu 0xfffe
	s_or_b32 exec_lo, exec_lo, s0
	s_and_saveexec_b32 s0, s26
	s_cbranch_execz .LBB255_53
.LBB255_64:
	s_wait_dscnt 0x5
	global_store_b128 v[40:41], v[16:19], off offset:24576
	s_wait_alu 0xfffe
	s_or_b32 exec_lo, exec_lo, s0
	s_and_saveexec_b32 s0, s27
	s_cbranch_execz .LBB255_54
.LBB255_65:
	s_wait_dscnt 0x4
	global_store_b128 v[40:41], v[12:15], off offset:28672
	s_wait_alu 0xfffe
	s_or_b32 exec_lo, exec_lo, s0
	s_and_saveexec_b32 s0, s28
	s_cbranch_execz .LBB255_55
.LBB255_66:
	s_wait_dscnt 0x3
	global_store_b128 v[40:41], v[8:11], off offset:32768
	s_wait_alu 0xfffe
	s_or_b32 exec_lo, exec_lo, s0
	s_and_saveexec_b32 s0, s29
	s_cbranch_execz .LBB255_56
.LBB255_67:
	s_wait_dscnt 0x2
	global_store_b128 v[40:41], v[4:7], off offset:36864
	s_wait_alu 0xfffe
	s_or_b32 exec_lo, exec_lo, s0
	s_and_saveexec_b32 s0, s33
	s_cbranch_execz .LBB255_57
.LBB255_68:
	s_wait_dscnt 0x0
	global_store_b128 v[40:41], v[0:3], off offset:40960
	s_nop 0
	s_sendmsg sendmsg(MSG_DEALLOC_VGPRS)
	s_endpgm
	.section	.rodata,"a",@progbits
	.p2align	6, 0x0
	.amdhsa_kernel _ZN7rocprim17ROCPRIM_400000_NS6detail17trampoline_kernelINS0_14default_configENS1_20scan_config_selectorIN3c107complexIdEEEEZZNS1_9scan_implILNS1_25lookback_scan_determinismE0ELb0ELb0ES3_PKS7_PS7_S7_ZZZN2at6native31launch_logcumsumexp_cuda_kernelERKNSE_10TensorBaseESI_lENKUlvE_clEvENKUlvE1_clEvEUlS7_S7_E_S7_EEDaPvRmT3_T4_T5_mT6_P12ihipStream_tbENKUlT_T0_E_clISt17integral_constantIbLb0EESY_IbLb1EEEEDaSU_SV_EUlSU_E0_NS1_11comp_targetILNS1_3genE10ELNS1_11target_archE1201ELNS1_3gpuE5ELNS1_3repE0EEENS1_30default_config_static_selectorELNS0_4arch9wavefront6targetE0EEEvT1_
		.amdhsa_group_segment_fixed_size 45056
		.amdhsa_private_segment_fixed_size 0
		.amdhsa_kernarg_size 48
		.amdhsa_user_sgpr_count 2
		.amdhsa_user_sgpr_dispatch_ptr 0
		.amdhsa_user_sgpr_queue_ptr 0
		.amdhsa_user_sgpr_kernarg_segment_ptr 1
		.amdhsa_user_sgpr_dispatch_id 0
		.amdhsa_user_sgpr_private_segment_size 0
		.amdhsa_wavefront_size32 1
		.amdhsa_uses_dynamic_stack 0
		.amdhsa_enable_private_segment 0
		.amdhsa_system_sgpr_workgroup_id_x 1
		.amdhsa_system_sgpr_workgroup_id_y 0
		.amdhsa_system_sgpr_workgroup_id_z 0
		.amdhsa_system_sgpr_workgroup_info 0
		.amdhsa_system_vgpr_workitem_id 0
		.amdhsa_next_free_vgpr 241
		.amdhsa_next_free_sgpr 37
		.amdhsa_reserve_vcc 1
		.amdhsa_float_round_mode_32 0
		.amdhsa_float_round_mode_16_64 0
		.amdhsa_float_denorm_mode_32 3
		.amdhsa_float_denorm_mode_16_64 3
		.amdhsa_fp16_overflow 0
		.amdhsa_workgroup_processor_mode 1
		.amdhsa_memory_ordered 1
		.amdhsa_forward_progress 1
		.amdhsa_inst_pref_size 33
		.amdhsa_round_robin_scheduling 0
		.amdhsa_exception_fp_ieee_invalid_op 0
		.amdhsa_exception_fp_denorm_src 0
		.amdhsa_exception_fp_ieee_div_zero 0
		.amdhsa_exception_fp_ieee_overflow 0
		.amdhsa_exception_fp_ieee_underflow 0
		.amdhsa_exception_fp_ieee_inexact 0
		.amdhsa_exception_int_div_zero 0
	.end_amdhsa_kernel
	.section	.text._ZN7rocprim17ROCPRIM_400000_NS6detail17trampoline_kernelINS0_14default_configENS1_20scan_config_selectorIN3c107complexIdEEEEZZNS1_9scan_implILNS1_25lookback_scan_determinismE0ELb0ELb0ES3_PKS7_PS7_S7_ZZZN2at6native31launch_logcumsumexp_cuda_kernelERKNSE_10TensorBaseESI_lENKUlvE_clEvENKUlvE1_clEvEUlS7_S7_E_S7_EEDaPvRmT3_T4_T5_mT6_P12ihipStream_tbENKUlT_T0_E_clISt17integral_constantIbLb0EESY_IbLb1EEEEDaSU_SV_EUlSU_E0_NS1_11comp_targetILNS1_3genE10ELNS1_11target_archE1201ELNS1_3gpuE5ELNS1_3repE0EEENS1_30default_config_static_selectorELNS0_4arch9wavefront6targetE0EEEvT1_,"axG",@progbits,_ZN7rocprim17ROCPRIM_400000_NS6detail17trampoline_kernelINS0_14default_configENS1_20scan_config_selectorIN3c107complexIdEEEEZZNS1_9scan_implILNS1_25lookback_scan_determinismE0ELb0ELb0ES3_PKS7_PS7_S7_ZZZN2at6native31launch_logcumsumexp_cuda_kernelERKNSE_10TensorBaseESI_lENKUlvE_clEvENKUlvE1_clEvEUlS7_S7_E_S7_EEDaPvRmT3_T4_T5_mT6_P12ihipStream_tbENKUlT_T0_E_clISt17integral_constantIbLb0EESY_IbLb1EEEEDaSU_SV_EUlSU_E0_NS1_11comp_targetILNS1_3genE10ELNS1_11target_archE1201ELNS1_3gpuE5ELNS1_3repE0EEENS1_30default_config_static_selectorELNS0_4arch9wavefront6targetE0EEEvT1_,comdat
.Lfunc_end255:
	.size	_ZN7rocprim17ROCPRIM_400000_NS6detail17trampoline_kernelINS0_14default_configENS1_20scan_config_selectorIN3c107complexIdEEEEZZNS1_9scan_implILNS1_25lookback_scan_determinismE0ELb0ELb0ES3_PKS7_PS7_S7_ZZZN2at6native31launch_logcumsumexp_cuda_kernelERKNSE_10TensorBaseESI_lENKUlvE_clEvENKUlvE1_clEvEUlS7_S7_E_S7_EEDaPvRmT3_T4_T5_mT6_P12ihipStream_tbENKUlT_T0_E_clISt17integral_constantIbLb0EESY_IbLb1EEEEDaSU_SV_EUlSU_E0_NS1_11comp_targetILNS1_3genE10ELNS1_11target_archE1201ELNS1_3gpuE5ELNS1_3repE0EEENS1_30default_config_static_selectorELNS0_4arch9wavefront6targetE0EEEvT1_, .Lfunc_end255-_ZN7rocprim17ROCPRIM_400000_NS6detail17trampoline_kernelINS0_14default_configENS1_20scan_config_selectorIN3c107complexIdEEEEZZNS1_9scan_implILNS1_25lookback_scan_determinismE0ELb0ELb0ES3_PKS7_PS7_S7_ZZZN2at6native31launch_logcumsumexp_cuda_kernelERKNSE_10TensorBaseESI_lENKUlvE_clEvENKUlvE1_clEvEUlS7_S7_E_S7_EEDaPvRmT3_T4_T5_mT6_P12ihipStream_tbENKUlT_T0_E_clISt17integral_constantIbLb0EESY_IbLb1EEEEDaSU_SV_EUlSU_E0_NS1_11comp_targetILNS1_3genE10ELNS1_11target_archE1201ELNS1_3gpuE5ELNS1_3repE0EEENS1_30default_config_static_selectorELNS0_4arch9wavefront6targetE0EEEvT1_
                                        ; -- End function
	.set _ZN7rocprim17ROCPRIM_400000_NS6detail17trampoline_kernelINS0_14default_configENS1_20scan_config_selectorIN3c107complexIdEEEEZZNS1_9scan_implILNS1_25lookback_scan_determinismE0ELb0ELb0ES3_PKS7_PS7_S7_ZZZN2at6native31launch_logcumsumexp_cuda_kernelERKNSE_10TensorBaseESI_lENKUlvE_clEvENKUlvE1_clEvEUlS7_S7_E_S7_EEDaPvRmT3_T4_T5_mT6_P12ihipStream_tbENKUlT_T0_E_clISt17integral_constantIbLb0EESY_IbLb1EEEEDaSU_SV_EUlSU_E0_NS1_11comp_targetILNS1_3genE10ELNS1_11target_archE1201ELNS1_3gpuE5ELNS1_3repE0EEENS1_30default_config_static_selectorELNS0_4arch9wavefront6targetE0EEEvT1_.num_vgpr, max(185, .L_ZZZZN2at6native31launch_logcumsumexp_cuda_kernelERKNS_10TensorBaseES3_lENKUlvE_clEvENKUlvE1_clEvENKUlN3c107complexIdEES8_E_clES8_S8_.num_vgpr)
	.set _ZN7rocprim17ROCPRIM_400000_NS6detail17trampoline_kernelINS0_14default_configENS1_20scan_config_selectorIN3c107complexIdEEEEZZNS1_9scan_implILNS1_25lookback_scan_determinismE0ELb0ELb0ES3_PKS7_PS7_S7_ZZZN2at6native31launch_logcumsumexp_cuda_kernelERKNSE_10TensorBaseESI_lENKUlvE_clEvENKUlvE1_clEvEUlS7_S7_E_S7_EEDaPvRmT3_T4_T5_mT6_P12ihipStream_tbENKUlT_T0_E_clISt17integral_constantIbLb0EESY_IbLb1EEEEDaSU_SV_EUlSU_E0_NS1_11comp_targetILNS1_3genE10ELNS1_11target_archE1201ELNS1_3gpuE5ELNS1_3repE0EEENS1_30default_config_static_selectorELNS0_4arch9wavefront6targetE0EEEvT1_.num_agpr, max(0, .L_ZZZZN2at6native31launch_logcumsumexp_cuda_kernelERKNS_10TensorBaseES3_lENKUlvE_clEvENKUlvE1_clEvENKUlN3c107complexIdEES8_E_clES8_S8_.num_agpr)
	.set _ZN7rocprim17ROCPRIM_400000_NS6detail17trampoline_kernelINS0_14default_configENS1_20scan_config_selectorIN3c107complexIdEEEEZZNS1_9scan_implILNS1_25lookback_scan_determinismE0ELb0ELb0ES3_PKS7_PS7_S7_ZZZN2at6native31launch_logcumsumexp_cuda_kernelERKNSE_10TensorBaseESI_lENKUlvE_clEvENKUlvE1_clEvEUlS7_S7_E_S7_EEDaPvRmT3_T4_T5_mT6_P12ihipStream_tbENKUlT_T0_E_clISt17integral_constantIbLb0EESY_IbLb1EEEEDaSU_SV_EUlSU_E0_NS1_11comp_targetILNS1_3genE10ELNS1_11target_archE1201ELNS1_3gpuE5ELNS1_3repE0EEENS1_30default_config_static_selectorELNS0_4arch9wavefront6targetE0EEEvT1_.numbered_sgpr, max(37, .L_ZZZZN2at6native31launch_logcumsumexp_cuda_kernelERKNS_10TensorBaseES3_lENKUlvE_clEvENKUlvE1_clEvENKUlN3c107complexIdEES8_E_clES8_S8_.numbered_sgpr)
	.set _ZN7rocprim17ROCPRIM_400000_NS6detail17trampoline_kernelINS0_14default_configENS1_20scan_config_selectorIN3c107complexIdEEEEZZNS1_9scan_implILNS1_25lookback_scan_determinismE0ELb0ELb0ES3_PKS7_PS7_S7_ZZZN2at6native31launch_logcumsumexp_cuda_kernelERKNSE_10TensorBaseESI_lENKUlvE_clEvENKUlvE1_clEvEUlS7_S7_E_S7_EEDaPvRmT3_T4_T5_mT6_P12ihipStream_tbENKUlT_T0_E_clISt17integral_constantIbLb0EESY_IbLb1EEEEDaSU_SV_EUlSU_E0_NS1_11comp_targetILNS1_3genE10ELNS1_11target_archE1201ELNS1_3gpuE5ELNS1_3repE0EEENS1_30default_config_static_selectorELNS0_4arch9wavefront6targetE0EEEvT1_.num_named_barrier, max(0, .L_ZZZZN2at6native31launch_logcumsumexp_cuda_kernelERKNS_10TensorBaseES3_lENKUlvE_clEvENKUlvE1_clEvENKUlN3c107complexIdEES8_E_clES8_S8_.num_named_barrier)
	.set _ZN7rocprim17ROCPRIM_400000_NS6detail17trampoline_kernelINS0_14default_configENS1_20scan_config_selectorIN3c107complexIdEEEEZZNS1_9scan_implILNS1_25lookback_scan_determinismE0ELb0ELb0ES3_PKS7_PS7_S7_ZZZN2at6native31launch_logcumsumexp_cuda_kernelERKNSE_10TensorBaseESI_lENKUlvE_clEvENKUlvE1_clEvEUlS7_S7_E_S7_EEDaPvRmT3_T4_T5_mT6_P12ihipStream_tbENKUlT_T0_E_clISt17integral_constantIbLb0EESY_IbLb1EEEEDaSU_SV_EUlSU_E0_NS1_11comp_targetILNS1_3genE10ELNS1_11target_archE1201ELNS1_3gpuE5ELNS1_3repE0EEENS1_30default_config_static_selectorELNS0_4arch9wavefront6targetE0EEEvT1_.private_seg_size, 0+max(.L_ZZZZN2at6native31launch_logcumsumexp_cuda_kernelERKNS_10TensorBaseES3_lENKUlvE_clEvENKUlvE1_clEvENKUlN3c107complexIdEES8_E_clES8_S8_.private_seg_size)
	.set _ZN7rocprim17ROCPRIM_400000_NS6detail17trampoline_kernelINS0_14default_configENS1_20scan_config_selectorIN3c107complexIdEEEEZZNS1_9scan_implILNS1_25lookback_scan_determinismE0ELb0ELb0ES3_PKS7_PS7_S7_ZZZN2at6native31launch_logcumsumexp_cuda_kernelERKNSE_10TensorBaseESI_lENKUlvE_clEvENKUlvE1_clEvEUlS7_S7_E_S7_EEDaPvRmT3_T4_T5_mT6_P12ihipStream_tbENKUlT_T0_E_clISt17integral_constantIbLb0EESY_IbLb1EEEEDaSU_SV_EUlSU_E0_NS1_11comp_targetILNS1_3genE10ELNS1_11target_archE1201ELNS1_3gpuE5ELNS1_3repE0EEENS1_30default_config_static_selectorELNS0_4arch9wavefront6targetE0EEEvT1_.uses_vcc, or(1, .L_ZZZZN2at6native31launch_logcumsumexp_cuda_kernelERKNS_10TensorBaseES3_lENKUlvE_clEvENKUlvE1_clEvENKUlN3c107complexIdEES8_E_clES8_S8_.uses_vcc)
	.set _ZN7rocprim17ROCPRIM_400000_NS6detail17trampoline_kernelINS0_14default_configENS1_20scan_config_selectorIN3c107complexIdEEEEZZNS1_9scan_implILNS1_25lookback_scan_determinismE0ELb0ELb0ES3_PKS7_PS7_S7_ZZZN2at6native31launch_logcumsumexp_cuda_kernelERKNSE_10TensorBaseESI_lENKUlvE_clEvENKUlvE1_clEvEUlS7_S7_E_S7_EEDaPvRmT3_T4_T5_mT6_P12ihipStream_tbENKUlT_T0_E_clISt17integral_constantIbLb0EESY_IbLb1EEEEDaSU_SV_EUlSU_E0_NS1_11comp_targetILNS1_3genE10ELNS1_11target_archE1201ELNS1_3gpuE5ELNS1_3repE0EEENS1_30default_config_static_selectorELNS0_4arch9wavefront6targetE0EEEvT1_.uses_flat_scratch, or(0, .L_ZZZZN2at6native31launch_logcumsumexp_cuda_kernelERKNS_10TensorBaseES3_lENKUlvE_clEvENKUlvE1_clEvENKUlN3c107complexIdEES8_E_clES8_S8_.uses_flat_scratch)
	.set _ZN7rocprim17ROCPRIM_400000_NS6detail17trampoline_kernelINS0_14default_configENS1_20scan_config_selectorIN3c107complexIdEEEEZZNS1_9scan_implILNS1_25lookback_scan_determinismE0ELb0ELb0ES3_PKS7_PS7_S7_ZZZN2at6native31launch_logcumsumexp_cuda_kernelERKNSE_10TensorBaseESI_lENKUlvE_clEvENKUlvE1_clEvEUlS7_S7_E_S7_EEDaPvRmT3_T4_T5_mT6_P12ihipStream_tbENKUlT_T0_E_clISt17integral_constantIbLb0EESY_IbLb1EEEEDaSU_SV_EUlSU_E0_NS1_11comp_targetILNS1_3genE10ELNS1_11target_archE1201ELNS1_3gpuE5ELNS1_3repE0EEENS1_30default_config_static_selectorELNS0_4arch9wavefront6targetE0EEEvT1_.has_dyn_sized_stack, or(0, .L_ZZZZN2at6native31launch_logcumsumexp_cuda_kernelERKNS_10TensorBaseES3_lENKUlvE_clEvENKUlvE1_clEvENKUlN3c107complexIdEES8_E_clES8_S8_.has_dyn_sized_stack)
	.set _ZN7rocprim17ROCPRIM_400000_NS6detail17trampoline_kernelINS0_14default_configENS1_20scan_config_selectorIN3c107complexIdEEEEZZNS1_9scan_implILNS1_25lookback_scan_determinismE0ELb0ELb0ES3_PKS7_PS7_S7_ZZZN2at6native31launch_logcumsumexp_cuda_kernelERKNSE_10TensorBaseESI_lENKUlvE_clEvENKUlvE1_clEvEUlS7_S7_E_S7_EEDaPvRmT3_T4_T5_mT6_P12ihipStream_tbENKUlT_T0_E_clISt17integral_constantIbLb0EESY_IbLb1EEEEDaSU_SV_EUlSU_E0_NS1_11comp_targetILNS1_3genE10ELNS1_11target_archE1201ELNS1_3gpuE5ELNS1_3repE0EEENS1_30default_config_static_selectorELNS0_4arch9wavefront6targetE0EEEvT1_.has_recursion, or(0, .L_ZZZZN2at6native31launch_logcumsumexp_cuda_kernelERKNS_10TensorBaseES3_lENKUlvE_clEvENKUlvE1_clEvENKUlN3c107complexIdEES8_E_clES8_S8_.has_recursion)
	.set _ZN7rocprim17ROCPRIM_400000_NS6detail17trampoline_kernelINS0_14default_configENS1_20scan_config_selectorIN3c107complexIdEEEEZZNS1_9scan_implILNS1_25lookback_scan_determinismE0ELb0ELb0ES3_PKS7_PS7_S7_ZZZN2at6native31launch_logcumsumexp_cuda_kernelERKNSE_10TensorBaseESI_lENKUlvE_clEvENKUlvE1_clEvEUlS7_S7_E_S7_EEDaPvRmT3_T4_T5_mT6_P12ihipStream_tbENKUlT_T0_E_clISt17integral_constantIbLb0EESY_IbLb1EEEEDaSU_SV_EUlSU_E0_NS1_11comp_targetILNS1_3genE10ELNS1_11target_archE1201ELNS1_3gpuE5ELNS1_3repE0EEENS1_30default_config_static_selectorELNS0_4arch9wavefront6targetE0EEEvT1_.has_indirect_call, or(0, .L_ZZZZN2at6native31launch_logcumsumexp_cuda_kernelERKNS_10TensorBaseES3_lENKUlvE_clEvENKUlvE1_clEvENKUlN3c107complexIdEES8_E_clES8_S8_.has_indirect_call)
	.section	.AMDGPU.csdata,"",@progbits
; Kernel info:
; codeLenInByte = 4156
; TotalNumSgprs: 39
; NumVgprs: 185
; ScratchSize: 0
; MemoryBound: 1
; FloatMode: 240
; IeeeMode: 1
; LDSByteSize: 45056 bytes/workgroup (compile time only)
; SGPRBlocks: 0
; VGPRBlocks: 30
; NumSGPRsForWavesPerEU: 39
; NumVGPRsForWavesPerEU: 241
; Occupancy: 4
; WaveLimiterHint : 0
; COMPUTE_PGM_RSRC2:SCRATCH_EN: 0
; COMPUTE_PGM_RSRC2:USER_SGPR: 2
; COMPUTE_PGM_RSRC2:TRAP_HANDLER: 0
; COMPUTE_PGM_RSRC2:TGID_X_EN: 1
; COMPUTE_PGM_RSRC2:TGID_Y_EN: 0
; COMPUTE_PGM_RSRC2:TGID_Z_EN: 0
; COMPUTE_PGM_RSRC2:TIDIG_COMP_CNT: 0
	.section	.text._ZN7rocprim17ROCPRIM_400000_NS6detail17trampoline_kernelINS0_14default_configENS1_20scan_config_selectorIN3c107complexIdEEEEZZNS1_9scan_implILNS1_25lookback_scan_determinismE0ELb0ELb0ES3_PKS7_PS7_S7_ZZZN2at6native31launch_logcumsumexp_cuda_kernelERKNSE_10TensorBaseESI_lENKUlvE_clEvENKUlvE1_clEvEUlS7_S7_E_S7_EEDaPvRmT3_T4_T5_mT6_P12ihipStream_tbENKUlT_T0_E_clISt17integral_constantIbLb0EESY_IbLb1EEEEDaSU_SV_EUlSU_E0_NS1_11comp_targetILNS1_3genE10ELNS1_11target_archE1200ELNS1_3gpuE4ELNS1_3repE0EEENS1_30default_config_static_selectorELNS0_4arch9wavefront6targetE0EEEvT1_,"axG",@progbits,_ZN7rocprim17ROCPRIM_400000_NS6detail17trampoline_kernelINS0_14default_configENS1_20scan_config_selectorIN3c107complexIdEEEEZZNS1_9scan_implILNS1_25lookback_scan_determinismE0ELb0ELb0ES3_PKS7_PS7_S7_ZZZN2at6native31launch_logcumsumexp_cuda_kernelERKNSE_10TensorBaseESI_lENKUlvE_clEvENKUlvE1_clEvEUlS7_S7_E_S7_EEDaPvRmT3_T4_T5_mT6_P12ihipStream_tbENKUlT_T0_E_clISt17integral_constantIbLb0EESY_IbLb1EEEEDaSU_SV_EUlSU_E0_NS1_11comp_targetILNS1_3genE10ELNS1_11target_archE1200ELNS1_3gpuE4ELNS1_3repE0EEENS1_30default_config_static_selectorELNS0_4arch9wavefront6targetE0EEEvT1_,comdat
	.globl	_ZN7rocprim17ROCPRIM_400000_NS6detail17trampoline_kernelINS0_14default_configENS1_20scan_config_selectorIN3c107complexIdEEEEZZNS1_9scan_implILNS1_25lookback_scan_determinismE0ELb0ELb0ES3_PKS7_PS7_S7_ZZZN2at6native31launch_logcumsumexp_cuda_kernelERKNSE_10TensorBaseESI_lENKUlvE_clEvENKUlvE1_clEvEUlS7_S7_E_S7_EEDaPvRmT3_T4_T5_mT6_P12ihipStream_tbENKUlT_T0_E_clISt17integral_constantIbLb0EESY_IbLb1EEEEDaSU_SV_EUlSU_E0_NS1_11comp_targetILNS1_3genE10ELNS1_11target_archE1200ELNS1_3gpuE4ELNS1_3repE0EEENS1_30default_config_static_selectorELNS0_4arch9wavefront6targetE0EEEvT1_ ; -- Begin function _ZN7rocprim17ROCPRIM_400000_NS6detail17trampoline_kernelINS0_14default_configENS1_20scan_config_selectorIN3c107complexIdEEEEZZNS1_9scan_implILNS1_25lookback_scan_determinismE0ELb0ELb0ES3_PKS7_PS7_S7_ZZZN2at6native31launch_logcumsumexp_cuda_kernelERKNSE_10TensorBaseESI_lENKUlvE_clEvENKUlvE1_clEvEUlS7_S7_E_S7_EEDaPvRmT3_T4_T5_mT6_P12ihipStream_tbENKUlT_T0_E_clISt17integral_constantIbLb0EESY_IbLb1EEEEDaSU_SV_EUlSU_E0_NS1_11comp_targetILNS1_3genE10ELNS1_11target_archE1200ELNS1_3gpuE4ELNS1_3repE0EEENS1_30default_config_static_selectorELNS0_4arch9wavefront6targetE0EEEvT1_
	.p2align	8
	.type	_ZN7rocprim17ROCPRIM_400000_NS6detail17trampoline_kernelINS0_14default_configENS1_20scan_config_selectorIN3c107complexIdEEEEZZNS1_9scan_implILNS1_25lookback_scan_determinismE0ELb0ELb0ES3_PKS7_PS7_S7_ZZZN2at6native31launch_logcumsumexp_cuda_kernelERKNSE_10TensorBaseESI_lENKUlvE_clEvENKUlvE1_clEvEUlS7_S7_E_S7_EEDaPvRmT3_T4_T5_mT6_P12ihipStream_tbENKUlT_T0_E_clISt17integral_constantIbLb0EESY_IbLb1EEEEDaSU_SV_EUlSU_E0_NS1_11comp_targetILNS1_3genE10ELNS1_11target_archE1200ELNS1_3gpuE4ELNS1_3repE0EEENS1_30default_config_static_selectorELNS0_4arch9wavefront6targetE0EEEvT1_,@function
_ZN7rocprim17ROCPRIM_400000_NS6detail17trampoline_kernelINS0_14default_configENS1_20scan_config_selectorIN3c107complexIdEEEEZZNS1_9scan_implILNS1_25lookback_scan_determinismE0ELb0ELb0ES3_PKS7_PS7_S7_ZZZN2at6native31launch_logcumsumexp_cuda_kernelERKNSE_10TensorBaseESI_lENKUlvE_clEvENKUlvE1_clEvEUlS7_S7_E_S7_EEDaPvRmT3_T4_T5_mT6_P12ihipStream_tbENKUlT_T0_E_clISt17integral_constantIbLb0EESY_IbLb1EEEEDaSU_SV_EUlSU_E0_NS1_11comp_targetILNS1_3genE10ELNS1_11target_archE1200ELNS1_3gpuE4ELNS1_3repE0EEENS1_30default_config_static_selectorELNS0_4arch9wavefront6targetE0EEEvT1_: ; @_ZN7rocprim17ROCPRIM_400000_NS6detail17trampoline_kernelINS0_14default_configENS1_20scan_config_selectorIN3c107complexIdEEEEZZNS1_9scan_implILNS1_25lookback_scan_determinismE0ELb0ELb0ES3_PKS7_PS7_S7_ZZZN2at6native31launch_logcumsumexp_cuda_kernelERKNSE_10TensorBaseESI_lENKUlvE_clEvENKUlvE1_clEvEUlS7_S7_E_S7_EEDaPvRmT3_T4_T5_mT6_P12ihipStream_tbENKUlT_T0_E_clISt17integral_constantIbLb0EESY_IbLb1EEEEDaSU_SV_EUlSU_E0_NS1_11comp_targetILNS1_3genE10ELNS1_11target_archE1200ELNS1_3gpuE4ELNS1_3repE0EEENS1_30default_config_static_selectorELNS0_4arch9wavefront6targetE0EEEvT1_
; %bb.0:
	.section	.rodata,"a",@progbits
	.p2align	6, 0x0
	.amdhsa_kernel _ZN7rocprim17ROCPRIM_400000_NS6detail17trampoline_kernelINS0_14default_configENS1_20scan_config_selectorIN3c107complexIdEEEEZZNS1_9scan_implILNS1_25lookback_scan_determinismE0ELb0ELb0ES3_PKS7_PS7_S7_ZZZN2at6native31launch_logcumsumexp_cuda_kernelERKNSE_10TensorBaseESI_lENKUlvE_clEvENKUlvE1_clEvEUlS7_S7_E_S7_EEDaPvRmT3_T4_T5_mT6_P12ihipStream_tbENKUlT_T0_E_clISt17integral_constantIbLb0EESY_IbLb1EEEEDaSU_SV_EUlSU_E0_NS1_11comp_targetILNS1_3genE10ELNS1_11target_archE1200ELNS1_3gpuE4ELNS1_3repE0EEENS1_30default_config_static_selectorELNS0_4arch9wavefront6targetE0EEEvT1_
		.amdhsa_group_segment_fixed_size 0
		.amdhsa_private_segment_fixed_size 0
		.amdhsa_kernarg_size 48
		.amdhsa_user_sgpr_count 2
		.amdhsa_user_sgpr_dispatch_ptr 0
		.amdhsa_user_sgpr_queue_ptr 0
		.amdhsa_user_sgpr_kernarg_segment_ptr 1
		.amdhsa_user_sgpr_dispatch_id 0
		.amdhsa_user_sgpr_private_segment_size 0
		.amdhsa_wavefront_size32 1
		.amdhsa_uses_dynamic_stack 0
		.amdhsa_enable_private_segment 0
		.amdhsa_system_sgpr_workgroup_id_x 1
		.amdhsa_system_sgpr_workgroup_id_y 0
		.amdhsa_system_sgpr_workgroup_id_z 0
		.amdhsa_system_sgpr_workgroup_info 0
		.amdhsa_system_vgpr_workitem_id 0
		.amdhsa_next_free_vgpr 1
		.amdhsa_next_free_sgpr 1
		.amdhsa_reserve_vcc 0
		.amdhsa_float_round_mode_32 0
		.amdhsa_float_round_mode_16_64 0
		.amdhsa_float_denorm_mode_32 3
		.amdhsa_float_denorm_mode_16_64 3
		.amdhsa_fp16_overflow 0
		.amdhsa_workgroup_processor_mode 1
		.amdhsa_memory_ordered 1
		.amdhsa_forward_progress 1
		.amdhsa_inst_pref_size 0
		.amdhsa_round_robin_scheduling 0
		.amdhsa_exception_fp_ieee_invalid_op 0
		.amdhsa_exception_fp_denorm_src 0
		.amdhsa_exception_fp_ieee_div_zero 0
		.amdhsa_exception_fp_ieee_overflow 0
		.amdhsa_exception_fp_ieee_underflow 0
		.amdhsa_exception_fp_ieee_inexact 0
		.amdhsa_exception_int_div_zero 0
	.end_amdhsa_kernel
	.section	.text._ZN7rocprim17ROCPRIM_400000_NS6detail17trampoline_kernelINS0_14default_configENS1_20scan_config_selectorIN3c107complexIdEEEEZZNS1_9scan_implILNS1_25lookback_scan_determinismE0ELb0ELb0ES3_PKS7_PS7_S7_ZZZN2at6native31launch_logcumsumexp_cuda_kernelERKNSE_10TensorBaseESI_lENKUlvE_clEvENKUlvE1_clEvEUlS7_S7_E_S7_EEDaPvRmT3_T4_T5_mT6_P12ihipStream_tbENKUlT_T0_E_clISt17integral_constantIbLb0EESY_IbLb1EEEEDaSU_SV_EUlSU_E0_NS1_11comp_targetILNS1_3genE10ELNS1_11target_archE1200ELNS1_3gpuE4ELNS1_3repE0EEENS1_30default_config_static_selectorELNS0_4arch9wavefront6targetE0EEEvT1_,"axG",@progbits,_ZN7rocprim17ROCPRIM_400000_NS6detail17trampoline_kernelINS0_14default_configENS1_20scan_config_selectorIN3c107complexIdEEEEZZNS1_9scan_implILNS1_25lookback_scan_determinismE0ELb0ELb0ES3_PKS7_PS7_S7_ZZZN2at6native31launch_logcumsumexp_cuda_kernelERKNSE_10TensorBaseESI_lENKUlvE_clEvENKUlvE1_clEvEUlS7_S7_E_S7_EEDaPvRmT3_T4_T5_mT6_P12ihipStream_tbENKUlT_T0_E_clISt17integral_constantIbLb0EESY_IbLb1EEEEDaSU_SV_EUlSU_E0_NS1_11comp_targetILNS1_3genE10ELNS1_11target_archE1200ELNS1_3gpuE4ELNS1_3repE0EEENS1_30default_config_static_selectorELNS0_4arch9wavefront6targetE0EEEvT1_,comdat
.Lfunc_end256:
	.size	_ZN7rocprim17ROCPRIM_400000_NS6detail17trampoline_kernelINS0_14default_configENS1_20scan_config_selectorIN3c107complexIdEEEEZZNS1_9scan_implILNS1_25lookback_scan_determinismE0ELb0ELb0ES3_PKS7_PS7_S7_ZZZN2at6native31launch_logcumsumexp_cuda_kernelERKNSE_10TensorBaseESI_lENKUlvE_clEvENKUlvE1_clEvEUlS7_S7_E_S7_EEDaPvRmT3_T4_T5_mT6_P12ihipStream_tbENKUlT_T0_E_clISt17integral_constantIbLb0EESY_IbLb1EEEEDaSU_SV_EUlSU_E0_NS1_11comp_targetILNS1_3genE10ELNS1_11target_archE1200ELNS1_3gpuE4ELNS1_3repE0EEENS1_30default_config_static_selectorELNS0_4arch9wavefront6targetE0EEEvT1_, .Lfunc_end256-_ZN7rocprim17ROCPRIM_400000_NS6detail17trampoline_kernelINS0_14default_configENS1_20scan_config_selectorIN3c107complexIdEEEEZZNS1_9scan_implILNS1_25lookback_scan_determinismE0ELb0ELb0ES3_PKS7_PS7_S7_ZZZN2at6native31launch_logcumsumexp_cuda_kernelERKNSE_10TensorBaseESI_lENKUlvE_clEvENKUlvE1_clEvEUlS7_S7_E_S7_EEDaPvRmT3_T4_T5_mT6_P12ihipStream_tbENKUlT_T0_E_clISt17integral_constantIbLb0EESY_IbLb1EEEEDaSU_SV_EUlSU_E0_NS1_11comp_targetILNS1_3genE10ELNS1_11target_archE1200ELNS1_3gpuE4ELNS1_3repE0EEENS1_30default_config_static_selectorELNS0_4arch9wavefront6targetE0EEEvT1_
                                        ; -- End function
	.set _ZN7rocprim17ROCPRIM_400000_NS6detail17trampoline_kernelINS0_14default_configENS1_20scan_config_selectorIN3c107complexIdEEEEZZNS1_9scan_implILNS1_25lookback_scan_determinismE0ELb0ELb0ES3_PKS7_PS7_S7_ZZZN2at6native31launch_logcumsumexp_cuda_kernelERKNSE_10TensorBaseESI_lENKUlvE_clEvENKUlvE1_clEvEUlS7_S7_E_S7_EEDaPvRmT3_T4_T5_mT6_P12ihipStream_tbENKUlT_T0_E_clISt17integral_constantIbLb0EESY_IbLb1EEEEDaSU_SV_EUlSU_E0_NS1_11comp_targetILNS1_3genE10ELNS1_11target_archE1200ELNS1_3gpuE4ELNS1_3repE0EEENS1_30default_config_static_selectorELNS0_4arch9wavefront6targetE0EEEvT1_.num_vgpr, 0
	.set _ZN7rocprim17ROCPRIM_400000_NS6detail17trampoline_kernelINS0_14default_configENS1_20scan_config_selectorIN3c107complexIdEEEEZZNS1_9scan_implILNS1_25lookback_scan_determinismE0ELb0ELb0ES3_PKS7_PS7_S7_ZZZN2at6native31launch_logcumsumexp_cuda_kernelERKNSE_10TensorBaseESI_lENKUlvE_clEvENKUlvE1_clEvEUlS7_S7_E_S7_EEDaPvRmT3_T4_T5_mT6_P12ihipStream_tbENKUlT_T0_E_clISt17integral_constantIbLb0EESY_IbLb1EEEEDaSU_SV_EUlSU_E0_NS1_11comp_targetILNS1_3genE10ELNS1_11target_archE1200ELNS1_3gpuE4ELNS1_3repE0EEENS1_30default_config_static_selectorELNS0_4arch9wavefront6targetE0EEEvT1_.num_agpr, 0
	.set _ZN7rocprim17ROCPRIM_400000_NS6detail17trampoline_kernelINS0_14default_configENS1_20scan_config_selectorIN3c107complexIdEEEEZZNS1_9scan_implILNS1_25lookback_scan_determinismE0ELb0ELb0ES3_PKS7_PS7_S7_ZZZN2at6native31launch_logcumsumexp_cuda_kernelERKNSE_10TensorBaseESI_lENKUlvE_clEvENKUlvE1_clEvEUlS7_S7_E_S7_EEDaPvRmT3_T4_T5_mT6_P12ihipStream_tbENKUlT_T0_E_clISt17integral_constantIbLb0EESY_IbLb1EEEEDaSU_SV_EUlSU_E0_NS1_11comp_targetILNS1_3genE10ELNS1_11target_archE1200ELNS1_3gpuE4ELNS1_3repE0EEENS1_30default_config_static_selectorELNS0_4arch9wavefront6targetE0EEEvT1_.numbered_sgpr, 0
	.set _ZN7rocprim17ROCPRIM_400000_NS6detail17trampoline_kernelINS0_14default_configENS1_20scan_config_selectorIN3c107complexIdEEEEZZNS1_9scan_implILNS1_25lookback_scan_determinismE0ELb0ELb0ES3_PKS7_PS7_S7_ZZZN2at6native31launch_logcumsumexp_cuda_kernelERKNSE_10TensorBaseESI_lENKUlvE_clEvENKUlvE1_clEvEUlS7_S7_E_S7_EEDaPvRmT3_T4_T5_mT6_P12ihipStream_tbENKUlT_T0_E_clISt17integral_constantIbLb0EESY_IbLb1EEEEDaSU_SV_EUlSU_E0_NS1_11comp_targetILNS1_3genE10ELNS1_11target_archE1200ELNS1_3gpuE4ELNS1_3repE0EEENS1_30default_config_static_selectorELNS0_4arch9wavefront6targetE0EEEvT1_.num_named_barrier, 0
	.set _ZN7rocprim17ROCPRIM_400000_NS6detail17trampoline_kernelINS0_14default_configENS1_20scan_config_selectorIN3c107complexIdEEEEZZNS1_9scan_implILNS1_25lookback_scan_determinismE0ELb0ELb0ES3_PKS7_PS7_S7_ZZZN2at6native31launch_logcumsumexp_cuda_kernelERKNSE_10TensorBaseESI_lENKUlvE_clEvENKUlvE1_clEvEUlS7_S7_E_S7_EEDaPvRmT3_T4_T5_mT6_P12ihipStream_tbENKUlT_T0_E_clISt17integral_constantIbLb0EESY_IbLb1EEEEDaSU_SV_EUlSU_E0_NS1_11comp_targetILNS1_3genE10ELNS1_11target_archE1200ELNS1_3gpuE4ELNS1_3repE0EEENS1_30default_config_static_selectorELNS0_4arch9wavefront6targetE0EEEvT1_.private_seg_size, 0
	.set _ZN7rocprim17ROCPRIM_400000_NS6detail17trampoline_kernelINS0_14default_configENS1_20scan_config_selectorIN3c107complexIdEEEEZZNS1_9scan_implILNS1_25lookback_scan_determinismE0ELb0ELb0ES3_PKS7_PS7_S7_ZZZN2at6native31launch_logcumsumexp_cuda_kernelERKNSE_10TensorBaseESI_lENKUlvE_clEvENKUlvE1_clEvEUlS7_S7_E_S7_EEDaPvRmT3_T4_T5_mT6_P12ihipStream_tbENKUlT_T0_E_clISt17integral_constantIbLb0EESY_IbLb1EEEEDaSU_SV_EUlSU_E0_NS1_11comp_targetILNS1_3genE10ELNS1_11target_archE1200ELNS1_3gpuE4ELNS1_3repE0EEENS1_30default_config_static_selectorELNS0_4arch9wavefront6targetE0EEEvT1_.uses_vcc, 0
	.set _ZN7rocprim17ROCPRIM_400000_NS6detail17trampoline_kernelINS0_14default_configENS1_20scan_config_selectorIN3c107complexIdEEEEZZNS1_9scan_implILNS1_25lookback_scan_determinismE0ELb0ELb0ES3_PKS7_PS7_S7_ZZZN2at6native31launch_logcumsumexp_cuda_kernelERKNSE_10TensorBaseESI_lENKUlvE_clEvENKUlvE1_clEvEUlS7_S7_E_S7_EEDaPvRmT3_T4_T5_mT6_P12ihipStream_tbENKUlT_T0_E_clISt17integral_constantIbLb0EESY_IbLb1EEEEDaSU_SV_EUlSU_E0_NS1_11comp_targetILNS1_3genE10ELNS1_11target_archE1200ELNS1_3gpuE4ELNS1_3repE0EEENS1_30default_config_static_selectorELNS0_4arch9wavefront6targetE0EEEvT1_.uses_flat_scratch, 0
	.set _ZN7rocprim17ROCPRIM_400000_NS6detail17trampoline_kernelINS0_14default_configENS1_20scan_config_selectorIN3c107complexIdEEEEZZNS1_9scan_implILNS1_25lookback_scan_determinismE0ELb0ELb0ES3_PKS7_PS7_S7_ZZZN2at6native31launch_logcumsumexp_cuda_kernelERKNSE_10TensorBaseESI_lENKUlvE_clEvENKUlvE1_clEvEUlS7_S7_E_S7_EEDaPvRmT3_T4_T5_mT6_P12ihipStream_tbENKUlT_T0_E_clISt17integral_constantIbLb0EESY_IbLb1EEEEDaSU_SV_EUlSU_E0_NS1_11comp_targetILNS1_3genE10ELNS1_11target_archE1200ELNS1_3gpuE4ELNS1_3repE0EEENS1_30default_config_static_selectorELNS0_4arch9wavefront6targetE0EEEvT1_.has_dyn_sized_stack, 0
	.set _ZN7rocprim17ROCPRIM_400000_NS6detail17trampoline_kernelINS0_14default_configENS1_20scan_config_selectorIN3c107complexIdEEEEZZNS1_9scan_implILNS1_25lookback_scan_determinismE0ELb0ELb0ES3_PKS7_PS7_S7_ZZZN2at6native31launch_logcumsumexp_cuda_kernelERKNSE_10TensorBaseESI_lENKUlvE_clEvENKUlvE1_clEvEUlS7_S7_E_S7_EEDaPvRmT3_T4_T5_mT6_P12ihipStream_tbENKUlT_T0_E_clISt17integral_constantIbLb0EESY_IbLb1EEEEDaSU_SV_EUlSU_E0_NS1_11comp_targetILNS1_3genE10ELNS1_11target_archE1200ELNS1_3gpuE4ELNS1_3repE0EEENS1_30default_config_static_selectorELNS0_4arch9wavefront6targetE0EEEvT1_.has_recursion, 0
	.set _ZN7rocprim17ROCPRIM_400000_NS6detail17trampoline_kernelINS0_14default_configENS1_20scan_config_selectorIN3c107complexIdEEEEZZNS1_9scan_implILNS1_25lookback_scan_determinismE0ELb0ELb0ES3_PKS7_PS7_S7_ZZZN2at6native31launch_logcumsumexp_cuda_kernelERKNSE_10TensorBaseESI_lENKUlvE_clEvENKUlvE1_clEvEUlS7_S7_E_S7_EEDaPvRmT3_T4_T5_mT6_P12ihipStream_tbENKUlT_T0_E_clISt17integral_constantIbLb0EESY_IbLb1EEEEDaSU_SV_EUlSU_E0_NS1_11comp_targetILNS1_3genE10ELNS1_11target_archE1200ELNS1_3gpuE4ELNS1_3repE0EEENS1_30default_config_static_selectorELNS0_4arch9wavefront6targetE0EEEvT1_.has_indirect_call, 0
	.section	.AMDGPU.csdata,"",@progbits
; Kernel info:
; codeLenInByte = 0
; TotalNumSgprs: 0
; NumVgprs: 0
; ScratchSize: 0
; MemoryBound: 0
; FloatMode: 240
; IeeeMode: 1
; LDSByteSize: 0 bytes/workgroup (compile time only)
; SGPRBlocks: 0
; VGPRBlocks: 0
; NumSGPRsForWavesPerEU: 1
; NumVGPRsForWavesPerEU: 1
; Occupancy: 16
; WaveLimiterHint : 0
; COMPUTE_PGM_RSRC2:SCRATCH_EN: 0
; COMPUTE_PGM_RSRC2:USER_SGPR: 2
; COMPUTE_PGM_RSRC2:TRAP_HANDLER: 0
; COMPUTE_PGM_RSRC2:TGID_X_EN: 1
; COMPUTE_PGM_RSRC2:TGID_Y_EN: 0
; COMPUTE_PGM_RSRC2:TGID_Z_EN: 0
; COMPUTE_PGM_RSRC2:TIDIG_COMP_CNT: 0
	.section	.text._ZN7rocprim17ROCPRIM_400000_NS6detail17trampoline_kernelINS0_14default_configENS1_20scan_config_selectorIN3c107complexIdEEEEZZNS1_9scan_implILNS1_25lookback_scan_determinismE0ELb0ELb0ES3_PKS7_PS7_S7_ZZZN2at6native31launch_logcumsumexp_cuda_kernelERKNSE_10TensorBaseESI_lENKUlvE_clEvENKUlvE1_clEvEUlS7_S7_E_S7_EEDaPvRmT3_T4_T5_mT6_P12ihipStream_tbENKUlT_T0_E_clISt17integral_constantIbLb0EESY_IbLb1EEEEDaSU_SV_EUlSU_E0_NS1_11comp_targetILNS1_3genE9ELNS1_11target_archE1100ELNS1_3gpuE3ELNS1_3repE0EEENS1_30default_config_static_selectorELNS0_4arch9wavefront6targetE0EEEvT1_,"axG",@progbits,_ZN7rocprim17ROCPRIM_400000_NS6detail17trampoline_kernelINS0_14default_configENS1_20scan_config_selectorIN3c107complexIdEEEEZZNS1_9scan_implILNS1_25lookback_scan_determinismE0ELb0ELb0ES3_PKS7_PS7_S7_ZZZN2at6native31launch_logcumsumexp_cuda_kernelERKNSE_10TensorBaseESI_lENKUlvE_clEvENKUlvE1_clEvEUlS7_S7_E_S7_EEDaPvRmT3_T4_T5_mT6_P12ihipStream_tbENKUlT_T0_E_clISt17integral_constantIbLb0EESY_IbLb1EEEEDaSU_SV_EUlSU_E0_NS1_11comp_targetILNS1_3genE9ELNS1_11target_archE1100ELNS1_3gpuE3ELNS1_3repE0EEENS1_30default_config_static_selectorELNS0_4arch9wavefront6targetE0EEEvT1_,comdat
	.globl	_ZN7rocprim17ROCPRIM_400000_NS6detail17trampoline_kernelINS0_14default_configENS1_20scan_config_selectorIN3c107complexIdEEEEZZNS1_9scan_implILNS1_25lookback_scan_determinismE0ELb0ELb0ES3_PKS7_PS7_S7_ZZZN2at6native31launch_logcumsumexp_cuda_kernelERKNSE_10TensorBaseESI_lENKUlvE_clEvENKUlvE1_clEvEUlS7_S7_E_S7_EEDaPvRmT3_T4_T5_mT6_P12ihipStream_tbENKUlT_T0_E_clISt17integral_constantIbLb0EESY_IbLb1EEEEDaSU_SV_EUlSU_E0_NS1_11comp_targetILNS1_3genE9ELNS1_11target_archE1100ELNS1_3gpuE3ELNS1_3repE0EEENS1_30default_config_static_selectorELNS0_4arch9wavefront6targetE0EEEvT1_ ; -- Begin function _ZN7rocprim17ROCPRIM_400000_NS6detail17trampoline_kernelINS0_14default_configENS1_20scan_config_selectorIN3c107complexIdEEEEZZNS1_9scan_implILNS1_25lookback_scan_determinismE0ELb0ELb0ES3_PKS7_PS7_S7_ZZZN2at6native31launch_logcumsumexp_cuda_kernelERKNSE_10TensorBaseESI_lENKUlvE_clEvENKUlvE1_clEvEUlS7_S7_E_S7_EEDaPvRmT3_T4_T5_mT6_P12ihipStream_tbENKUlT_T0_E_clISt17integral_constantIbLb0EESY_IbLb1EEEEDaSU_SV_EUlSU_E0_NS1_11comp_targetILNS1_3genE9ELNS1_11target_archE1100ELNS1_3gpuE3ELNS1_3repE0EEENS1_30default_config_static_selectorELNS0_4arch9wavefront6targetE0EEEvT1_
	.p2align	8
	.type	_ZN7rocprim17ROCPRIM_400000_NS6detail17trampoline_kernelINS0_14default_configENS1_20scan_config_selectorIN3c107complexIdEEEEZZNS1_9scan_implILNS1_25lookback_scan_determinismE0ELb0ELb0ES3_PKS7_PS7_S7_ZZZN2at6native31launch_logcumsumexp_cuda_kernelERKNSE_10TensorBaseESI_lENKUlvE_clEvENKUlvE1_clEvEUlS7_S7_E_S7_EEDaPvRmT3_T4_T5_mT6_P12ihipStream_tbENKUlT_T0_E_clISt17integral_constantIbLb0EESY_IbLb1EEEEDaSU_SV_EUlSU_E0_NS1_11comp_targetILNS1_3genE9ELNS1_11target_archE1100ELNS1_3gpuE3ELNS1_3repE0EEENS1_30default_config_static_selectorELNS0_4arch9wavefront6targetE0EEEvT1_,@function
_ZN7rocprim17ROCPRIM_400000_NS6detail17trampoline_kernelINS0_14default_configENS1_20scan_config_selectorIN3c107complexIdEEEEZZNS1_9scan_implILNS1_25lookback_scan_determinismE0ELb0ELb0ES3_PKS7_PS7_S7_ZZZN2at6native31launch_logcumsumexp_cuda_kernelERKNSE_10TensorBaseESI_lENKUlvE_clEvENKUlvE1_clEvEUlS7_S7_E_S7_EEDaPvRmT3_T4_T5_mT6_P12ihipStream_tbENKUlT_T0_E_clISt17integral_constantIbLb0EESY_IbLb1EEEEDaSU_SV_EUlSU_E0_NS1_11comp_targetILNS1_3genE9ELNS1_11target_archE1100ELNS1_3gpuE3ELNS1_3repE0EEENS1_30default_config_static_selectorELNS0_4arch9wavefront6targetE0EEEvT1_: ; @_ZN7rocprim17ROCPRIM_400000_NS6detail17trampoline_kernelINS0_14default_configENS1_20scan_config_selectorIN3c107complexIdEEEEZZNS1_9scan_implILNS1_25lookback_scan_determinismE0ELb0ELb0ES3_PKS7_PS7_S7_ZZZN2at6native31launch_logcumsumexp_cuda_kernelERKNSE_10TensorBaseESI_lENKUlvE_clEvENKUlvE1_clEvEUlS7_S7_E_S7_EEDaPvRmT3_T4_T5_mT6_P12ihipStream_tbENKUlT_T0_E_clISt17integral_constantIbLb0EESY_IbLb1EEEEDaSU_SV_EUlSU_E0_NS1_11comp_targetILNS1_3genE9ELNS1_11target_archE1100ELNS1_3gpuE3ELNS1_3repE0EEENS1_30default_config_static_selectorELNS0_4arch9wavefront6targetE0EEEvT1_
; %bb.0:
	.section	.rodata,"a",@progbits
	.p2align	6, 0x0
	.amdhsa_kernel _ZN7rocprim17ROCPRIM_400000_NS6detail17trampoline_kernelINS0_14default_configENS1_20scan_config_selectorIN3c107complexIdEEEEZZNS1_9scan_implILNS1_25lookback_scan_determinismE0ELb0ELb0ES3_PKS7_PS7_S7_ZZZN2at6native31launch_logcumsumexp_cuda_kernelERKNSE_10TensorBaseESI_lENKUlvE_clEvENKUlvE1_clEvEUlS7_S7_E_S7_EEDaPvRmT3_T4_T5_mT6_P12ihipStream_tbENKUlT_T0_E_clISt17integral_constantIbLb0EESY_IbLb1EEEEDaSU_SV_EUlSU_E0_NS1_11comp_targetILNS1_3genE9ELNS1_11target_archE1100ELNS1_3gpuE3ELNS1_3repE0EEENS1_30default_config_static_selectorELNS0_4arch9wavefront6targetE0EEEvT1_
		.amdhsa_group_segment_fixed_size 0
		.amdhsa_private_segment_fixed_size 0
		.amdhsa_kernarg_size 48
		.amdhsa_user_sgpr_count 2
		.amdhsa_user_sgpr_dispatch_ptr 0
		.amdhsa_user_sgpr_queue_ptr 0
		.amdhsa_user_sgpr_kernarg_segment_ptr 1
		.amdhsa_user_sgpr_dispatch_id 0
		.amdhsa_user_sgpr_private_segment_size 0
		.amdhsa_wavefront_size32 1
		.amdhsa_uses_dynamic_stack 0
		.amdhsa_enable_private_segment 0
		.amdhsa_system_sgpr_workgroup_id_x 1
		.amdhsa_system_sgpr_workgroup_id_y 0
		.amdhsa_system_sgpr_workgroup_id_z 0
		.amdhsa_system_sgpr_workgroup_info 0
		.amdhsa_system_vgpr_workitem_id 0
		.amdhsa_next_free_vgpr 1
		.amdhsa_next_free_sgpr 1
		.amdhsa_reserve_vcc 0
		.amdhsa_float_round_mode_32 0
		.amdhsa_float_round_mode_16_64 0
		.amdhsa_float_denorm_mode_32 3
		.amdhsa_float_denorm_mode_16_64 3
		.amdhsa_fp16_overflow 0
		.amdhsa_workgroup_processor_mode 1
		.amdhsa_memory_ordered 1
		.amdhsa_forward_progress 1
		.amdhsa_inst_pref_size 0
		.amdhsa_round_robin_scheduling 0
		.amdhsa_exception_fp_ieee_invalid_op 0
		.amdhsa_exception_fp_denorm_src 0
		.amdhsa_exception_fp_ieee_div_zero 0
		.amdhsa_exception_fp_ieee_overflow 0
		.amdhsa_exception_fp_ieee_underflow 0
		.amdhsa_exception_fp_ieee_inexact 0
		.amdhsa_exception_int_div_zero 0
	.end_amdhsa_kernel
	.section	.text._ZN7rocprim17ROCPRIM_400000_NS6detail17trampoline_kernelINS0_14default_configENS1_20scan_config_selectorIN3c107complexIdEEEEZZNS1_9scan_implILNS1_25lookback_scan_determinismE0ELb0ELb0ES3_PKS7_PS7_S7_ZZZN2at6native31launch_logcumsumexp_cuda_kernelERKNSE_10TensorBaseESI_lENKUlvE_clEvENKUlvE1_clEvEUlS7_S7_E_S7_EEDaPvRmT3_T4_T5_mT6_P12ihipStream_tbENKUlT_T0_E_clISt17integral_constantIbLb0EESY_IbLb1EEEEDaSU_SV_EUlSU_E0_NS1_11comp_targetILNS1_3genE9ELNS1_11target_archE1100ELNS1_3gpuE3ELNS1_3repE0EEENS1_30default_config_static_selectorELNS0_4arch9wavefront6targetE0EEEvT1_,"axG",@progbits,_ZN7rocprim17ROCPRIM_400000_NS6detail17trampoline_kernelINS0_14default_configENS1_20scan_config_selectorIN3c107complexIdEEEEZZNS1_9scan_implILNS1_25lookback_scan_determinismE0ELb0ELb0ES3_PKS7_PS7_S7_ZZZN2at6native31launch_logcumsumexp_cuda_kernelERKNSE_10TensorBaseESI_lENKUlvE_clEvENKUlvE1_clEvEUlS7_S7_E_S7_EEDaPvRmT3_T4_T5_mT6_P12ihipStream_tbENKUlT_T0_E_clISt17integral_constantIbLb0EESY_IbLb1EEEEDaSU_SV_EUlSU_E0_NS1_11comp_targetILNS1_3genE9ELNS1_11target_archE1100ELNS1_3gpuE3ELNS1_3repE0EEENS1_30default_config_static_selectorELNS0_4arch9wavefront6targetE0EEEvT1_,comdat
.Lfunc_end257:
	.size	_ZN7rocprim17ROCPRIM_400000_NS6detail17trampoline_kernelINS0_14default_configENS1_20scan_config_selectorIN3c107complexIdEEEEZZNS1_9scan_implILNS1_25lookback_scan_determinismE0ELb0ELb0ES3_PKS7_PS7_S7_ZZZN2at6native31launch_logcumsumexp_cuda_kernelERKNSE_10TensorBaseESI_lENKUlvE_clEvENKUlvE1_clEvEUlS7_S7_E_S7_EEDaPvRmT3_T4_T5_mT6_P12ihipStream_tbENKUlT_T0_E_clISt17integral_constantIbLb0EESY_IbLb1EEEEDaSU_SV_EUlSU_E0_NS1_11comp_targetILNS1_3genE9ELNS1_11target_archE1100ELNS1_3gpuE3ELNS1_3repE0EEENS1_30default_config_static_selectorELNS0_4arch9wavefront6targetE0EEEvT1_, .Lfunc_end257-_ZN7rocprim17ROCPRIM_400000_NS6detail17trampoline_kernelINS0_14default_configENS1_20scan_config_selectorIN3c107complexIdEEEEZZNS1_9scan_implILNS1_25lookback_scan_determinismE0ELb0ELb0ES3_PKS7_PS7_S7_ZZZN2at6native31launch_logcumsumexp_cuda_kernelERKNSE_10TensorBaseESI_lENKUlvE_clEvENKUlvE1_clEvEUlS7_S7_E_S7_EEDaPvRmT3_T4_T5_mT6_P12ihipStream_tbENKUlT_T0_E_clISt17integral_constantIbLb0EESY_IbLb1EEEEDaSU_SV_EUlSU_E0_NS1_11comp_targetILNS1_3genE9ELNS1_11target_archE1100ELNS1_3gpuE3ELNS1_3repE0EEENS1_30default_config_static_selectorELNS0_4arch9wavefront6targetE0EEEvT1_
                                        ; -- End function
	.set _ZN7rocprim17ROCPRIM_400000_NS6detail17trampoline_kernelINS0_14default_configENS1_20scan_config_selectorIN3c107complexIdEEEEZZNS1_9scan_implILNS1_25lookback_scan_determinismE0ELb0ELb0ES3_PKS7_PS7_S7_ZZZN2at6native31launch_logcumsumexp_cuda_kernelERKNSE_10TensorBaseESI_lENKUlvE_clEvENKUlvE1_clEvEUlS7_S7_E_S7_EEDaPvRmT3_T4_T5_mT6_P12ihipStream_tbENKUlT_T0_E_clISt17integral_constantIbLb0EESY_IbLb1EEEEDaSU_SV_EUlSU_E0_NS1_11comp_targetILNS1_3genE9ELNS1_11target_archE1100ELNS1_3gpuE3ELNS1_3repE0EEENS1_30default_config_static_selectorELNS0_4arch9wavefront6targetE0EEEvT1_.num_vgpr, 0
	.set _ZN7rocprim17ROCPRIM_400000_NS6detail17trampoline_kernelINS0_14default_configENS1_20scan_config_selectorIN3c107complexIdEEEEZZNS1_9scan_implILNS1_25lookback_scan_determinismE0ELb0ELb0ES3_PKS7_PS7_S7_ZZZN2at6native31launch_logcumsumexp_cuda_kernelERKNSE_10TensorBaseESI_lENKUlvE_clEvENKUlvE1_clEvEUlS7_S7_E_S7_EEDaPvRmT3_T4_T5_mT6_P12ihipStream_tbENKUlT_T0_E_clISt17integral_constantIbLb0EESY_IbLb1EEEEDaSU_SV_EUlSU_E0_NS1_11comp_targetILNS1_3genE9ELNS1_11target_archE1100ELNS1_3gpuE3ELNS1_3repE0EEENS1_30default_config_static_selectorELNS0_4arch9wavefront6targetE0EEEvT1_.num_agpr, 0
	.set _ZN7rocprim17ROCPRIM_400000_NS6detail17trampoline_kernelINS0_14default_configENS1_20scan_config_selectorIN3c107complexIdEEEEZZNS1_9scan_implILNS1_25lookback_scan_determinismE0ELb0ELb0ES3_PKS7_PS7_S7_ZZZN2at6native31launch_logcumsumexp_cuda_kernelERKNSE_10TensorBaseESI_lENKUlvE_clEvENKUlvE1_clEvEUlS7_S7_E_S7_EEDaPvRmT3_T4_T5_mT6_P12ihipStream_tbENKUlT_T0_E_clISt17integral_constantIbLb0EESY_IbLb1EEEEDaSU_SV_EUlSU_E0_NS1_11comp_targetILNS1_3genE9ELNS1_11target_archE1100ELNS1_3gpuE3ELNS1_3repE0EEENS1_30default_config_static_selectorELNS0_4arch9wavefront6targetE0EEEvT1_.numbered_sgpr, 0
	.set _ZN7rocprim17ROCPRIM_400000_NS6detail17trampoline_kernelINS0_14default_configENS1_20scan_config_selectorIN3c107complexIdEEEEZZNS1_9scan_implILNS1_25lookback_scan_determinismE0ELb0ELb0ES3_PKS7_PS7_S7_ZZZN2at6native31launch_logcumsumexp_cuda_kernelERKNSE_10TensorBaseESI_lENKUlvE_clEvENKUlvE1_clEvEUlS7_S7_E_S7_EEDaPvRmT3_T4_T5_mT6_P12ihipStream_tbENKUlT_T0_E_clISt17integral_constantIbLb0EESY_IbLb1EEEEDaSU_SV_EUlSU_E0_NS1_11comp_targetILNS1_3genE9ELNS1_11target_archE1100ELNS1_3gpuE3ELNS1_3repE0EEENS1_30default_config_static_selectorELNS0_4arch9wavefront6targetE0EEEvT1_.num_named_barrier, 0
	.set _ZN7rocprim17ROCPRIM_400000_NS6detail17trampoline_kernelINS0_14default_configENS1_20scan_config_selectorIN3c107complexIdEEEEZZNS1_9scan_implILNS1_25lookback_scan_determinismE0ELb0ELb0ES3_PKS7_PS7_S7_ZZZN2at6native31launch_logcumsumexp_cuda_kernelERKNSE_10TensorBaseESI_lENKUlvE_clEvENKUlvE1_clEvEUlS7_S7_E_S7_EEDaPvRmT3_T4_T5_mT6_P12ihipStream_tbENKUlT_T0_E_clISt17integral_constantIbLb0EESY_IbLb1EEEEDaSU_SV_EUlSU_E0_NS1_11comp_targetILNS1_3genE9ELNS1_11target_archE1100ELNS1_3gpuE3ELNS1_3repE0EEENS1_30default_config_static_selectorELNS0_4arch9wavefront6targetE0EEEvT1_.private_seg_size, 0
	.set _ZN7rocprim17ROCPRIM_400000_NS6detail17trampoline_kernelINS0_14default_configENS1_20scan_config_selectorIN3c107complexIdEEEEZZNS1_9scan_implILNS1_25lookback_scan_determinismE0ELb0ELb0ES3_PKS7_PS7_S7_ZZZN2at6native31launch_logcumsumexp_cuda_kernelERKNSE_10TensorBaseESI_lENKUlvE_clEvENKUlvE1_clEvEUlS7_S7_E_S7_EEDaPvRmT3_T4_T5_mT6_P12ihipStream_tbENKUlT_T0_E_clISt17integral_constantIbLb0EESY_IbLb1EEEEDaSU_SV_EUlSU_E0_NS1_11comp_targetILNS1_3genE9ELNS1_11target_archE1100ELNS1_3gpuE3ELNS1_3repE0EEENS1_30default_config_static_selectorELNS0_4arch9wavefront6targetE0EEEvT1_.uses_vcc, 0
	.set _ZN7rocprim17ROCPRIM_400000_NS6detail17trampoline_kernelINS0_14default_configENS1_20scan_config_selectorIN3c107complexIdEEEEZZNS1_9scan_implILNS1_25lookback_scan_determinismE0ELb0ELb0ES3_PKS7_PS7_S7_ZZZN2at6native31launch_logcumsumexp_cuda_kernelERKNSE_10TensorBaseESI_lENKUlvE_clEvENKUlvE1_clEvEUlS7_S7_E_S7_EEDaPvRmT3_T4_T5_mT6_P12ihipStream_tbENKUlT_T0_E_clISt17integral_constantIbLb0EESY_IbLb1EEEEDaSU_SV_EUlSU_E0_NS1_11comp_targetILNS1_3genE9ELNS1_11target_archE1100ELNS1_3gpuE3ELNS1_3repE0EEENS1_30default_config_static_selectorELNS0_4arch9wavefront6targetE0EEEvT1_.uses_flat_scratch, 0
	.set _ZN7rocprim17ROCPRIM_400000_NS6detail17trampoline_kernelINS0_14default_configENS1_20scan_config_selectorIN3c107complexIdEEEEZZNS1_9scan_implILNS1_25lookback_scan_determinismE0ELb0ELb0ES3_PKS7_PS7_S7_ZZZN2at6native31launch_logcumsumexp_cuda_kernelERKNSE_10TensorBaseESI_lENKUlvE_clEvENKUlvE1_clEvEUlS7_S7_E_S7_EEDaPvRmT3_T4_T5_mT6_P12ihipStream_tbENKUlT_T0_E_clISt17integral_constantIbLb0EESY_IbLb1EEEEDaSU_SV_EUlSU_E0_NS1_11comp_targetILNS1_3genE9ELNS1_11target_archE1100ELNS1_3gpuE3ELNS1_3repE0EEENS1_30default_config_static_selectorELNS0_4arch9wavefront6targetE0EEEvT1_.has_dyn_sized_stack, 0
	.set _ZN7rocprim17ROCPRIM_400000_NS6detail17trampoline_kernelINS0_14default_configENS1_20scan_config_selectorIN3c107complexIdEEEEZZNS1_9scan_implILNS1_25lookback_scan_determinismE0ELb0ELb0ES3_PKS7_PS7_S7_ZZZN2at6native31launch_logcumsumexp_cuda_kernelERKNSE_10TensorBaseESI_lENKUlvE_clEvENKUlvE1_clEvEUlS7_S7_E_S7_EEDaPvRmT3_T4_T5_mT6_P12ihipStream_tbENKUlT_T0_E_clISt17integral_constantIbLb0EESY_IbLb1EEEEDaSU_SV_EUlSU_E0_NS1_11comp_targetILNS1_3genE9ELNS1_11target_archE1100ELNS1_3gpuE3ELNS1_3repE0EEENS1_30default_config_static_selectorELNS0_4arch9wavefront6targetE0EEEvT1_.has_recursion, 0
	.set _ZN7rocprim17ROCPRIM_400000_NS6detail17trampoline_kernelINS0_14default_configENS1_20scan_config_selectorIN3c107complexIdEEEEZZNS1_9scan_implILNS1_25lookback_scan_determinismE0ELb0ELb0ES3_PKS7_PS7_S7_ZZZN2at6native31launch_logcumsumexp_cuda_kernelERKNSE_10TensorBaseESI_lENKUlvE_clEvENKUlvE1_clEvEUlS7_S7_E_S7_EEDaPvRmT3_T4_T5_mT6_P12ihipStream_tbENKUlT_T0_E_clISt17integral_constantIbLb0EESY_IbLb1EEEEDaSU_SV_EUlSU_E0_NS1_11comp_targetILNS1_3genE9ELNS1_11target_archE1100ELNS1_3gpuE3ELNS1_3repE0EEENS1_30default_config_static_selectorELNS0_4arch9wavefront6targetE0EEEvT1_.has_indirect_call, 0
	.section	.AMDGPU.csdata,"",@progbits
; Kernel info:
; codeLenInByte = 0
; TotalNumSgprs: 0
; NumVgprs: 0
; ScratchSize: 0
; MemoryBound: 0
; FloatMode: 240
; IeeeMode: 1
; LDSByteSize: 0 bytes/workgroup (compile time only)
; SGPRBlocks: 0
; VGPRBlocks: 0
; NumSGPRsForWavesPerEU: 1
; NumVGPRsForWavesPerEU: 1
; Occupancy: 16
; WaveLimiterHint : 0
; COMPUTE_PGM_RSRC2:SCRATCH_EN: 0
; COMPUTE_PGM_RSRC2:USER_SGPR: 2
; COMPUTE_PGM_RSRC2:TRAP_HANDLER: 0
; COMPUTE_PGM_RSRC2:TGID_X_EN: 1
; COMPUTE_PGM_RSRC2:TGID_Y_EN: 0
; COMPUTE_PGM_RSRC2:TGID_Z_EN: 0
; COMPUTE_PGM_RSRC2:TIDIG_COMP_CNT: 0
	.section	.text._ZN7rocprim17ROCPRIM_400000_NS6detail17trampoline_kernelINS0_14default_configENS1_20scan_config_selectorIN3c107complexIdEEEEZZNS1_9scan_implILNS1_25lookback_scan_determinismE0ELb0ELb0ES3_PKS7_PS7_S7_ZZZN2at6native31launch_logcumsumexp_cuda_kernelERKNSE_10TensorBaseESI_lENKUlvE_clEvENKUlvE1_clEvEUlS7_S7_E_S7_EEDaPvRmT3_T4_T5_mT6_P12ihipStream_tbENKUlT_T0_E_clISt17integral_constantIbLb0EESY_IbLb1EEEEDaSU_SV_EUlSU_E0_NS1_11comp_targetILNS1_3genE8ELNS1_11target_archE1030ELNS1_3gpuE2ELNS1_3repE0EEENS1_30default_config_static_selectorELNS0_4arch9wavefront6targetE0EEEvT1_,"axG",@progbits,_ZN7rocprim17ROCPRIM_400000_NS6detail17trampoline_kernelINS0_14default_configENS1_20scan_config_selectorIN3c107complexIdEEEEZZNS1_9scan_implILNS1_25lookback_scan_determinismE0ELb0ELb0ES3_PKS7_PS7_S7_ZZZN2at6native31launch_logcumsumexp_cuda_kernelERKNSE_10TensorBaseESI_lENKUlvE_clEvENKUlvE1_clEvEUlS7_S7_E_S7_EEDaPvRmT3_T4_T5_mT6_P12ihipStream_tbENKUlT_T0_E_clISt17integral_constantIbLb0EESY_IbLb1EEEEDaSU_SV_EUlSU_E0_NS1_11comp_targetILNS1_3genE8ELNS1_11target_archE1030ELNS1_3gpuE2ELNS1_3repE0EEENS1_30default_config_static_selectorELNS0_4arch9wavefront6targetE0EEEvT1_,comdat
	.globl	_ZN7rocprim17ROCPRIM_400000_NS6detail17trampoline_kernelINS0_14default_configENS1_20scan_config_selectorIN3c107complexIdEEEEZZNS1_9scan_implILNS1_25lookback_scan_determinismE0ELb0ELb0ES3_PKS7_PS7_S7_ZZZN2at6native31launch_logcumsumexp_cuda_kernelERKNSE_10TensorBaseESI_lENKUlvE_clEvENKUlvE1_clEvEUlS7_S7_E_S7_EEDaPvRmT3_T4_T5_mT6_P12ihipStream_tbENKUlT_T0_E_clISt17integral_constantIbLb0EESY_IbLb1EEEEDaSU_SV_EUlSU_E0_NS1_11comp_targetILNS1_3genE8ELNS1_11target_archE1030ELNS1_3gpuE2ELNS1_3repE0EEENS1_30default_config_static_selectorELNS0_4arch9wavefront6targetE0EEEvT1_ ; -- Begin function _ZN7rocprim17ROCPRIM_400000_NS6detail17trampoline_kernelINS0_14default_configENS1_20scan_config_selectorIN3c107complexIdEEEEZZNS1_9scan_implILNS1_25lookback_scan_determinismE0ELb0ELb0ES3_PKS7_PS7_S7_ZZZN2at6native31launch_logcumsumexp_cuda_kernelERKNSE_10TensorBaseESI_lENKUlvE_clEvENKUlvE1_clEvEUlS7_S7_E_S7_EEDaPvRmT3_T4_T5_mT6_P12ihipStream_tbENKUlT_T0_E_clISt17integral_constantIbLb0EESY_IbLb1EEEEDaSU_SV_EUlSU_E0_NS1_11comp_targetILNS1_3genE8ELNS1_11target_archE1030ELNS1_3gpuE2ELNS1_3repE0EEENS1_30default_config_static_selectorELNS0_4arch9wavefront6targetE0EEEvT1_
	.p2align	8
	.type	_ZN7rocprim17ROCPRIM_400000_NS6detail17trampoline_kernelINS0_14default_configENS1_20scan_config_selectorIN3c107complexIdEEEEZZNS1_9scan_implILNS1_25lookback_scan_determinismE0ELb0ELb0ES3_PKS7_PS7_S7_ZZZN2at6native31launch_logcumsumexp_cuda_kernelERKNSE_10TensorBaseESI_lENKUlvE_clEvENKUlvE1_clEvEUlS7_S7_E_S7_EEDaPvRmT3_T4_T5_mT6_P12ihipStream_tbENKUlT_T0_E_clISt17integral_constantIbLb0EESY_IbLb1EEEEDaSU_SV_EUlSU_E0_NS1_11comp_targetILNS1_3genE8ELNS1_11target_archE1030ELNS1_3gpuE2ELNS1_3repE0EEENS1_30default_config_static_selectorELNS0_4arch9wavefront6targetE0EEEvT1_,@function
_ZN7rocprim17ROCPRIM_400000_NS6detail17trampoline_kernelINS0_14default_configENS1_20scan_config_selectorIN3c107complexIdEEEEZZNS1_9scan_implILNS1_25lookback_scan_determinismE0ELb0ELb0ES3_PKS7_PS7_S7_ZZZN2at6native31launch_logcumsumexp_cuda_kernelERKNSE_10TensorBaseESI_lENKUlvE_clEvENKUlvE1_clEvEUlS7_S7_E_S7_EEDaPvRmT3_T4_T5_mT6_P12ihipStream_tbENKUlT_T0_E_clISt17integral_constantIbLb0EESY_IbLb1EEEEDaSU_SV_EUlSU_E0_NS1_11comp_targetILNS1_3genE8ELNS1_11target_archE1030ELNS1_3gpuE2ELNS1_3repE0EEENS1_30default_config_static_selectorELNS0_4arch9wavefront6targetE0EEEvT1_: ; @_ZN7rocprim17ROCPRIM_400000_NS6detail17trampoline_kernelINS0_14default_configENS1_20scan_config_selectorIN3c107complexIdEEEEZZNS1_9scan_implILNS1_25lookback_scan_determinismE0ELb0ELb0ES3_PKS7_PS7_S7_ZZZN2at6native31launch_logcumsumexp_cuda_kernelERKNSE_10TensorBaseESI_lENKUlvE_clEvENKUlvE1_clEvEUlS7_S7_E_S7_EEDaPvRmT3_T4_T5_mT6_P12ihipStream_tbENKUlT_T0_E_clISt17integral_constantIbLb0EESY_IbLb1EEEEDaSU_SV_EUlSU_E0_NS1_11comp_targetILNS1_3genE8ELNS1_11target_archE1030ELNS1_3gpuE2ELNS1_3repE0EEENS1_30default_config_static_selectorELNS0_4arch9wavefront6targetE0EEEvT1_
; %bb.0:
	.section	.rodata,"a",@progbits
	.p2align	6, 0x0
	.amdhsa_kernel _ZN7rocprim17ROCPRIM_400000_NS6detail17trampoline_kernelINS0_14default_configENS1_20scan_config_selectorIN3c107complexIdEEEEZZNS1_9scan_implILNS1_25lookback_scan_determinismE0ELb0ELb0ES3_PKS7_PS7_S7_ZZZN2at6native31launch_logcumsumexp_cuda_kernelERKNSE_10TensorBaseESI_lENKUlvE_clEvENKUlvE1_clEvEUlS7_S7_E_S7_EEDaPvRmT3_T4_T5_mT6_P12ihipStream_tbENKUlT_T0_E_clISt17integral_constantIbLb0EESY_IbLb1EEEEDaSU_SV_EUlSU_E0_NS1_11comp_targetILNS1_3genE8ELNS1_11target_archE1030ELNS1_3gpuE2ELNS1_3repE0EEENS1_30default_config_static_selectorELNS0_4arch9wavefront6targetE0EEEvT1_
		.amdhsa_group_segment_fixed_size 0
		.amdhsa_private_segment_fixed_size 0
		.amdhsa_kernarg_size 48
		.amdhsa_user_sgpr_count 2
		.amdhsa_user_sgpr_dispatch_ptr 0
		.amdhsa_user_sgpr_queue_ptr 0
		.amdhsa_user_sgpr_kernarg_segment_ptr 1
		.amdhsa_user_sgpr_dispatch_id 0
		.amdhsa_user_sgpr_private_segment_size 0
		.amdhsa_wavefront_size32 1
		.amdhsa_uses_dynamic_stack 0
		.amdhsa_enable_private_segment 0
		.amdhsa_system_sgpr_workgroup_id_x 1
		.amdhsa_system_sgpr_workgroup_id_y 0
		.amdhsa_system_sgpr_workgroup_id_z 0
		.amdhsa_system_sgpr_workgroup_info 0
		.amdhsa_system_vgpr_workitem_id 0
		.amdhsa_next_free_vgpr 1
		.amdhsa_next_free_sgpr 1
		.amdhsa_reserve_vcc 0
		.amdhsa_float_round_mode_32 0
		.amdhsa_float_round_mode_16_64 0
		.amdhsa_float_denorm_mode_32 3
		.amdhsa_float_denorm_mode_16_64 3
		.amdhsa_fp16_overflow 0
		.amdhsa_workgroup_processor_mode 1
		.amdhsa_memory_ordered 1
		.amdhsa_forward_progress 1
		.amdhsa_inst_pref_size 0
		.amdhsa_round_robin_scheduling 0
		.amdhsa_exception_fp_ieee_invalid_op 0
		.amdhsa_exception_fp_denorm_src 0
		.amdhsa_exception_fp_ieee_div_zero 0
		.amdhsa_exception_fp_ieee_overflow 0
		.amdhsa_exception_fp_ieee_underflow 0
		.amdhsa_exception_fp_ieee_inexact 0
		.amdhsa_exception_int_div_zero 0
	.end_amdhsa_kernel
	.section	.text._ZN7rocprim17ROCPRIM_400000_NS6detail17trampoline_kernelINS0_14default_configENS1_20scan_config_selectorIN3c107complexIdEEEEZZNS1_9scan_implILNS1_25lookback_scan_determinismE0ELb0ELb0ES3_PKS7_PS7_S7_ZZZN2at6native31launch_logcumsumexp_cuda_kernelERKNSE_10TensorBaseESI_lENKUlvE_clEvENKUlvE1_clEvEUlS7_S7_E_S7_EEDaPvRmT3_T4_T5_mT6_P12ihipStream_tbENKUlT_T0_E_clISt17integral_constantIbLb0EESY_IbLb1EEEEDaSU_SV_EUlSU_E0_NS1_11comp_targetILNS1_3genE8ELNS1_11target_archE1030ELNS1_3gpuE2ELNS1_3repE0EEENS1_30default_config_static_selectorELNS0_4arch9wavefront6targetE0EEEvT1_,"axG",@progbits,_ZN7rocprim17ROCPRIM_400000_NS6detail17trampoline_kernelINS0_14default_configENS1_20scan_config_selectorIN3c107complexIdEEEEZZNS1_9scan_implILNS1_25lookback_scan_determinismE0ELb0ELb0ES3_PKS7_PS7_S7_ZZZN2at6native31launch_logcumsumexp_cuda_kernelERKNSE_10TensorBaseESI_lENKUlvE_clEvENKUlvE1_clEvEUlS7_S7_E_S7_EEDaPvRmT3_T4_T5_mT6_P12ihipStream_tbENKUlT_T0_E_clISt17integral_constantIbLb0EESY_IbLb1EEEEDaSU_SV_EUlSU_E0_NS1_11comp_targetILNS1_3genE8ELNS1_11target_archE1030ELNS1_3gpuE2ELNS1_3repE0EEENS1_30default_config_static_selectorELNS0_4arch9wavefront6targetE0EEEvT1_,comdat
.Lfunc_end258:
	.size	_ZN7rocprim17ROCPRIM_400000_NS6detail17trampoline_kernelINS0_14default_configENS1_20scan_config_selectorIN3c107complexIdEEEEZZNS1_9scan_implILNS1_25lookback_scan_determinismE0ELb0ELb0ES3_PKS7_PS7_S7_ZZZN2at6native31launch_logcumsumexp_cuda_kernelERKNSE_10TensorBaseESI_lENKUlvE_clEvENKUlvE1_clEvEUlS7_S7_E_S7_EEDaPvRmT3_T4_T5_mT6_P12ihipStream_tbENKUlT_T0_E_clISt17integral_constantIbLb0EESY_IbLb1EEEEDaSU_SV_EUlSU_E0_NS1_11comp_targetILNS1_3genE8ELNS1_11target_archE1030ELNS1_3gpuE2ELNS1_3repE0EEENS1_30default_config_static_selectorELNS0_4arch9wavefront6targetE0EEEvT1_, .Lfunc_end258-_ZN7rocprim17ROCPRIM_400000_NS6detail17trampoline_kernelINS0_14default_configENS1_20scan_config_selectorIN3c107complexIdEEEEZZNS1_9scan_implILNS1_25lookback_scan_determinismE0ELb0ELb0ES3_PKS7_PS7_S7_ZZZN2at6native31launch_logcumsumexp_cuda_kernelERKNSE_10TensorBaseESI_lENKUlvE_clEvENKUlvE1_clEvEUlS7_S7_E_S7_EEDaPvRmT3_T4_T5_mT6_P12ihipStream_tbENKUlT_T0_E_clISt17integral_constantIbLb0EESY_IbLb1EEEEDaSU_SV_EUlSU_E0_NS1_11comp_targetILNS1_3genE8ELNS1_11target_archE1030ELNS1_3gpuE2ELNS1_3repE0EEENS1_30default_config_static_selectorELNS0_4arch9wavefront6targetE0EEEvT1_
                                        ; -- End function
	.set _ZN7rocprim17ROCPRIM_400000_NS6detail17trampoline_kernelINS0_14default_configENS1_20scan_config_selectorIN3c107complexIdEEEEZZNS1_9scan_implILNS1_25lookback_scan_determinismE0ELb0ELb0ES3_PKS7_PS7_S7_ZZZN2at6native31launch_logcumsumexp_cuda_kernelERKNSE_10TensorBaseESI_lENKUlvE_clEvENKUlvE1_clEvEUlS7_S7_E_S7_EEDaPvRmT3_T4_T5_mT6_P12ihipStream_tbENKUlT_T0_E_clISt17integral_constantIbLb0EESY_IbLb1EEEEDaSU_SV_EUlSU_E0_NS1_11comp_targetILNS1_3genE8ELNS1_11target_archE1030ELNS1_3gpuE2ELNS1_3repE0EEENS1_30default_config_static_selectorELNS0_4arch9wavefront6targetE0EEEvT1_.num_vgpr, 0
	.set _ZN7rocprim17ROCPRIM_400000_NS6detail17trampoline_kernelINS0_14default_configENS1_20scan_config_selectorIN3c107complexIdEEEEZZNS1_9scan_implILNS1_25lookback_scan_determinismE0ELb0ELb0ES3_PKS7_PS7_S7_ZZZN2at6native31launch_logcumsumexp_cuda_kernelERKNSE_10TensorBaseESI_lENKUlvE_clEvENKUlvE1_clEvEUlS7_S7_E_S7_EEDaPvRmT3_T4_T5_mT6_P12ihipStream_tbENKUlT_T0_E_clISt17integral_constantIbLb0EESY_IbLb1EEEEDaSU_SV_EUlSU_E0_NS1_11comp_targetILNS1_3genE8ELNS1_11target_archE1030ELNS1_3gpuE2ELNS1_3repE0EEENS1_30default_config_static_selectorELNS0_4arch9wavefront6targetE0EEEvT1_.num_agpr, 0
	.set _ZN7rocprim17ROCPRIM_400000_NS6detail17trampoline_kernelINS0_14default_configENS1_20scan_config_selectorIN3c107complexIdEEEEZZNS1_9scan_implILNS1_25lookback_scan_determinismE0ELb0ELb0ES3_PKS7_PS7_S7_ZZZN2at6native31launch_logcumsumexp_cuda_kernelERKNSE_10TensorBaseESI_lENKUlvE_clEvENKUlvE1_clEvEUlS7_S7_E_S7_EEDaPvRmT3_T4_T5_mT6_P12ihipStream_tbENKUlT_T0_E_clISt17integral_constantIbLb0EESY_IbLb1EEEEDaSU_SV_EUlSU_E0_NS1_11comp_targetILNS1_3genE8ELNS1_11target_archE1030ELNS1_3gpuE2ELNS1_3repE0EEENS1_30default_config_static_selectorELNS0_4arch9wavefront6targetE0EEEvT1_.numbered_sgpr, 0
	.set _ZN7rocprim17ROCPRIM_400000_NS6detail17trampoline_kernelINS0_14default_configENS1_20scan_config_selectorIN3c107complexIdEEEEZZNS1_9scan_implILNS1_25lookback_scan_determinismE0ELb0ELb0ES3_PKS7_PS7_S7_ZZZN2at6native31launch_logcumsumexp_cuda_kernelERKNSE_10TensorBaseESI_lENKUlvE_clEvENKUlvE1_clEvEUlS7_S7_E_S7_EEDaPvRmT3_T4_T5_mT6_P12ihipStream_tbENKUlT_T0_E_clISt17integral_constantIbLb0EESY_IbLb1EEEEDaSU_SV_EUlSU_E0_NS1_11comp_targetILNS1_3genE8ELNS1_11target_archE1030ELNS1_3gpuE2ELNS1_3repE0EEENS1_30default_config_static_selectorELNS0_4arch9wavefront6targetE0EEEvT1_.num_named_barrier, 0
	.set _ZN7rocprim17ROCPRIM_400000_NS6detail17trampoline_kernelINS0_14default_configENS1_20scan_config_selectorIN3c107complexIdEEEEZZNS1_9scan_implILNS1_25lookback_scan_determinismE0ELb0ELb0ES3_PKS7_PS7_S7_ZZZN2at6native31launch_logcumsumexp_cuda_kernelERKNSE_10TensorBaseESI_lENKUlvE_clEvENKUlvE1_clEvEUlS7_S7_E_S7_EEDaPvRmT3_T4_T5_mT6_P12ihipStream_tbENKUlT_T0_E_clISt17integral_constantIbLb0EESY_IbLb1EEEEDaSU_SV_EUlSU_E0_NS1_11comp_targetILNS1_3genE8ELNS1_11target_archE1030ELNS1_3gpuE2ELNS1_3repE0EEENS1_30default_config_static_selectorELNS0_4arch9wavefront6targetE0EEEvT1_.private_seg_size, 0
	.set _ZN7rocprim17ROCPRIM_400000_NS6detail17trampoline_kernelINS0_14default_configENS1_20scan_config_selectorIN3c107complexIdEEEEZZNS1_9scan_implILNS1_25lookback_scan_determinismE0ELb0ELb0ES3_PKS7_PS7_S7_ZZZN2at6native31launch_logcumsumexp_cuda_kernelERKNSE_10TensorBaseESI_lENKUlvE_clEvENKUlvE1_clEvEUlS7_S7_E_S7_EEDaPvRmT3_T4_T5_mT6_P12ihipStream_tbENKUlT_T0_E_clISt17integral_constantIbLb0EESY_IbLb1EEEEDaSU_SV_EUlSU_E0_NS1_11comp_targetILNS1_3genE8ELNS1_11target_archE1030ELNS1_3gpuE2ELNS1_3repE0EEENS1_30default_config_static_selectorELNS0_4arch9wavefront6targetE0EEEvT1_.uses_vcc, 0
	.set _ZN7rocprim17ROCPRIM_400000_NS6detail17trampoline_kernelINS0_14default_configENS1_20scan_config_selectorIN3c107complexIdEEEEZZNS1_9scan_implILNS1_25lookback_scan_determinismE0ELb0ELb0ES3_PKS7_PS7_S7_ZZZN2at6native31launch_logcumsumexp_cuda_kernelERKNSE_10TensorBaseESI_lENKUlvE_clEvENKUlvE1_clEvEUlS7_S7_E_S7_EEDaPvRmT3_T4_T5_mT6_P12ihipStream_tbENKUlT_T0_E_clISt17integral_constantIbLb0EESY_IbLb1EEEEDaSU_SV_EUlSU_E0_NS1_11comp_targetILNS1_3genE8ELNS1_11target_archE1030ELNS1_3gpuE2ELNS1_3repE0EEENS1_30default_config_static_selectorELNS0_4arch9wavefront6targetE0EEEvT1_.uses_flat_scratch, 0
	.set _ZN7rocprim17ROCPRIM_400000_NS6detail17trampoline_kernelINS0_14default_configENS1_20scan_config_selectorIN3c107complexIdEEEEZZNS1_9scan_implILNS1_25lookback_scan_determinismE0ELb0ELb0ES3_PKS7_PS7_S7_ZZZN2at6native31launch_logcumsumexp_cuda_kernelERKNSE_10TensorBaseESI_lENKUlvE_clEvENKUlvE1_clEvEUlS7_S7_E_S7_EEDaPvRmT3_T4_T5_mT6_P12ihipStream_tbENKUlT_T0_E_clISt17integral_constantIbLb0EESY_IbLb1EEEEDaSU_SV_EUlSU_E0_NS1_11comp_targetILNS1_3genE8ELNS1_11target_archE1030ELNS1_3gpuE2ELNS1_3repE0EEENS1_30default_config_static_selectorELNS0_4arch9wavefront6targetE0EEEvT1_.has_dyn_sized_stack, 0
	.set _ZN7rocprim17ROCPRIM_400000_NS6detail17trampoline_kernelINS0_14default_configENS1_20scan_config_selectorIN3c107complexIdEEEEZZNS1_9scan_implILNS1_25lookback_scan_determinismE0ELb0ELb0ES3_PKS7_PS7_S7_ZZZN2at6native31launch_logcumsumexp_cuda_kernelERKNSE_10TensorBaseESI_lENKUlvE_clEvENKUlvE1_clEvEUlS7_S7_E_S7_EEDaPvRmT3_T4_T5_mT6_P12ihipStream_tbENKUlT_T0_E_clISt17integral_constantIbLb0EESY_IbLb1EEEEDaSU_SV_EUlSU_E0_NS1_11comp_targetILNS1_3genE8ELNS1_11target_archE1030ELNS1_3gpuE2ELNS1_3repE0EEENS1_30default_config_static_selectorELNS0_4arch9wavefront6targetE0EEEvT1_.has_recursion, 0
	.set _ZN7rocprim17ROCPRIM_400000_NS6detail17trampoline_kernelINS0_14default_configENS1_20scan_config_selectorIN3c107complexIdEEEEZZNS1_9scan_implILNS1_25lookback_scan_determinismE0ELb0ELb0ES3_PKS7_PS7_S7_ZZZN2at6native31launch_logcumsumexp_cuda_kernelERKNSE_10TensorBaseESI_lENKUlvE_clEvENKUlvE1_clEvEUlS7_S7_E_S7_EEDaPvRmT3_T4_T5_mT6_P12ihipStream_tbENKUlT_T0_E_clISt17integral_constantIbLb0EESY_IbLb1EEEEDaSU_SV_EUlSU_E0_NS1_11comp_targetILNS1_3genE8ELNS1_11target_archE1030ELNS1_3gpuE2ELNS1_3repE0EEENS1_30default_config_static_selectorELNS0_4arch9wavefront6targetE0EEEvT1_.has_indirect_call, 0
	.section	.AMDGPU.csdata,"",@progbits
; Kernel info:
; codeLenInByte = 0
; TotalNumSgprs: 0
; NumVgprs: 0
; ScratchSize: 0
; MemoryBound: 0
; FloatMode: 240
; IeeeMode: 1
; LDSByteSize: 0 bytes/workgroup (compile time only)
; SGPRBlocks: 0
; VGPRBlocks: 0
; NumSGPRsForWavesPerEU: 1
; NumVGPRsForWavesPerEU: 1
; Occupancy: 16
; WaveLimiterHint : 0
; COMPUTE_PGM_RSRC2:SCRATCH_EN: 0
; COMPUTE_PGM_RSRC2:USER_SGPR: 2
; COMPUTE_PGM_RSRC2:TRAP_HANDLER: 0
; COMPUTE_PGM_RSRC2:TGID_X_EN: 1
; COMPUTE_PGM_RSRC2:TGID_Y_EN: 0
; COMPUTE_PGM_RSRC2:TGID_Z_EN: 0
; COMPUTE_PGM_RSRC2:TIDIG_COMP_CNT: 0
	.section	.text._ZN2at6native32tensor_kernel_scan_innermost_dimIN3c107complexIdEEZZZNS0_31launch_logcumsumexp_cuda_kernelERKNS_10TensorBaseES7_lENKUlvE_clEvENKUlvE1_clEvEUlS4_S4_E_EEvPT_PKSB_jjjSB_T0_,"axG",@progbits,_ZN2at6native32tensor_kernel_scan_innermost_dimIN3c107complexIdEEZZZNS0_31launch_logcumsumexp_cuda_kernelERKNS_10TensorBaseES7_lENKUlvE_clEvENKUlvE1_clEvEUlS4_S4_E_EEvPT_PKSB_jjjSB_T0_,comdat
	.globl	_ZN2at6native32tensor_kernel_scan_innermost_dimIN3c107complexIdEEZZZNS0_31launch_logcumsumexp_cuda_kernelERKNS_10TensorBaseES7_lENKUlvE_clEvENKUlvE1_clEvEUlS4_S4_E_EEvPT_PKSB_jjjSB_T0_ ; -- Begin function _ZN2at6native32tensor_kernel_scan_innermost_dimIN3c107complexIdEEZZZNS0_31launch_logcumsumexp_cuda_kernelERKNS_10TensorBaseES7_lENKUlvE_clEvENKUlvE1_clEvEUlS4_S4_E_EEvPT_PKSB_jjjSB_T0_
	.p2align	8
	.type	_ZN2at6native32tensor_kernel_scan_innermost_dimIN3c107complexIdEEZZZNS0_31launch_logcumsumexp_cuda_kernelERKNS_10TensorBaseES7_lENKUlvE_clEvENKUlvE1_clEvEUlS4_S4_E_EEvPT_PKSB_jjjSB_T0_,@function
_ZN2at6native32tensor_kernel_scan_innermost_dimIN3c107complexIdEEZZZNS0_31launch_logcumsumexp_cuda_kernelERKNS_10TensorBaseES7_lENKUlvE_clEvENKUlvE1_clEvEUlS4_S4_E_EEvPT_PKSB_jjjSB_T0_: ; @_ZN2at6native32tensor_kernel_scan_innermost_dimIN3c107complexIdEEZZZNS0_31launch_logcumsumexp_cuda_kernelERKNS_10TensorBaseES7_lENKUlvE_clEvENKUlvE1_clEvEUlS4_S4_E_EEvPT_PKSB_jjjSB_T0_
; %bb.0:
	s_clause 0x2
	s_load_b96 s[40:42], s[0:1], 0x10
	s_load_b128 s[24:27], s[0:1], 0x0
	s_load_b128 s[36:39], s[0:1], 0x20
	v_mov_b32_e32 v40, v0
	s_mov_b64 s[18:19], s[0:1]
	s_mov_b32 s32, 0
	s_delay_alu instid0(VALU_DEP_1) | instskip(SKIP_3) | instid1(VALU_DEP_1)
	v_bfe_u32 v56, v40, 10, 10
	s_wait_kmcnt 0x0
	s_lshl_b32 s23, 2, s42
	s_mul_hi_u32 s0, s40, s41
	v_mul_lo_u32 v0, s23, v56
	s_cmp_lg_u32 s0, 0
	s_mov_b32 s0, -1
	s_delay_alu instid0(VALU_DEP_1)
	v_lshl_add_u32 v57, v0, 4, 0
	s_cbranch_scc1 .LBB259_30
; %bb.1:
	s_load_u16 s0, s[18:19], 0x46
	s_wait_kmcnt 0x0
	s_mul_i32 s28, ttmp9, s0
	s_delay_alu instid0(SALU_CYCLE_1)
	s_cmp_ge_u32 s28, s40
	s_cbranch_scc1 .LBB259_29
; %bb.2:
	s_add_nc_u64 s[2:3], s[18:19], 56
	v_dual_mov_b32 v42, 0 :: v_dual_and_b32 v45, 0x3ff, v40
	s_load_b32 s34, s[2:3], 0x0
	s_lshl_b32 s29, 1, s42
	s_cmp_lg_u32 s41, 0
	s_delay_alu instid0(VALU_DEP_1)
	v_lshl_add_u32 v46, v45, 4, v57
	s_cselect_b32 s33, -1, 0
	s_lshl_b32 s1, s23, 4
	v_cmp_eq_u32_e64 s20, 0, v45
	v_add3_u32 v47, v57, s1, -16
	v_lshl_add_u32 v58, s29, 4, v46
	s_add_co_i32 s35, s42, 1
	s_wait_kmcnt 0x0
	s_mul_i32 s34, s34, s0
	s_branch .LBB259_4
.LBB259_3:                              ;   in Loop: Header=BB259_4 Depth=1
	s_add_co_i32 s28, s28, s34
	s_wait_alu 0xfffe
	s_cmp_ge_u32 s28, s40
	s_cbranch_scc1 .LBB259_29
.LBB259_4:                              ; =>This Loop Header: Depth=1
                                        ;     Child Loop BB259_7 Depth 2
                                        ;       Child Loop BB259_18 Depth 3
	s_and_not1_b32 vcc_lo, exec_lo, s33
	s_wait_alu 0xfffe
	s_cbranch_vccnz .LBB259_3
; %bb.5:                                ;   in Loop: Header=BB259_4 Depth=1
	v_add_nc_u32_e32 v2, s28, v56
	v_dual_mov_b32 v6, s38 :: v_dual_mov_b32 v7, s39
	v_dual_mov_b32 v4, s36 :: v_dual_mov_b32 v5, s37
	s_delay_alu instid0(VALU_DEP_3) | instskip(SKIP_4) | instid1(VALU_DEP_1)
	v_mul_lo_u32 v41, v2, s41
	v_cmp_gt_u32_e64 s21, s40, v2
	v_cmp_le_u32_e64 s22, s40, v2
	s_mov_b32 s43, 0
	v_lshlrev_b64_e32 v[0:1], 4, v[41:42]
	v_add_co_u32 v59, vcc_lo, s26, v0
	s_wait_alu 0xfffd
	s_delay_alu instid0(VALU_DEP_2)
	v_add_co_ci_u32_e64 v60, null, s27, v1, vcc_lo
	v_add_co_u32 v61, vcc_lo, s24, v0
	s_wait_alu 0xfffd
	v_add_co_ci_u32_e64 v62, null, s25, v1, vcc_lo
	s_branch .LBB259_7
.LBB259_6:                              ;   in Loop: Header=BB259_7 Depth=2
	s_wait_alu 0xfffe
	s_or_b32 exec_lo, exec_lo, s0
	ds_load_b128 v[4:7], v47
	s_add_co_i32 s43, s43, s23
	s_wait_storecnt 0x0
	s_wait_loadcnt_dscnt 0x0
	s_wait_alu 0xfffe
	s_cmp_ge_u32 s43, s41
	s_barrier_signal -1
	s_barrier_wait -1
	global_inv scope:SCOPE_SE
	s_cbranch_scc1 .LBB259_3
.LBB259_7:                              ;   Parent Loop BB259_4 Depth=1
                                        ; =>  This Loop Header: Depth=2
                                        ;       Child Loop BB259_18 Depth 3
	s_wait_alu 0xfffe
	v_add_nc_u32_e32 v41, s43, v45
	s_delay_alu instid0(VALU_DEP_1)
	v_add_nc_u32_e32 v43, s29, v41
	s_and_saveexec_b32 s44, s21
	s_cbranch_execz .LBB259_16
; %bb.8:                                ;   in Loop: Header=BB259_7 Depth=2
	s_mov_b32 s0, exec_lo
	v_cmpx_le_u32_e64 s41, v41
	s_wait_alu 0xfffe
	s_xor_b32 s0, exec_lo, s0
; %bb.9:                                ;   in Loop: Header=BB259_7 Depth=2
	v_dual_mov_b32 v0, s36 :: v_dual_mov_b32 v1, s37
	v_dual_mov_b32 v2, s38 :: v_dual_mov_b32 v3, s39
	ds_store_b128 v46, v[0:3]
; %bb.10:                               ;   in Loop: Header=BB259_7 Depth=2
	s_wait_alu 0xfffe
	s_and_not1_saveexec_b32 s0, s0
	s_cbranch_execz .LBB259_12
; %bb.11:                               ;   in Loop: Header=BB259_7 Depth=2
	v_lshlrev_b64_e32 v[0:1], 4, v[41:42]
	s_delay_alu instid0(VALU_DEP_1) | instskip(SKIP_1) | instid1(VALU_DEP_2)
	v_add_co_u32 v0, vcc_lo, v59, v0
	s_wait_alu 0xfffd
	v_add_co_ci_u32_e64 v1, null, v60, v1, vcc_lo
	global_load_b128 v[0:3], v[0:1], off
	s_wait_loadcnt 0x0
	ds_store_b128 v46, v[0:3]
.LBB259_12:                             ;   in Loop: Header=BB259_7 Depth=2
	s_wait_alu 0xfffe
	s_or_b32 exec_lo, exec_lo, s0
	s_delay_alu instid0(SALU_CYCLE_1)
	s_mov_b32 s0, exec_lo
	v_cmpx_le_u32_e64 s41, v43
	s_wait_alu 0xfffe
	s_xor_b32 s0, exec_lo, s0
	s_cbranch_execnz .LBB259_27
; %bb.13:                               ;   in Loop: Header=BB259_7 Depth=2
	s_wait_alu 0xfffe
	s_and_not1_saveexec_b32 s0, s0
	s_cbranch_execnz .LBB259_28
.LBB259_14:                             ;   in Loop: Header=BB259_7 Depth=2
	s_wait_alu 0xfffe
	s_or_b32 exec_lo, exec_lo, s0
	s_delay_alu instid0(SALU_CYCLE_1)
	s_and_b32 exec_lo, exec_lo, s20
	s_cbranch_execz .LBB259_16
.LBB259_15:                             ;   in Loop: Header=BB259_7 Depth=2
	ds_load_b128 v[0:3], v57
	s_getpc_b64 s[0:1]
	s_wait_alu 0xfffe
	s_sext_i32_i16 s1, s1
	s_add_co_u32 s0, s0, _ZZZZN2at6native31launch_logcumsumexp_cuda_kernelERKNS_10TensorBaseES3_lENKUlvE_clEvENKUlvE1_clEvENKUlN3c107complexIdEES8_E_clES8_S8_@rel32@lo+12
	s_wait_alu 0xfffe
	s_add_co_ci_u32 s1, s1, _ZZZZN2at6native31launch_logcumsumexp_cuda_kernelERKNS_10TensorBaseES3_lENKUlvE_clEvENKUlvE1_clEvENKUlN3c107complexIdEES8_E_clES8_S8_@rel32@hi+24
	s_wait_alu 0xfffe
	s_swappc_b64 s[30:31], s[0:1]
	ds_store_b128 v57, v[0:3]
.LBB259_16:                             ;   in Loop: Header=BB259_7 Depth=2
	s_wait_alu 0xfffe
	s_or_b32 exec_lo, exec_lo, s44
	v_mov_b32_e32 v4, 0
	s_mov_b32 s44, 0
	s_wait_storecnt_dscnt 0x0
	s_barrier_signal -1
	s_barrier_wait -1
	global_inv scope:SCOPE_SE
	s_branch .LBB259_18
.LBB259_17:                             ;   in Loop: Header=BB259_18 Depth=3
	s_wait_alu 0xfffe
	s_or_b32 exec_lo, exec_lo, s45
	v_cmp_eq_u32_e32 vcc_lo, s35, v4
	s_wait_storecnt 0x0
	s_wait_loadcnt_dscnt 0x0
	s_barrier_signal -1
	s_barrier_wait -1
	global_inv scope:SCOPE_SE
	s_or_b32 s44, vcc_lo, s44
	s_wait_alu 0xfffe
	s_and_not1_b32 exec_lo, exec_lo, s44
	s_cbranch_execz .LBB259_22
.LBB259_18:                             ;   Parent Loop BB259_4 Depth=1
                                        ;     Parent Loop BB259_7 Depth=2
                                        ; =>    This Inner Loop Header: Depth=3
	v_add_nc_u32_e32 v44, 1, v4
	s_and_saveexec_b32 s0, s22
	s_wait_alu 0xfffe
	s_xor_b32 s0, exec_lo, s0
; %bb.19:                               ;   in Loop: Header=BB259_18 Depth=3
	v_add_nc_u32_e32 v4, 1, v4
                                        ; implicit-def: $vgpr44
; %bb.20:                               ;   in Loop: Header=BB259_18 Depth=3
	s_wait_alu 0xfffe
	s_and_not1_saveexec_b32 s45, s0
	s_cbranch_execz .LBB259_17
; %bb.21:                               ;   in Loop: Header=BB259_18 Depth=3
	s_delay_alu instid0(VALU_DEP_1)
	v_lshlrev_b32_e64 v0, v4, 1
	v_lshrrev_b32_e32 v1, v4, v45
	v_bfm_b32 v2, v4, 0
	s_getpc_b64 s[0:1]
	s_wait_alu 0xfffe
	s_sext_i32_i16 s1, s1
	s_add_co_u32 s0, s0, _ZZZZN2at6native31launch_logcumsumexp_cuda_kernelERKNS_10TensorBaseES3_lENKUlvE_clEvENKUlvE1_clEvENKUlN3c107complexIdEES8_E_clES8_S8_@rel32@lo+12
	s_wait_alu 0xfffe
	s_add_co_ci_u32 s1, s1, _ZZZZN2at6native31launch_logcumsumexp_cuda_kernelERKNS_10TensorBaseES3_lENKUlvE_clEvENKUlvE1_clEvENKUlN3c107complexIdEES8_E_clES8_S8_@rel32@hi+24
	v_lshl_or_b32 v0, v1, v44, v0
	v_and_b32_e32 v1, v2, v45
	s_delay_alu instid0(VALU_DEP_2) | instskip(NEXT) | instid1(VALU_DEP_1)
	v_lshl_add_u32 v0, v0, 4, v57
	v_lshl_add_u32 v63, v1, 4, v0
	v_add_nc_u32_e32 v4, -16, v0
	ds_load_b128 v[0:3], v63
	ds_load_b128 v[4:7], v4
	s_wait_alu 0xfffe
	s_swappc_b64 s[30:31], s[0:1]
	v_mov_b32_e32 v4, v44
	ds_store_b128 v63, v[0:3]
	s_branch .LBB259_17
.LBB259_22:                             ;   in Loop: Header=BB259_7 Depth=2
	s_or_b32 exec_lo, exec_lo, s44
	s_and_saveexec_b32 s0, s21
	s_cbranch_execz .LBB259_6
; %bb.23:                               ;   in Loop: Header=BB259_7 Depth=2
	s_mov_b32 s1, exec_lo
	v_cmpx_gt_u32_e64 s41, v41
	s_cbranch_execz .LBB259_25
; %bb.24:                               ;   in Loop: Header=BB259_7 Depth=2
	ds_load_b128 v[0:3], v46
	v_lshlrev_b64_e32 v[4:5], 4, v[41:42]
	s_delay_alu instid0(VALU_DEP_1) | instskip(SKIP_1) | instid1(VALU_DEP_2)
	v_add_co_u32 v4, vcc_lo, v61, v4
	s_wait_alu 0xfffd
	v_add_co_ci_u32_e64 v5, null, v62, v5, vcc_lo
	s_wait_dscnt 0x0
	global_store_b128 v[4:5], v[0:3], off
.LBB259_25:                             ;   in Loop: Header=BB259_7 Depth=2
	s_wait_alu 0xfffe
	s_or_b32 exec_lo, exec_lo, s1
	v_cmp_gt_u32_e32 vcc_lo, s41, v43
	s_and_b32 exec_lo, exec_lo, vcc_lo
	s_cbranch_execz .LBB259_6
; %bb.26:                               ;   in Loop: Header=BB259_7 Depth=2
	ds_load_b128 v[0:3], v58
	v_mov_b32_e32 v44, v42
	s_delay_alu instid0(VALU_DEP_1) | instskip(NEXT) | instid1(VALU_DEP_1)
	v_lshlrev_b64_e32 v[4:5], 4, v[43:44]
	v_add_co_u32 v4, vcc_lo, v61, v4
	s_wait_alu 0xfffd
	s_delay_alu instid0(VALU_DEP_2)
	v_add_co_ci_u32_e64 v5, null, v62, v5, vcc_lo
	s_wait_dscnt 0x0
	global_store_b128 v[4:5], v[0:3], off
	s_branch .LBB259_6
.LBB259_27:                             ;   in Loop: Header=BB259_7 Depth=2
	v_dual_mov_b32 v0, s36 :: v_dual_mov_b32 v1, s37
	v_dual_mov_b32 v2, s38 :: v_dual_mov_b32 v3, s39
	ds_store_b128 v58, v[0:3]
	s_wait_alu 0xfffe
	s_and_not1_saveexec_b32 s0, s0
	s_cbranch_execz .LBB259_14
.LBB259_28:                             ;   in Loop: Header=BB259_7 Depth=2
	v_mov_b32_e32 v44, v42
	s_delay_alu instid0(VALU_DEP_1) | instskip(NEXT) | instid1(VALU_DEP_1)
	v_lshlrev_b64_e32 v[0:1], 4, v[43:44]
	v_add_co_u32 v0, vcc_lo, v59, v0
	s_wait_alu 0xfffd
	s_delay_alu instid0(VALU_DEP_2)
	v_add_co_ci_u32_e64 v1, null, v60, v1, vcc_lo
	global_load_b128 v[0:3], v[0:1], off
	s_wait_loadcnt 0x0
	ds_store_b128 v58, v[0:3]
	s_wait_alu 0xfffe
	s_or_b32 exec_lo, exec_lo, s0
	s_delay_alu instid0(SALU_CYCLE_1)
	s_and_b32 exec_lo, exec_lo, s20
	s_cbranch_execnz .LBB259_15
	s_branch .LBB259_16
.LBB259_29:
	s_mov_b32 s0, 0
.LBB259_30:
	s_wait_alu 0xfffe
	s_and_not1_b32 vcc_lo, exec_lo, s0
	s_wait_alu 0xfffe
	s_cbranch_vccnz .LBB259_61
; %bb.31:
	v_mov_b32_e32 v41, 0
	s_mov_b32 s23, 0
	s_mov_b32 s22, s40
	global_load_u16 v0, v41, s[18:19] offset:70
	s_wait_loadcnt 0x0
	v_and_b32_e32 v0, 0xffff, v0
	s_delay_alu instid0(VALU_DEP_1) | instskip(SKIP_2) | instid1(VALU_DEP_1)
	v_mul_hi_u32 v43, ttmp9, v0
	v_mul_lo_u32 v42, ttmp9, v0
	s_wait_alu 0xfffe
	v_cmp_le_u64_e32 vcc_lo, s[22:23], v[42:43]
	s_cbranch_vccnz .LBB259_61
; %bb.32:
	s_add_nc_u64 s[0:1], s[18:19], 56
	v_and_b32_e32 v40, 0x3ff, v40
	s_load_b32 s0, s[0:1], 0x0
	s_lshl_b32 s28, 1, s42
	s_mov_b32 s40, s41
	s_wait_alu 0xfffe
	s_ashr_i32 s29, s28, 31
	s_cmp_lg_u32 s41, 0
	v_lshl_add_u32 v58, v40, 4, v57
	s_cselect_b32 s21, -1, 0
	s_wait_alu 0xfffe
	s_lshl_b64 s[34:35], s[28:29], 1
	v_cmp_eq_u32_e64 s18, 0, v40
	s_wait_alu 0xfffe
	s_lshl_b32 s1, s34, 4
	v_lshl_add_u32 v59, s28, 4, v58
	s_wait_alu 0xfffe
	v_add3_u32 v61, v57, s1, -16
	s_mov_b32 s41, s23
	s_add_co_i32 s33, s42, 1
	s_wait_kmcnt 0x0
	v_mul_lo_u32 v60, s0, v0
	s_branch .LBB259_34
.LBB259_33:                             ;   in Loop: Header=BB259_34 Depth=1
	s_delay_alu instid0(VALU_DEP_1) | instskip(SKIP_2) | instid1(VALU_DEP_1)
	v_add_co_u32 v42, vcc_lo, v42, v60
	s_wait_alu 0xfffd
	v_add_co_ci_u32_e64 v43, null, 0, v43, vcc_lo
	v_cmp_le_u64_e32 vcc_lo, s[22:23], v[42:43]
	s_cbranch_vccnz .LBB259_61
.LBB259_34:                             ; =>This Loop Header: Depth=1
                                        ;     Child Loop BB259_37 Depth 2
                                        ;       Child Loop BB259_49 Depth 3
	s_and_not1_b32 vcc_lo, exec_lo, s21
	s_wait_alu 0xfffe
	s_cbranch_vccnz .LBB259_33
; %bb.35:                               ;   in Loop: Header=BB259_34 Depth=1
	v_add_co_u32 v0, vcc_lo, v42, v56
	s_wait_alu 0xfffd
	v_add_co_ci_u32_e64 v1, null, 0, v43, vcc_lo
	v_dual_mov_b32 v6, s38 :: v_dual_mov_b32 v7, s39
	s_delay_alu instid0(VALU_DEP_3) | instskip(NEXT) | instid1(VALU_DEP_3)
	v_mad_co_u64_u32 v[2:3], null, v0, s40, 0
	v_cmp_gt_u64_e64 s19, s[22:23], v[0:1]
	v_cmp_le_u64_e64 s20, s[22:23], v[0:1]
	s_mov_b64 s[42:43], 0
	v_mad_co_u64_u32 v[3:4], null, v1, s40, v[3:4]
	v_dual_mov_b32 v4, s36 :: v_dual_mov_b32 v5, s37
	s_delay_alu instid0(VALU_DEP_2) | instskip(NEXT) | instid1(VALU_DEP_1)
	v_lshlrev_b64_e32 v[2:3], 4, v[2:3]
	v_add_co_u32 v62, vcc_lo, s26, v2
	s_wait_alu 0xfffd
	s_delay_alu instid0(VALU_DEP_2)
	v_add_co_ci_u32_e64 v63, null, s27, v3, vcc_lo
	v_add_co_u32 v72, vcc_lo, s24, v2
	s_wait_alu 0xfffd
	v_add_co_ci_u32_e64 v73, null, s25, v3, vcc_lo
	s_branch .LBB259_37
.LBB259_36:                             ;   in Loop: Header=BB259_37 Depth=2
	s_wait_alu 0xfffe
	s_or_b32 exec_lo, exec_lo, s0
	ds_load_b128 v[4:7], v61
	s_add_nc_u64 s[42:43], s[42:43], s[34:35]
	s_wait_storecnt 0x0
	s_wait_loadcnt_dscnt 0x0
	s_wait_alu 0xfffe
	v_cmp_ge_u64_e64 s0, s[42:43], s[40:41]
	s_barrier_signal -1
	s_barrier_wait -1
	global_inv scope:SCOPE_SE
	s_and_b32 vcc_lo, exec_lo, s0
	s_wait_alu 0xfffe
	s_cbranch_vccnz .LBB259_33
.LBB259_37:                             ;   Parent Loop BB259_34 Depth=1
                                        ; =>  This Loop Header: Depth=2
                                        ;       Child Loop BB259_49 Depth 3
	s_wait_alu 0xfffe
	v_add_co_u32 v46, s0, s42, v40
	s_wait_alu 0xf1ff
	v_add_co_ci_u32_e64 v47, null, s43, 0, s0
	s_delay_alu instid0(VALU_DEP_2) | instskip(SKIP_1) | instid1(VALU_DEP_2)
	v_add_co_u32 v44, vcc_lo, v46, s28
	s_wait_alu 0xfffd
	v_add_co_ci_u32_e64 v45, null, s29, v47, vcc_lo
	s_and_saveexec_b32 s44, s19
	s_cbranch_execz .LBB259_46
; %bb.38:                               ;   in Loop: Header=BB259_37 Depth=2
	s_mov_b32 s0, exec_lo
	v_cmpx_le_u64_e64 s[40:41], v[46:47]
	s_wait_alu 0xfffe
	s_xor_b32 s0, exec_lo, s0
; %bb.39:                               ;   in Loop: Header=BB259_37 Depth=2
	v_dual_mov_b32 v0, s36 :: v_dual_mov_b32 v1, s37
	v_dual_mov_b32 v2, s38 :: v_dual_mov_b32 v3, s39
	ds_store_b128 v58, v[0:3]
; %bb.40:                               ;   in Loop: Header=BB259_37 Depth=2
	s_wait_alu 0xfffe
	s_and_not1_saveexec_b32 s0, s0
	s_cbranch_execz .LBB259_42
; %bb.41:                               ;   in Loop: Header=BB259_37 Depth=2
	v_lshlrev_b64_e32 v[0:1], 4, v[46:47]
	s_delay_alu instid0(VALU_DEP_1) | instskip(SKIP_1) | instid1(VALU_DEP_2)
	v_add_co_u32 v0, vcc_lo, v62, v0
	s_wait_alu 0xfffd
	v_add_co_ci_u32_e64 v1, null, v63, v1, vcc_lo
	global_load_b128 v[0:3], v[0:1], off
	s_wait_loadcnt 0x0
	ds_store_b128 v58, v[0:3]
.LBB259_42:                             ;   in Loop: Header=BB259_37 Depth=2
	s_wait_alu 0xfffe
	s_or_b32 exec_lo, exec_lo, s0
	s_delay_alu instid0(SALU_CYCLE_1)
	s_mov_b32 s0, exec_lo
	v_cmpx_le_u64_e64 s[40:41], v[44:45]
	s_wait_alu 0xfffe
	s_xor_b32 s0, exec_lo, s0
	s_cbranch_execnz .LBB259_59
; %bb.43:                               ;   in Loop: Header=BB259_37 Depth=2
	s_wait_alu 0xfffe
	s_and_not1_saveexec_b32 s0, s0
	s_cbranch_execnz .LBB259_60
.LBB259_44:                             ;   in Loop: Header=BB259_37 Depth=2
	s_wait_alu 0xfffe
	s_or_b32 exec_lo, exec_lo, s0
	s_delay_alu instid0(SALU_CYCLE_1)
	s_and_b32 exec_lo, exec_lo, s18
	s_cbranch_execz .LBB259_46
.LBB259_45:                             ;   in Loop: Header=BB259_37 Depth=2
	ds_load_b128 v[0:3], v57
	s_getpc_b64 s[0:1]
	s_wait_alu 0xfffe
	s_sext_i32_i16 s1, s1
	s_add_co_u32 s0, s0, _ZZZZN2at6native31launch_logcumsumexp_cuda_kernelERKNS_10TensorBaseES3_lENKUlvE_clEvENKUlvE1_clEvENKUlN3c107complexIdEES8_E_clES8_S8_@rel32@lo+12
	s_wait_alu 0xfffe
	s_add_co_ci_u32 s1, s1, _ZZZZN2at6native31launch_logcumsumexp_cuda_kernelERKNS_10TensorBaseES3_lENKUlvE_clEvENKUlvE1_clEvENKUlN3c107complexIdEES8_E_clES8_S8_@rel32@hi+24
	s_wait_alu 0xfffe
	s_swappc_b64 s[30:31], s[0:1]
	ds_store_b128 v57, v[0:3]
.LBB259_46:                             ;   in Loop: Header=BB259_37 Depth=2
	s_wait_alu 0xfffe
	s_or_b32 exec_lo, exec_lo, s44
	v_mov_b32_e32 v3, 0
	s_mov_b32 s44, 0
	s_wait_storecnt_dscnt 0x0
	s_barrier_signal -1
	s_barrier_wait -1
	global_inv scope:SCOPE_SE
	s_branch .LBB259_49
.LBB259_47:                             ;   in Loop: Header=BB259_49 Depth=3
	s_wait_alu 0xfffe
	s_or_b32 exec_lo, exec_lo, s0
	v_lshrrev_b32_e32 v2, v3, v40
	s_getpc_b64 s[0:1]
	s_wait_alu 0xfffe
	s_sext_i32_i16 s1, s1
	s_add_co_u32 s0, s0, _ZZZZN2at6native31launch_logcumsumexp_cuda_kernelERKNS_10TensorBaseES3_lENKUlvE_clEvENKUlvE1_clEvENKUlN3c107complexIdEES8_E_clES8_S8_@rel32@lo+12
	s_wait_alu 0xfffe
	s_add_co_ci_u32 s1, s1, _ZZZZN2at6native31launch_logcumsumexp_cuda_kernelERKNS_10TensorBaseES3_lENKUlvE_clEvENKUlvE1_clEvENKUlN3c107complexIdEES8_E_clES8_S8_@rel32@hi+24
	v_lshl_or_b32 v0, v2, v74, v0
	s_delay_alu instid0(VALU_DEP_1) | instskip(NEXT) | instid1(VALU_DEP_1)
	v_lshl_add_u32 v0, v0, 4, v57
	v_lshl_add_u32 v75, v1, 4, v0
	v_add_nc_u32_e32 v4, -16, v0
	ds_load_b128 v[0:3], v75
	ds_load_b128 v[4:7], v4
	s_wait_alu 0xfffe
	s_swappc_b64 s[30:31], s[0:1]
	ds_store_b128 v75, v[0:3]
.LBB259_48:                             ;   in Loop: Header=BB259_49 Depth=3
	s_wait_alu 0xfffe
	s_or_b32 exec_lo, exec_lo, s45
	v_cmp_eq_u32_e32 vcc_lo, s33, v74
	v_mov_b32_e32 v3, v74
	s_wait_storecnt 0x0
	s_wait_loadcnt_dscnt 0x0
	s_barrier_signal -1
	s_barrier_wait -1
	s_or_b32 s44, vcc_lo, s44
	global_inv scope:SCOPE_SE
	s_wait_alu 0xfffe
	s_and_not1_b32 exec_lo, exec_lo, s44
	s_cbranch_execz .LBB259_54
.LBB259_49:                             ;   Parent Loop BB259_34 Depth=1
                                        ;     Parent Loop BB259_37 Depth=2
                                        ; =>    This Inner Loop Header: Depth=3
	v_add_nc_u32_e32 v74, 1, v3
	s_and_saveexec_b32 s0, s20
	s_wait_alu 0xfffe
	s_xor_b32 s0, exec_lo, s0
; %bb.50:                               ;   in Loop: Header=BB259_49 Depth=3
	v_add_nc_u32_e32 v74, 1, v3
                                        ; implicit-def: $vgpr3
; %bb.51:                               ;   in Loop: Header=BB259_49 Depth=3
	s_wait_alu 0xfffe
	s_and_not1_saveexec_b32 s45, s0
	s_cbranch_execz .LBB259_48
; %bb.52:                               ;   in Loop: Header=BB259_49 Depth=3
	v_lshlrev_b32_e64 v0, v3, 1
	s_delay_alu instid0(VALU_DEP_1) | instskip(NEXT) | instid1(VALU_DEP_1)
	v_ashrrev_i32_e32 v1, 31, v0
	v_cmp_ge_u64_e32 vcc_lo, v[40:41], v[0:1]
	v_dual_mov_b32 v1, v40 :: v_dual_mov_b32 v2, v41
	s_and_saveexec_b32 s0, vcc_lo
	s_cbranch_execz .LBB259_47
; %bb.53:                               ;   in Loop: Header=BB259_49 Depth=3
	v_cvt_f32_u32_e32 v1, v0
	v_sub_nc_u32_e32 v2, 0, v0
	s_delay_alu instid0(VALU_DEP_2) | instskip(NEXT) | instid1(TRANS32_DEP_1)
	v_rcp_iflag_f32_e32 v1, v1
	v_mul_f32_e32 v1, 0x4f7ffffe, v1
	s_delay_alu instid0(VALU_DEP_1) | instskip(NEXT) | instid1(VALU_DEP_1)
	v_cvt_u32_f32_e32 v1, v1
	v_mul_lo_u32 v2, v2, v1
	s_delay_alu instid0(VALU_DEP_1) | instskip(NEXT) | instid1(VALU_DEP_1)
	v_mul_hi_u32 v2, v1, v2
	v_add_nc_u32_e32 v1, v1, v2
	s_delay_alu instid0(VALU_DEP_1) | instskip(NEXT) | instid1(VALU_DEP_1)
	v_mul_hi_u32 v1, v40, v1
	v_mul_lo_u32 v1, v1, v0
	s_delay_alu instid0(VALU_DEP_1) | instskip(NEXT) | instid1(VALU_DEP_1)
	v_sub_nc_u32_e32 v1, v40, v1
	v_sub_nc_u32_e32 v2, v1, v0
	v_cmp_ge_u32_e32 vcc_lo, v1, v0
	s_wait_alu 0xfffd
	s_delay_alu instid0(VALU_DEP_2) | instskip(NEXT) | instid1(VALU_DEP_1)
	v_cndmask_b32_e32 v1, v1, v2, vcc_lo
	v_sub_nc_u32_e32 v2, v1, v0
	v_cmp_ge_u32_e32 vcc_lo, v1, v0
	s_wait_alu 0xfffd
	s_delay_alu instid0(VALU_DEP_2)
	v_cndmask_b32_e32 v1, v1, v2, vcc_lo
	s_branch .LBB259_47
.LBB259_54:                             ;   in Loop: Header=BB259_37 Depth=2
	s_or_b32 exec_lo, exec_lo, s44
	s_and_saveexec_b32 s0, s19
	s_cbranch_execz .LBB259_36
; %bb.55:                               ;   in Loop: Header=BB259_37 Depth=2
	s_mov_b32 s1, exec_lo
	v_cmpx_gt_u64_e64 s[40:41], v[46:47]
	s_cbranch_execz .LBB259_57
; %bb.56:                               ;   in Loop: Header=BB259_37 Depth=2
	ds_load_b128 v[0:3], v58
	v_lshlrev_b64_e32 v[4:5], 4, v[46:47]
	s_delay_alu instid0(VALU_DEP_1) | instskip(SKIP_1) | instid1(VALU_DEP_2)
	v_add_co_u32 v4, vcc_lo, v72, v4
	s_wait_alu 0xfffd
	v_add_co_ci_u32_e64 v5, null, v73, v5, vcc_lo
	s_wait_dscnt 0x0
	global_store_b128 v[4:5], v[0:3], off
.LBB259_57:                             ;   in Loop: Header=BB259_37 Depth=2
	s_wait_alu 0xfffe
	s_or_b32 exec_lo, exec_lo, s1
	v_cmp_gt_u64_e32 vcc_lo, s[40:41], v[44:45]
	s_and_b32 exec_lo, exec_lo, vcc_lo
	s_cbranch_execz .LBB259_36
; %bb.58:                               ;   in Loop: Header=BB259_37 Depth=2
	ds_load_b128 v[0:3], v59
	v_lshlrev_b64_e32 v[4:5], 4, v[44:45]
	s_delay_alu instid0(VALU_DEP_1) | instskip(SKIP_1) | instid1(VALU_DEP_2)
	v_add_co_u32 v4, vcc_lo, v72, v4
	s_wait_alu 0xfffd
	v_add_co_ci_u32_e64 v5, null, v73, v5, vcc_lo
	s_wait_dscnt 0x0
	global_store_b128 v[4:5], v[0:3], off
	s_branch .LBB259_36
.LBB259_59:                             ;   in Loop: Header=BB259_37 Depth=2
	v_dual_mov_b32 v0, s36 :: v_dual_mov_b32 v1, s37
	v_dual_mov_b32 v2, s38 :: v_dual_mov_b32 v3, s39
	ds_store_b128 v59, v[0:3]
	s_wait_alu 0xfffe
	s_and_not1_saveexec_b32 s0, s0
	s_cbranch_execz .LBB259_44
.LBB259_60:                             ;   in Loop: Header=BB259_37 Depth=2
	v_lshlrev_b64_e32 v[0:1], 4, v[44:45]
	s_delay_alu instid0(VALU_DEP_1) | instskip(SKIP_1) | instid1(VALU_DEP_2)
	v_add_co_u32 v0, vcc_lo, v62, v0
	s_wait_alu 0xfffd
	v_add_co_ci_u32_e64 v1, null, v63, v1, vcc_lo
	global_load_b128 v[0:3], v[0:1], off
	s_wait_loadcnt 0x0
	ds_store_b128 v59, v[0:3]
	s_wait_alu 0xfffe
	s_or_b32 exec_lo, exec_lo, s0
	s_delay_alu instid0(SALU_CYCLE_1)
	s_and_b32 exec_lo, exec_lo, s18
	s_cbranch_execnz .LBB259_45
	s_branch .LBB259_46
.LBB259_61:
	s_endpgm
	.section	.rodata,"a",@progbits
	.p2align	6, 0x0
	.amdhsa_kernel _ZN2at6native32tensor_kernel_scan_innermost_dimIN3c107complexIdEEZZZNS0_31launch_logcumsumexp_cuda_kernelERKNS_10TensorBaseES7_lENKUlvE_clEvENKUlvE1_clEvEUlS4_S4_E_EEvPT_PKSB_jjjSB_T0_
		.amdhsa_group_segment_fixed_size 0
		.amdhsa_private_segment_fixed_size 0
		.amdhsa_kernarg_size 312
		.amdhsa_user_sgpr_count 2
		.amdhsa_user_sgpr_dispatch_ptr 0
		.amdhsa_user_sgpr_queue_ptr 0
		.amdhsa_user_sgpr_kernarg_segment_ptr 1
		.amdhsa_user_sgpr_dispatch_id 0
		.amdhsa_user_sgpr_private_segment_size 0
		.amdhsa_wavefront_size32 1
		.amdhsa_uses_dynamic_stack 0
		.amdhsa_enable_private_segment 0
		.amdhsa_system_sgpr_workgroup_id_x 1
		.amdhsa_system_sgpr_workgroup_id_y 0
		.amdhsa_system_sgpr_workgroup_id_z 0
		.amdhsa_system_sgpr_workgroup_info 0
		.amdhsa_system_vgpr_workitem_id 1
		.amdhsa_next_free_vgpr 136
		.amdhsa_next_free_sgpr 46
		.amdhsa_reserve_vcc 1
		.amdhsa_float_round_mode_32 0
		.amdhsa_float_round_mode_16_64 0
		.amdhsa_float_denorm_mode_32 3
		.amdhsa_float_denorm_mode_16_64 3
		.amdhsa_fp16_overflow 0
		.amdhsa_workgroup_processor_mode 1
		.amdhsa_memory_ordered 1
		.amdhsa_forward_progress 1
		.amdhsa_inst_pref_size 21
		.amdhsa_round_robin_scheduling 0
		.amdhsa_exception_fp_ieee_invalid_op 0
		.amdhsa_exception_fp_denorm_src 0
		.amdhsa_exception_fp_ieee_div_zero 0
		.amdhsa_exception_fp_ieee_overflow 0
		.amdhsa_exception_fp_ieee_underflow 0
		.amdhsa_exception_fp_ieee_inexact 0
		.amdhsa_exception_int_div_zero 0
	.end_amdhsa_kernel
	.section	.text._ZN2at6native32tensor_kernel_scan_innermost_dimIN3c107complexIdEEZZZNS0_31launch_logcumsumexp_cuda_kernelERKNS_10TensorBaseES7_lENKUlvE_clEvENKUlvE1_clEvEUlS4_S4_E_EEvPT_PKSB_jjjSB_T0_,"axG",@progbits,_ZN2at6native32tensor_kernel_scan_innermost_dimIN3c107complexIdEEZZZNS0_31launch_logcumsumexp_cuda_kernelERKNS_10TensorBaseES7_lENKUlvE_clEvENKUlvE1_clEvEUlS4_S4_E_EEvPT_PKSB_jjjSB_T0_,comdat
.Lfunc_end259:
	.size	_ZN2at6native32tensor_kernel_scan_innermost_dimIN3c107complexIdEEZZZNS0_31launch_logcumsumexp_cuda_kernelERKNS_10TensorBaseES7_lENKUlvE_clEvENKUlvE1_clEvEUlS4_S4_E_EEvPT_PKSB_jjjSB_T0_, .Lfunc_end259-_ZN2at6native32tensor_kernel_scan_innermost_dimIN3c107complexIdEEZZZNS0_31launch_logcumsumexp_cuda_kernelERKNS_10TensorBaseES7_lENKUlvE_clEvENKUlvE1_clEvEUlS4_S4_E_EEvPT_PKSB_jjjSB_T0_
                                        ; -- End function
	.set _ZN2at6native32tensor_kernel_scan_innermost_dimIN3c107complexIdEEZZZNS0_31launch_logcumsumexp_cuda_kernelERKNS_10TensorBaseES7_lENKUlvE_clEvENKUlvE1_clEvEUlS4_S4_E_EEvPT_PKSB_jjjSB_T0_.num_vgpr, max(76, .L_ZZZZN2at6native31launch_logcumsumexp_cuda_kernelERKNS_10TensorBaseES3_lENKUlvE_clEvENKUlvE1_clEvENKUlN3c107complexIdEES8_E_clES8_S8_.num_vgpr)
	.set _ZN2at6native32tensor_kernel_scan_innermost_dimIN3c107complexIdEEZZZNS0_31launch_logcumsumexp_cuda_kernelERKNS_10TensorBaseES7_lENKUlvE_clEvENKUlvE1_clEvEUlS4_S4_E_EEvPT_PKSB_jjjSB_T0_.num_agpr, max(0, .L_ZZZZN2at6native31launch_logcumsumexp_cuda_kernelERKNS_10TensorBaseES3_lENKUlvE_clEvENKUlvE1_clEvENKUlN3c107complexIdEES8_E_clES8_S8_.num_agpr)
	.set _ZN2at6native32tensor_kernel_scan_innermost_dimIN3c107complexIdEEZZZNS0_31launch_logcumsumexp_cuda_kernelERKNS_10TensorBaseES7_lENKUlvE_clEvENKUlvE1_clEvEUlS4_S4_E_EEvPT_PKSB_jjjSB_T0_.numbered_sgpr, max(46, .L_ZZZZN2at6native31launch_logcumsumexp_cuda_kernelERKNS_10TensorBaseES3_lENKUlvE_clEvENKUlvE1_clEvENKUlN3c107complexIdEES8_E_clES8_S8_.numbered_sgpr)
	.set _ZN2at6native32tensor_kernel_scan_innermost_dimIN3c107complexIdEEZZZNS0_31launch_logcumsumexp_cuda_kernelERKNS_10TensorBaseES7_lENKUlvE_clEvENKUlvE1_clEvEUlS4_S4_E_EEvPT_PKSB_jjjSB_T0_.num_named_barrier, max(0, .L_ZZZZN2at6native31launch_logcumsumexp_cuda_kernelERKNS_10TensorBaseES3_lENKUlvE_clEvENKUlvE1_clEvENKUlN3c107complexIdEES8_E_clES8_S8_.num_named_barrier)
	.set _ZN2at6native32tensor_kernel_scan_innermost_dimIN3c107complexIdEEZZZNS0_31launch_logcumsumexp_cuda_kernelERKNS_10TensorBaseES7_lENKUlvE_clEvENKUlvE1_clEvEUlS4_S4_E_EEvPT_PKSB_jjjSB_T0_.private_seg_size, 0+max(.L_ZZZZN2at6native31launch_logcumsumexp_cuda_kernelERKNS_10TensorBaseES3_lENKUlvE_clEvENKUlvE1_clEvENKUlN3c107complexIdEES8_E_clES8_S8_.private_seg_size)
	.set _ZN2at6native32tensor_kernel_scan_innermost_dimIN3c107complexIdEEZZZNS0_31launch_logcumsumexp_cuda_kernelERKNS_10TensorBaseES7_lENKUlvE_clEvENKUlvE1_clEvEUlS4_S4_E_EEvPT_PKSB_jjjSB_T0_.uses_vcc, or(1, .L_ZZZZN2at6native31launch_logcumsumexp_cuda_kernelERKNS_10TensorBaseES3_lENKUlvE_clEvENKUlvE1_clEvENKUlN3c107complexIdEES8_E_clES8_S8_.uses_vcc)
	.set _ZN2at6native32tensor_kernel_scan_innermost_dimIN3c107complexIdEEZZZNS0_31launch_logcumsumexp_cuda_kernelERKNS_10TensorBaseES7_lENKUlvE_clEvENKUlvE1_clEvEUlS4_S4_E_EEvPT_PKSB_jjjSB_T0_.uses_flat_scratch, or(0, .L_ZZZZN2at6native31launch_logcumsumexp_cuda_kernelERKNS_10TensorBaseES3_lENKUlvE_clEvENKUlvE1_clEvENKUlN3c107complexIdEES8_E_clES8_S8_.uses_flat_scratch)
	.set _ZN2at6native32tensor_kernel_scan_innermost_dimIN3c107complexIdEEZZZNS0_31launch_logcumsumexp_cuda_kernelERKNS_10TensorBaseES7_lENKUlvE_clEvENKUlvE1_clEvEUlS4_S4_E_EEvPT_PKSB_jjjSB_T0_.has_dyn_sized_stack, or(0, .L_ZZZZN2at6native31launch_logcumsumexp_cuda_kernelERKNS_10TensorBaseES3_lENKUlvE_clEvENKUlvE1_clEvENKUlN3c107complexIdEES8_E_clES8_S8_.has_dyn_sized_stack)
	.set _ZN2at6native32tensor_kernel_scan_innermost_dimIN3c107complexIdEEZZZNS0_31launch_logcumsumexp_cuda_kernelERKNS_10TensorBaseES7_lENKUlvE_clEvENKUlvE1_clEvEUlS4_S4_E_EEvPT_PKSB_jjjSB_T0_.has_recursion, or(0, .L_ZZZZN2at6native31launch_logcumsumexp_cuda_kernelERKNS_10TensorBaseES3_lENKUlvE_clEvENKUlvE1_clEvENKUlN3c107complexIdEES8_E_clES8_S8_.has_recursion)
	.set _ZN2at6native32tensor_kernel_scan_innermost_dimIN3c107complexIdEEZZZNS0_31launch_logcumsumexp_cuda_kernelERKNS_10TensorBaseES7_lENKUlvE_clEvENKUlvE1_clEvEUlS4_S4_E_EEvPT_PKSB_jjjSB_T0_.has_indirect_call, or(0, .L_ZZZZN2at6native31launch_logcumsumexp_cuda_kernelERKNS_10TensorBaseES3_lENKUlvE_clEvENKUlvE1_clEvENKUlN3c107complexIdEES8_E_clES8_S8_.has_indirect_call)
	.section	.AMDGPU.csdata,"",@progbits
; Kernel info:
; codeLenInByte = 2636
; TotalNumSgprs: 48
; NumVgprs: 136
; ScratchSize: 0
; MemoryBound: 0
; FloatMode: 240
; IeeeMode: 1
; LDSByteSize: 0 bytes/workgroup (compile time only)
; SGPRBlocks: 0
; VGPRBlocks: 16
; NumSGPRsForWavesPerEU: 48
; NumVGPRsForWavesPerEU: 136
; Occupancy: 10
; WaveLimiterHint : 0
; COMPUTE_PGM_RSRC2:SCRATCH_EN: 0
; COMPUTE_PGM_RSRC2:USER_SGPR: 2
; COMPUTE_PGM_RSRC2:TRAP_HANDLER: 0
; COMPUTE_PGM_RSRC2:TGID_X_EN: 1
; COMPUTE_PGM_RSRC2:TGID_Y_EN: 0
; COMPUTE_PGM_RSRC2:TGID_Z_EN: 0
; COMPUTE_PGM_RSRC2:TIDIG_COMP_CNT: 1
	.section	.text._ZN2at6native28tensor_kernel_scan_outer_dimIN3c107complexIdEEjZZZNS0_31launch_logcumsumexp_cuda_kernelERKNS_10TensorBaseES7_lENKUlvE_clEvENKUlvE1_clEvEUlS4_S4_E_EEvPT_PKSB_jjjSB_T1_,"axG",@progbits,_ZN2at6native28tensor_kernel_scan_outer_dimIN3c107complexIdEEjZZZNS0_31launch_logcumsumexp_cuda_kernelERKNS_10TensorBaseES7_lENKUlvE_clEvENKUlvE1_clEvEUlS4_S4_E_EEvPT_PKSB_jjjSB_T1_,comdat
	.globl	_ZN2at6native28tensor_kernel_scan_outer_dimIN3c107complexIdEEjZZZNS0_31launch_logcumsumexp_cuda_kernelERKNS_10TensorBaseES7_lENKUlvE_clEvENKUlvE1_clEvEUlS4_S4_E_EEvPT_PKSB_jjjSB_T1_ ; -- Begin function _ZN2at6native28tensor_kernel_scan_outer_dimIN3c107complexIdEEjZZZNS0_31launch_logcumsumexp_cuda_kernelERKNS_10TensorBaseES7_lENKUlvE_clEvENKUlvE1_clEvEUlS4_S4_E_EEvPT_PKSB_jjjSB_T1_
	.p2align	8
	.type	_ZN2at6native28tensor_kernel_scan_outer_dimIN3c107complexIdEEjZZZNS0_31launch_logcumsumexp_cuda_kernelERKNS_10TensorBaseES7_lENKUlvE_clEvENKUlvE1_clEvEUlS4_S4_E_EEvPT_PKSB_jjjSB_T1_,@function
_ZN2at6native28tensor_kernel_scan_outer_dimIN3c107complexIdEEjZZZNS0_31launch_logcumsumexp_cuda_kernelERKNS_10TensorBaseES7_lENKUlvE_clEvENKUlvE1_clEvEUlS4_S4_E_EEvPT_PKSB_jjjSB_T1_: ; @_ZN2at6native28tensor_kernel_scan_outer_dimIN3c107complexIdEEjZZZNS0_31launch_logcumsumexp_cuda_kernelERKNS_10TensorBaseES7_lENKUlvE_clEvENKUlvE1_clEvEUlS4_S4_E_EEvPT_PKSB_jjjSB_T1_
; %bb.0:
	s_load_b96 s[36:38], s[0:1], 0x10
	s_mov_b32 s32, 0
	s_wait_kmcnt 0x0
	s_cmp_ge_u32 ttmp9, s36
	s_cbranch_scc1 .LBB260_9
; %bb.1:
	s_clause 0x3
	s_load_b32 s2, s[0:1], 0x44
	s_load_b32 s33, s[0:1], 0x38
	s_load_b128 s[20:23], s[0:1], 0x0
	s_load_b128 s[24:27], s[0:1], 0x20
	s_add_nc_u64 s[28:29], s[0:1], 56
	s_mul_i32 s0, ttmp9, s38
	v_mov_b32_e32 v42, 0
	s_mov_b32 s35, 0
	s_mov_b32 s34, s37
	s_mul_i32 s0, s0, s37
	s_mov_b32 s19, ttmp9
	s_wait_kmcnt 0x0
	s_and_b32 s39, s2, 0xffff
	s_cmp_lg_u32 s38, 0
	v_mad_co_u64_u32 v[40:41], null, ttmp7, s39, v[0:1]
	s_mul_i32 s45, s33, s38
	s_cselect_b32 s44, -1, 0
	s_mul_i32 s45, s45, s37
	s_lshl_b64 s[40:41], s[34:35], 4
	s_mov_b32 s34, s0
	v_cmp_gt_u32_e64 s18, s37, v40
	s_branch .LBB260_3
.LBB260_2:                              ;   in Loop: Header=BB260_3 Depth=1
	s_wait_alu 0xfffe
	s_or_b32 exec_lo, exec_lo, s46
	s_add_co_i32 s19, s33, s19
	s_add_co_i32 s34, s34, s45
	s_wait_alu 0xfffe
	s_cmp_ge_u32 s19, s36
	s_cbranch_scc1 .LBB260_9
.LBB260_3:                              ; =>This Loop Header: Depth=1
                                        ;     Child Loop BB260_6 Depth 2
                                        ;       Child Loop BB260_8 Depth 3
	s_delay_alu instid0(VALU_DEP_1)
	s_and_saveexec_b32 s46, s18
	s_cbranch_execz .LBB260_2
; %bb.4:                                ;   in Loop: Header=BB260_3 Depth=1
	s_load_b32 s47, s[28:29], 0x4
	v_mov_b32_e32 v41, v40
	s_lshl_b64 s[42:43], s[34:35], 4
	s_mov_b32 s48, 0
	s_wait_kmcnt 0x0
	s_mul_i32 s47, s47, s39
	s_branch .LBB260_6
.LBB260_5:                              ;   in Loop: Header=BB260_6 Depth=2
	s_wait_alu 0xfffe
	v_add_nc_u32_e32 v41, s47, v41
	s_delay_alu instid0(VALU_DEP_1)
	v_cmp_le_u32_e32 vcc_lo, s37, v41
	s_or_b32 s48, vcc_lo, s48
	s_wait_alu 0xfffe
	s_and_not1_b32 exec_lo, exec_lo, s48
	s_cbranch_execz .LBB260_2
.LBB260_6:                              ;   Parent Loop BB260_3 Depth=1
                                        ; =>  This Loop Header: Depth=2
                                        ;       Child Loop BB260_8 Depth 3
	s_and_not1_b32 vcc_lo, exec_lo, s44
	s_wait_alu 0xfffe
	s_cbranch_vccnz .LBB260_5
; %bb.7:                                ;   in Loop: Header=BB260_6 Depth=2
	v_lshlrev_b64_e32 v[0:1], 4, v[41:42]
	v_dual_mov_b32 v2, s26 :: v_dual_mov_b32 v3, s27
	s_mov_b32 s49, s38
	s_delay_alu instid0(VALU_DEP_2) | instskip(SKIP_1) | instid1(VALU_DEP_3)
	v_add_co_u32 v43, vcc_lo, s42, v0
	s_wait_alu 0xfffd
	v_add_co_ci_u32_e64 v44, null, s43, v1, vcc_lo
	v_dual_mov_b32 v0, s24 :: v_dual_mov_b32 v1, s25
.LBB260_8:                              ;   Parent Loop BB260_3 Depth=1
                                        ;     Parent Loop BB260_6 Depth=2
                                        ; =>    This Inner Loop Header: Depth=3
	s_delay_alu instid0(VALU_DEP_3) | instskip(SKIP_1) | instid1(VALU_DEP_3)
	v_add_co_u32 v4, vcc_lo, s22, v43
	s_wait_alu 0xfffd
	v_add_co_ci_u32_e64 v5, null, s23, v44, vcc_lo
	v_add_co_u32 v45, vcc_lo, s20, v43
	s_getpc_b64 s[0:1]
	s_wait_alu 0xfffe
	s_sext_i32_i16 s1, s1
	s_add_co_u32 s0, s0, _ZZZZN2at6native31launch_logcumsumexp_cuda_kernelERKNS_10TensorBaseES3_lENKUlvE_clEvENKUlvE1_clEvENKUlN3c107complexIdEES8_E_clES8_S8_@rel32@lo+12
	s_wait_alu 0xfffe
	s_add_co_ci_u32 s1, s1, _ZZZZN2at6native31launch_logcumsumexp_cuda_kernelERKNS_10TensorBaseES3_lENKUlvE_clEvENKUlvE1_clEvENKUlN3c107complexIdEES8_E_clES8_S8_@rel32@hi+24
	global_load_b128 v[4:7], v[4:5], off
	s_wait_alu 0xfffd
	v_add_co_ci_u32_e64 v46, null, s21, v44, vcc_lo
	s_wait_alu 0xfffe
	s_swappc_b64 s[30:31], s[0:1]
	v_add_co_u32 v43, vcc_lo, v43, s40
	s_wait_alu 0xfffd
	v_add_co_ci_u32_e64 v44, null, s41, v44, vcc_lo
	s_add_co_i32 s49, s49, -1
	global_store_b128 v[45:46], v[0:3], off
	s_wait_alu 0xfffe
	s_cmp_eq_u32 s49, 0
	s_cbranch_scc0 .LBB260_8
	s_branch .LBB260_5
.LBB260_9:
	s_endpgm
	.section	.rodata,"a",@progbits
	.p2align	6, 0x0
	.amdhsa_kernel _ZN2at6native28tensor_kernel_scan_outer_dimIN3c107complexIdEEjZZZNS0_31launch_logcumsumexp_cuda_kernelERKNS_10TensorBaseES7_lENKUlvE_clEvENKUlvE1_clEvEUlS4_S4_E_EEvPT_PKSB_jjjSB_T1_
		.amdhsa_group_segment_fixed_size 0
		.amdhsa_private_segment_fixed_size 0
		.amdhsa_kernarg_size 312
		.amdhsa_user_sgpr_count 2
		.amdhsa_user_sgpr_dispatch_ptr 0
		.amdhsa_user_sgpr_queue_ptr 0
		.amdhsa_user_sgpr_kernarg_segment_ptr 1
		.amdhsa_user_sgpr_dispatch_id 0
		.amdhsa_user_sgpr_private_segment_size 0
		.amdhsa_wavefront_size32 1
		.amdhsa_uses_dynamic_stack 0
		.amdhsa_enable_private_segment 0
		.amdhsa_system_sgpr_workgroup_id_x 1
		.amdhsa_system_sgpr_workgroup_id_y 1
		.amdhsa_system_sgpr_workgroup_id_z 0
		.amdhsa_system_sgpr_workgroup_info 0
		.amdhsa_system_vgpr_workitem_id 0
		.amdhsa_next_free_vgpr 136
		.amdhsa_next_free_sgpr 50
		.amdhsa_reserve_vcc 1
		.amdhsa_float_round_mode_32 0
		.amdhsa_float_round_mode_16_64 0
		.amdhsa_float_denorm_mode_32 3
		.amdhsa_float_denorm_mode_16_64 3
		.amdhsa_fp16_overflow 0
		.amdhsa_workgroup_processor_mode 1
		.amdhsa_memory_ordered 1
		.amdhsa_forward_progress 1
		.amdhsa_inst_pref_size 4
		.amdhsa_round_robin_scheduling 0
		.amdhsa_exception_fp_ieee_invalid_op 0
		.amdhsa_exception_fp_denorm_src 0
		.amdhsa_exception_fp_ieee_div_zero 0
		.amdhsa_exception_fp_ieee_overflow 0
		.amdhsa_exception_fp_ieee_underflow 0
		.amdhsa_exception_fp_ieee_inexact 0
		.amdhsa_exception_int_div_zero 0
	.end_amdhsa_kernel
	.section	.text._ZN2at6native28tensor_kernel_scan_outer_dimIN3c107complexIdEEjZZZNS0_31launch_logcumsumexp_cuda_kernelERKNS_10TensorBaseES7_lENKUlvE_clEvENKUlvE1_clEvEUlS4_S4_E_EEvPT_PKSB_jjjSB_T1_,"axG",@progbits,_ZN2at6native28tensor_kernel_scan_outer_dimIN3c107complexIdEEjZZZNS0_31launch_logcumsumexp_cuda_kernelERKNS_10TensorBaseES7_lENKUlvE_clEvENKUlvE1_clEvEUlS4_S4_E_EEvPT_PKSB_jjjSB_T1_,comdat
.Lfunc_end260:
	.size	_ZN2at6native28tensor_kernel_scan_outer_dimIN3c107complexIdEEjZZZNS0_31launch_logcumsumexp_cuda_kernelERKNS_10TensorBaseES7_lENKUlvE_clEvENKUlvE1_clEvEUlS4_S4_E_EEvPT_PKSB_jjjSB_T1_, .Lfunc_end260-_ZN2at6native28tensor_kernel_scan_outer_dimIN3c107complexIdEEjZZZNS0_31launch_logcumsumexp_cuda_kernelERKNS_10TensorBaseES7_lENKUlvE_clEvENKUlvE1_clEvEUlS4_S4_E_EEvPT_PKSB_jjjSB_T1_
                                        ; -- End function
	.set _ZN2at6native28tensor_kernel_scan_outer_dimIN3c107complexIdEEjZZZNS0_31launch_logcumsumexp_cuda_kernelERKNS_10TensorBaseES7_lENKUlvE_clEvENKUlvE1_clEvEUlS4_S4_E_EEvPT_PKSB_jjjSB_T1_.num_vgpr, max(47, .L_ZZZZN2at6native31launch_logcumsumexp_cuda_kernelERKNS_10TensorBaseES3_lENKUlvE_clEvENKUlvE1_clEvENKUlN3c107complexIdEES8_E_clES8_S8_.num_vgpr)
	.set _ZN2at6native28tensor_kernel_scan_outer_dimIN3c107complexIdEEjZZZNS0_31launch_logcumsumexp_cuda_kernelERKNS_10TensorBaseES7_lENKUlvE_clEvENKUlvE1_clEvEUlS4_S4_E_EEvPT_PKSB_jjjSB_T1_.num_agpr, max(0, .L_ZZZZN2at6native31launch_logcumsumexp_cuda_kernelERKNS_10TensorBaseES3_lENKUlvE_clEvENKUlvE1_clEvENKUlN3c107complexIdEES8_E_clES8_S8_.num_agpr)
	.set _ZN2at6native28tensor_kernel_scan_outer_dimIN3c107complexIdEEjZZZNS0_31launch_logcumsumexp_cuda_kernelERKNS_10TensorBaseES7_lENKUlvE_clEvENKUlvE1_clEvEUlS4_S4_E_EEvPT_PKSB_jjjSB_T1_.numbered_sgpr, max(50, .L_ZZZZN2at6native31launch_logcumsumexp_cuda_kernelERKNS_10TensorBaseES3_lENKUlvE_clEvENKUlvE1_clEvENKUlN3c107complexIdEES8_E_clES8_S8_.numbered_sgpr)
	.set _ZN2at6native28tensor_kernel_scan_outer_dimIN3c107complexIdEEjZZZNS0_31launch_logcumsumexp_cuda_kernelERKNS_10TensorBaseES7_lENKUlvE_clEvENKUlvE1_clEvEUlS4_S4_E_EEvPT_PKSB_jjjSB_T1_.num_named_barrier, max(0, .L_ZZZZN2at6native31launch_logcumsumexp_cuda_kernelERKNS_10TensorBaseES3_lENKUlvE_clEvENKUlvE1_clEvENKUlN3c107complexIdEES8_E_clES8_S8_.num_named_barrier)
	.set _ZN2at6native28tensor_kernel_scan_outer_dimIN3c107complexIdEEjZZZNS0_31launch_logcumsumexp_cuda_kernelERKNS_10TensorBaseES7_lENKUlvE_clEvENKUlvE1_clEvEUlS4_S4_E_EEvPT_PKSB_jjjSB_T1_.private_seg_size, 0+max(.L_ZZZZN2at6native31launch_logcumsumexp_cuda_kernelERKNS_10TensorBaseES3_lENKUlvE_clEvENKUlvE1_clEvENKUlN3c107complexIdEES8_E_clES8_S8_.private_seg_size)
	.set _ZN2at6native28tensor_kernel_scan_outer_dimIN3c107complexIdEEjZZZNS0_31launch_logcumsumexp_cuda_kernelERKNS_10TensorBaseES7_lENKUlvE_clEvENKUlvE1_clEvEUlS4_S4_E_EEvPT_PKSB_jjjSB_T1_.uses_vcc, or(1, .L_ZZZZN2at6native31launch_logcumsumexp_cuda_kernelERKNS_10TensorBaseES3_lENKUlvE_clEvENKUlvE1_clEvENKUlN3c107complexIdEES8_E_clES8_S8_.uses_vcc)
	.set _ZN2at6native28tensor_kernel_scan_outer_dimIN3c107complexIdEEjZZZNS0_31launch_logcumsumexp_cuda_kernelERKNS_10TensorBaseES7_lENKUlvE_clEvENKUlvE1_clEvEUlS4_S4_E_EEvPT_PKSB_jjjSB_T1_.uses_flat_scratch, or(0, .L_ZZZZN2at6native31launch_logcumsumexp_cuda_kernelERKNS_10TensorBaseES3_lENKUlvE_clEvENKUlvE1_clEvENKUlN3c107complexIdEES8_E_clES8_S8_.uses_flat_scratch)
	.set _ZN2at6native28tensor_kernel_scan_outer_dimIN3c107complexIdEEjZZZNS0_31launch_logcumsumexp_cuda_kernelERKNS_10TensorBaseES7_lENKUlvE_clEvENKUlvE1_clEvEUlS4_S4_E_EEvPT_PKSB_jjjSB_T1_.has_dyn_sized_stack, or(0, .L_ZZZZN2at6native31launch_logcumsumexp_cuda_kernelERKNS_10TensorBaseES3_lENKUlvE_clEvENKUlvE1_clEvENKUlN3c107complexIdEES8_E_clES8_S8_.has_dyn_sized_stack)
	.set _ZN2at6native28tensor_kernel_scan_outer_dimIN3c107complexIdEEjZZZNS0_31launch_logcumsumexp_cuda_kernelERKNS_10TensorBaseES7_lENKUlvE_clEvENKUlvE1_clEvEUlS4_S4_E_EEvPT_PKSB_jjjSB_T1_.has_recursion, or(0, .L_ZZZZN2at6native31launch_logcumsumexp_cuda_kernelERKNS_10TensorBaseES3_lENKUlvE_clEvENKUlvE1_clEvENKUlN3c107complexIdEES8_E_clES8_S8_.has_recursion)
	.set _ZN2at6native28tensor_kernel_scan_outer_dimIN3c107complexIdEEjZZZNS0_31launch_logcumsumexp_cuda_kernelERKNS_10TensorBaseES7_lENKUlvE_clEvENKUlvE1_clEvEUlS4_S4_E_EEvPT_PKSB_jjjSB_T1_.has_indirect_call, or(0, .L_ZZZZN2at6native31launch_logcumsumexp_cuda_kernelERKNS_10TensorBaseES3_lENKUlvE_clEvENKUlvE1_clEvENKUlN3c107complexIdEES8_E_clES8_S8_.has_indirect_call)
	.section	.AMDGPU.csdata,"",@progbits
; Kernel info:
; codeLenInByte = 460
; TotalNumSgprs: 52
; NumVgprs: 136
; ScratchSize: 0
; MemoryBound: 0
; FloatMode: 240
; IeeeMode: 1
; LDSByteSize: 0 bytes/workgroup (compile time only)
; SGPRBlocks: 0
; VGPRBlocks: 16
; NumSGPRsForWavesPerEU: 52
; NumVGPRsForWavesPerEU: 136
; Occupancy: 10
; WaveLimiterHint : 0
; COMPUTE_PGM_RSRC2:SCRATCH_EN: 0
; COMPUTE_PGM_RSRC2:USER_SGPR: 2
; COMPUTE_PGM_RSRC2:TRAP_HANDLER: 0
; COMPUTE_PGM_RSRC2:TGID_X_EN: 1
; COMPUTE_PGM_RSRC2:TGID_Y_EN: 1
; COMPUTE_PGM_RSRC2:TGID_Z_EN: 0
; COMPUTE_PGM_RSRC2:TIDIG_COMP_CNT: 0
	.section	.text._ZN2at6native28tensor_kernel_scan_outer_dimIN3c107complexIdEEmZZZNS0_31launch_logcumsumexp_cuda_kernelERKNS_10TensorBaseES7_lENKUlvE_clEvENKUlvE1_clEvEUlS4_S4_E_EEvPT_PKSB_jjjSB_T1_,"axG",@progbits,_ZN2at6native28tensor_kernel_scan_outer_dimIN3c107complexIdEEmZZZNS0_31launch_logcumsumexp_cuda_kernelERKNS_10TensorBaseES7_lENKUlvE_clEvENKUlvE1_clEvEUlS4_S4_E_EEvPT_PKSB_jjjSB_T1_,comdat
	.globl	_ZN2at6native28tensor_kernel_scan_outer_dimIN3c107complexIdEEmZZZNS0_31launch_logcumsumexp_cuda_kernelERKNS_10TensorBaseES7_lENKUlvE_clEvENKUlvE1_clEvEUlS4_S4_E_EEvPT_PKSB_jjjSB_T1_ ; -- Begin function _ZN2at6native28tensor_kernel_scan_outer_dimIN3c107complexIdEEmZZZNS0_31launch_logcumsumexp_cuda_kernelERKNS_10TensorBaseES7_lENKUlvE_clEvENKUlvE1_clEvEUlS4_S4_E_EEvPT_PKSB_jjjSB_T1_
	.p2align	8
	.type	_ZN2at6native28tensor_kernel_scan_outer_dimIN3c107complexIdEEmZZZNS0_31launch_logcumsumexp_cuda_kernelERKNS_10TensorBaseES7_lENKUlvE_clEvENKUlvE1_clEvEUlS4_S4_E_EEvPT_PKSB_jjjSB_T1_,@function
_ZN2at6native28tensor_kernel_scan_outer_dimIN3c107complexIdEEmZZZNS0_31launch_logcumsumexp_cuda_kernelERKNS_10TensorBaseES7_lENKUlvE_clEvENKUlvE1_clEvEUlS4_S4_E_EEvPT_PKSB_jjjSB_T1_: ; @_ZN2at6native28tensor_kernel_scan_outer_dimIN3c107complexIdEEmZZZNS0_31launch_logcumsumexp_cuda_kernelERKNS_10TensorBaseES7_lENKUlvE_clEvENKUlvE1_clEvEUlS4_S4_E_EEvPT_PKSB_jjjSB_T1_
; %bb.0:
	s_load_b96 s[36:38], s[0:1], 0x10
	s_mov_b32 s32, 0
	s_wait_kmcnt 0x0
	s_cmp_ge_u32 ttmp9, s36
	s_cbranch_scc1 .LBB261_9
; %bb.1:
	s_clause 0x3
	s_load_b32 s2, s[0:1], 0x44
	s_load_b32 s19, s[0:1], 0x38
	s_load_b128 s[20:23], s[0:1], 0x0
	s_load_b128 s[24:27], s[0:1], 0x20
	s_mov_b32 s35, 0
	s_add_nc_u64 s[28:29], s[0:1], 56
	s_mov_b32 s34, s38
	s_mov_b32 s0, s37
	;; [unrolled: 1-line block ×3, first 2 shown]
	v_mov_b32_e32 v42, 0
	s_wait_kmcnt 0x0
	s_and_b32 s33, s2, 0xffff
	s_cmp_lg_u32 s38, 0
	v_mad_co_u64_u32 v[40:41], null, ttmp7, s33, v[0:1]
	s_mul_u64 s[2:3], s[34:35], s[0:1]
	s_cselect_b32 s39, -1, 0
	s_lshl_b64 s[40:41], s[2:3], 4
	s_lshl_b64 s[42:43], s[0:1], 4
	s_mov_b32 s34, ttmp9
	v_cmp_gt_u32_e64 s18, s37, v40
	s_branch .LBB261_3
.LBB261_2:                              ;   in Loop: Header=BB261_3 Depth=1
	s_wait_alu 0xfffe
	s_or_b32 exec_lo, exec_lo, s46
	s_add_co_i32 s34, s34, s19
	s_wait_alu 0xfffe
	s_cmp_ge_u32 s34, s36
	s_cbranch_scc1 .LBB261_9
.LBB261_3:                              ; =>This Loop Header: Depth=1
                                        ;     Child Loop BB261_6 Depth 2
                                        ;       Child Loop BB261_8 Depth 3
	s_delay_alu instid0(VALU_DEP_1)
	s_and_saveexec_b32 s46, s18
	s_cbranch_execz .LBB261_2
; %bb.4:                                ;   in Loop: Header=BB261_3 Depth=1
	s_load_b32 s47, s[28:29], 0x4
	v_mov_b32_e32 v41, v40
	s_mul_u64 s[44:45], s[40:41], s[34:35]
	s_mov_b32 s48, 0
	s_wait_kmcnt 0x0
	s_mul_i32 s47, s47, s33
	s_branch .LBB261_6
.LBB261_5:                              ;   in Loop: Header=BB261_6 Depth=2
	s_wait_alu 0xfffe
	v_add_nc_u32_e32 v41, s47, v41
	s_delay_alu instid0(VALU_DEP_1)
	v_cmp_le_u32_e32 vcc_lo, s37, v41
	s_or_b32 s48, vcc_lo, s48
	s_wait_alu 0xfffe
	s_and_not1_b32 exec_lo, exec_lo, s48
	s_cbranch_execz .LBB261_2
.LBB261_6:                              ;   Parent Loop BB261_3 Depth=1
                                        ; =>  This Loop Header: Depth=2
                                        ;       Child Loop BB261_8 Depth 3
	s_and_not1_b32 vcc_lo, exec_lo, s39
	s_wait_alu 0xfffe
	s_cbranch_vccnz .LBB261_5
; %bb.7:                                ;   in Loop: Header=BB261_6 Depth=2
	v_lshlrev_b64_e32 v[0:1], 4, v[41:42]
	v_dual_mov_b32 v2, s26 :: v_dual_mov_b32 v3, s27
	s_mov_b32 s49, s38
	s_delay_alu instid0(VALU_DEP_2) | instskip(SKIP_1) | instid1(VALU_DEP_3)
	v_add_co_u32 v43, vcc_lo, s44, v0
	s_wait_alu 0xfffd
	v_add_co_ci_u32_e64 v44, null, s45, v1, vcc_lo
	v_dual_mov_b32 v0, s24 :: v_dual_mov_b32 v1, s25
.LBB261_8:                              ;   Parent Loop BB261_3 Depth=1
                                        ;     Parent Loop BB261_6 Depth=2
                                        ; =>    This Inner Loop Header: Depth=3
	s_delay_alu instid0(VALU_DEP_3) | instskip(SKIP_1) | instid1(VALU_DEP_3)
	v_add_co_u32 v4, vcc_lo, s22, v43
	s_wait_alu 0xfffd
	v_add_co_ci_u32_e64 v5, null, s23, v44, vcc_lo
	v_add_co_u32 v45, vcc_lo, s20, v43
	s_getpc_b64 s[0:1]
	s_wait_alu 0xfffe
	s_sext_i32_i16 s1, s1
	s_add_co_u32 s0, s0, _ZZZZN2at6native31launch_logcumsumexp_cuda_kernelERKNS_10TensorBaseES3_lENKUlvE_clEvENKUlvE1_clEvENKUlN3c107complexIdEES8_E_clES8_S8_@rel32@lo+12
	s_wait_alu 0xfffe
	s_add_co_ci_u32 s1, s1, _ZZZZN2at6native31launch_logcumsumexp_cuda_kernelERKNS_10TensorBaseES3_lENKUlvE_clEvENKUlvE1_clEvENKUlN3c107complexIdEES8_E_clES8_S8_@rel32@hi+24
	global_load_b128 v[4:7], v[4:5], off
	s_wait_alu 0xfffd
	v_add_co_ci_u32_e64 v46, null, s21, v44, vcc_lo
	s_wait_alu 0xfffe
	s_swappc_b64 s[30:31], s[0:1]
	v_add_co_u32 v43, vcc_lo, v43, s42
	s_wait_alu 0xfffd
	v_add_co_ci_u32_e64 v44, null, s43, v44, vcc_lo
	s_add_co_i32 s49, s49, -1
	global_store_b128 v[45:46], v[0:3], off
	s_wait_alu 0xfffe
	s_cmp_eq_u32 s49, 0
	s_cbranch_scc0 .LBB261_8
	s_branch .LBB261_5
.LBB261_9:
	s_endpgm
	.section	.rodata,"a",@progbits
	.p2align	6, 0x0
	.amdhsa_kernel _ZN2at6native28tensor_kernel_scan_outer_dimIN3c107complexIdEEmZZZNS0_31launch_logcumsumexp_cuda_kernelERKNS_10TensorBaseES7_lENKUlvE_clEvENKUlvE1_clEvEUlS4_S4_E_EEvPT_PKSB_jjjSB_T1_
		.amdhsa_group_segment_fixed_size 0
		.amdhsa_private_segment_fixed_size 0
		.amdhsa_kernarg_size 312
		.amdhsa_user_sgpr_count 2
		.amdhsa_user_sgpr_dispatch_ptr 0
		.amdhsa_user_sgpr_queue_ptr 0
		.amdhsa_user_sgpr_kernarg_segment_ptr 1
		.amdhsa_user_sgpr_dispatch_id 0
		.amdhsa_user_sgpr_private_segment_size 0
		.amdhsa_wavefront_size32 1
		.amdhsa_uses_dynamic_stack 0
		.amdhsa_enable_private_segment 0
		.amdhsa_system_sgpr_workgroup_id_x 1
		.amdhsa_system_sgpr_workgroup_id_y 1
		.amdhsa_system_sgpr_workgroup_id_z 0
		.amdhsa_system_sgpr_workgroup_info 0
		.amdhsa_system_vgpr_workitem_id 0
		.amdhsa_next_free_vgpr 136
		.amdhsa_next_free_sgpr 50
		.amdhsa_reserve_vcc 1
		.amdhsa_float_round_mode_32 0
		.amdhsa_float_round_mode_16_64 0
		.amdhsa_float_denorm_mode_32 3
		.amdhsa_float_denorm_mode_16_64 3
		.amdhsa_fp16_overflow 0
		.amdhsa_workgroup_processor_mode 1
		.amdhsa_memory_ordered 1
		.amdhsa_forward_progress 1
		.amdhsa_inst_pref_size 4
		.amdhsa_round_robin_scheduling 0
		.amdhsa_exception_fp_ieee_invalid_op 0
		.amdhsa_exception_fp_denorm_src 0
		.amdhsa_exception_fp_ieee_div_zero 0
		.amdhsa_exception_fp_ieee_overflow 0
		.amdhsa_exception_fp_ieee_underflow 0
		.amdhsa_exception_fp_ieee_inexact 0
		.amdhsa_exception_int_div_zero 0
	.end_amdhsa_kernel
	.section	.text._ZN2at6native28tensor_kernel_scan_outer_dimIN3c107complexIdEEmZZZNS0_31launch_logcumsumexp_cuda_kernelERKNS_10TensorBaseES7_lENKUlvE_clEvENKUlvE1_clEvEUlS4_S4_E_EEvPT_PKSB_jjjSB_T1_,"axG",@progbits,_ZN2at6native28tensor_kernel_scan_outer_dimIN3c107complexIdEEmZZZNS0_31launch_logcumsumexp_cuda_kernelERKNS_10TensorBaseES7_lENKUlvE_clEvENKUlvE1_clEvEUlS4_S4_E_EEvPT_PKSB_jjjSB_T1_,comdat
.Lfunc_end261:
	.size	_ZN2at6native28tensor_kernel_scan_outer_dimIN3c107complexIdEEmZZZNS0_31launch_logcumsumexp_cuda_kernelERKNS_10TensorBaseES7_lENKUlvE_clEvENKUlvE1_clEvEUlS4_S4_E_EEvPT_PKSB_jjjSB_T1_, .Lfunc_end261-_ZN2at6native28tensor_kernel_scan_outer_dimIN3c107complexIdEEmZZZNS0_31launch_logcumsumexp_cuda_kernelERKNS_10TensorBaseES7_lENKUlvE_clEvENKUlvE1_clEvEUlS4_S4_E_EEvPT_PKSB_jjjSB_T1_
                                        ; -- End function
	.set _ZN2at6native28tensor_kernel_scan_outer_dimIN3c107complexIdEEmZZZNS0_31launch_logcumsumexp_cuda_kernelERKNS_10TensorBaseES7_lENKUlvE_clEvENKUlvE1_clEvEUlS4_S4_E_EEvPT_PKSB_jjjSB_T1_.num_vgpr, max(47, .L_ZZZZN2at6native31launch_logcumsumexp_cuda_kernelERKNS_10TensorBaseES3_lENKUlvE_clEvENKUlvE1_clEvENKUlN3c107complexIdEES8_E_clES8_S8_.num_vgpr)
	.set _ZN2at6native28tensor_kernel_scan_outer_dimIN3c107complexIdEEmZZZNS0_31launch_logcumsumexp_cuda_kernelERKNS_10TensorBaseES7_lENKUlvE_clEvENKUlvE1_clEvEUlS4_S4_E_EEvPT_PKSB_jjjSB_T1_.num_agpr, max(0, .L_ZZZZN2at6native31launch_logcumsumexp_cuda_kernelERKNS_10TensorBaseES3_lENKUlvE_clEvENKUlvE1_clEvENKUlN3c107complexIdEES8_E_clES8_S8_.num_agpr)
	.set _ZN2at6native28tensor_kernel_scan_outer_dimIN3c107complexIdEEmZZZNS0_31launch_logcumsumexp_cuda_kernelERKNS_10TensorBaseES7_lENKUlvE_clEvENKUlvE1_clEvEUlS4_S4_E_EEvPT_PKSB_jjjSB_T1_.numbered_sgpr, max(50, .L_ZZZZN2at6native31launch_logcumsumexp_cuda_kernelERKNS_10TensorBaseES3_lENKUlvE_clEvENKUlvE1_clEvENKUlN3c107complexIdEES8_E_clES8_S8_.numbered_sgpr)
	.set _ZN2at6native28tensor_kernel_scan_outer_dimIN3c107complexIdEEmZZZNS0_31launch_logcumsumexp_cuda_kernelERKNS_10TensorBaseES7_lENKUlvE_clEvENKUlvE1_clEvEUlS4_S4_E_EEvPT_PKSB_jjjSB_T1_.num_named_barrier, max(0, .L_ZZZZN2at6native31launch_logcumsumexp_cuda_kernelERKNS_10TensorBaseES3_lENKUlvE_clEvENKUlvE1_clEvENKUlN3c107complexIdEES8_E_clES8_S8_.num_named_barrier)
	.set _ZN2at6native28tensor_kernel_scan_outer_dimIN3c107complexIdEEmZZZNS0_31launch_logcumsumexp_cuda_kernelERKNS_10TensorBaseES7_lENKUlvE_clEvENKUlvE1_clEvEUlS4_S4_E_EEvPT_PKSB_jjjSB_T1_.private_seg_size, 0+max(.L_ZZZZN2at6native31launch_logcumsumexp_cuda_kernelERKNS_10TensorBaseES3_lENKUlvE_clEvENKUlvE1_clEvENKUlN3c107complexIdEES8_E_clES8_S8_.private_seg_size)
	.set _ZN2at6native28tensor_kernel_scan_outer_dimIN3c107complexIdEEmZZZNS0_31launch_logcumsumexp_cuda_kernelERKNS_10TensorBaseES7_lENKUlvE_clEvENKUlvE1_clEvEUlS4_S4_E_EEvPT_PKSB_jjjSB_T1_.uses_vcc, or(1, .L_ZZZZN2at6native31launch_logcumsumexp_cuda_kernelERKNS_10TensorBaseES3_lENKUlvE_clEvENKUlvE1_clEvENKUlN3c107complexIdEES8_E_clES8_S8_.uses_vcc)
	.set _ZN2at6native28tensor_kernel_scan_outer_dimIN3c107complexIdEEmZZZNS0_31launch_logcumsumexp_cuda_kernelERKNS_10TensorBaseES7_lENKUlvE_clEvENKUlvE1_clEvEUlS4_S4_E_EEvPT_PKSB_jjjSB_T1_.uses_flat_scratch, or(0, .L_ZZZZN2at6native31launch_logcumsumexp_cuda_kernelERKNS_10TensorBaseES3_lENKUlvE_clEvENKUlvE1_clEvENKUlN3c107complexIdEES8_E_clES8_S8_.uses_flat_scratch)
	.set _ZN2at6native28tensor_kernel_scan_outer_dimIN3c107complexIdEEmZZZNS0_31launch_logcumsumexp_cuda_kernelERKNS_10TensorBaseES7_lENKUlvE_clEvENKUlvE1_clEvEUlS4_S4_E_EEvPT_PKSB_jjjSB_T1_.has_dyn_sized_stack, or(0, .L_ZZZZN2at6native31launch_logcumsumexp_cuda_kernelERKNS_10TensorBaseES3_lENKUlvE_clEvENKUlvE1_clEvENKUlN3c107complexIdEES8_E_clES8_S8_.has_dyn_sized_stack)
	.set _ZN2at6native28tensor_kernel_scan_outer_dimIN3c107complexIdEEmZZZNS0_31launch_logcumsumexp_cuda_kernelERKNS_10TensorBaseES7_lENKUlvE_clEvENKUlvE1_clEvEUlS4_S4_E_EEvPT_PKSB_jjjSB_T1_.has_recursion, or(0, .L_ZZZZN2at6native31launch_logcumsumexp_cuda_kernelERKNS_10TensorBaseES3_lENKUlvE_clEvENKUlvE1_clEvENKUlN3c107complexIdEES8_E_clES8_S8_.has_recursion)
	.set _ZN2at6native28tensor_kernel_scan_outer_dimIN3c107complexIdEEmZZZNS0_31launch_logcumsumexp_cuda_kernelERKNS_10TensorBaseES7_lENKUlvE_clEvENKUlvE1_clEvEUlS4_S4_E_EEvPT_PKSB_jjjSB_T1_.has_indirect_call, or(0, .L_ZZZZN2at6native31launch_logcumsumexp_cuda_kernelERKNS_10TensorBaseES3_lENKUlvE_clEvENKUlvE1_clEvENKUlN3c107complexIdEES8_E_clES8_S8_.has_indirect_call)
	.section	.AMDGPU.csdata,"",@progbits
; Kernel info:
; codeLenInByte = 452
; TotalNumSgprs: 52
; NumVgprs: 136
; ScratchSize: 0
; MemoryBound: 0
; FloatMode: 240
; IeeeMode: 1
; LDSByteSize: 0 bytes/workgroup (compile time only)
; SGPRBlocks: 0
; VGPRBlocks: 16
; NumSGPRsForWavesPerEU: 52
; NumVGPRsForWavesPerEU: 136
; Occupancy: 10
; WaveLimiterHint : 0
; COMPUTE_PGM_RSRC2:SCRATCH_EN: 0
; COMPUTE_PGM_RSRC2:USER_SGPR: 2
; COMPUTE_PGM_RSRC2:TRAP_HANDLER: 0
; COMPUTE_PGM_RSRC2:TGID_X_EN: 1
; COMPUTE_PGM_RSRC2:TGID_Y_EN: 1
; COMPUTE_PGM_RSRC2:TGID_Z_EN: 0
; COMPUTE_PGM_RSRC2:TIDIG_COMP_CNT: 0
	.section	.text._ZN7rocprim17ROCPRIM_400000_NS6detail31init_lookback_scan_state_kernelINS1_19lookback_scan_stateIN3c107complexIfEELb0ELb1EEENS1_16block_id_wrapperIjLb0EEEEEvT_jT0_jPNSA_10value_typeE,"axG",@progbits,_ZN7rocprim17ROCPRIM_400000_NS6detail31init_lookback_scan_state_kernelINS1_19lookback_scan_stateIN3c107complexIfEELb0ELb1EEENS1_16block_id_wrapperIjLb0EEEEEvT_jT0_jPNSA_10value_typeE,comdat
	.protected	_ZN7rocprim17ROCPRIM_400000_NS6detail31init_lookback_scan_state_kernelINS1_19lookback_scan_stateIN3c107complexIfEELb0ELb1EEENS1_16block_id_wrapperIjLb0EEEEEvT_jT0_jPNSA_10value_typeE ; -- Begin function _ZN7rocprim17ROCPRIM_400000_NS6detail31init_lookback_scan_state_kernelINS1_19lookback_scan_stateIN3c107complexIfEELb0ELb1EEENS1_16block_id_wrapperIjLb0EEEEEvT_jT0_jPNSA_10value_typeE
	.globl	_ZN7rocprim17ROCPRIM_400000_NS6detail31init_lookback_scan_state_kernelINS1_19lookback_scan_stateIN3c107complexIfEELb0ELb1EEENS1_16block_id_wrapperIjLb0EEEEEvT_jT0_jPNSA_10value_typeE
	.p2align	8
	.type	_ZN7rocprim17ROCPRIM_400000_NS6detail31init_lookback_scan_state_kernelINS1_19lookback_scan_stateIN3c107complexIfEELb0ELb1EEENS1_16block_id_wrapperIjLb0EEEEEvT_jT0_jPNSA_10value_typeE,@function
_ZN7rocprim17ROCPRIM_400000_NS6detail31init_lookback_scan_state_kernelINS1_19lookback_scan_stateIN3c107complexIfEELb0ELb1EEENS1_16block_id_wrapperIjLb0EEEEEvT_jT0_jPNSA_10value_typeE: ; @_ZN7rocprim17ROCPRIM_400000_NS6detail31init_lookback_scan_state_kernelINS1_19lookback_scan_stateIN3c107complexIfEELb0ELb1EEENS1_16block_id_wrapperIjLb0EEEEEvT_jT0_jPNSA_10value_typeE
; %bb.0:
	s_clause 0x2
	s_load_b32 s7, s[0:1], 0x2c
	s_load_b64 s[2:3], s[0:1], 0x18
	s_load_b96 s[4:6], s[0:1], 0x0
	s_wait_kmcnt 0x0
	s_and_b32 s7, s7, 0xffff
	s_cmp_eq_u64 s[2:3], 0
	v_mad_co_u64_u32 v[0:1], null, ttmp9, s7, v[0:1]
	s_cbranch_scc1 .LBB262_8
; %bb.1:
	s_load_b32 s0, s[0:1], 0x10
	s_wait_kmcnt 0x0
	s_cmp_lt_u32 s0, s6
	s_cselect_b32 s1, s0, 0
	s_wait_alu 0xfffe
	v_cmp_eq_u32_e32 vcc_lo, s1, v0
	s_mov_b32 s1, 0
	s_and_saveexec_b32 s7, vcc_lo
	s_cbranch_execz .LBB262_7
; %bb.2:
	s_add_co_i32 s0, s0, 32
	s_mov_b32 s8, exec_lo
	s_wait_alu 0xfffe
	s_lshl_b64 s[0:1], s[0:1], 4
	v_mov_b32_e32 v5, 0
	s_wait_alu 0xfffe
	s_add_nc_u64 s[0:1], s[4:5], s[0:1]
	s_wait_alu 0xfffe
	v_dual_mov_b32 v2, s1 :: v_dual_mov_b32 v1, s0
	;;#ASMSTART
	global_load_b128 v[1:4], v[1:2] off scope:SCOPE_DEV	
s_wait_loadcnt 0x0
	;;#ASMEND
	v_and_b32_e32 v4, 0xff, v3
	s_delay_alu instid0(VALU_DEP_1)
	v_cmpx_eq_u64_e32 0, v[4:5]
	s_cbranch_execz .LBB262_6
; %bb.3:
	v_dual_mov_b32 v7, s1 :: v_dual_mov_b32 v6, s0
	s_mov_b32 s0, 0
.LBB262_4:                              ; =>This Inner Loop Header: Depth=1
	;;#ASMSTART
	global_load_b128 v[1:4], v[6:7] off scope:SCOPE_DEV	
s_wait_loadcnt 0x0
	;;#ASMEND
	v_and_b32_e32 v4, 0xff, v3
	s_delay_alu instid0(VALU_DEP_1)
	v_cmp_ne_u64_e32 vcc_lo, 0, v[4:5]
	s_wait_alu 0xfffe
	s_or_b32 s0, vcc_lo, s0
	s_wait_alu 0xfffe
	s_and_not1_b32 exec_lo, exec_lo, s0
	s_cbranch_execnz .LBB262_4
; %bb.5:
	s_or_b32 exec_lo, exec_lo, s0
.LBB262_6:
	s_delay_alu instid0(SALU_CYCLE_1)
	s_or_b32 exec_lo, exec_lo, s8
	v_mov_b32_e32 v3, 0
	global_store_b64 v3, v[1:2], s[2:3]
.LBB262_7:
	s_wait_alu 0xfffe
	s_or_b32 exec_lo, exec_lo, s7
.LBB262_8:
	s_delay_alu instid0(SALU_CYCLE_1)
	s_mov_b32 s0, exec_lo
	v_cmpx_gt_u32_e64 s6, v0
	s_cbranch_execz .LBB262_10
; %bb.9:
	v_dual_mov_b32 v2, 0 :: v_dual_add_nc_u32 v1, 32, v0
	s_delay_alu instid0(VALU_DEP_1) | instskip(SKIP_2) | instid1(VALU_DEP_3)
	v_lshlrev_b64_e32 v[4:5], 4, v[1:2]
	v_mov_b32_e32 v1, v2
	v_mov_b32_e32 v3, v2
	v_add_co_u32 v6, vcc_lo, s4, v4
	s_delay_alu instid0(VALU_DEP_1)
	v_add_co_ci_u32_e64 v7, null, s5, v5, vcc_lo
	v_mov_b32_e32 v4, v2
	global_store_b128 v[6:7], v[1:4], off
.LBB262_10:
	s_wait_alu 0xfffe
	s_or_b32 exec_lo, exec_lo, s0
	s_delay_alu instid0(SALU_CYCLE_1)
	s_mov_b32 s0, exec_lo
	v_cmpx_gt_u32_e32 32, v0
	s_cbranch_execz .LBB262_12
; %bb.11:
	v_dual_mov_b32 v1, 0 :: v_dual_mov_b32 v2, 0xff
	s_delay_alu instid0(VALU_DEP_1) | instskip(SKIP_1) | instid1(VALU_DEP_2)
	v_lshlrev_b64_e32 v[3:4], 4, v[0:1]
	v_mov_b32_e32 v0, v1
	v_add_co_u32 v5, vcc_lo, s4, v3
	s_wait_alu 0xfffd
	s_delay_alu instid0(VALU_DEP_3)
	v_add_co_ci_u32_e64 v6, null, s5, v4, vcc_lo
	v_mov_b32_e32 v3, v1
	global_store_b128 v[5:6], v[0:3], off
.LBB262_12:
	s_endpgm
	.section	.rodata,"a",@progbits
	.p2align	6, 0x0
	.amdhsa_kernel _ZN7rocprim17ROCPRIM_400000_NS6detail31init_lookback_scan_state_kernelINS1_19lookback_scan_stateIN3c107complexIfEELb0ELb1EEENS1_16block_id_wrapperIjLb0EEEEEvT_jT0_jPNSA_10value_typeE
		.amdhsa_group_segment_fixed_size 0
		.amdhsa_private_segment_fixed_size 0
		.amdhsa_kernarg_size 288
		.amdhsa_user_sgpr_count 2
		.amdhsa_user_sgpr_dispatch_ptr 0
		.amdhsa_user_sgpr_queue_ptr 0
		.amdhsa_user_sgpr_kernarg_segment_ptr 1
		.amdhsa_user_sgpr_dispatch_id 0
		.amdhsa_user_sgpr_private_segment_size 0
		.amdhsa_wavefront_size32 1
		.amdhsa_uses_dynamic_stack 0
		.amdhsa_enable_private_segment 0
		.amdhsa_system_sgpr_workgroup_id_x 1
		.amdhsa_system_sgpr_workgroup_id_y 0
		.amdhsa_system_sgpr_workgroup_id_z 0
		.amdhsa_system_sgpr_workgroup_info 0
		.amdhsa_system_vgpr_workitem_id 0
		.amdhsa_next_free_vgpr 8
		.amdhsa_next_free_sgpr 9
		.amdhsa_reserve_vcc 1
		.amdhsa_float_round_mode_32 0
		.amdhsa_float_round_mode_16_64 0
		.amdhsa_float_denorm_mode_32 3
		.amdhsa_float_denorm_mode_16_64 3
		.amdhsa_fp16_overflow 0
		.amdhsa_workgroup_processor_mode 1
		.amdhsa_memory_ordered 1
		.amdhsa_forward_progress 1
		.amdhsa_inst_pref_size 4
		.amdhsa_round_robin_scheduling 0
		.amdhsa_exception_fp_ieee_invalid_op 0
		.amdhsa_exception_fp_denorm_src 0
		.amdhsa_exception_fp_ieee_div_zero 0
		.amdhsa_exception_fp_ieee_overflow 0
		.amdhsa_exception_fp_ieee_underflow 0
		.amdhsa_exception_fp_ieee_inexact 0
		.amdhsa_exception_int_div_zero 0
	.end_amdhsa_kernel
	.section	.text._ZN7rocprim17ROCPRIM_400000_NS6detail31init_lookback_scan_state_kernelINS1_19lookback_scan_stateIN3c107complexIfEELb0ELb1EEENS1_16block_id_wrapperIjLb0EEEEEvT_jT0_jPNSA_10value_typeE,"axG",@progbits,_ZN7rocprim17ROCPRIM_400000_NS6detail31init_lookback_scan_state_kernelINS1_19lookback_scan_stateIN3c107complexIfEELb0ELb1EEENS1_16block_id_wrapperIjLb0EEEEEvT_jT0_jPNSA_10value_typeE,comdat
.Lfunc_end262:
	.size	_ZN7rocprim17ROCPRIM_400000_NS6detail31init_lookback_scan_state_kernelINS1_19lookback_scan_stateIN3c107complexIfEELb0ELb1EEENS1_16block_id_wrapperIjLb0EEEEEvT_jT0_jPNSA_10value_typeE, .Lfunc_end262-_ZN7rocprim17ROCPRIM_400000_NS6detail31init_lookback_scan_state_kernelINS1_19lookback_scan_stateIN3c107complexIfEELb0ELb1EEENS1_16block_id_wrapperIjLb0EEEEEvT_jT0_jPNSA_10value_typeE
                                        ; -- End function
	.set _ZN7rocprim17ROCPRIM_400000_NS6detail31init_lookback_scan_state_kernelINS1_19lookback_scan_stateIN3c107complexIfEELb0ELb1EEENS1_16block_id_wrapperIjLb0EEEEEvT_jT0_jPNSA_10value_typeE.num_vgpr, 8
	.set _ZN7rocprim17ROCPRIM_400000_NS6detail31init_lookback_scan_state_kernelINS1_19lookback_scan_stateIN3c107complexIfEELb0ELb1EEENS1_16block_id_wrapperIjLb0EEEEEvT_jT0_jPNSA_10value_typeE.num_agpr, 0
	.set _ZN7rocprim17ROCPRIM_400000_NS6detail31init_lookback_scan_state_kernelINS1_19lookback_scan_stateIN3c107complexIfEELb0ELb1EEENS1_16block_id_wrapperIjLb0EEEEEvT_jT0_jPNSA_10value_typeE.numbered_sgpr, 9
	.set _ZN7rocprim17ROCPRIM_400000_NS6detail31init_lookback_scan_state_kernelINS1_19lookback_scan_stateIN3c107complexIfEELb0ELb1EEENS1_16block_id_wrapperIjLb0EEEEEvT_jT0_jPNSA_10value_typeE.num_named_barrier, 0
	.set _ZN7rocprim17ROCPRIM_400000_NS6detail31init_lookback_scan_state_kernelINS1_19lookback_scan_stateIN3c107complexIfEELb0ELb1EEENS1_16block_id_wrapperIjLb0EEEEEvT_jT0_jPNSA_10value_typeE.private_seg_size, 0
	.set _ZN7rocprim17ROCPRIM_400000_NS6detail31init_lookback_scan_state_kernelINS1_19lookback_scan_stateIN3c107complexIfEELb0ELb1EEENS1_16block_id_wrapperIjLb0EEEEEvT_jT0_jPNSA_10value_typeE.uses_vcc, 1
	.set _ZN7rocprim17ROCPRIM_400000_NS6detail31init_lookback_scan_state_kernelINS1_19lookback_scan_stateIN3c107complexIfEELb0ELb1EEENS1_16block_id_wrapperIjLb0EEEEEvT_jT0_jPNSA_10value_typeE.uses_flat_scratch, 0
	.set _ZN7rocprim17ROCPRIM_400000_NS6detail31init_lookback_scan_state_kernelINS1_19lookback_scan_stateIN3c107complexIfEELb0ELb1EEENS1_16block_id_wrapperIjLb0EEEEEvT_jT0_jPNSA_10value_typeE.has_dyn_sized_stack, 0
	.set _ZN7rocprim17ROCPRIM_400000_NS6detail31init_lookback_scan_state_kernelINS1_19lookback_scan_stateIN3c107complexIfEELb0ELb1EEENS1_16block_id_wrapperIjLb0EEEEEvT_jT0_jPNSA_10value_typeE.has_recursion, 0
	.set _ZN7rocprim17ROCPRIM_400000_NS6detail31init_lookback_scan_state_kernelINS1_19lookback_scan_stateIN3c107complexIfEELb0ELb1EEENS1_16block_id_wrapperIjLb0EEEEEvT_jT0_jPNSA_10value_typeE.has_indirect_call, 0
	.section	.AMDGPU.csdata,"",@progbits
; Kernel info:
; codeLenInByte = 412
; TotalNumSgprs: 11
; NumVgprs: 8
; ScratchSize: 0
; MemoryBound: 0
; FloatMode: 240
; IeeeMode: 1
; LDSByteSize: 0 bytes/workgroup (compile time only)
; SGPRBlocks: 0
; VGPRBlocks: 0
; NumSGPRsForWavesPerEU: 11
; NumVGPRsForWavesPerEU: 8
; Occupancy: 16
; WaveLimiterHint : 0
; COMPUTE_PGM_RSRC2:SCRATCH_EN: 0
; COMPUTE_PGM_RSRC2:USER_SGPR: 2
; COMPUTE_PGM_RSRC2:TRAP_HANDLER: 0
; COMPUTE_PGM_RSRC2:TGID_X_EN: 1
; COMPUTE_PGM_RSRC2:TGID_Y_EN: 0
; COMPUTE_PGM_RSRC2:TGID_Z_EN: 0
; COMPUTE_PGM_RSRC2:TIDIG_COMP_CNT: 0
	.section	.text._ZN7rocprim17ROCPRIM_400000_NS6detail17trampoline_kernelINS0_14default_configENS1_20scan_config_selectorIN3c107complexIfEEEEZZNS1_9scan_implILNS1_25lookback_scan_determinismE0ELb0ELb0ES3_PKS7_PS7_S7_ZZZN2at6native31launch_logcumsumexp_cuda_kernelERKNSE_10TensorBaseESI_lENKUlvE_clEvENKUlvE2_clEvEUlS7_S7_E_S7_EEDaPvRmT3_T4_T5_mT6_P12ihipStream_tbENKUlT_T0_E_clISt17integral_constantIbLb0EESZ_EEDaSU_SV_EUlSU_E_NS1_11comp_targetILNS1_3genE0ELNS1_11target_archE4294967295ELNS1_3gpuE0ELNS1_3repE0EEENS1_30default_config_static_selectorELNS0_4arch9wavefront6targetE0EEEvT1_,"axG",@progbits,_ZN7rocprim17ROCPRIM_400000_NS6detail17trampoline_kernelINS0_14default_configENS1_20scan_config_selectorIN3c107complexIfEEEEZZNS1_9scan_implILNS1_25lookback_scan_determinismE0ELb0ELb0ES3_PKS7_PS7_S7_ZZZN2at6native31launch_logcumsumexp_cuda_kernelERKNSE_10TensorBaseESI_lENKUlvE_clEvENKUlvE2_clEvEUlS7_S7_E_S7_EEDaPvRmT3_T4_T5_mT6_P12ihipStream_tbENKUlT_T0_E_clISt17integral_constantIbLb0EESZ_EEDaSU_SV_EUlSU_E_NS1_11comp_targetILNS1_3genE0ELNS1_11target_archE4294967295ELNS1_3gpuE0ELNS1_3repE0EEENS1_30default_config_static_selectorELNS0_4arch9wavefront6targetE0EEEvT1_,comdat
	.globl	_ZN7rocprim17ROCPRIM_400000_NS6detail17trampoline_kernelINS0_14default_configENS1_20scan_config_selectorIN3c107complexIfEEEEZZNS1_9scan_implILNS1_25lookback_scan_determinismE0ELb0ELb0ES3_PKS7_PS7_S7_ZZZN2at6native31launch_logcumsumexp_cuda_kernelERKNSE_10TensorBaseESI_lENKUlvE_clEvENKUlvE2_clEvEUlS7_S7_E_S7_EEDaPvRmT3_T4_T5_mT6_P12ihipStream_tbENKUlT_T0_E_clISt17integral_constantIbLb0EESZ_EEDaSU_SV_EUlSU_E_NS1_11comp_targetILNS1_3genE0ELNS1_11target_archE4294967295ELNS1_3gpuE0ELNS1_3repE0EEENS1_30default_config_static_selectorELNS0_4arch9wavefront6targetE0EEEvT1_ ; -- Begin function _ZN7rocprim17ROCPRIM_400000_NS6detail17trampoline_kernelINS0_14default_configENS1_20scan_config_selectorIN3c107complexIfEEEEZZNS1_9scan_implILNS1_25lookback_scan_determinismE0ELb0ELb0ES3_PKS7_PS7_S7_ZZZN2at6native31launch_logcumsumexp_cuda_kernelERKNSE_10TensorBaseESI_lENKUlvE_clEvENKUlvE2_clEvEUlS7_S7_E_S7_EEDaPvRmT3_T4_T5_mT6_P12ihipStream_tbENKUlT_T0_E_clISt17integral_constantIbLb0EESZ_EEDaSU_SV_EUlSU_E_NS1_11comp_targetILNS1_3genE0ELNS1_11target_archE4294967295ELNS1_3gpuE0ELNS1_3repE0EEENS1_30default_config_static_selectorELNS0_4arch9wavefront6targetE0EEEvT1_
	.p2align	8
	.type	_ZN7rocprim17ROCPRIM_400000_NS6detail17trampoline_kernelINS0_14default_configENS1_20scan_config_selectorIN3c107complexIfEEEEZZNS1_9scan_implILNS1_25lookback_scan_determinismE0ELb0ELb0ES3_PKS7_PS7_S7_ZZZN2at6native31launch_logcumsumexp_cuda_kernelERKNSE_10TensorBaseESI_lENKUlvE_clEvENKUlvE2_clEvEUlS7_S7_E_S7_EEDaPvRmT3_T4_T5_mT6_P12ihipStream_tbENKUlT_T0_E_clISt17integral_constantIbLb0EESZ_EEDaSU_SV_EUlSU_E_NS1_11comp_targetILNS1_3genE0ELNS1_11target_archE4294967295ELNS1_3gpuE0ELNS1_3repE0EEENS1_30default_config_static_selectorELNS0_4arch9wavefront6targetE0EEEvT1_,@function
_ZN7rocprim17ROCPRIM_400000_NS6detail17trampoline_kernelINS0_14default_configENS1_20scan_config_selectorIN3c107complexIfEEEEZZNS1_9scan_implILNS1_25lookback_scan_determinismE0ELb0ELb0ES3_PKS7_PS7_S7_ZZZN2at6native31launch_logcumsumexp_cuda_kernelERKNSE_10TensorBaseESI_lENKUlvE_clEvENKUlvE2_clEvEUlS7_S7_E_S7_EEDaPvRmT3_T4_T5_mT6_P12ihipStream_tbENKUlT_T0_E_clISt17integral_constantIbLb0EESZ_EEDaSU_SV_EUlSU_E_NS1_11comp_targetILNS1_3genE0ELNS1_11target_archE4294967295ELNS1_3gpuE0ELNS1_3repE0EEENS1_30default_config_static_selectorELNS0_4arch9wavefront6targetE0EEEvT1_: ; @_ZN7rocprim17ROCPRIM_400000_NS6detail17trampoline_kernelINS0_14default_configENS1_20scan_config_selectorIN3c107complexIfEEEEZZNS1_9scan_implILNS1_25lookback_scan_determinismE0ELb0ELb0ES3_PKS7_PS7_S7_ZZZN2at6native31launch_logcumsumexp_cuda_kernelERKNSE_10TensorBaseESI_lENKUlvE_clEvENKUlvE2_clEvEUlS7_S7_E_S7_EEDaPvRmT3_T4_T5_mT6_P12ihipStream_tbENKUlT_T0_E_clISt17integral_constantIbLb0EESZ_EEDaSU_SV_EUlSU_E_NS1_11comp_targetILNS1_3genE0ELNS1_11target_archE4294967295ELNS1_3gpuE0ELNS1_3repE0EEENS1_30default_config_static_selectorELNS0_4arch9wavefront6targetE0EEEvT1_
; %bb.0:
	.section	.rodata,"a",@progbits
	.p2align	6, 0x0
	.amdhsa_kernel _ZN7rocprim17ROCPRIM_400000_NS6detail17trampoline_kernelINS0_14default_configENS1_20scan_config_selectorIN3c107complexIfEEEEZZNS1_9scan_implILNS1_25lookback_scan_determinismE0ELb0ELb0ES3_PKS7_PS7_S7_ZZZN2at6native31launch_logcumsumexp_cuda_kernelERKNSE_10TensorBaseESI_lENKUlvE_clEvENKUlvE2_clEvEUlS7_S7_E_S7_EEDaPvRmT3_T4_T5_mT6_P12ihipStream_tbENKUlT_T0_E_clISt17integral_constantIbLb0EESZ_EEDaSU_SV_EUlSU_E_NS1_11comp_targetILNS1_3genE0ELNS1_11target_archE4294967295ELNS1_3gpuE0ELNS1_3repE0EEENS1_30default_config_static_selectorELNS0_4arch9wavefront6targetE0EEEvT1_
		.amdhsa_group_segment_fixed_size 0
		.amdhsa_private_segment_fixed_size 0
		.amdhsa_kernarg_size 104
		.amdhsa_user_sgpr_count 2
		.amdhsa_user_sgpr_dispatch_ptr 0
		.amdhsa_user_sgpr_queue_ptr 0
		.amdhsa_user_sgpr_kernarg_segment_ptr 1
		.amdhsa_user_sgpr_dispatch_id 0
		.amdhsa_user_sgpr_private_segment_size 0
		.amdhsa_wavefront_size32 1
		.amdhsa_uses_dynamic_stack 0
		.amdhsa_enable_private_segment 0
		.amdhsa_system_sgpr_workgroup_id_x 1
		.amdhsa_system_sgpr_workgroup_id_y 0
		.amdhsa_system_sgpr_workgroup_id_z 0
		.amdhsa_system_sgpr_workgroup_info 0
		.amdhsa_system_vgpr_workitem_id 0
		.amdhsa_next_free_vgpr 1
		.amdhsa_next_free_sgpr 1
		.amdhsa_reserve_vcc 0
		.amdhsa_float_round_mode_32 0
		.amdhsa_float_round_mode_16_64 0
		.amdhsa_float_denorm_mode_32 3
		.amdhsa_float_denorm_mode_16_64 3
		.amdhsa_fp16_overflow 0
		.amdhsa_workgroup_processor_mode 1
		.amdhsa_memory_ordered 1
		.amdhsa_forward_progress 1
		.amdhsa_inst_pref_size 0
		.amdhsa_round_robin_scheduling 0
		.amdhsa_exception_fp_ieee_invalid_op 0
		.amdhsa_exception_fp_denorm_src 0
		.amdhsa_exception_fp_ieee_div_zero 0
		.amdhsa_exception_fp_ieee_overflow 0
		.amdhsa_exception_fp_ieee_underflow 0
		.amdhsa_exception_fp_ieee_inexact 0
		.amdhsa_exception_int_div_zero 0
	.end_amdhsa_kernel
	.section	.text._ZN7rocprim17ROCPRIM_400000_NS6detail17trampoline_kernelINS0_14default_configENS1_20scan_config_selectorIN3c107complexIfEEEEZZNS1_9scan_implILNS1_25lookback_scan_determinismE0ELb0ELb0ES3_PKS7_PS7_S7_ZZZN2at6native31launch_logcumsumexp_cuda_kernelERKNSE_10TensorBaseESI_lENKUlvE_clEvENKUlvE2_clEvEUlS7_S7_E_S7_EEDaPvRmT3_T4_T5_mT6_P12ihipStream_tbENKUlT_T0_E_clISt17integral_constantIbLb0EESZ_EEDaSU_SV_EUlSU_E_NS1_11comp_targetILNS1_3genE0ELNS1_11target_archE4294967295ELNS1_3gpuE0ELNS1_3repE0EEENS1_30default_config_static_selectorELNS0_4arch9wavefront6targetE0EEEvT1_,"axG",@progbits,_ZN7rocprim17ROCPRIM_400000_NS6detail17trampoline_kernelINS0_14default_configENS1_20scan_config_selectorIN3c107complexIfEEEEZZNS1_9scan_implILNS1_25lookback_scan_determinismE0ELb0ELb0ES3_PKS7_PS7_S7_ZZZN2at6native31launch_logcumsumexp_cuda_kernelERKNSE_10TensorBaseESI_lENKUlvE_clEvENKUlvE2_clEvEUlS7_S7_E_S7_EEDaPvRmT3_T4_T5_mT6_P12ihipStream_tbENKUlT_T0_E_clISt17integral_constantIbLb0EESZ_EEDaSU_SV_EUlSU_E_NS1_11comp_targetILNS1_3genE0ELNS1_11target_archE4294967295ELNS1_3gpuE0ELNS1_3repE0EEENS1_30default_config_static_selectorELNS0_4arch9wavefront6targetE0EEEvT1_,comdat
.Lfunc_end263:
	.size	_ZN7rocprim17ROCPRIM_400000_NS6detail17trampoline_kernelINS0_14default_configENS1_20scan_config_selectorIN3c107complexIfEEEEZZNS1_9scan_implILNS1_25lookback_scan_determinismE0ELb0ELb0ES3_PKS7_PS7_S7_ZZZN2at6native31launch_logcumsumexp_cuda_kernelERKNSE_10TensorBaseESI_lENKUlvE_clEvENKUlvE2_clEvEUlS7_S7_E_S7_EEDaPvRmT3_T4_T5_mT6_P12ihipStream_tbENKUlT_T0_E_clISt17integral_constantIbLb0EESZ_EEDaSU_SV_EUlSU_E_NS1_11comp_targetILNS1_3genE0ELNS1_11target_archE4294967295ELNS1_3gpuE0ELNS1_3repE0EEENS1_30default_config_static_selectorELNS0_4arch9wavefront6targetE0EEEvT1_, .Lfunc_end263-_ZN7rocprim17ROCPRIM_400000_NS6detail17trampoline_kernelINS0_14default_configENS1_20scan_config_selectorIN3c107complexIfEEEEZZNS1_9scan_implILNS1_25lookback_scan_determinismE0ELb0ELb0ES3_PKS7_PS7_S7_ZZZN2at6native31launch_logcumsumexp_cuda_kernelERKNSE_10TensorBaseESI_lENKUlvE_clEvENKUlvE2_clEvEUlS7_S7_E_S7_EEDaPvRmT3_T4_T5_mT6_P12ihipStream_tbENKUlT_T0_E_clISt17integral_constantIbLb0EESZ_EEDaSU_SV_EUlSU_E_NS1_11comp_targetILNS1_3genE0ELNS1_11target_archE4294967295ELNS1_3gpuE0ELNS1_3repE0EEENS1_30default_config_static_selectorELNS0_4arch9wavefront6targetE0EEEvT1_
                                        ; -- End function
	.set _ZN7rocprim17ROCPRIM_400000_NS6detail17trampoline_kernelINS0_14default_configENS1_20scan_config_selectorIN3c107complexIfEEEEZZNS1_9scan_implILNS1_25lookback_scan_determinismE0ELb0ELb0ES3_PKS7_PS7_S7_ZZZN2at6native31launch_logcumsumexp_cuda_kernelERKNSE_10TensorBaseESI_lENKUlvE_clEvENKUlvE2_clEvEUlS7_S7_E_S7_EEDaPvRmT3_T4_T5_mT6_P12ihipStream_tbENKUlT_T0_E_clISt17integral_constantIbLb0EESZ_EEDaSU_SV_EUlSU_E_NS1_11comp_targetILNS1_3genE0ELNS1_11target_archE4294967295ELNS1_3gpuE0ELNS1_3repE0EEENS1_30default_config_static_selectorELNS0_4arch9wavefront6targetE0EEEvT1_.num_vgpr, 0
	.set _ZN7rocprim17ROCPRIM_400000_NS6detail17trampoline_kernelINS0_14default_configENS1_20scan_config_selectorIN3c107complexIfEEEEZZNS1_9scan_implILNS1_25lookback_scan_determinismE0ELb0ELb0ES3_PKS7_PS7_S7_ZZZN2at6native31launch_logcumsumexp_cuda_kernelERKNSE_10TensorBaseESI_lENKUlvE_clEvENKUlvE2_clEvEUlS7_S7_E_S7_EEDaPvRmT3_T4_T5_mT6_P12ihipStream_tbENKUlT_T0_E_clISt17integral_constantIbLb0EESZ_EEDaSU_SV_EUlSU_E_NS1_11comp_targetILNS1_3genE0ELNS1_11target_archE4294967295ELNS1_3gpuE0ELNS1_3repE0EEENS1_30default_config_static_selectorELNS0_4arch9wavefront6targetE0EEEvT1_.num_agpr, 0
	.set _ZN7rocprim17ROCPRIM_400000_NS6detail17trampoline_kernelINS0_14default_configENS1_20scan_config_selectorIN3c107complexIfEEEEZZNS1_9scan_implILNS1_25lookback_scan_determinismE0ELb0ELb0ES3_PKS7_PS7_S7_ZZZN2at6native31launch_logcumsumexp_cuda_kernelERKNSE_10TensorBaseESI_lENKUlvE_clEvENKUlvE2_clEvEUlS7_S7_E_S7_EEDaPvRmT3_T4_T5_mT6_P12ihipStream_tbENKUlT_T0_E_clISt17integral_constantIbLb0EESZ_EEDaSU_SV_EUlSU_E_NS1_11comp_targetILNS1_3genE0ELNS1_11target_archE4294967295ELNS1_3gpuE0ELNS1_3repE0EEENS1_30default_config_static_selectorELNS0_4arch9wavefront6targetE0EEEvT1_.numbered_sgpr, 0
	.set _ZN7rocprim17ROCPRIM_400000_NS6detail17trampoline_kernelINS0_14default_configENS1_20scan_config_selectorIN3c107complexIfEEEEZZNS1_9scan_implILNS1_25lookback_scan_determinismE0ELb0ELb0ES3_PKS7_PS7_S7_ZZZN2at6native31launch_logcumsumexp_cuda_kernelERKNSE_10TensorBaseESI_lENKUlvE_clEvENKUlvE2_clEvEUlS7_S7_E_S7_EEDaPvRmT3_T4_T5_mT6_P12ihipStream_tbENKUlT_T0_E_clISt17integral_constantIbLb0EESZ_EEDaSU_SV_EUlSU_E_NS1_11comp_targetILNS1_3genE0ELNS1_11target_archE4294967295ELNS1_3gpuE0ELNS1_3repE0EEENS1_30default_config_static_selectorELNS0_4arch9wavefront6targetE0EEEvT1_.num_named_barrier, 0
	.set _ZN7rocprim17ROCPRIM_400000_NS6detail17trampoline_kernelINS0_14default_configENS1_20scan_config_selectorIN3c107complexIfEEEEZZNS1_9scan_implILNS1_25lookback_scan_determinismE0ELb0ELb0ES3_PKS7_PS7_S7_ZZZN2at6native31launch_logcumsumexp_cuda_kernelERKNSE_10TensorBaseESI_lENKUlvE_clEvENKUlvE2_clEvEUlS7_S7_E_S7_EEDaPvRmT3_T4_T5_mT6_P12ihipStream_tbENKUlT_T0_E_clISt17integral_constantIbLb0EESZ_EEDaSU_SV_EUlSU_E_NS1_11comp_targetILNS1_3genE0ELNS1_11target_archE4294967295ELNS1_3gpuE0ELNS1_3repE0EEENS1_30default_config_static_selectorELNS0_4arch9wavefront6targetE0EEEvT1_.private_seg_size, 0
	.set _ZN7rocprim17ROCPRIM_400000_NS6detail17trampoline_kernelINS0_14default_configENS1_20scan_config_selectorIN3c107complexIfEEEEZZNS1_9scan_implILNS1_25lookback_scan_determinismE0ELb0ELb0ES3_PKS7_PS7_S7_ZZZN2at6native31launch_logcumsumexp_cuda_kernelERKNSE_10TensorBaseESI_lENKUlvE_clEvENKUlvE2_clEvEUlS7_S7_E_S7_EEDaPvRmT3_T4_T5_mT6_P12ihipStream_tbENKUlT_T0_E_clISt17integral_constantIbLb0EESZ_EEDaSU_SV_EUlSU_E_NS1_11comp_targetILNS1_3genE0ELNS1_11target_archE4294967295ELNS1_3gpuE0ELNS1_3repE0EEENS1_30default_config_static_selectorELNS0_4arch9wavefront6targetE0EEEvT1_.uses_vcc, 0
	.set _ZN7rocprim17ROCPRIM_400000_NS6detail17trampoline_kernelINS0_14default_configENS1_20scan_config_selectorIN3c107complexIfEEEEZZNS1_9scan_implILNS1_25lookback_scan_determinismE0ELb0ELb0ES3_PKS7_PS7_S7_ZZZN2at6native31launch_logcumsumexp_cuda_kernelERKNSE_10TensorBaseESI_lENKUlvE_clEvENKUlvE2_clEvEUlS7_S7_E_S7_EEDaPvRmT3_T4_T5_mT6_P12ihipStream_tbENKUlT_T0_E_clISt17integral_constantIbLb0EESZ_EEDaSU_SV_EUlSU_E_NS1_11comp_targetILNS1_3genE0ELNS1_11target_archE4294967295ELNS1_3gpuE0ELNS1_3repE0EEENS1_30default_config_static_selectorELNS0_4arch9wavefront6targetE0EEEvT1_.uses_flat_scratch, 0
	.set _ZN7rocprim17ROCPRIM_400000_NS6detail17trampoline_kernelINS0_14default_configENS1_20scan_config_selectorIN3c107complexIfEEEEZZNS1_9scan_implILNS1_25lookback_scan_determinismE0ELb0ELb0ES3_PKS7_PS7_S7_ZZZN2at6native31launch_logcumsumexp_cuda_kernelERKNSE_10TensorBaseESI_lENKUlvE_clEvENKUlvE2_clEvEUlS7_S7_E_S7_EEDaPvRmT3_T4_T5_mT6_P12ihipStream_tbENKUlT_T0_E_clISt17integral_constantIbLb0EESZ_EEDaSU_SV_EUlSU_E_NS1_11comp_targetILNS1_3genE0ELNS1_11target_archE4294967295ELNS1_3gpuE0ELNS1_3repE0EEENS1_30default_config_static_selectorELNS0_4arch9wavefront6targetE0EEEvT1_.has_dyn_sized_stack, 0
	.set _ZN7rocprim17ROCPRIM_400000_NS6detail17trampoline_kernelINS0_14default_configENS1_20scan_config_selectorIN3c107complexIfEEEEZZNS1_9scan_implILNS1_25lookback_scan_determinismE0ELb0ELb0ES3_PKS7_PS7_S7_ZZZN2at6native31launch_logcumsumexp_cuda_kernelERKNSE_10TensorBaseESI_lENKUlvE_clEvENKUlvE2_clEvEUlS7_S7_E_S7_EEDaPvRmT3_T4_T5_mT6_P12ihipStream_tbENKUlT_T0_E_clISt17integral_constantIbLb0EESZ_EEDaSU_SV_EUlSU_E_NS1_11comp_targetILNS1_3genE0ELNS1_11target_archE4294967295ELNS1_3gpuE0ELNS1_3repE0EEENS1_30default_config_static_selectorELNS0_4arch9wavefront6targetE0EEEvT1_.has_recursion, 0
	.set _ZN7rocprim17ROCPRIM_400000_NS6detail17trampoline_kernelINS0_14default_configENS1_20scan_config_selectorIN3c107complexIfEEEEZZNS1_9scan_implILNS1_25lookback_scan_determinismE0ELb0ELb0ES3_PKS7_PS7_S7_ZZZN2at6native31launch_logcumsumexp_cuda_kernelERKNSE_10TensorBaseESI_lENKUlvE_clEvENKUlvE2_clEvEUlS7_S7_E_S7_EEDaPvRmT3_T4_T5_mT6_P12ihipStream_tbENKUlT_T0_E_clISt17integral_constantIbLb0EESZ_EEDaSU_SV_EUlSU_E_NS1_11comp_targetILNS1_3genE0ELNS1_11target_archE4294967295ELNS1_3gpuE0ELNS1_3repE0EEENS1_30default_config_static_selectorELNS0_4arch9wavefront6targetE0EEEvT1_.has_indirect_call, 0
	.section	.AMDGPU.csdata,"",@progbits
; Kernel info:
; codeLenInByte = 0
; TotalNumSgprs: 0
; NumVgprs: 0
; ScratchSize: 0
; MemoryBound: 0
; FloatMode: 240
; IeeeMode: 1
; LDSByteSize: 0 bytes/workgroup (compile time only)
; SGPRBlocks: 0
; VGPRBlocks: 0
; NumSGPRsForWavesPerEU: 1
; NumVGPRsForWavesPerEU: 1
; Occupancy: 16
; WaveLimiterHint : 0
; COMPUTE_PGM_RSRC2:SCRATCH_EN: 0
; COMPUTE_PGM_RSRC2:USER_SGPR: 2
; COMPUTE_PGM_RSRC2:TRAP_HANDLER: 0
; COMPUTE_PGM_RSRC2:TGID_X_EN: 1
; COMPUTE_PGM_RSRC2:TGID_Y_EN: 0
; COMPUTE_PGM_RSRC2:TGID_Z_EN: 0
; COMPUTE_PGM_RSRC2:TIDIG_COMP_CNT: 0
	.section	.text._ZN7rocprim17ROCPRIM_400000_NS6detail17trampoline_kernelINS0_14default_configENS1_20scan_config_selectorIN3c107complexIfEEEEZZNS1_9scan_implILNS1_25lookback_scan_determinismE0ELb0ELb0ES3_PKS7_PS7_S7_ZZZN2at6native31launch_logcumsumexp_cuda_kernelERKNSE_10TensorBaseESI_lENKUlvE_clEvENKUlvE2_clEvEUlS7_S7_E_S7_EEDaPvRmT3_T4_T5_mT6_P12ihipStream_tbENKUlT_T0_E_clISt17integral_constantIbLb0EESZ_EEDaSU_SV_EUlSU_E_NS1_11comp_targetILNS1_3genE5ELNS1_11target_archE942ELNS1_3gpuE9ELNS1_3repE0EEENS1_30default_config_static_selectorELNS0_4arch9wavefront6targetE0EEEvT1_,"axG",@progbits,_ZN7rocprim17ROCPRIM_400000_NS6detail17trampoline_kernelINS0_14default_configENS1_20scan_config_selectorIN3c107complexIfEEEEZZNS1_9scan_implILNS1_25lookback_scan_determinismE0ELb0ELb0ES3_PKS7_PS7_S7_ZZZN2at6native31launch_logcumsumexp_cuda_kernelERKNSE_10TensorBaseESI_lENKUlvE_clEvENKUlvE2_clEvEUlS7_S7_E_S7_EEDaPvRmT3_T4_T5_mT6_P12ihipStream_tbENKUlT_T0_E_clISt17integral_constantIbLb0EESZ_EEDaSU_SV_EUlSU_E_NS1_11comp_targetILNS1_3genE5ELNS1_11target_archE942ELNS1_3gpuE9ELNS1_3repE0EEENS1_30default_config_static_selectorELNS0_4arch9wavefront6targetE0EEEvT1_,comdat
	.globl	_ZN7rocprim17ROCPRIM_400000_NS6detail17trampoline_kernelINS0_14default_configENS1_20scan_config_selectorIN3c107complexIfEEEEZZNS1_9scan_implILNS1_25lookback_scan_determinismE0ELb0ELb0ES3_PKS7_PS7_S7_ZZZN2at6native31launch_logcumsumexp_cuda_kernelERKNSE_10TensorBaseESI_lENKUlvE_clEvENKUlvE2_clEvEUlS7_S7_E_S7_EEDaPvRmT3_T4_T5_mT6_P12ihipStream_tbENKUlT_T0_E_clISt17integral_constantIbLb0EESZ_EEDaSU_SV_EUlSU_E_NS1_11comp_targetILNS1_3genE5ELNS1_11target_archE942ELNS1_3gpuE9ELNS1_3repE0EEENS1_30default_config_static_selectorELNS0_4arch9wavefront6targetE0EEEvT1_ ; -- Begin function _ZN7rocprim17ROCPRIM_400000_NS6detail17trampoline_kernelINS0_14default_configENS1_20scan_config_selectorIN3c107complexIfEEEEZZNS1_9scan_implILNS1_25lookback_scan_determinismE0ELb0ELb0ES3_PKS7_PS7_S7_ZZZN2at6native31launch_logcumsumexp_cuda_kernelERKNSE_10TensorBaseESI_lENKUlvE_clEvENKUlvE2_clEvEUlS7_S7_E_S7_EEDaPvRmT3_T4_T5_mT6_P12ihipStream_tbENKUlT_T0_E_clISt17integral_constantIbLb0EESZ_EEDaSU_SV_EUlSU_E_NS1_11comp_targetILNS1_3genE5ELNS1_11target_archE942ELNS1_3gpuE9ELNS1_3repE0EEENS1_30default_config_static_selectorELNS0_4arch9wavefront6targetE0EEEvT1_
	.p2align	8
	.type	_ZN7rocprim17ROCPRIM_400000_NS6detail17trampoline_kernelINS0_14default_configENS1_20scan_config_selectorIN3c107complexIfEEEEZZNS1_9scan_implILNS1_25lookback_scan_determinismE0ELb0ELb0ES3_PKS7_PS7_S7_ZZZN2at6native31launch_logcumsumexp_cuda_kernelERKNSE_10TensorBaseESI_lENKUlvE_clEvENKUlvE2_clEvEUlS7_S7_E_S7_EEDaPvRmT3_T4_T5_mT6_P12ihipStream_tbENKUlT_T0_E_clISt17integral_constantIbLb0EESZ_EEDaSU_SV_EUlSU_E_NS1_11comp_targetILNS1_3genE5ELNS1_11target_archE942ELNS1_3gpuE9ELNS1_3repE0EEENS1_30default_config_static_selectorELNS0_4arch9wavefront6targetE0EEEvT1_,@function
_ZN7rocprim17ROCPRIM_400000_NS6detail17trampoline_kernelINS0_14default_configENS1_20scan_config_selectorIN3c107complexIfEEEEZZNS1_9scan_implILNS1_25lookback_scan_determinismE0ELb0ELb0ES3_PKS7_PS7_S7_ZZZN2at6native31launch_logcumsumexp_cuda_kernelERKNSE_10TensorBaseESI_lENKUlvE_clEvENKUlvE2_clEvEUlS7_S7_E_S7_EEDaPvRmT3_T4_T5_mT6_P12ihipStream_tbENKUlT_T0_E_clISt17integral_constantIbLb0EESZ_EEDaSU_SV_EUlSU_E_NS1_11comp_targetILNS1_3genE5ELNS1_11target_archE942ELNS1_3gpuE9ELNS1_3repE0EEENS1_30default_config_static_selectorELNS0_4arch9wavefront6targetE0EEEvT1_: ; @_ZN7rocprim17ROCPRIM_400000_NS6detail17trampoline_kernelINS0_14default_configENS1_20scan_config_selectorIN3c107complexIfEEEEZZNS1_9scan_implILNS1_25lookback_scan_determinismE0ELb0ELb0ES3_PKS7_PS7_S7_ZZZN2at6native31launch_logcumsumexp_cuda_kernelERKNSE_10TensorBaseESI_lENKUlvE_clEvENKUlvE2_clEvEUlS7_S7_E_S7_EEDaPvRmT3_T4_T5_mT6_P12ihipStream_tbENKUlT_T0_E_clISt17integral_constantIbLb0EESZ_EEDaSU_SV_EUlSU_E_NS1_11comp_targetILNS1_3genE5ELNS1_11target_archE942ELNS1_3gpuE9ELNS1_3repE0EEENS1_30default_config_static_selectorELNS0_4arch9wavefront6targetE0EEEvT1_
; %bb.0:
	.section	.rodata,"a",@progbits
	.p2align	6, 0x0
	.amdhsa_kernel _ZN7rocprim17ROCPRIM_400000_NS6detail17trampoline_kernelINS0_14default_configENS1_20scan_config_selectorIN3c107complexIfEEEEZZNS1_9scan_implILNS1_25lookback_scan_determinismE0ELb0ELb0ES3_PKS7_PS7_S7_ZZZN2at6native31launch_logcumsumexp_cuda_kernelERKNSE_10TensorBaseESI_lENKUlvE_clEvENKUlvE2_clEvEUlS7_S7_E_S7_EEDaPvRmT3_T4_T5_mT6_P12ihipStream_tbENKUlT_T0_E_clISt17integral_constantIbLb0EESZ_EEDaSU_SV_EUlSU_E_NS1_11comp_targetILNS1_3genE5ELNS1_11target_archE942ELNS1_3gpuE9ELNS1_3repE0EEENS1_30default_config_static_selectorELNS0_4arch9wavefront6targetE0EEEvT1_
		.amdhsa_group_segment_fixed_size 0
		.amdhsa_private_segment_fixed_size 0
		.amdhsa_kernarg_size 104
		.amdhsa_user_sgpr_count 2
		.amdhsa_user_sgpr_dispatch_ptr 0
		.amdhsa_user_sgpr_queue_ptr 0
		.amdhsa_user_sgpr_kernarg_segment_ptr 1
		.amdhsa_user_sgpr_dispatch_id 0
		.amdhsa_user_sgpr_private_segment_size 0
		.amdhsa_wavefront_size32 1
		.amdhsa_uses_dynamic_stack 0
		.amdhsa_enable_private_segment 0
		.amdhsa_system_sgpr_workgroup_id_x 1
		.amdhsa_system_sgpr_workgroup_id_y 0
		.amdhsa_system_sgpr_workgroup_id_z 0
		.amdhsa_system_sgpr_workgroup_info 0
		.amdhsa_system_vgpr_workitem_id 0
		.amdhsa_next_free_vgpr 1
		.amdhsa_next_free_sgpr 1
		.amdhsa_reserve_vcc 0
		.amdhsa_float_round_mode_32 0
		.amdhsa_float_round_mode_16_64 0
		.amdhsa_float_denorm_mode_32 3
		.amdhsa_float_denorm_mode_16_64 3
		.amdhsa_fp16_overflow 0
		.amdhsa_workgroup_processor_mode 1
		.amdhsa_memory_ordered 1
		.amdhsa_forward_progress 1
		.amdhsa_inst_pref_size 0
		.amdhsa_round_robin_scheduling 0
		.amdhsa_exception_fp_ieee_invalid_op 0
		.amdhsa_exception_fp_denorm_src 0
		.amdhsa_exception_fp_ieee_div_zero 0
		.amdhsa_exception_fp_ieee_overflow 0
		.amdhsa_exception_fp_ieee_underflow 0
		.amdhsa_exception_fp_ieee_inexact 0
		.amdhsa_exception_int_div_zero 0
	.end_amdhsa_kernel
	.section	.text._ZN7rocprim17ROCPRIM_400000_NS6detail17trampoline_kernelINS0_14default_configENS1_20scan_config_selectorIN3c107complexIfEEEEZZNS1_9scan_implILNS1_25lookback_scan_determinismE0ELb0ELb0ES3_PKS7_PS7_S7_ZZZN2at6native31launch_logcumsumexp_cuda_kernelERKNSE_10TensorBaseESI_lENKUlvE_clEvENKUlvE2_clEvEUlS7_S7_E_S7_EEDaPvRmT3_T4_T5_mT6_P12ihipStream_tbENKUlT_T0_E_clISt17integral_constantIbLb0EESZ_EEDaSU_SV_EUlSU_E_NS1_11comp_targetILNS1_3genE5ELNS1_11target_archE942ELNS1_3gpuE9ELNS1_3repE0EEENS1_30default_config_static_selectorELNS0_4arch9wavefront6targetE0EEEvT1_,"axG",@progbits,_ZN7rocprim17ROCPRIM_400000_NS6detail17trampoline_kernelINS0_14default_configENS1_20scan_config_selectorIN3c107complexIfEEEEZZNS1_9scan_implILNS1_25lookback_scan_determinismE0ELb0ELb0ES3_PKS7_PS7_S7_ZZZN2at6native31launch_logcumsumexp_cuda_kernelERKNSE_10TensorBaseESI_lENKUlvE_clEvENKUlvE2_clEvEUlS7_S7_E_S7_EEDaPvRmT3_T4_T5_mT6_P12ihipStream_tbENKUlT_T0_E_clISt17integral_constantIbLb0EESZ_EEDaSU_SV_EUlSU_E_NS1_11comp_targetILNS1_3genE5ELNS1_11target_archE942ELNS1_3gpuE9ELNS1_3repE0EEENS1_30default_config_static_selectorELNS0_4arch9wavefront6targetE0EEEvT1_,comdat
.Lfunc_end264:
	.size	_ZN7rocprim17ROCPRIM_400000_NS6detail17trampoline_kernelINS0_14default_configENS1_20scan_config_selectorIN3c107complexIfEEEEZZNS1_9scan_implILNS1_25lookback_scan_determinismE0ELb0ELb0ES3_PKS7_PS7_S7_ZZZN2at6native31launch_logcumsumexp_cuda_kernelERKNSE_10TensorBaseESI_lENKUlvE_clEvENKUlvE2_clEvEUlS7_S7_E_S7_EEDaPvRmT3_T4_T5_mT6_P12ihipStream_tbENKUlT_T0_E_clISt17integral_constantIbLb0EESZ_EEDaSU_SV_EUlSU_E_NS1_11comp_targetILNS1_3genE5ELNS1_11target_archE942ELNS1_3gpuE9ELNS1_3repE0EEENS1_30default_config_static_selectorELNS0_4arch9wavefront6targetE0EEEvT1_, .Lfunc_end264-_ZN7rocprim17ROCPRIM_400000_NS6detail17trampoline_kernelINS0_14default_configENS1_20scan_config_selectorIN3c107complexIfEEEEZZNS1_9scan_implILNS1_25lookback_scan_determinismE0ELb0ELb0ES3_PKS7_PS7_S7_ZZZN2at6native31launch_logcumsumexp_cuda_kernelERKNSE_10TensorBaseESI_lENKUlvE_clEvENKUlvE2_clEvEUlS7_S7_E_S7_EEDaPvRmT3_T4_T5_mT6_P12ihipStream_tbENKUlT_T0_E_clISt17integral_constantIbLb0EESZ_EEDaSU_SV_EUlSU_E_NS1_11comp_targetILNS1_3genE5ELNS1_11target_archE942ELNS1_3gpuE9ELNS1_3repE0EEENS1_30default_config_static_selectorELNS0_4arch9wavefront6targetE0EEEvT1_
                                        ; -- End function
	.set _ZN7rocprim17ROCPRIM_400000_NS6detail17trampoline_kernelINS0_14default_configENS1_20scan_config_selectorIN3c107complexIfEEEEZZNS1_9scan_implILNS1_25lookback_scan_determinismE0ELb0ELb0ES3_PKS7_PS7_S7_ZZZN2at6native31launch_logcumsumexp_cuda_kernelERKNSE_10TensorBaseESI_lENKUlvE_clEvENKUlvE2_clEvEUlS7_S7_E_S7_EEDaPvRmT3_T4_T5_mT6_P12ihipStream_tbENKUlT_T0_E_clISt17integral_constantIbLb0EESZ_EEDaSU_SV_EUlSU_E_NS1_11comp_targetILNS1_3genE5ELNS1_11target_archE942ELNS1_3gpuE9ELNS1_3repE0EEENS1_30default_config_static_selectorELNS0_4arch9wavefront6targetE0EEEvT1_.num_vgpr, 0
	.set _ZN7rocprim17ROCPRIM_400000_NS6detail17trampoline_kernelINS0_14default_configENS1_20scan_config_selectorIN3c107complexIfEEEEZZNS1_9scan_implILNS1_25lookback_scan_determinismE0ELb0ELb0ES3_PKS7_PS7_S7_ZZZN2at6native31launch_logcumsumexp_cuda_kernelERKNSE_10TensorBaseESI_lENKUlvE_clEvENKUlvE2_clEvEUlS7_S7_E_S7_EEDaPvRmT3_T4_T5_mT6_P12ihipStream_tbENKUlT_T0_E_clISt17integral_constantIbLb0EESZ_EEDaSU_SV_EUlSU_E_NS1_11comp_targetILNS1_3genE5ELNS1_11target_archE942ELNS1_3gpuE9ELNS1_3repE0EEENS1_30default_config_static_selectorELNS0_4arch9wavefront6targetE0EEEvT1_.num_agpr, 0
	.set _ZN7rocprim17ROCPRIM_400000_NS6detail17trampoline_kernelINS0_14default_configENS1_20scan_config_selectorIN3c107complexIfEEEEZZNS1_9scan_implILNS1_25lookback_scan_determinismE0ELb0ELb0ES3_PKS7_PS7_S7_ZZZN2at6native31launch_logcumsumexp_cuda_kernelERKNSE_10TensorBaseESI_lENKUlvE_clEvENKUlvE2_clEvEUlS7_S7_E_S7_EEDaPvRmT3_T4_T5_mT6_P12ihipStream_tbENKUlT_T0_E_clISt17integral_constantIbLb0EESZ_EEDaSU_SV_EUlSU_E_NS1_11comp_targetILNS1_3genE5ELNS1_11target_archE942ELNS1_3gpuE9ELNS1_3repE0EEENS1_30default_config_static_selectorELNS0_4arch9wavefront6targetE0EEEvT1_.numbered_sgpr, 0
	.set _ZN7rocprim17ROCPRIM_400000_NS6detail17trampoline_kernelINS0_14default_configENS1_20scan_config_selectorIN3c107complexIfEEEEZZNS1_9scan_implILNS1_25lookback_scan_determinismE0ELb0ELb0ES3_PKS7_PS7_S7_ZZZN2at6native31launch_logcumsumexp_cuda_kernelERKNSE_10TensorBaseESI_lENKUlvE_clEvENKUlvE2_clEvEUlS7_S7_E_S7_EEDaPvRmT3_T4_T5_mT6_P12ihipStream_tbENKUlT_T0_E_clISt17integral_constantIbLb0EESZ_EEDaSU_SV_EUlSU_E_NS1_11comp_targetILNS1_3genE5ELNS1_11target_archE942ELNS1_3gpuE9ELNS1_3repE0EEENS1_30default_config_static_selectorELNS0_4arch9wavefront6targetE0EEEvT1_.num_named_barrier, 0
	.set _ZN7rocprim17ROCPRIM_400000_NS6detail17trampoline_kernelINS0_14default_configENS1_20scan_config_selectorIN3c107complexIfEEEEZZNS1_9scan_implILNS1_25lookback_scan_determinismE0ELb0ELb0ES3_PKS7_PS7_S7_ZZZN2at6native31launch_logcumsumexp_cuda_kernelERKNSE_10TensorBaseESI_lENKUlvE_clEvENKUlvE2_clEvEUlS7_S7_E_S7_EEDaPvRmT3_T4_T5_mT6_P12ihipStream_tbENKUlT_T0_E_clISt17integral_constantIbLb0EESZ_EEDaSU_SV_EUlSU_E_NS1_11comp_targetILNS1_3genE5ELNS1_11target_archE942ELNS1_3gpuE9ELNS1_3repE0EEENS1_30default_config_static_selectorELNS0_4arch9wavefront6targetE0EEEvT1_.private_seg_size, 0
	.set _ZN7rocprim17ROCPRIM_400000_NS6detail17trampoline_kernelINS0_14default_configENS1_20scan_config_selectorIN3c107complexIfEEEEZZNS1_9scan_implILNS1_25lookback_scan_determinismE0ELb0ELb0ES3_PKS7_PS7_S7_ZZZN2at6native31launch_logcumsumexp_cuda_kernelERKNSE_10TensorBaseESI_lENKUlvE_clEvENKUlvE2_clEvEUlS7_S7_E_S7_EEDaPvRmT3_T4_T5_mT6_P12ihipStream_tbENKUlT_T0_E_clISt17integral_constantIbLb0EESZ_EEDaSU_SV_EUlSU_E_NS1_11comp_targetILNS1_3genE5ELNS1_11target_archE942ELNS1_3gpuE9ELNS1_3repE0EEENS1_30default_config_static_selectorELNS0_4arch9wavefront6targetE0EEEvT1_.uses_vcc, 0
	.set _ZN7rocprim17ROCPRIM_400000_NS6detail17trampoline_kernelINS0_14default_configENS1_20scan_config_selectorIN3c107complexIfEEEEZZNS1_9scan_implILNS1_25lookback_scan_determinismE0ELb0ELb0ES3_PKS7_PS7_S7_ZZZN2at6native31launch_logcumsumexp_cuda_kernelERKNSE_10TensorBaseESI_lENKUlvE_clEvENKUlvE2_clEvEUlS7_S7_E_S7_EEDaPvRmT3_T4_T5_mT6_P12ihipStream_tbENKUlT_T0_E_clISt17integral_constantIbLb0EESZ_EEDaSU_SV_EUlSU_E_NS1_11comp_targetILNS1_3genE5ELNS1_11target_archE942ELNS1_3gpuE9ELNS1_3repE0EEENS1_30default_config_static_selectorELNS0_4arch9wavefront6targetE0EEEvT1_.uses_flat_scratch, 0
	.set _ZN7rocprim17ROCPRIM_400000_NS6detail17trampoline_kernelINS0_14default_configENS1_20scan_config_selectorIN3c107complexIfEEEEZZNS1_9scan_implILNS1_25lookback_scan_determinismE0ELb0ELb0ES3_PKS7_PS7_S7_ZZZN2at6native31launch_logcumsumexp_cuda_kernelERKNSE_10TensorBaseESI_lENKUlvE_clEvENKUlvE2_clEvEUlS7_S7_E_S7_EEDaPvRmT3_T4_T5_mT6_P12ihipStream_tbENKUlT_T0_E_clISt17integral_constantIbLb0EESZ_EEDaSU_SV_EUlSU_E_NS1_11comp_targetILNS1_3genE5ELNS1_11target_archE942ELNS1_3gpuE9ELNS1_3repE0EEENS1_30default_config_static_selectorELNS0_4arch9wavefront6targetE0EEEvT1_.has_dyn_sized_stack, 0
	.set _ZN7rocprim17ROCPRIM_400000_NS6detail17trampoline_kernelINS0_14default_configENS1_20scan_config_selectorIN3c107complexIfEEEEZZNS1_9scan_implILNS1_25lookback_scan_determinismE0ELb0ELb0ES3_PKS7_PS7_S7_ZZZN2at6native31launch_logcumsumexp_cuda_kernelERKNSE_10TensorBaseESI_lENKUlvE_clEvENKUlvE2_clEvEUlS7_S7_E_S7_EEDaPvRmT3_T4_T5_mT6_P12ihipStream_tbENKUlT_T0_E_clISt17integral_constantIbLb0EESZ_EEDaSU_SV_EUlSU_E_NS1_11comp_targetILNS1_3genE5ELNS1_11target_archE942ELNS1_3gpuE9ELNS1_3repE0EEENS1_30default_config_static_selectorELNS0_4arch9wavefront6targetE0EEEvT1_.has_recursion, 0
	.set _ZN7rocprim17ROCPRIM_400000_NS6detail17trampoline_kernelINS0_14default_configENS1_20scan_config_selectorIN3c107complexIfEEEEZZNS1_9scan_implILNS1_25lookback_scan_determinismE0ELb0ELb0ES3_PKS7_PS7_S7_ZZZN2at6native31launch_logcumsumexp_cuda_kernelERKNSE_10TensorBaseESI_lENKUlvE_clEvENKUlvE2_clEvEUlS7_S7_E_S7_EEDaPvRmT3_T4_T5_mT6_P12ihipStream_tbENKUlT_T0_E_clISt17integral_constantIbLb0EESZ_EEDaSU_SV_EUlSU_E_NS1_11comp_targetILNS1_3genE5ELNS1_11target_archE942ELNS1_3gpuE9ELNS1_3repE0EEENS1_30default_config_static_selectorELNS0_4arch9wavefront6targetE0EEEvT1_.has_indirect_call, 0
	.section	.AMDGPU.csdata,"",@progbits
; Kernel info:
; codeLenInByte = 0
; TotalNumSgprs: 0
; NumVgprs: 0
; ScratchSize: 0
; MemoryBound: 0
; FloatMode: 240
; IeeeMode: 1
; LDSByteSize: 0 bytes/workgroup (compile time only)
; SGPRBlocks: 0
; VGPRBlocks: 0
; NumSGPRsForWavesPerEU: 1
; NumVGPRsForWavesPerEU: 1
; Occupancy: 16
; WaveLimiterHint : 0
; COMPUTE_PGM_RSRC2:SCRATCH_EN: 0
; COMPUTE_PGM_RSRC2:USER_SGPR: 2
; COMPUTE_PGM_RSRC2:TRAP_HANDLER: 0
; COMPUTE_PGM_RSRC2:TGID_X_EN: 1
; COMPUTE_PGM_RSRC2:TGID_Y_EN: 0
; COMPUTE_PGM_RSRC2:TGID_Z_EN: 0
; COMPUTE_PGM_RSRC2:TIDIG_COMP_CNT: 0
	.section	.text._ZN7rocprim17ROCPRIM_400000_NS6detail17trampoline_kernelINS0_14default_configENS1_20scan_config_selectorIN3c107complexIfEEEEZZNS1_9scan_implILNS1_25lookback_scan_determinismE0ELb0ELb0ES3_PKS7_PS7_S7_ZZZN2at6native31launch_logcumsumexp_cuda_kernelERKNSE_10TensorBaseESI_lENKUlvE_clEvENKUlvE2_clEvEUlS7_S7_E_S7_EEDaPvRmT3_T4_T5_mT6_P12ihipStream_tbENKUlT_T0_E_clISt17integral_constantIbLb0EESZ_EEDaSU_SV_EUlSU_E_NS1_11comp_targetILNS1_3genE4ELNS1_11target_archE910ELNS1_3gpuE8ELNS1_3repE0EEENS1_30default_config_static_selectorELNS0_4arch9wavefront6targetE0EEEvT1_,"axG",@progbits,_ZN7rocprim17ROCPRIM_400000_NS6detail17trampoline_kernelINS0_14default_configENS1_20scan_config_selectorIN3c107complexIfEEEEZZNS1_9scan_implILNS1_25lookback_scan_determinismE0ELb0ELb0ES3_PKS7_PS7_S7_ZZZN2at6native31launch_logcumsumexp_cuda_kernelERKNSE_10TensorBaseESI_lENKUlvE_clEvENKUlvE2_clEvEUlS7_S7_E_S7_EEDaPvRmT3_T4_T5_mT6_P12ihipStream_tbENKUlT_T0_E_clISt17integral_constantIbLb0EESZ_EEDaSU_SV_EUlSU_E_NS1_11comp_targetILNS1_3genE4ELNS1_11target_archE910ELNS1_3gpuE8ELNS1_3repE0EEENS1_30default_config_static_selectorELNS0_4arch9wavefront6targetE0EEEvT1_,comdat
	.globl	_ZN7rocprim17ROCPRIM_400000_NS6detail17trampoline_kernelINS0_14default_configENS1_20scan_config_selectorIN3c107complexIfEEEEZZNS1_9scan_implILNS1_25lookback_scan_determinismE0ELb0ELb0ES3_PKS7_PS7_S7_ZZZN2at6native31launch_logcumsumexp_cuda_kernelERKNSE_10TensorBaseESI_lENKUlvE_clEvENKUlvE2_clEvEUlS7_S7_E_S7_EEDaPvRmT3_T4_T5_mT6_P12ihipStream_tbENKUlT_T0_E_clISt17integral_constantIbLb0EESZ_EEDaSU_SV_EUlSU_E_NS1_11comp_targetILNS1_3genE4ELNS1_11target_archE910ELNS1_3gpuE8ELNS1_3repE0EEENS1_30default_config_static_selectorELNS0_4arch9wavefront6targetE0EEEvT1_ ; -- Begin function _ZN7rocprim17ROCPRIM_400000_NS6detail17trampoline_kernelINS0_14default_configENS1_20scan_config_selectorIN3c107complexIfEEEEZZNS1_9scan_implILNS1_25lookback_scan_determinismE0ELb0ELb0ES3_PKS7_PS7_S7_ZZZN2at6native31launch_logcumsumexp_cuda_kernelERKNSE_10TensorBaseESI_lENKUlvE_clEvENKUlvE2_clEvEUlS7_S7_E_S7_EEDaPvRmT3_T4_T5_mT6_P12ihipStream_tbENKUlT_T0_E_clISt17integral_constantIbLb0EESZ_EEDaSU_SV_EUlSU_E_NS1_11comp_targetILNS1_3genE4ELNS1_11target_archE910ELNS1_3gpuE8ELNS1_3repE0EEENS1_30default_config_static_selectorELNS0_4arch9wavefront6targetE0EEEvT1_
	.p2align	8
	.type	_ZN7rocprim17ROCPRIM_400000_NS6detail17trampoline_kernelINS0_14default_configENS1_20scan_config_selectorIN3c107complexIfEEEEZZNS1_9scan_implILNS1_25lookback_scan_determinismE0ELb0ELb0ES3_PKS7_PS7_S7_ZZZN2at6native31launch_logcumsumexp_cuda_kernelERKNSE_10TensorBaseESI_lENKUlvE_clEvENKUlvE2_clEvEUlS7_S7_E_S7_EEDaPvRmT3_T4_T5_mT6_P12ihipStream_tbENKUlT_T0_E_clISt17integral_constantIbLb0EESZ_EEDaSU_SV_EUlSU_E_NS1_11comp_targetILNS1_3genE4ELNS1_11target_archE910ELNS1_3gpuE8ELNS1_3repE0EEENS1_30default_config_static_selectorELNS0_4arch9wavefront6targetE0EEEvT1_,@function
_ZN7rocprim17ROCPRIM_400000_NS6detail17trampoline_kernelINS0_14default_configENS1_20scan_config_selectorIN3c107complexIfEEEEZZNS1_9scan_implILNS1_25lookback_scan_determinismE0ELb0ELb0ES3_PKS7_PS7_S7_ZZZN2at6native31launch_logcumsumexp_cuda_kernelERKNSE_10TensorBaseESI_lENKUlvE_clEvENKUlvE2_clEvEUlS7_S7_E_S7_EEDaPvRmT3_T4_T5_mT6_P12ihipStream_tbENKUlT_T0_E_clISt17integral_constantIbLb0EESZ_EEDaSU_SV_EUlSU_E_NS1_11comp_targetILNS1_3genE4ELNS1_11target_archE910ELNS1_3gpuE8ELNS1_3repE0EEENS1_30default_config_static_selectorELNS0_4arch9wavefront6targetE0EEEvT1_: ; @_ZN7rocprim17ROCPRIM_400000_NS6detail17trampoline_kernelINS0_14default_configENS1_20scan_config_selectorIN3c107complexIfEEEEZZNS1_9scan_implILNS1_25lookback_scan_determinismE0ELb0ELb0ES3_PKS7_PS7_S7_ZZZN2at6native31launch_logcumsumexp_cuda_kernelERKNSE_10TensorBaseESI_lENKUlvE_clEvENKUlvE2_clEvEUlS7_S7_E_S7_EEDaPvRmT3_T4_T5_mT6_P12ihipStream_tbENKUlT_T0_E_clISt17integral_constantIbLb0EESZ_EEDaSU_SV_EUlSU_E_NS1_11comp_targetILNS1_3genE4ELNS1_11target_archE910ELNS1_3gpuE8ELNS1_3repE0EEENS1_30default_config_static_selectorELNS0_4arch9wavefront6targetE0EEEvT1_
; %bb.0:
	.section	.rodata,"a",@progbits
	.p2align	6, 0x0
	.amdhsa_kernel _ZN7rocprim17ROCPRIM_400000_NS6detail17trampoline_kernelINS0_14default_configENS1_20scan_config_selectorIN3c107complexIfEEEEZZNS1_9scan_implILNS1_25lookback_scan_determinismE0ELb0ELb0ES3_PKS7_PS7_S7_ZZZN2at6native31launch_logcumsumexp_cuda_kernelERKNSE_10TensorBaseESI_lENKUlvE_clEvENKUlvE2_clEvEUlS7_S7_E_S7_EEDaPvRmT3_T4_T5_mT6_P12ihipStream_tbENKUlT_T0_E_clISt17integral_constantIbLb0EESZ_EEDaSU_SV_EUlSU_E_NS1_11comp_targetILNS1_3genE4ELNS1_11target_archE910ELNS1_3gpuE8ELNS1_3repE0EEENS1_30default_config_static_selectorELNS0_4arch9wavefront6targetE0EEEvT1_
		.amdhsa_group_segment_fixed_size 0
		.amdhsa_private_segment_fixed_size 0
		.amdhsa_kernarg_size 104
		.amdhsa_user_sgpr_count 2
		.amdhsa_user_sgpr_dispatch_ptr 0
		.amdhsa_user_sgpr_queue_ptr 0
		.amdhsa_user_sgpr_kernarg_segment_ptr 1
		.amdhsa_user_sgpr_dispatch_id 0
		.amdhsa_user_sgpr_private_segment_size 0
		.amdhsa_wavefront_size32 1
		.amdhsa_uses_dynamic_stack 0
		.amdhsa_enable_private_segment 0
		.amdhsa_system_sgpr_workgroup_id_x 1
		.amdhsa_system_sgpr_workgroup_id_y 0
		.amdhsa_system_sgpr_workgroup_id_z 0
		.amdhsa_system_sgpr_workgroup_info 0
		.amdhsa_system_vgpr_workitem_id 0
		.amdhsa_next_free_vgpr 1
		.amdhsa_next_free_sgpr 1
		.amdhsa_reserve_vcc 0
		.amdhsa_float_round_mode_32 0
		.amdhsa_float_round_mode_16_64 0
		.amdhsa_float_denorm_mode_32 3
		.amdhsa_float_denorm_mode_16_64 3
		.amdhsa_fp16_overflow 0
		.amdhsa_workgroup_processor_mode 1
		.amdhsa_memory_ordered 1
		.amdhsa_forward_progress 1
		.amdhsa_inst_pref_size 0
		.amdhsa_round_robin_scheduling 0
		.amdhsa_exception_fp_ieee_invalid_op 0
		.amdhsa_exception_fp_denorm_src 0
		.amdhsa_exception_fp_ieee_div_zero 0
		.amdhsa_exception_fp_ieee_overflow 0
		.amdhsa_exception_fp_ieee_underflow 0
		.amdhsa_exception_fp_ieee_inexact 0
		.amdhsa_exception_int_div_zero 0
	.end_amdhsa_kernel
	.section	.text._ZN7rocprim17ROCPRIM_400000_NS6detail17trampoline_kernelINS0_14default_configENS1_20scan_config_selectorIN3c107complexIfEEEEZZNS1_9scan_implILNS1_25lookback_scan_determinismE0ELb0ELb0ES3_PKS7_PS7_S7_ZZZN2at6native31launch_logcumsumexp_cuda_kernelERKNSE_10TensorBaseESI_lENKUlvE_clEvENKUlvE2_clEvEUlS7_S7_E_S7_EEDaPvRmT3_T4_T5_mT6_P12ihipStream_tbENKUlT_T0_E_clISt17integral_constantIbLb0EESZ_EEDaSU_SV_EUlSU_E_NS1_11comp_targetILNS1_3genE4ELNS1_11target_archE910ELNS1_3gpuE8ELNS1_3repE0EEENS1_30default_config_static_selectorELNS0_4arch9wavefront6targetE0EEEvT1_,"axG",@progbits,_ZN7rocprim17ROCPRIM_400000_NS6detail17trampoline_kernelINS0_14default_configENS1_20scan_config_selectorIN3c107complexIfEEEEZZNS1_9scan_implILNS1_25lookback_scan_determinismE0ELb0ELb0ES3_PKS7_PS7_S7_ZZZN2at6native31launch_logcumsumexp_cuda_kernelERKNSE_10TensorBaseESI_lENKUlvE_clEvENKUlvE2_clEvEUlS7_S7_E_S7_EEDaPvRmT3_T4_T5_mT6_P12ihipStream_tbENKUlT_T0_E_clISt17integral_constantIbLb0EESZ_EEDaSU_SV_EUlSU_E_NS1_11comp_targetILNS1_3genE4ELNS1_11target_archE910ELNS1_3gpuE8ELNS1_3repE0EEENS1_30default_config_static_selectorELNS0_4arch9wavefront6targetE0EEEvT1_,comdat
.Lfunc_end265:
	.size	_ZN7rocprim17ROCPRIM_400000_NS6detail17trampoline_kernelINS0_14default_configENS1_20scan_config_selectorIN3c107complexIfEEEEZZNS1_9scan_implILNS1_25lookback_scan_determinismE0ELb0ELb0ES3_PKS7_PS7_S7_ZZZN2at6native31launch_logcumsumexp_cuda_kernelERKNSE_10TensorBaseESI_lENKUlvE_clEvENKUlvE2_clEvEUlS7_S7_E_S7_EEDaPvRmT3_T4_T5_mT6_P12ihipStream_tbENKUlT_T0_E_clISt17integral_constantIbLb0EESZ_EEDaSU_SV_EUlSU_E_NS1_11comp_targetILNS1_3genE4ELNS1_11target_archE910ELNS1_3gpuE8ELNS1_3repE0EEENS1_30default_config_static_selectorELNS0_4arch9wavefront6targetE0EEEvT1_, .Lfunc_end265-_ZN7rocprim17ROCPRIM_400000_NS6detail17trampoline_kernelINS0_14default_configENS1_20scan_config_selectorIN3c107complexIfEEEEZZNS1_9scan_implILNS1_25lookback_scan_determinismE0ELb0ELb0ES3_PKS7_PS7_S7_ZZZN2at6native31launch_logcumsumexp_cuda_kernelERKNSE_10TensorBaseESI_lENKUlvE_clEvENKUlvE2_clEvEUlS7_S7_E_S7_EEDaPvRmT3_T4_T5_mT6_P12ihipStream_tbENKUlT_T0_E_clISt17integral_constantIbLb0EESZ_EEDaSU_SV_EUlSU_E_NS1_11comp_targetILNS1_3genE4ELNS1_11target_archE910ELNS1_3gpuE8ELNS1_3repE0EEENS1_30default_config_static_selectorELNS0_4arch9wavefront6targetE0EEEvT1_
                                        ; -- End function
	.set _ZN7rocprim17ROCPRIM_400000_NS6detail17trampoline_kernelINS0_14default_configENS1_20scan_config_selectorIN3c107complexIfEEEEZZNS1_9scan_implILNS1_25lookback_scan_determinismE0ELb0ELb0ES3_PKS7_PS7_S7_ZZZN2at6native31launch_logcumsumexp_cuda_kernelERKNSE_10TensorBaseESI_lENKUlvE_clEvENKUlvE2_clEvEUlS7_S7_E_S7_EEDaPvRmT3_T4_T5_mT6_P12ihipStream_tbENKUlT_T0_E_clISt17integral_constantIbLb0EESZ_EEDaSU_SV_EUlSU_E_NS1_11comp_targetILNS1_3genE4ELNS1_11target_archE910ELNS1_3gpuE8ELNS1_3repE0EEENS1_30default_config_static_selectorELNS0_4arch9wavefront6targetE0EEEvT1_.num_vgpr, 0
	.set _ZN7rocprim17ROCPRIM_400000_NS6detail17trampoline_kernelINS0_14default_configENS1_20scan_config_selectorIN3c107complexIfEEEEZZNS1_9scan_implILNS1_25lookback_scan_determinismE0ELb0ELb0ES3_PKS7_PS7_S7_ZZZN2at6native31launch_logcumsumexp_cuda_kernelERKNSE_10TensorBaseESI_lENKUlvE_clEvENKUlvE2_clEvEUlS7_S7_E_S7_EEDaPvRmT3_T4_T5_mT6_P12ihipStream_tbENKUlT_T0_E_clISt17integral_constantIbLb0EESZ_EEDaSU_SV_EUlSU_E_NS1_11comp_targetILNS1_3genE4ELNS1_11target_archE910ELNS1_3gpuE8ELNS1_3repE0EEENS1_30default_config_static_selectorELNS0_4arch9wavefront6targetE0EEEvT1_.num_agpr, 0
	.set _ZN7rocprim17ROCPRIM_400000_NS6detail17trampoline_kernelINS0_14default_configENS1_20scan_config_selectorIN3c107complexIfEEEEZZNS1_9scan_implILNS1_25lookback_scan_determinismE0ELb0ELb0ES3_PKS7_PS7_S7_ZZZN2at6native31launch_logcumsumexp_cuda_kernelERKNSE_10TensorBaseESI_lENKUlvE_clEvENKUlvE2_clEvEUlS7_S7_E_S7_EEDaPvRmT3_T4_T5_mT6_P12ihipStream_tbENKUlT_T0_E_clISt17integral_constantIbLb0EESZ_EEDaSU_SV_EUlSU_E_NS1_11comp_targetILNS1_3genE4ELNS1_11target_archE910ELNS1_3gpuE8ELNS1_3repE0EEENS1_30default_config_static_selectorELNS0_4arch9wavefront6targetE0EEEvT1_.numbered_sgpr, 0
	.set _ZN7rocprim17ROCPRIM_400000_NS6detail17trampoline_kernelINS0_14default_configENS1_20scan_config_selectorIN3c107complexIfEEEEZZNS1_9scan_implILNS1_25lookback_scan_determinismE0ELb0ELb0ES3_PKS7_PS7_S7_ZZZN2at6native31launch_logcumsumexp_cuda_kernelERKNSE_10TensorBaseESI_lENKUlvE_clEvENKUlvE2_clEvEUlS7_S7_E_S7_EEDaPvRmT3_T4_T5_mT6_P12ihipStream_tbENKUlT_T0_E_clISt17integral_constantIbLb0EESZ_EEDaSU_SV_EUlSU_E_NS1_11comp_targetILNS1_3genE4ELNS1_11target_archE910ELNS1_3gpuE8ELNS1_3repE0EEENS1_30default_config_static_selectorELNS0_4arch9wavefront6targetE0EEEvT1_.num_named_barrier, 0
	.set _ZN7rocprim17ROCPRIM_400000_NS6detail17trampoline_kernelINS0_14default_configENS1_20scan_config_selectorIN3c107complexIfEEEEZZNS1_9scan_implILNS1_25lookback_scan_determinismE0ELb0ELb0ES3_PKS7_PS7_S7_ZZZN2at6native31launch_logcumsumexp_cuda_kernelERKNSE_10TensorBaseESI_lENKUlvE_clEvENKUlvE2_clEvEUlS7_S7_E_S7_EEDaPvRmT3_T4_T5_mT6_P12ihipStream_tbENKUlT_T0_E_clISt17integral_constantIbLb0EESZ_EEDaSU_SV_EUlSU_E_NS1_11comp_targetILNS1_3genE4ELNS1_11target_archE910ELNS1_3gpuE8ELNS1_3repE0EEENS1_30default_config_static_selectorELNS0_4arch9wavefront6targetE0EEEvT1_.private_seg_size, 0
	.set _ZN7rocprim17ROCPRIM_400000_NS6detail17trampoline_kernelINS0_14default_configENS1_20scan_config_selectorIN3c107complexIfEEEEZZNS1_9scan_implILNS1_25lookback_scan_determinismE0ELb0ELb0ES3_PKS7_PS7_S7_ZZZN2at6native31launch_logcumsumexp_cuda_kernelERKNSE_10TensorBaseESI_lENKUlvE_clEvENKUlvE2_clEvEUlS7_S7_E_S7_EEDaPvRmT3_T4_T5_mT6_P12ihipStream_tbENKUlT_T0_E_clISt17integral_constantIbLb0EESZ_EEDaSU_SV_EUlSU_E_NS1_11comp_targetILNS1_3genE4ELNS1_11target_archE910ELNS1_3gpuE8ELNS1_3repE0EEENS1_30default_config_static_selectorELNS0_4arch9wavefront6targetE0EEEvT1_.uses_vcc, 0
	.set _ZN7rocprim17ROCPRIM_400000_NS6detail17trampoline_kernelINS0_14default_configENS1_20scan_config_selectorIN3c107complexIfEEEEZZNS1_9scan_implILNS1_25lookback_scan_determinismE0ELb0ELb0ES3_PKS7_PS7_S7_ZZZN2at6native31launch_logcumsumexp_cuda_kernelERKNSE_10TensorBaseESI_lENKUlvE_clEvENKUlvE2_clEvEUlS7_S7_E_S7_EEDaPvRmT3_T4_T5_mT6_P12ihipStream_tbENKUlT_T0_E_clISt17integral_constantIbLb0EESZ_EEDaSU_SV_EUlSU_E_NS1_11comp_targetILNS1_3genE4ELNS1_11target_archE910ELNS1_3gpuE8ELNS1_3repE0EEENS1_30default_config_static_selectorELNS0_4arch9wavefront6targetE0EEEvT1_.uses_flat_scratch, 0
	.set _ZN7rocprim17ROCPRIM_400000_NS6detail17trampoline_kernelINS0_14default_configENS1_20scan_config_selectorIN3c107complexIfEEEEZZNS1_9scan_implILNS1_25lookback_scan_determinismE0ELb0ELb0ES3_PKS7_PS7_S7_ZZZN2at6native31launch_logcumsumexp_cuda_kernelERKNSE_10TensorBaseESI_lENKUlvE_clEvENKUlvE2_clEvEUlS7_S7_E_S7_EEDaPvRmT3_T4_T5_mT6_P12ihipStream_tbENKUlT_T0_E_clISt17integral_constantIbLb0EESZ_EEDaSU_SV_EUlSU_E_NS1_11comp_targetILNS1_3genE4ELNS1_11target_archE910ELNS1_3gpuE8ELNS1_3repE0EEENS1_30default_config_static_selectorELNS0_4arch9wavefront6targetE0EEEvT1_.has_dyn_sized_stack, 0
	.set _ZN7rocprim17ROCPRIM_400000_NS6detail17trampoline_kernelINS0_14default_configENS1_20scan_config_selectorIN3c107complexIfEEEEZZNS1_9scan_implILNS1_25lookback_scan_determinismE0ELb0ELb0ES3_PKS7_PS7_S7_ZZZN2at6native31launch_logcumsumexp_cuda_kernelERKNSE_10TensorBaseESI_lENKUlvE_clEvENKUlvE2_clEvEUlS7_S7_E_S7_EEDaPvRmT3_T4_T5_mT6_P12ihipStream_tbENKUlT_T0_E_clISt17integral_constantIbLb0EESZ_EEDaSU_SV_EUlSU_E_NS1_11comp_targetILNS1_3genE4ELNS1_11target_archE910ELNS1_3gpuE8ELNS1_3repE0EEENS1_30default_config_static_selectorELNS0_4arch9wavefront6targetE0EEEvT1_.has_recursion, 0
	.set _ZN7rocprim17ROCPRIM_400000_NS6detail17trampoline_kernelINS0_14default_configENS1_20scan_config_selectorIN3c107complexIfEEEEZZNS1_9scan_implILNS1_25lookback_scan_determinismE0ELb0ELb0ES3_PKS7_PS7_S7_ZZZN2at6native31launch_logcumsumexp_cuda_kernelERKNSE_10TensorBaseESI_lENKUlvE_clEvENKUlvE2_clEvEUlS7_S7_E_S7_EEDaPvRmT3_T4_T5_mT6_P12ihipStream_tbENKUlT_T0_E_clISt17integral_constantIbLb0EESZ_EEDaSU_SV_EUlSU_E_NS1_11comp_targetILNS1_3genE4ELNS1_11target_archE910ELNS1_3gpuE8ELNS1_3repE0EEENS1_30default_config_static_selectorELNS0_4arch9wavefront6targetE0EEEvT1_.has_indirect_call, 0
	.section	.AMDGPU.csdata,"",@progbits
; Kernel info:
; codeLenInByte = 0
; TotalNumSgprs: 0
; NumVgprs: 0
; ScratchSize: 0
; MemoryBound: 0
; FloatMode: 240
; IeeeMode: 1
; LDSByteSize: 0 bytes/workgroup (compile time only)
; SGPRBlocks: 0
; VGPRBlocks: 0
; NumSGPRsForWavesPerEU: 1
; NumVGPRsForWavesPerEU: 1
; Occupancy: 16
; WaveLimiterHint : 0
; COMPUTE_PGM_RSRC2:SCRATCH_EN: 0
; COMPUTE_PGM_RSRC2:USER_SGPR: 2
; COMPUTE_PGM_RSRC2:TRAP_HANDLER: 0
; COMPUTE_PGM_RSRC2:TGID_X_EN: 1
; COMPUTE_PGM_RSRC2:TGID_Y_EN: 0
; COMPUTE_PGM_RSRC2:TGID_Z_EN: 0
; COMPUTE_PGM_RSRC2:TIDIG_COMP_CNT: 0
	.section	.text._ZN7rocprim17ROCPRIM_400000_NS6detail17trampoline_kernelINS0_14default_configENS1_20scan_config_selectorIN3c107complexIfEEEEZZNS1_9scan_implILNS1_25lookback_scan_determinismE0ELb0ELb0ES3_PKS7_PS7_S7_ZZZN2at6native31launch_logcumsumexp_cuda_kernelERKNSE_10TensorBaseESI_lENKUlvE_clEvENKUlvE2_clEvEUlS7_S7_E_S7_EEDaPvRmT3_T4_T5_mT6_P12ihipStream_tbENKUlT_T0_E_clISt17integral_constantIbLb0EESZ_EEDaSU_SV_EUlSU_E_NS1_11comp_targetILNS1_3genE3ELNS1_11target_archE908ELNS1_3gpuE7ELNS1_3repE0EEENS1_30default_config_static_selectorELNS0_4arch9wavefront6targetE0EEEvT1_,"axG",@progbits,_ZN7rocprim17ROCPRIM_400000_NS6detail17trampoline_kernelINS0_14default_configENS1_20scan_config_selectorIN3c107complexIfEEEEZZNS1_9scan_implILNS1_25lookback_scan_determinismE0ELb0ELb0ES3_PKS7_PS7_S7_ZZZN2at6native31launch_logcumsumexp_cuda_kernelERKNSE_10TensorBaseESI_lENKUlvE_clEvENKUlvE2_clEvEUlS7_S7_E_S7_EEDaPvRmT3_T4_T5_mT6_P12ihipStream_tbENKUlT_T0_E_clISt17integral_constantIbLb0EESZ_EEDaSU_SV_EUlSU_E_NS1_11comp_targetILNS1_3genE3ELNS1_11target_archE908ELNS1_3gpuE7ELNS1_3repE0EEENS1_30default_config_static_selectorELNS0_4arch9wavefront6targetE0EEEvT1_,comdat
	.globl	_ZN7rocprim17ROCPRIM_400000_NS6detail17trampoline_kernelINS0_14default_configENS1_20scan_config_selectorIN3c107complexIfEEEEZZNS1_9scan_implILNS1_25lookback_scan_determinismE0ELb0ELb0ES3_PKS7_PS7_S7_ZZZN2at6native31launch_logcumsumexp_cuda_kernelERKNSE_10TensorBaseESI_lENKUlvE_clEvENKUlvE2_clEvEUlS7_S7_E_S7_EEDaPvRmT3_T4_T5_mT6_P12ihipStream_tbENKUlT_T0_E_clISt17integral_constantIbLb0EESZ_EEDaSU_SV_EUlSU_E_NS1_11comp_targetILNS1_3genE3ELNS1_11target_archE908ELNS1_3gpuE7ELNS1_3repE0EEENS1_30default_config_static_selectorELNS0_4arch9wavefront6targetE0EEEvT1_ ; -- Begin function _ZN7rocprim17ROCPRIM_400000_NS6detail17trampoline_kernelINS0_14default_configENS1_20scan_config_selectorIN3c107complexIfEEEEZZNS1_9scan_implILNS1_25lookback_scan_determinismE0ELb0ELb0ES3_PKS7_PS7_S7_ZZZN2at6native31launch_logcumsumexp_cuda_kernelERKNSE_10TensorBaseESI_lENKUlvE_clEvENKUlvE2_clEvEUlS7_S7_E_S7_EEDaPvRmT3_T4_T5_mT6_P12ihipStream_tbENKUlT_T0_E_clISt17integral_constantIbLb0EESZ_EEDaSU_SV_EUlSU_E_NS1_11comp_targetILNS1_3genE3ELNS1_11target_archE908ELNS1_3gpuE7ELNS1_3repE0EEENS1_30default_config_static_selectorELNS0_4arch9wavefront6targetE0EEEvT1_
	.p2align	8
	.type	_ZN7rocprim17ROCPRIM_400000_NS6detail17trampoline_kernelINS0_14default_configENS1_20scan_config_selectorIN3c107complexIfEEEEZZNS1_9scan_implILNS1_25lookback_scan_determinismE0ELb0ELb0ES3_PKS7_PS7_S7_ZZZN2at6native31launch_logcumsumexp_cuda_kernelERKNSE_10TensorBaseESI_lENKUlvE_clEvENKUlvE2_clEvEUlS7_S7_E_S7_EEDaPvRmT3_T4_T5_mT6_P12ihipStream_tbENKUlT_T0_E_clISt17integral_constantIbLb0EESZ_EEDaSU_SV_EUlSU_E_NS1_11comp_targetILNS1_3genE3ELNS1_11target_archE908ELNS1_3gpuE7ELNS1_3repE0EEENS1_30default_config_static_selectorELNS0_4arch9wavefront6targetE0EEEvT1_,@function
_ZN7rocprim17ROCPRIM_400000_NS6detail17trampoline_kernelINS0_14default_configENS1_20scan_config_selectorIN3c107complexIfEEEEZZNS1_9scan_implILNS1_25lookback_scan_determinismE0ELb0ELb0ES3_PKS7_PS7_S7_ZZZN2at6native31launch_logcumsumexp_cuda_kernelERKNSE_10TensorBaseESI_lENKUlvE_clEvENKUlvE2_clEvEUlS7_S7_E_S7_EEDaPvRmT3_T4_T5_mT6_P12ihipStream_tbENKUlT_T0_E_clISt17integral_constantIbLb0EESZ_EEDaSU_SV_EUlSU_E_NS1_11comp_targetILNS1_3genE3ELNS1_11target_archE908ELNS1_3gpuE7ELNS1_3repE0EEENS1_30default_config_static_selectorELNS0_4arch9wavefront6targetE0EEEvT1_: ; @_ZN7rocprim17ROCPRIM_400000_NS6detail17trampoline_kernelINS0_14default_configENS1_20scan_config_selectorIN3c107complexIfEEEEZZNS1_9scan_implILNS1_25lookback_scan_determinismE0ELb0ELb0ES3_PKS7_PS7_S7_ZZZN2at6native31launch_logcumsumexp_cuda_kernelERKNSE_10TensorBaseESI_lENKUlvE_clEvENKUlvE2_clEvEUlS7_S7_E_S7_EEDaPvRmT3_T4_T5_mT6_P12ihipStream_tbENKUlT_T0_E_clISt17integral_constantIbLb0EESZ_EEDaSU_SV_EUlSU_E_NS1_11comp_targetILNS1_3genE3ELNS1_11target_archE908ELNS1_3gpuE7ELNS1_3repE0EEENS1_30default_config_static_selectorELNS0_4arch9wavefront6targetE0EEEvT1_
; %bb.0:
	.section	.rodata,"a",@progbits
	.p2align	6, 0x0
	.amdhsa_kernel _ZN7rocprim17ROCPRIM_400000_NS6detail17trampoline_kernelINS0_14default_configENS1_20scan_config_selectorIN3c107complexIfEEEEZZNS1_9scan_implILNS1_25lookback_scan_determinismE0ELb0ELb0ES3_PKS7_PS7_S7_ZZZN2at6native31launch_logcumsumexp_cuda_kernelERKNSE_10TensorBaseESI_lENKUlvE_clEvENKUlvE2_clEvEUlS7_S7_E_S7_EEDaPvRmT3_T4_T5_mT6_P12ihipStream_tbENKUlT_T0_E_clISt17integral_constantIbLb0EESZ_EEDaSU_SV_EUlSU_E_NS1_11comp_targetILNS1_3genE3ELNS1_11target_archE908ELNS1_3gpuE7ELNS1_3repE0EEENS1_30default_config_static_selectorELNS0_4arch9wavefront6targetE0EEEvT1_
		.amdhsa_group_segment_fixed_size 0
		.amdhsa_private_segment_fixed_size 0
		.amdhsa_kernarg_size 104
		.amdhsa_user_sgpr_count 2
		.amdhsa_user_sgpr_dispatch_ptr 0
		.amdhsa_user_sgpr_queue_ptr 0
		.amdhsa_user_sgpr_kernarg_segment_ptr 1
		.amdhsa_user_sgpr_dispatch_id 0
		.amdhsa_user_sgpr_private_segment_size 0
		.amdhsa_wavefront_size32 1
		.amdhsa_uses_dynamic_stack 0
		.amdhsa_enable_private_segment 0
		.amdhsa_system_sgpr_workgroup_id_x 1
		.amdhsa_system_sgpr_workgroup_id_y 0
		.amdhsa_system_sgpr_workgroup_id_z 0
		.amdhsa_system_sgpr_workgroup_info 0
		.amdhsa_system_vgpr_workitem_id 0
		.amdhsa_next_free_vgpr 1
		.amdhsa_next_free_sgpr 1
		.amdhsa_reserve_vcc 0
		.amdhsa_float_round_mode_32 0
		.amdhsa_float_round_mode_16_64 0
		.amdhsa_float_denorm_mode_32 3
		.amdhsa_float_denorm_mode_16_64 3
		.amdhsa_fp16_overflow 0
		.amdhsa_workgroup_processor_mode 1
		.amdhsa_memory_ordered 1
		.amdhsa_forward_progress 1
		.amdhsa_inst_pref_size 0
		.amdhsa_round_robin_scheduling 0
		.amdhsa_exception_fp_ieee_invalid_op 0
		.amdhsa_exception_fp_denorm_src 0
		.amdhsa_exception_fp_ieee_div_zero 0
		.amdhsa_exception_fp_ieee_overflow 0
		.amdhsa_exception_fp_ieee_underflow 0
		.amdhsa_exception_fp_ieee_inexact 0
		.amdhsa_exception_int_div_zero 0
	.end_amdhsa_kernel
	.section	.text._ZN7rocprim17ROCPRIM_400000_NS6detail17trampoline_kernelINS0_14default_configENS1_20scan_config_selectorIN3c107complexIfEEEEZZNS1_9scan_implILNS1_25lookback_scan_determinismE0ELb0ELb0ES3_PKS7_PS7_S7_ZZZN2at6native31launch_logcumsumexp_cuda_kernelERKNSE_10TensorBaseESI_lENKUlvE_clEvENKUlvE2_clEvEUlS7_S7_E_S7_EEDaPvRmT3_T4_T5_mT6_P12ihipStream_tbENKUlT_T0_E_clISt17integral_constantIbLb0EESZ_EEDaSU_SV_EUlSU_E_NS1_11comp_targetILNS1_3genE3ELNS1_11target_archE908ELNS1_3gpuE7ELNS1_3repE0EEENS1_30default_config_static_selectorELNS0_4arch9wavefront6targetE0EEEvT1_,"axG",@progbits,_ZN7rocprim17ROCPRIM_400000_NS6detail17trampoline_kernelINS0_14default_configENS1_20scan_config_selectorIN3c107complexIfEEEEZZNS1_9scan_implILNS1_25lookback_scan_determinismE0ELb0ELb0ES3_PKS7_PS7_S7_ZZZN2at6native31launch_logcumsumexp_cuda_kernelERKNSE_10TensorBaseESI_lENKUlvE_clEvENKUlvE2_clEvEUlS7_S7_E_S7_EEDaPvRmT3_T4_T5_mT6_P12ihipStream_tbENKUlT_T0_E_clISt17integral_constantIbLb0EESZ_EEDaSU_SV_EUlSU_E_NS1_11comp_targetILNS1_3genE3ELNS1_11target_archE908ELNS1_3gpuE7ELNS1_3repE0EEENS1_30default_config_static_selectorELNS0_4arch9wavefront6targetE0EEEvT1_,comdat
.Lfunc_end266:
	.size	_ZN7rocprim17ROCPRIM_400000_NS6detail17trampoline_kernelINS0_14default_configENS1_20scan_config_selectorIN3c107complexIfEEEEZZNS1_9scan_implILNS1_25lookback_scan_determinismE0ELb0ELb0ES3_PKS7_PS7_S7_ZZZN2at6native31launch_logcumsumexp_cuda_kernelERKNSE_10TensorBaseESI_lENKUlvE_clEvENKUlvE2_clEvEUlS7_S7_E_S7_EEDaPvRmT3_T4_T5_mT6_P12ihipStream_tbENKUlT_T0_E_clISt17integral_constantIbLb0EESZ_EEDaSU_SV_EUlSU_E_NS1_11comp_targetILNS1_3genE3ELNS1_11target_archE908ELNS1_3gpuE7ELNS1_3repE0EEENS1_30default_config_static_selectorELNS0_4arch9wavefront6targetE0EEEvT1_, .Lfunc_end266-_ZN7rocprim17ROCPRIM_400000_NS6detail17trampoline_kernelINS0_14default_configENS1_20scan_config_selectorIN3c107complexIfEEEEZZNS1_9scan_implILNS1_25lookback_scan_determinismE0ELb0ELb0ES3_PKS7_PS7_S7_ZZZN2at6native31launch_logcumsumexp_cuda_kernelERKNSE_10TensorBaseESI_lENKUlvE_clEvENKUlvE2_clEvEUlS7_S7_E_S7_EEDaPvRmT3_T4_T5_mT6_P12ihipStream_tbENKUlT_T0_E_clISt17integral_constantIbLb0EESZ_EEDaSU_SV_EUlSU_E_NS1_11comp_targetILNS1_3genE3ELNS1_11target_archE908ELNS1_3gpuE7ELNS1_3repE0EEENS1_30default_config_static_selectorELNS0_4arch9wavefront6targetE0EEEvT1_
                                        ; -- End function
	.set _ZN7rocprim17ROCPRIM_400000_NS6detail17trampoline_kernelINS0_14default_configENS1_20scan_config_selectorIN3c107complexIfEEEEZZNS1_9scan_implILNS1_25lookback_scan_determinismE0ELb0ELb0ES3_PKS7_PS7_S7_ZZZN2at6native31launch_logcumsumexp_cuda_kernelERKNSE_10TensorBaseESI_lENKUlvE_clEvENKUlvE2_clEvEUlS7_S7_E_S7_EEDaPvRmT3_T4_T5_mT6_P12ihipStream_tbENKUlT_T0_E_clISt17integral_constantIbLb0EESZ_EEDaSU_SV_EUlSU_E_NS1_11comp_targetILNS1_3genE3ELNS1_11target_archE908ELNS1_3gpuE7ELNS1_3repE0EEENS1_30default_config_static_selectorELNS0_4arch9wavefront6targetE0EEEvT1_.num_vgpr, 0
	.set _ZN7rocprim17ROCPRIM_400000_NS6detail17trampoline_kernelINS0_14default_configENS1_20scan_config_selectorIN3c107complexIfEEEEZZNS1_9scan_implILNS1_25lookback_scan_determinismE0ELb0ELb0ES3_PKS7_PS7_S7_ZZZN2at6native31launch_logcumsumexp_cuda_kernelERKNSE_10TensorBaseESI_lENKUlvE_clEvENKUlvE2_clEvEUlS7_S7_E_S7_EEDaPvRmT3_T4_T5_mT6_P12ihipStream_tbENKUlT_T0_E_clISt17integral_constantIbLb0EESZ_EEDaSU_SV_EUlSU_E_NS1_11comp_targetILNS1_3genE3ELNS1_11target_archE908ELNS1_3gpuE7ELNS1_3repE0EEENS1_30default_config_static_selectorELNS0_4arch9wavefront6targetE0EEEvT1_.num_agpr, 0
	.set _ZN7rocprim17ROCPRIM_400000_NS6detail17trampoline_kernelINS0_14default_configENS1_20scan_config_selectorIN3c107complexIfEEEEZZNS1_9scan_implILNS1_25lookback_scan_determinismE0ELb0ELb0ES3_PKS7_PS7_S7_ZZZN2at6native31launch_logcumsumexp_cuda_kernelERKNSE_10TensorBaseESI_lENKUlvE_clEvENKUlvE2_clEvEUlS7_S7_E_S7_EEDaPvRmT3_T4_T5_mT6_P12ihipStream_tbENKUlT_T0_E_clISt17integral_constantIbLb0EESZ_EEDaSU_SV_EUlSU_E_NS1_11comp_targetILNS1_3genE3ELNS1_11target_archE908ELNS1_3gpuE7ELNS1_3repE0EEENS1_30default_config_static_selectorELNS0_4arch9wavefront6targetE0EEEvT1_.numbered_sgpr, 0
	.set _ZN7rocprim17ROCPRIM_400000_NS6detail17trampoline_kernelINS0_14default_configENS1_20scan_config_selectorIN3c107complexIfEEEEZZNS1_9scan_implILNS1_25lookback_scan_determinismE0ELb0ELb0ES3_PKS7_PS7_S7_ZZZN2at6native31launch_logcumsumexp_cuda_kernelERKNSE_10TensorBaseESI_lENKUlvE_clEvENKUlvE2_clEvEUlS7_S7_E_S7_EEDaPvRmT3_T4_T5_mT6_P12ihipStream_tbENKUlT_T0_E_clISt17integral_constantIbLb0EESZ_EEDaSU_SV_EUlSU_E_NS1_11comp_targetILNS1_3genE3ELNS1_11target_archE908ELNS1_3gpuE7ELNS1_3repE0EEENS1_30default_config_static_selectorELNS0_4arch9wavefront6targetE0EEEvT1_.num_named_barrier, 0
	.set _ZN7rocprim17ROCPRIM_400000_NS6detail17trampoline_kernelINS0_14default_configENS1_20scan_config_selectorIN3c107complexIfEEEEZZNS1_9scan_implILNS1_25lookback_scan_determinismE0ELb0ELb0ES3_PKS7_PS7_S7_ZZZN2at6native31launch_logcumsumexp_cuda_kernelERKNSE_10TensorBaseESI_lENKUlvE_clEvENKUlvE2_clEvEUlS7_S7_E_S7_EEDaPvRmT3_T4_T5_mT6_P12ihipStream_tbENKUlT_T0_E_clISt17integral_constantIbLb0EESZ_EEDaSU_SV_EUlSU_E_NS1_11comp_targetILNS1_3genE3ELNS1_11target_archE908ELNS1_3gpuE7ELNS1_3repE0EEENS1_30default_config_static_selectorELNS0_4arch9wavefront6targetE0EEEvT1_.private_seg_size, 0
	.set _ZN7rocprim17ROCPRIM_400000_NS6detail17trampoline_kernelINS0_14default_configENS1_20scan_config_selectorIN3c107complexIfEEEEZZNS1_9scan_implILNS1_25lookback_scan_determinismE0ELb0ELb0ES3_PKS7_PS7_S7_ZZZN2at6native31launch_logcumsumexp_cuda_kernelERKNSE_10TensorBaseESI_lENKUlvE_clEvENKUlvE2_clEvEUlS7_S7_E_S7_EEDaPvRmT3_T4_T5_mT6_P12ihipStream_tbENKUlT_T0_E_clISt17integral_constantIbLb0EESZ_EEDaSU_SV_EUlSU_E_NS1_11comp_targetILNS1_3genE3ELNS1_11target_archE908ELNS1_3gpuE7ELNS1_3repE0EEENS1_30default_config_static_selectorELNS0_4arch9wavefront6targetE0EEEvT1_.uses_vcc, 0
	.set _ZN7rocprim17ROCPRIM_400000_NS6detail17trampoline_kernelINS0_14default_configENS1_20scan_config_selectorIN3c107complexIfEEEEZZNS1_9scan_implILNS1_25lookback_scan_determinismE0ELb0ELb0ES3_PKS7_PS7_S7_ZZZN2at6native31launch_logcumsumexp_cuda_kernelERKNSE_10TensorBaseESI_lENKUlvE_clEvENKUlvE2_clEvEUlS7_S7_E_S7_EEDaPvRmT3_T4_T5_mT6_P12ihipStream_tbENKUlT_T0_E_clISt17integral_constantIbLb0EESZ_EEDaSU_SV_EUlSU_E_NS1_11comp_targetILNS1_3genE3ELNS1_11target_archE908ELNS1_3gpuE7ELNS1_3repE0EEENS1_30default_config_static_selectorELNS0_4arch9wavefront6targetE0EEEvT1_.uses_flat_scratch, 0
	.set _ZN7rocprim17ROCPRIM_400000_NS6detail17trampoline_kernelINS0_14default_configENS1_20scan_config_selectorIN3c107complexIfEEEEZZNS1_9scan_implILNS1_25lookback_scan_determinismE0ELb0ELb0ES3_PKS7_PS7_S7_ZZZN2at6native31launch_logcumsumexp_cuda_kernelERKNSE_10TensorBaseESI_lENKUlvE_clEvENKUlvE2_clEvEUlS7_S7_E_S7_EEDaPvRmT3_T4_T5_mT6_P12ihipStream_tbENKUlT_T0_E_clISt17integral_constantIbLb0EESZ_EEDaSU_SV_EUlSU_E_NS1_11comp_targetILNS1_3genE3ELNS1_11target_archE908ELNS1_3gpuE7ELNS1_3repE0EEENS1_30default_config_static_selectorELNS0_4arch9wavefront6targetE0EEEvT1_.has_dyn_sized_stack, 0
	.set _ZN7rocprim17ROCPRIM_400000_NS6detail17trampoline_kernelINS0_14default_configENS1_20scan_config_selectorIN3c107complexIfEEEEZZNS1_9scan_implILNS1_25lookback_scan_determinismE0ELb0ELb0ES3_PKS7_PS7_S7_ZZZN2at6native31launch_logcumsumexp_cuda_kernelERKNSE_10TensorBaseESI_lENKUlvE_clEvENKUlvE2_clEvEUlS7_S7_E_S7_EEDaPvRmT3_T4_T5_mT6_P12ihipStream_tbENKUlT_T0_E_clISt17integral_constantIbLb0EESZ_EEDaSU_SV_EUlSU_E_NS1_11comp_targetILNS1_3genE3ELNS1_11target_archE908ELNS1_3gpuE7ELNS1_3repE0EEENS1_30default_config_static_selectorELNS0_4arch9wavefront6targetE0EEEvT1_.has_recursion, 0
	.set _ZN7rocprim17ROCPRIM_400000_NS6detail17trampoline_kernelINS0_14default_configENS1_20scan_config_selectorIN3c107complexIfEEEEZZNS1_9scan_implILNS1_25lookback_scan_determinismE0ELb0ELb0ES3_PKS7_PS7_S7_ZZZN2at6native31launch_logcumsumexp_cuda_kernelERKNSE_10TensorBaseESI_lENKUlvE_clEvENKUlvE2_clEvEUlS7_S7_E_S7_EEDaPvRmT3_T4_T5_mT6_P12ihipStream_tbENKUlT_T0_E_clISt17integral_constantIbLb0EESZ_EEDaSU_SV_EUlSU_E_NS1_11comp_targetILNS1_3genE3ELNS1_11target_archE908ELNS1_3gpuE7ELNS1_3repE0EEENS1_30default_config_static_selectorELNS0_4arch9wavefront6targetE0EEEvT1_.has_indirect_call, 0
	.section	.AMDGPU.csdata,"",@progbits
; Kernel info:
; codeLenInByte = 0
; TotalNumSgprs: 0
; NumVgprs: 0
; ScratchSize: 0
; MemoryBound: 0
; FloatMode: 240
; IeeeMode: 1
; LDSByteSize: 0 bytes/workgroup (compile time only)
; SGPRBlocks: 0
; VGPRBlocks: 0
; NumSGPRsForWavesPerEU: 1
; NumVGPRsForWavesPerEU: 1
; Occupancy: 16
; WaveLimiterHint : 0
; COMPUTE_PGM_RSRC2:SCRATCH_EN: 0
; COMPUTE_PGM_RSRC2:USER_SGPR: 2
; COMPUTE_PGM_RSRC2:TRAP_HANDLER: 0
; COMPUTE_PGM_RSRC2:TGID_X_EN: 1
; COMPUTE_PGM_RSRC2:TGID_Y_EN: 0
; COMPUTE_PGM_RSRC2:TGID_Z_EN: 0
; COMPUTE_PGM_RSRC2:TIDIG_COMP_CNT: 0
	.section	.text._ZN7rocprim17ROCPRIM_400000_NS6detail17trampoline_kernelINS0_14default_configENS1_20scan_config_selectorIN3c107complexIfEEEEZZNS1_9scan_implILNS1_25lookback_scan_determinismE0ELb0ELb0ES3_PKS7_PS7_S7_ZZZN2at6native31launch_logcumsumexp_cuda_kernelERKNSE_10TensorBaseESI_lENKUlvE_clEvENKUlvE2_clEvEUlS7_S7_E_S7_EEDaPvRmT3_T4_T5_mT6_P12ihipStream_tbENKUlT_T0_E_clISt17integral_constantIbLb0EESZ_EEDaSU_SV_EUlSU_E_NS1_11comp_targetILNS1_3genE2ELNS1_11target_archE906ELNS1_3gpuE6ELNS1_3repE0EEENS1_30default_config_static_selectorELNS0_4arch9wavefront6targetE0EEEvT1_,"axG",@progbits,_ZN7rocprim17ROCPRIM_400000_NS6detail17trampoline_kernelINS0_14default_configENS1_20scan_config_selectorIN3c107complexIfEEEEZZNS1_9scan_implILNS1_25lookback_scan_determinismE0ELb0ELb0ES3_PKS7_PS7_S7_ZZZN2at6native31launch_logcumsumexp_cuda_kernelERKNSE_10TensorBaseESI_lENKUlvE_clEvENKUlvE2_clEvEUlS7_S7_E_S7_EEDaPvRmT3_T4_T5_mT6_P12ihipStream_tbENKUlT_T0_E_clISt17integral_constantIbLb0EESZ_EEDaSU_SV_EUlSU_E_NS1_11comp_targetILNS1_3genE2ELNS1_11target_archE906ELNS1_3gpuE6ELNS1_3repE0EEENS1_30default_config_static_selectorELNS0_4arch9wavefront6targetE0EEEvT1_,comdat
	.globl	_ZN7rocprim17ROCPRIM_400000_NS6detail17trampoline_kernelINS0_14default_configENS1_20scan_config_selectorIN3c107complexIfEEEEZZNS1_9scan_implILNS1_25lookback_scan_determinismE0ELb0ELb0ES3_PKS7_PS7_S7_ZZZN2at6native31launch_logcumsumexp_cuda_kernelERKNSE_10TensorBaseESI_lENKUlvE_clEvENKUlvE2_clEvEUlS7_S7_E_S7_EEDaPvRmT3_T4_T5_mT6_P12ihipStream_tbENKUlT_T0_E_clISt17integral_constantIbLb0EESZ_EEDaSU_SV_EUlSU_E_NS1_11comp_targetILNS1_3genE2ELNS1_11target_archE906ELNS1_3gpuE6ELNS1_3repE0EEENS1_30default_config_static_selectorELNS0_4arch9wavefront6targetE0EEEvT1_ ; -- Begin function _ZN7rocprim17ROCPRIM_400000_NS6detail17trampoline_kernelINS0_14default_configENS1_20scan_config_selectorIN3c107complexIfEEEEZZNS1_9scan_implILNS1_25lookback_scan_determinismE0ELb0ELb0ES3_PKS7_PS7_S7_ZZZN2at6native31launch_logcumsumexp_cuda_kernelERKNSE_10TensorBaseESI_lENKUlvE_clEvENKUlvE2_clEvEUlS7_S7_E_S7_EEDaPvRmT3_T4_T5_mT6_P12ihipStream_tbENKUlT_T0_E_clISt17integral_constantIbLb0EESZ_EEDaSU_SV_EUlSU_E_NS1_11comp_targetILNS1_3genE2ELNS1_11target_archE906ELNS1_3gpuE6ELNS1_3repE0EEENS1_30default_config_static_selectorELNS0_4arch9wavefront6targetE0EEEvT1_
	.p2align	8
	.type	_ZN7rocprim17ROCPRIM_400000_NS6detail17trampoline_kernelINS0_14default_configENS1_20scan_config_selectorIN3c107complexIfEEEEZZNS1_9scan_implILNS1_25lookback_scan_determinismE0ELb0ELb0ES3_PKS7_PS7_S7_ZZZN2at6native31launch_logcumsumexp_cuda_kernelERKNSE_10TensorBaseESI_lENKUlvE_clEvENKUlvE2_clEvEUlS7_S7_E_S7_EEDaPvRmT3_T4_T5_mT6_P12ihipStream_tbENKUlT_T0_E_clISt17integral_constantIbLb0EESZ_EEDaSU_SV_EUlSU_E_NS1_11comp_targetILNS1_3genE2ELNS1_11target_archE906ELNS1_3gpuE6ELNS1_3repE0EEENS1_30default_config_static_selectorELNS0_4arch9wavefront6targetE0EEEvT1_,@function
_ZN7rocprim17ROCPRIM_400000_NS6detail17trampoline_kernelINS0_14default_configENS1_20scan_config_selectorIN3c107complexIfEEEEZZNS1_9scan_implILNS1_25lookback_scan_determinismE0ELb0ELb0ES3_PKS7_PS7_S7_ZZZN2at6native31launch_logcumsumexp_cuda_kernelERKNSE_10TensorBaseESI_lENKUlvE_clEvENKUlvE2_clEvEUlS7_S7_E_S7_EEDaPvRmT3_T4_T5_mT6_P12ihipStream_tbENKUlT_T0_E_clISt17integral_constantIbLb0EESZ_EEDaSU_SV_EUlSU_E_NS1_11comp_targetILNS1_3genE2ELNS1_11target_archE906ELNS1_3gpuE6ELNS1_3repE0EEENS1_30default_config_static_selectorELNS0_4arch9wavefront6targetE0EEEvT1_: ; @_ZN7rocprim17ROCPRIM_400000_NS6detail17trampoline_kernelINS0_14default_configENS1_20scan_config_selectorIN3c107complexIfEEEEZZNS1_9scan_implILNS1_25lookback_scan_determinismE0ELb0ELb0ES3_PKS7_PS7_S7_ZZZN2at6native31launch_logcumsumexp_cuda_kernelERKNSE_10TensorBaseESI_lENKUlvE_clEvENKUlvE2_clEvEUlS7_S7_E_S7_EEDaPvRmT3_T4_T5_mT6_P12ihipStream_tbENKUlT_T0_E_clISt17integral_constantIbLb0EESZ_EEDaSU_SV_EUlSU_E_NS1_11comp_targetILNS1_3genE2ELNS1_11target_archE906ELNS1_3gpuE6ELNS1_3repE0EEENS1_30default_config_static_selectorELNS0_4arch9wavefront6targetE0EEEvT1_
; %bb.0:
	.section	.rodata,"a",@progbits
	.p2align	6, 0x0
	.amdhsa_kernel _ZN7rocprim17ROCPRIM_400000_NS6detail17trampoline_kernelINS0_14default_configENS1_20scan_config_selectorIN3c107complexIfEEEEZZNS1_9scan_implILNS1_25lookback_scan_determinismE0ELb0ELb0ES3_PKS7_PS7_S7_ZZZN2at6native31launch_logcumsumexp_cuda_kernelERKNSE_10TensorBaseESI_lENKUlvE_clEvENKUlvE2_clEvEUlS7_S7_E_S7_EEDaPvRmT3_T4_T5_mT6_P12ihipStream_tbENKUlT_T0_E_clISt17integral_constantIbLb0EESZ_EEDaSU_SV_EUlSU_E_NS1_11comp_targetILNS1_3genE2ELNS1_11target_archE906ELNS1_3gpuE6ELNS1_3repE0EEENS1_30default_config_static_selectorELNS0_4arch9wavefront6targetE0EEEvT1_
		.amdhsa_group_segment_fixed_size 0
		.amdhsa_private_segment_fixed_size 0
		.amdhsa_kernarg_size 104
		.amdhsa_user_sgpr_count 2
		.amdhsa_user_sgpr_dispatch_ptr 0
		.amdhsa_user_sgpr_queue_ptr 0
		.amdhsa_user_sgpr_kernarg_segment_ptr 1
		.amdhsa_user_sgpr_dispatch_id 0
		.amdhsa_user_sgpr_private_segment_size 0
		.amdhsa_wavefront_size32 1
		.amdhsa_uses_dynamic_stack 0
		.amdhsa_enable_private_segment 0
		.amdhsa_system_sgpr_workgroup_id_x 1
		.amdhsa_system_sgpr_workgroup_id_y 0
		.amdhsa_system_sgpr_workgroup_id_z 0
		.amdhsa_system_sgpr_workgroup_info 0
		.amdhsa_system_vgpr_workitem_id 0
		.amdhsa_next_free_vgpr 1
		.amdhsa_next_free_sgpr 1
		.amdhsa_reserve_vcc 0
		.amdhsa_float_round_mode_32 0
		.amdhsa_float_round_mode_16_64 0
		.amdhsa_float_denorm_mode_32 3
		.amdhsa_float_denorm_mode_16_64 3
		.amdhsa_fp16_overflow 0
		.amdhsa_workgroup_processor_mode 1
		.amdhsa_memory_ordered 1
		.amdhsa_forward_progress 1
		.amdhsa_inst_pref_size 0
		.amdhsa_round_robin_scheduling 0
		.amdhsa_exception_fp_ieee_invalid_op 0
		.amdhsa_exception_fp_denorm_src 0
		.amdhsa_exception_fp_ieee_div_zero 0
		.amdhsa_exception_fp_ieee_overflow 0
		.amdhsa_exception_fp_ieee_underflow 0
		.amdhsa_exception_fp_ieee_inexact 0
		.amdhsa_exception_int_div_zero 0
	.end_amdhsa_kernel
	.section	.text._ZN7rocprim17ROCPRIM_400000_NS6detail17trampoline_kernelINS0_14default_configENS1_20scan_config_selectorIN3c107complexIfEEEEZZNS1_9scan_implILNS1_25lookback_scan_determinismE0ELb0ELb0ES3_PKS7_PS7_S7_ZZZN2at6native31launch_logcumsumexp_cuda_kernelERKNSE_10TensorBaseESI_lENKUlvE_clEvENKUlvE2_clEvEUlS7_S7_E_S7_EEDaPvRmT3_T4_T5_mT6_P12ihipStream_tbENKUlT_T0_E_clISt17integral_constantIbLb0EESZ_EEDaSU_SV_EUlSU_E_NS1_11comp_targetILNS1_3genE2ELNS1_11target_archE906ELNS1_3gpuE6ELNS1_3repE0EEENS1_30default_config_static_selectorELNS0_4arch9wavefront6targetE0EEEvT1_,"axG",@progbits,_ZN7rocprim17ROCPRIM_400000_NS6detail17trampoline_kernelINS0_14default_configENS1_20scan_config_selectorIN3c107complexIfEEEEZZNS1_9scan_implILNS1_25lookback_scan_determinismE0ELb0ELb0ES3_PKS7_PS7_S7_ZZZN2at6native31launch_logcumsumexp_cuda_kernelERKNSE_10TensorBaseESI_lENKUlvE_clEvENKUlvE2_clEvEUlS7_S7_E_S7_EEDaPvRmT3_T4_T5_mT6_P12ihipStream_tbENKUlT_T0_E_clISt17integral_constantIbLb0EESZ_EEDaSU_SV_EUlSU_E_NS1_11comp_targetILNS1_3genE2ELNS1_11target_archE906ELNS1_3gpuE6ELNS1_3repE0EEENS1_30default_config_static_selectorELNS0_4arch9wavefront6targetE0EEEvT1_,comdat
.Lfunc_end267:
	.size	_ZN7rocprim17ROCPRIM_400000_NS6detail17trampoline_kernelINS0_14default_configENS1_20scan_config_selectorIN3c107complexIfEEEEZZNS1_9scan_implILNS1_25lookback_scan_determinismE0ELb0ELb0ES3_PKS7_PS7_S7_ZZZN2at6native31launch_logcumsumexp_cuda_kernelERKNSE_10TensorBaseESI_lENKUlvE_clEvENKUlvE2_clEvEUlS7_S7_E_S7_EEDaPvRmT3_T4_T5_mT6_P12ihipStream_tbENKUlT_T0_E_clISt17integral_constantIbLb0EESZ_EEDaSU_SV_EUlSU_E_NS1_11comp_targetILNS1_3genE2ELNS1_11target_archE906ELNS1_3gpuE6ELNS1_3repE0EEENS1_30default_config_static_selectorELNS0_4arch9wavefront6targetE0EEEvT1_, .Lfunc_end267-_ZN7rocprim17ROCPRIM_400000_NS6detail17trampoline_kernelINS0_14default_configENS1_20scan_config_selectorIN3c107complexIfEEEEZZNS1_9scan_implILNS1_25lookback_scan_determinismE0ELb0ELb0ES3_PKS7_PS7_S7_ZZZN2at6native31launch_logcumsumexp_cuda_kernelERKNSE_10TensorBaseESI_lENKUlvE_clEvENKUlvE2_clEvEUlS7_S7_E_S7_EEDaPvRmT3_T4_T5_mT6_P12ihipStream_tbENKUlT_T0_E_clISt17integral_constantIbLb0EESZ_EEDaSU_SV_EUlSU_E_NS1_11comp_targetILNS1_3genE2ELNS1_11target_archE906ELNS1_3gpuE6ELNS1_3repE0EEENS1_30default_config_static_selectorELNS0_4arch9wavefront6targetE0EEEvT1_
                                        ; -- End function
	.set _ZN7rocprim17ROCPRIM_400000_NS6detail17trampoline_kernelINS0_14default_configENS1_20scan_config_selectorIN3c107complexIfEEEEZZNS1_9scan_implILNS1_25lookback_scan_determinismE0ELb0ELb0ES3_PKS7_PS7_S7_ZZZN2at6native31launch_logcumsumexp_cuda_kernelERKNSE_10TensorBaseESI_lENKUlvE_clEvENKUlvE2_clEvEUlS7_S7_E_S7_EEDaPvRmT3_T4_T5_mT6_P12ihipStream_tbENKUlT_T0_E_clISt17integral_constantIbLb0EESZ_EEDaSU_SV_EUlSU_E_NS1_11comp_targetILNS1_3genE2ELNS1_11target_archE906ELNS1_3gpuE6ELNS1_3repE0EEENS1_30default_config_static_selectorELNS0_4arch9wavefront6targetE0EEEvT1_.num_vgpr, 0
	.set _ZN7rocprim17ROCPRIM_400000_NS6detail17trampoline_kernelINS0_14default_configENS1_20scan_config_selectorIN3c107complexIfEEEEZZNS1_9scan_implILNS1_25lookback_scan_determinismE0ELb0ELb0ES3_PKS7_PS7_S7_ZZZN2at6native31launch_logcumsumexp_cuda_kernelERKNSE_10TensorBaseESI_lENKUlvE_clEvENKUlvE2_clEvEUlS7_S7_E_S7_EEDaPvRmT3_T4_T5_mT6_P12ihipStream_tbENKUlT_T0_E_clISt17integral_constantIbLb0EESZ_EEDaSU_SV_EUlSU_E_NS1_11comp_targetILNS1_3genE2ELNS1_11target_archE906ELNS1_3gpuE6ELNS1_3repE0EEENS1_30default_config_static_selectorELNS0_4arch9wavefront6targetE0EEEvT1_.num_agpr, 0
	.set _ZN7rocprim17ROCPRIM_400000_NS6detail17trampoline_kernelINS0_14default_configENS1_20scan_config_selectorIN3c107complexIfEEEEZZNS1_9scan_implILNS1_25lookback_scan_determinismE0ELb0ELb0ES3_PKS7_PS7_S7_ZZZN2at6native31launch_logcumsumexp_cuda_kernelERKNSE_10TensorBaseESI_lENKUlvE_clEvENKUlvE2_clEvEUlS7_S7_E_S7_EEDaPvRmT3_T4_T5_mT6_P12ihipStream_tbENKUlT_T0_E_clISt17integral_constantIbLb0EESZ_EEDaSU_SV_EUlSU_E_NS1_11comp_targetILNS1_3genE2ELNS1_11target_archE906ELNS1_3gpuE6ELNS1_3repE0EEENS1_30default_config_static_selectorELNS0_4arch9wavefront6targetE0EEEvT1_.numbered_sgpr, 0
	.set _ZN7rocprim17ROCPRIM_400000_NS6detail17trampoline_kernelINS0_14default_configENS1_20scan_config_selectorIN3c107complexIfEEEEZZNS1_9scan_implILNS1_25lookback_scan_determinismE0ELb0ELb0ES3_PKS7_PS7_S7_ZZZN2at6native31launch_logcumsumexp_cuda_kernelERKNSE_10TensorBaseESI_lENKUlvE_clEvENKUlvE2_clEvEUlS7_S7_E_S7_EEDaPvRmT3_T4_T5_mT6_P12ihipStream_tbENKUlT_T0_E_clISt17integral_constantIbLb0EESZ_EEDaSU_SV_EUlSU_E_NS1_11comp_targetILNS1_3genE2ELNS1_11target_archE906ELNS1_3gpuE6ELNS1_3repE0EEENS1_30default_config_static_selectorELNS0_4arch9wavefront6targetE0EEEvT1_.num_named_barrier, 0
	.set _ZN7rocprim17ROCPRIM_400000_NS6detail17trampoline_kernelINS0_14default_configENS1_20scan_config_selectorIN3c107complexIfEEEEZZNS1_9scan_implILNS1_25lookback_scan_determinismE0ELb0ELb0ES3_PKS7_PS7_S7_ZZZN2at6native31launch_logcumsumexp_cuda_kernelERKNSE_10TensorBaseESI_lENKUlvE_clEvENKUlvE2_clEvEUlS7_S7_E_S7_EEDaPvRmT3_T4_T5_mT6_P12ihipStream_tbENKUlT_T0_E_clISt17integral_constantIbLb0EESZ_EEDaSU_SV_EUlSU_E_NS1_11comp_targetILNS1_3genE2ELNS1_11target_archE906ELNS1_3gpuE6ELNS1_3repE0EEENS1_30default_config_static_selectorELNS0_4arch9wavefront6targetE0EEEvT1_.private_seg_size, 0
	.set _ZN7rocprim17ROCPRIM_400000_NS6detail17trampoline_kernelINS0_14default_configENS1_20scan_config_selectorIN3c107complexIfEEEEZZNS1_9scan_implILNS1_25lookback_scan_determinismE0ELb0ELb0ES3_PKS7_PS7_S7_ZZZN2at6native31launch_logcumsumexp_cuda_kernelERKNSE_10TensorBaseESI_lENKUlvE_clEvENKUlvE2_clEvEUlS7_S7_E_S7_EEDaPvRmT3_T4_T5_mT6_P12ihipStream_tbENKUlT_T0_E_clISt17integral_constantIbLb0EESZ_EEDaSU_SV_EUlSU_E_NS1_11comp_targetILNS1_3genE2ELNS1_11target_archE906ELNS1_3gpuE6ELNS1_3repE0EEENS1_30default_config_static_selectorELNS0_4arch9wavefront6targetE0EEEvT1_.uses_vcc, 0
	.set _ZN7rocprim17ROCPRIM_400000_NS6detail17trampoline_kernelINS0_14default_configENS1_20scan_config_selectorIN3c107complexIfEEEEZZNS1_9scan_implILNS1_25lookback_scan_determinismE0ELb0ELb0ES3_PKS7_PS7_S7_ZZZN2at6native31launch_logcumsumexp_cuda_kernelERKNSE_10TensorBaseESI_lENKUlvE_clEvENKUlvE2_clEvEUlS7_S7_E_S7_EEDaPvRmT3_T4_T5_mT6_P12ihipStream_tbENKUlT_T0_E_clISt17integral_constantIbLb0EESZ_EEDaSU_SV_EUlSU_E_NS1_11comp_targetILNS1_3genE2ELNS1_11target_archE906ELNS1_3gpuE6ELNS1_3repE0EEENS1_30default_config_static_selectorELNS0_4arch9wavefront6targetE0EEEvT1_.uses_flat_scratch, 0
	.set _ZN7rocprim17ROCPRIM_400000_NS6detail17trampoline_kernelINS0_14default_configENS1_20scan_config_selectorIN3c107complexIfEEEEZZNS1_9scan_implILNS1_25lookback_scan_determinismE0ELb0ELb0ES3_PKS7_PS7_S7_ZZZN2at6native31launch_logcumsumexp_cuda_kernelERKNSE_10TensorBaseESI_lENKUlvE_clEvENKUlvE2_clEvEUlS7_S7_E_S7_EEDaPvRmT3_T4_T5_mT6_P12ihipStream_tbENKUlT_T0_E_clISt17integral_constantIbLb0EESZ_EEDaSU_SV_EUlSU_E_NS1_11comp_targetILNS1_3genE2ELNS1_11target_archE906ELNS1_3gpuE6ELNS1_3repE0EEENS1_30default_config_static_selectorELNS0_4arch9wavefront6targetE0EEEvT1_.has_dyn_sized_stack, 0
	.set _ZN7rocprim17ROCPRIM_400000_NS6detail17trampoline_kernelINS0_14default_configENS1_20scan_config_selectorIN3c107complexIfEEEEZZNS1_9scan_implILNS1_25lookback_scan_determinismE0ELb0ELb0ES3_PKS7_PS7_S7_ZZZN2at6native31launch_logcumsumexp_cuda_kernelERKNSE_10TensorBaseESI_lENKUlvE_clEvENKUlvE2_clEvEUlS7_S7_E_S7_EEDaPvRmT3_T4_T5_mT6_P12ihipStream_tbENKUlT_T0_E_clISt17integral_constantIbLb0EESZ_EEDaSU_SV_EUlSU_E_NS1_11comp_targetILNS1_3genE2ELNS1_11target_archE906ELNS1_3gpuE6ELNS1_3repE0EEENS1_30default_config_static_selectorELNS0_4arch9wavefront6targetE0EEEvT1_.has_recursion, 0
	.set _ZN7rocprim17ROCPRIM_400000_NS6detail17trampoline_kernelINS0_14default_configENS1_20scan_config_selectorIN3c107complexIfEEEEZZNS1_9scan_implILNS1_25lookback_scan_determinismE0ELb0ELb0ES3_PKS7_PS7_S7_ZZZN2at6native31launch_logcumsumexp_cuda_kernelERKNSE_10TensorBaseESI_lENKUlvE_clEvENKUlvE2_clEvEUlS7_S7_E_S7_EEDaPvRmT3_T4_T5_mT6_P12ihipStream_tbENKUlT_T0_E_clISt17integral_constantIbLb0EESZ_EEDaSU_SV_EUlSU_E_NS1_11comp_targetILNS1_3genE2ELNS1_11target_archE906ELNS1_3gpuE6ELNS1_3repE0EEENS1_30default_config_static_selectorELNS0_4arch9wavefront6targetE0EEEvT1_.has_indirect_call, 0
	.section	.AMDGPU.csdata,"",@progbits
; Kernel info:
; codeLenInByte = 0
; TotalNumSgprs: 0
; NumVgprs: 0
; ScratchSize: 0
; MemoryBound: 0
; FloatMode: 240
; IeeeMode: 1
; LDSByteSize: 0 bytes/workgroup (compile time only)
; SGPRBlocks: 0
; VGPRBlocks: 0
; NumSGPRsForWavesPerEU: 1
; NumVGPRsForWavesPerEU: 1
; Occupancy: 16
; WaveLimiterHint : 0
; COMPUTE_PGM_RSRC2:SCRATCH_EN: 0
; COMPUTE_PGM_RSRC2:USER_SGPR: 2
; COMPUTE_PGM_RSRC2:TRAP_HANDLER: 0
; COMPUTE_PGM_RSRC2:TGID_X_EN: 1
; COMPUTE_PGM_RSRC2:TGID_Y_EN: 0
; COMPUTE_PGM_RSRC2:TGID_Z_EN: 0
; COMPUTE_PGM_RSRC2:TIDIG_COMP_CNT: 0
	.text
	.p2align	2                               ; -- Begin function _ZZZZN2at6native31launch_logcumsumexp_cuda_kernelERKNS_10TensorBaseES3_lENKUlvE_clEvENKUlvE2_clEvENKUlN3c107complexIfEES8_E_clES8_S8_
	.type	_ZZZZN2at6native31launch_logcumsumexp_cuda_kernelERKNS_10TensorBaseES3_lENKUlvE_clEvENKUlvE2_clEvENKUlN3c107complexIfEES8_E_clES8_S8_,@function
_ZZZZN2at6native31launch_logcumsumexp_cuda_kernelERKNS_10TensorBaseES3_lENKUlvE_clEvENKUlvE2_clEvENKUlN3c107complexIfEES8_E_clES8_S8_: ; @_ZZZZN2at6native31launch_logcumsumexp_cuda_kernelERKNS_10TensorBaseES3_lENKUlvE_clEvENKUlvE2_clEvENKUlN3c107complexIfEES8_E_clES8_S8_
; %bb.0:
	s_wait_loadcnt_dscnt 0x0
	s_wait_expcnt 0x0
	s_wait_samplecnt 0x0
	s_wait_bvhcnt 0x0
	s_wait_kmcnt 0x0
	v_cmp_o_f32_e32 vcc_lo, v2, v3
	v_dual_mov_b32 v4, v3 :: v_dual_mov_b32 v5, v2
	s_and_saveexec_b32 s2, vcc_lo
; %bb.1:
	v_cmp_u_f32_e64 s0, v0, v1
	v_cmp_lt_f32_e64 s1, v0, v2
	s_or_b32 s0, s0, s1
	s_wait_alu 0xfffe
	v_cndmask_b32_e64 v4, v3, v1, s0
	v_cndmask_b32_e64 v5, v2, v0, s0
; %bb.2:
	s_or_b32 exec_lo, exec_lo, s2
	s_and_saveexec_b32 s1, vcc_lo
; %bb.3:
	v_cmp_u_f32_e32 vcc_lo, v0, v1
	v_cmp_ge_f32_e64 s0, v0, v2
	s_or_b32 vcc_lo, vcc_lo, s0
	s_wait_alu 0xfffe
	v_dual_cndmask_b32 v3, v3, v1 :: v_dual_cndmask_b32 v2, v2, v0
; %bb.4:
	s_or_b32 exec_lo, exec_lo, s1
	v_dual_mov_b32 v0, 0x7fc00000 :: v_dual_mov_b32 v1, 0x7fc00000
	s_mov_b32 s2, exec_lo
	v_cmpx_o_f32_e32 v5, v4
	s_cbranch_execz .LBB268_48
; %bb.5:
	v_cmp_class_f32_e64 s0, v5, 0x1f8
	v_cmp_neq_f32_e32 vcc_lo, v2, v5
	s_or_b32 s0, s0, vcc_lo
	s_wait_alu 0xfffe
	s_and_saveexec_b32 s1, s0
	s_wait_alu 0xfffe
	s_xor_b32 s3, exec_lo, s1
	s_cbranch_execz .LBB268_21
; %bb.6:
	v_sub_f32_e32 v0, v4, v3
                                        ; implicit-def: $vgpr6
                                        ; implicit-def: $vgpr4
	s_delay_alu instid0(VALU_DEP_1) | instskip(SKIP_1) | instid1(VALU_DEP_2)
	v_and_b32_e32 v1, 0x7fffffff, v0
	v_cmp_ngt_f32_e64 s4, 0x48000000, |v0|
	v_lshrrev_b32_e32 v7, 23, v1
	s_and_saveexec_b32 s0, s4
	s_wait_alu 0xfffe
	s_xor_b32 s5, exec_lo, s0
	s_cbranch_execz .LBB268_8
; %bb.7:
	s_mov_b32 s0, 0x7fffff
	v_mov_b32_e32 v10, 0
	s_wait_alu 0xfffe
	v_and_or_b32 v4, v1, s0, 0x800000
	v_add_nc_u32_e32 v6, 0xffffff88, v7
	s_delay_alu instid0(VALU_DEP_2) | instskip(NEXT) | instid1(VALU_DEP_2)
	v_mad_co_u64_u32 v[8:9], null, 0xfe5163ab, v4, 0
	v_cmp_lt_u32_e32 vcc_lo, 63, v6
	s_wait_alu 0xfffd
	v_cndmask_b32_e64 v16, 0, 0xffffffc0, vcc_lo
	s_delay_alu instid0(VALU_DEP_3) | instskip(NEXT) | instid1(VALU_DEP_2)
	v_mad_co_u64_u32 v[11:12], null, 0x3c439041, v4, v[9:10]
	v_add_nc_u32_e32 v6, v16, v6
	s_delay_alu instid0(VALU_DEP_2) | instskip(NEXT) | instid1(VALU_DEP_2)
	v_mov_b32_e32 v9, v12
	v_cmp_lt_u32_e64 s0, 31, v6
	s_delay_alu instid0(VALU_DEP_2) | instskip(SKIP_1) | instid1(VALU_DEP_2)
	v_mad_co_u64_u32 v[12:13], null, 0xdb629599, v4, v[9:10]
	s_wait_alu 0xf1ff
	v_cndmask_b32_e64 v17, 0, 0xffffffe0, s0
	s_delay_alu instid0(VALU_DEP_1) | instskip(NEXT) | instid1(VALU_DEP_3)
	v_add_nc_u32_e32 v6, v17, v6
	v_dual_mov_b32 v9, v13 :: v_dual_cndmask_b32 v8, v12, v8
	s_delay_alu instid0(VALU_DEP_2) | instskip(NEXT) | instid1(VALU_DEP_2)
	v_cmp_lt_u32_e64 s1, 31, v6
	v_mad_co_u64_u32 v[13:14], null, 0xf534ddc0, v4, v[9:10]
	s_delay_alu instid0(VALU_DEP_1) | instskip(NEXT) | instid1(VALU_DEP_1)
	v_mov_b32_e32 v9, v14
	v_mad_co_u64_u32 v[14:15], null, 0xfc2757d1, v4, v[9:10]
	s_delay_alu instid0(VALU_DEP_1) | instskip(NEXT) | instid1(VALU_DEP_1)
	v_mov_b32_e32 v9, v15
	v_mad_co_u64_u32 v[15:16], null, 0x4e441529, v4, v[9:10]
	s_delay_alu instid0(VALU_DEP_1) | instskip(NEXT) | instid1(VALU_DEP_1)
	v_dual_mov_b32 v9, v16 :: v_dual_cndmask_b32 v16, v15, v13
	v_mad_co_u64_u32 v[9:10], null, 0xa2f9836e, v4, v[9:10]
	s_wait_alu 0xf1ff
	v_cndmask_b32_e64 v4, 0, 0xffffffe0, s1
	s_delay_alu instid0(VALU_DEP_1) | instskip(NEXT) | instid1(VALU_DEP_3)
	v_add_nc_u32_e32 v4, v4, v6
	v_dual_cndmask_b32 v9, v9, v14 :: v_dual_cndmask_b32 v10, v10, v15
	v_cndmask_b32_e32 v14, v14, v12, vcc_lo
	v_cndmask_b32_e32 v6, v13, v11, vcc_lo
	s_delay_alu instid0(VALU_DEP_4) | instskip(NEXT) | instid1(VALU_DEP_4)
	v_sub_nc_u32_e32 v13, 32, v4
	v_cndmask_b32_e64 v11, v9, v16, s0
	v_cndmask_b32_e64 v9, v10, v9, s0
	;; [unrolled: 1-line block ×4, first 2 shown]
	v_cmp_eq_u32_e32 vcc_lo, 0, v4
	v_cndmask_b32_e64 v6, v6, v8, s0
	v_cndmask_b32_e64 v9, v9, v11, s1
	v_cndmask_b32_e64 v11, v11, v10, s1
	v_cndmask_b32_e64 v10, v10, v14, s1
	s_delay_alu instid0(VALU_DEP_4) | instskip(NEXT) | instid1(VALU_DEP_3)
	v_cndmask_b32_e64 v6, v14, v6, s1
	v_alignbit_b32 v15, v9, v11, v13
	s_delay_alu instid0(VALU_DEP_3) | instskip(NEXT) | instid1(VALU_DEP_3)
	v_alignbit_b32 v12, v11, v10, v13
	v_alignbit_b32 v13, v10, v6, v13
	s_wait_alu 0xfffd
	s_delay_alu instid0(VALU_DEP_3) | instskip(NEXT) | instid1(VALU_DEP_3)
	v_cndmask_b32_e32 v4, v15, v9, vcc_lo
	v_cndmask_b32_e32 v8, v12, v11, vcc_lo
	s_delay_alu instid0(VALU_DEP_3) | instskip(NEXT) | instid1(VALU_DEP_3)
	v_cndmask_b32_e32 v10, v13, v10, vcc_lo
	v_bfe_u32 v9, v4, 29, 1
	s_delay_alu instid0(VALU_DEP_3) | instskip(NEXT) | instid1(VALU_DEP_3)
	v_alignbit_b32 v11, v4, v8, 30
	v_alignbit_b32 v8, v8, v10, 30
	;; [unrolled: 1-line block ×3, first 2 shown]
	s_delay_alu instid0(VALU_DEP_4) | instskip(NEXT) | instid1(VALU_DEP_1)
	v_sub_nc_u32_e32 v12, 0, v9
	v_xor_b32_e32 v11, v11, v12
	s_delay_alu instid0(VALU_DEP_4) | instskip(NEXT) | instid1(VALU_DEP_4)
	v_xor_b32_e32 v8, v8, v12
	v_xor_b32_e32 v6, v6, v12
	v_lshrrev_b32_e32 v12, 29, v4
	s_delay_alu instid0(VALU_DEP_4) | instskip(NEXT) | instid1(VALU_DEP_1)
	v_clz_i32_u32_e32 v13, v11
	v_min_u32_e32 v13, 32, v13
	s_delay_alu instid0(VALU_DEP_1) | instskip(SKIP_1) | instid1(VALU_DEP_2)
	v_sub_nc_u32_e32 v10, 31, v13
	v_lshlrev_b32_e32 v14, 23, v13
	v_alignbit_b32 v11, v11, v8, v10
	v_alignbit_b32 v6, v8, v6, v10
	v_lshlrev_b32_e32 v8, 31, v12
	s_delay_alu instid0(VALU_DEP_2) | instskip(NEXT) | instid1(VALU_DEP_2)
	v_alignbit_b32 v10, v11, v6, 9
	v_or_b32_e32 v12, 0.5, v8
	v_lshrrev_b32_e32 v11, 9, v11
	v_or_b32_e32 v8, 0x33000000, v8
	s_delay_alu instid0(VALU_DEP_4) | instskip(NEXT) | instid1(VALU_DEP_4)
	v_clz_i32_u32_e32 v15, v10
	v_sub_nc_u32_e32 v12, v12, v14
	s_delay_alu instid0(VALU_DEP_2) | instskip(NEXT) | instid1(VALU_DEP_2)
	v_min_u32_e32 v14, 32, v15
	v_or_b32_e32 v11, v11, v12
	s_delay_alu instid0(VALU_DEP_2) | instskip(NEXT) | instid1(VALU_DEP_2)
	v_not_b32_e32 v12, v14
	v_mul_f32_e32 v15, 0x3fc90fda, v11
	v_add_lshl_u32 v13, v14, v13, 23
	s_delay_alu instid0(VALU_DEP_3) | instskip(NEXT) | instid1(VALU_DEP_3)
	v_alignbit_b32 v6, v10, v6, v12
	v_fma_f32 v10, 0x3fc90fda, v11, -v15
	s_delay_alu instid0(VALU_DEP_3) | instskip(NEXT) | instid1(VALU_DEP_3)
	v_sub_nc_u32_e32 v8, v8, v13
	v_lshrrev_b32_e32 v6, 9, v6
	s_delay_alu instid0(VALU_DEP_3) | instskip(NEXT) | instid1(VALU_DEP_2)
	v_fmamk_f32 v10, v11, 0x33a22168, v10
	v_or_b32_e32 v6, v8, v6
	s_delay_alu instid0(VALU_DEP_1) | instskip(SKIP_1) | instid1(VALU_DEP_2)
	v_fmac_f32_e32 v10, 0x3fc90fda, v6
	v_lshrrev_b32_e32 v6, 30, v4
	v_add_f32_e32 v4, v15, v10
	s_delay_alu instid0(VALU_DEP_2)
	v_add_nc_u32_e32 v6, v9, v6
	s_or_saveexec_b32 s0, s5
	v_mul_f32_e64 v10, 0x3f22f983, |v0|
	s_wait_alu 0xfffe
	s_xor_b32 exec_lo, exec_lo, s0
	s_branch .LBB268_9
.LBB268_8:
	s_wait_alu 0xfffe
	s_or_saveexec_b32 s0, s5
	v_mul_f32_e64 v10, 0x3f22f983, |v0|
	s_wait_alu 0xfffe
	s_xor_b32 exec_lo, exec_lo, s0
.LBB268_9:
	s_delay_alu instid0(VALU_DEP_1) | instskip(NEXT) | instid1(VALU_DEP_1)
	v_rndne_f32_e32 v6, v10
	v_fma_f32 v4, 0xbfc90fda, v6, |v0|
	s_delay_alu instid0(VALU_DEP_1) | instskip(NEXT) | instid1(VALU_DEP_1)
	v_fmamk_f32 v4, v6, 0xb3a22168, v4
	v_fmamk_f32 v4, v6, 0xa7c234c4, v4
	v_cvt_i32_f32_e32 v6, v6
; %bb.10:
	s_or_b32 exec_lo, exec_lo, s0
                                        ; implicit-def: $vgpr9
                                        ; implicit-def: $vgpr8
	s_and_saveexec_b32 s0, s4
	s_wait_alu 0xfffe
	s_xor_b32 s4, exec_lo, s0
	s_cbranch_execz .LBB268_12
; %bb.11:
	s_mov_b32 s0, 0x7fffff
	v_mov_b32_e32 v10, 0
	s_wait_alu 0xfffe
	v_and_or_b32 v17, v1, s0, 0x800000
	s_delay_alu instid0(VALU_DEP_1) | instskip(NEXT) | instid1(VALU_DEP_1)
	v_mad_co_u64_u32 v[8:9], null, 0xfe5163ab, v17, 0
	v_mad_co_u64_u32 v[11:12], null, 0x3c439041, v17, v[9:10]
	s_delay_alu instid0(VALU_DEP_1) | instskip(NEXT) | instid1(VALU_DEP_1)
	v_mov_b32_e32 v9, v12
	v_mad_co_u64_u32 v[12:13], null, 0xdb629599, v17, v[9:10]
	v_add_nc_u32_e32 v7, 0xffffff88, v7
	s_delay_alu instid0(VALU_DEP_1) | instskip(NEXT) | instid1(VALU_DEP_3)
	v_cmp_lt_u32_e32 vcc_lo, 63, v7
	v_mov_b32_e32 v9, v13
	s_wait_alu 0xfffd
	v_cndmask_b32_e64 v16, 0, 0xffffffc0, vcc_lo
	s_delay_alu instid0(VALU_DEP_2) | instskip(SKIP_1) | instid1(VALU_DEP_3)
	v_mad_co_u64_u32 v[13:14], null, 0xf534ddc0, v17, v[9:10]
	v_cndmask_b32_e32 v8, v12, v8, vcc_lo
	v_add_nc_u32_e32 v7, v16, v7
	s_delay_alu instid0(VALU_DEP_3) | instskip(NEXT) | instid1(VALU_DEP_2)
	v_mov_b32_e32 v9, v14
	v_cmp_lt_u32_e64 s0, 31, v7
	v_cndmask_b32_e32 v11, v13, v11, vcc_lo
	s_delay_alu instid0(VALU_DEP_3) | instskip(SKIP_1) | instid1(VALU_DEP_3)
	v_mad_co_u64_u32 v[14:15], null, 0xfc2757d1, v17, v[9:10]
	s_wait_alu 0xf1ff
	v_cndmask_b32_e64 v18, 0, 0xffffffe0, s0
	s_delay_alu instid0(VALU_DEP_3) | instskip(NEXT) | instid1(VALU_DEP_2)
	v_cndmask_b32_e64 v8, v11, v8, s0
	v_add_nc_u32_e32 v7, v18, v7
	s_delay_alu instid0(VALU_DEP_4) | instskip(NEXT) | instid1(VALU_DEP_2)
	v_mov_b32_e32 v9, v15
	v_cmp_lt_u32_e64 s1, 31, v7
	s_delay_alu instid0(VALU_DEP_2) | instskip(NEXT) | instid1(VALU_DEP_1)
	v_mad_co_u64_u32 v[15:16], null, 0x4e441529, v17, v[9:10]
	v_mov_b32_e32 v9, v16
	s_wait_alu 0xf1ff
	s_delay_alu instid0(VALU_DEP_3) | instskip(NEXT) | instid1(VALU_DEP_2)
	v_cndmask_b32_e64 v16, 0, 0xffffffe0, s1
	v_mad_co_u64_u32 v[9:10], null, 0xa2f9836e, v17, v[9:10]
	s_delay_alu instid0(VALU_DEP_4) | instskip(NEXT) | instid1(VALU_DEP_3)
	v_cndmask_b32_e32 v17, v15, v13, vcc_lo
	v_add_nc_u32_e32 v7, v16, v7
	s_delay_alu instid0(VALU_DEP_3) | instskip(SKIP_1) | instid1(VALU_DEP_3)
	v_dual_cndmask_b32 v9, v9, v14 :: v_dual_cndmask_b32 v10, v10, v15
	v_cndmask_b32_e32 v14, v14, v12, vcc_lo
	v_sub_nc_u32_e32 v15, 32, v7
	v_cmp_eq_u32_e32 vcc_lo, 0, v7
	s_delay_alu instid0(VALU_DEP_4) | instskip(SKIP_3) | instid1(VALU_DEP_3)
	v_cndmask_b32_e64 v13, v9, v17, s0
	v_cndmask_b32_e64 v9, v10, v9, s0
	;; [unrolled: 1-line block ×5, first 2 shown]
	s_delay_alu instid0(VALU_DEP_3) | instskip(NEXT) | instid1(VALU_DEP_3)
	v_cndmask_b32_e64 v13, v13, v10, s1
	v_cndmask_b32_e64 v10, v10, v14, s1
	;; [unrolled: 1-line block ×3, first 2 shown]
	s_delay_alu instid0(VALU_DEP_3) | instskip(NEXT) | instid1(VALU_DEP_3)
	v_alignbit_b32 v16, v9, v13, v15
	v_alignbit_b32 v12, v13, v10, v15
	s_delay_alu instid0(VALU_DEP_3) | instskip(SKIP_1) | instid1(VALU_DEP_3)
	v_alignbit_b32 v14, v10, v8, v15
	s_wait_alu 0xfffd
	v_cndmask_b32_e32 v7, v16, v9, vcc_lo
	s_delay_alu instid0(VALU_DEP_2) | instskip(NEXT) | instid1(VALU_DEP_2)
	v_dual_cndmask_b32 v9, v12, v13 :: v_dual_cndmask_b32 v10, v14, v10
	v_bfe_u32 v11, v7, 29, 1
	s_delay_alu instid0(VALU_DEP_2) | instskip(NEXT) | instid1(VALU_DEP_3)
	v_alignbit_b32 v12, v7, v9, 30
	v_alignbit_b32 v9, v9, v10, 30
	v_alignbit_b32 v8, v10, v8, 30
	s_delay_alu instid0(VALU_DEP_4) | instskip(NEXT) | instid1(VALU_DEP_1)
	v_sub_nc_u32_e32 v13, 0, v11
	v_xor_b32_e32 v12, v12, v13
	s_delay_alu instid0(VALU_DEP_4) | instskip(NEXT) | instid1(VALU_DEP_4)
	v_xor_b32_e32 v9, v9, v13
	v_xor_b32_e32 v8, v8, v13
	v_lshrrev_b32_e32 v13, 29, v7
	v_lshrrev_b32_e32 v7, 30, v7
	v_clz_i32_u32_e32 v14, v12
	s_delay_alu instid0(VALU_DEP_1) | instskip(NEXT) | instid1(VALU_DEP_1)
	v_min_u32_e32 v14, 32, v14
	v_sub_nc_u32_e32 v10, 31, v14
	v_lshlrev_b32_e32 v15, 23, v14
	s_delay_alu instid0(VALU_DEP_2) | instskip(SKIP_2) | instid1(VALU_DEP_2)
	v_alignbit_b32 v12, v12, v9, v10
	v_alignbit_b32 v8, v9, v8, v10
	v_lshlrev_b32_e32 v9, 31, v13
	v_alignbit_b32 v10, v12, v8, 9
	s_delay_alu instid0(VALU_DEP_2) | instskip(SKIP_2) | instid1(VALU_DEP_4)
	v_or_b32_e32 v13, 0.5, v9
	v_lshrrev_b32_e32 v12, 9, v12
	v_or_b32_e32 v9, 0x33000000, v9
	v_clz_i32_u32_e32 v16, v10
	s_delay_alu instid0(VALU_DEP_4) | instskip(NEXT) | instid1(VALU_DEP_2)
	v_sub_nc_u32_e32 v13, v13, v15
	v_min_u32_e32 v15, 32, v16
	s_delay_alu instid0(VALU_DEP_2) | instskip(NEXT) | instid1(VALU_DEP_2)
	v_or_b32_e32 v12, v12, v13
	v_not_b32_e32 v13, v15
	s_delay_alu instid0(VALU_DEP_2) | instskip(SKIP_1) | instid1(VALU_DEP_3)
	v_mul_f32_e32 v16, 0x3fc90fda, v12
	v_add_lshl_u32 v14, v15, v14, 23
	v_alignbit_b32 v8, v10, v8, v13
	s_delay_alu instid0(VALU_DEP_3) | instskip(NEXT) | instid1(VALU_DEP_3)
	v_fma_f32 v10, 0x3fc90fda, v12, -v16
	v_sub_nc_u32_e32 v9, v9, v14
	s_delay_alu instid0(VALU_DEP_3) | instskip(NEXT) | instid1(VALU_DEP_3)
	v_lshrrev_b32_e32 v8, 9, v8
	v_fmamk_f32 v10, v12, 0x33a22168, v10
	s_delay_alu instid0(VALU_DEP_2) | instskip(NEXT) | instid1(VALU_DEP_1)
	v_or_b32_e32 v8, v9, v8
	v_dual_fmac_f32 v10, 0x3fc90fda, v8 :: v_dual_add_nc_u32 v9, v11, v7
	s_delay_alu instid0(VALU_DEP_1)
	v_add_f32_e32 v8, v16, v10
                                        ; implicit-def: $vgpr10
	s_and_not1_saveexec_b32 s0, s4
	s_cbranch_execnz .LBB268_13
	s_branch .LBB268_14
.LBB268_12:
	s_wait_alu 0xfffe
	s_and_not1_saveexec_b32 s0, s4
.LBB268_13:
	v_rndne_f32_e32 v7, v10
	s_delay_alu instid0(VALU_DEP_1) | instskip(SKIP_1) | instid1(VALU_DEP_2)
	v_fma_f32 v8, 0xbfc90fda, v7, |v0|
	v_cvt_i32_f32_e32 v9, v7
	v_fmamk_f32 v8, v7, 0xb3a22168, v8
	s_delay_alu instid0(VALU_DEP_1)
	v_fmamk_f32 v8, v7, 0xa7c234c4, v8
.LBB268_14:
	s_wait_alu 0xfffe
	s_or_b32 exec_lo, exec_lo, s0
	s_delay_alu instid0(VALU_DEP_1) | instskip(SKIP_2) | instid1(VALU_DEP_3)
	v_dual_sub_f32 v5, v5, v2 :: v_dual_mul_f32 v12, v8, v8
	v_lshlrev_b32_e32 v7, 30, v6
	v_dual_mul_f32 v11, v4, v4 :: v_dual_and_b32 v6, 1, v6
	v_mul_f32_e32 v10, 0x3fb8aa3b, v5
	s_mov_b32 s0, 0x37d75334
	s_mov_b32 s1, 0xb94c1982
	s_delay_alu instid0(VALU_DEP_2)
	v_cmp_eq_u32_e32 vcc_lo, 0, v6
	s_wait_alu 0xfffe
	v_dual_fmaak_f32 v17, s1, v11, 0x3c0881c4 :: v_dual_fmaak_f32 v18, s1, v12, 0x3c0881c4
	v_fma_f32 v13, 0x3fb8aa3b, v5, -v10
	v_rndne_f32_e32 v14, v10
	v_and_b32_e32 v15, 1, v9
	v_dual_fmaak_f32 v16, s0, v11, 0xbab64f3b :: v_dual_lshlrev_b32 v9, 30, v9
	s_delay_alu instid0(VALU_DEP_3) | instskip(SKIP_3) | instid1(VALU_DEP_4)
	v_dual_fmamk_f32 v13, v5, 0x32a5705f, v13 :: v_dual_sub_f32 v10, v10, v14
	v_and_b32_e32 v7, 0x80000000, v7
	v_cvt_i32_f32_e32 v14, v14
	v_xor_b32_e32 v1, v1, v0
	v_dual_add_f32 v10, v10, v13 :: v_dual_fmaak_f32 v13, v11, v16, 0x3d2aabf7
	v_dual_fmaak_f32 v16, v11, v17, 0xbe2aaa9d :: v_dual_fmaak_f32 v17, v12, v18, 0xbe2aaa9d
	s_delay_alu instid0(VALU_DEP_2) | instskip(NEXT) | instid1(VALU_DEP_1)
	v_exp_f32_e32 v10, v10
	v_dual_mul_f32 v16, v11, v16 :: v_dual_mul_f32 v17, v12, v17
	v_fmaak_f32 v19, s0, v12, 0xbab64f3b
	v_cmp_nlt_f32_e64 s0, 0x42b17218, v5
	s_delay_alu instid0(VALU_DEP_3) | instskip(NEXT) | instid1(VALU_DEP_3)
	v_fmac_f32_e32 v8, v8, v17
	v_fmaak_f32 v18, v12, v19, 0x3d2aabf7
	v_fmaak_f32 v13, v11, v13, 0xbf000004
	s_delay_alu instid0(TRANS32_DEP_1) | instskip(SKIP_1) | instid1(VALU_DEP_4)
	v_ldexp_f32 v10, v10, v14
	v_fmac_f32_e32 v4, v4, v16
	v_fmaak_f32 v18, v12, v18, 0xbf000004
	s_delay_alu instid0(VALU_DEP_4) | instskip(NEXT) | instid1(VALU_DEP_2)
	v_fma_f32 v11, v11, v13, 1.0
	v_fma_f32 v12, v12, v18, 1.0
	s_wait_alu 0xfffd
	s_delay_alu instid0(VALU_DEP_2) | instskip(SKIP_1) | instid1(VALU_DEP_2)
	v_cndmask_b32_e64 v4, -v4, v11, vcc_lo
	v_cmp_eq_u32_e32 vcc_lo, 0, v15
	v_xor_b32_e32 v4, v7, v4
	s_wait_alu 0xfffd
	v_cndmask_b32_e32 v6, v12, v8, vcc_lo
	v_and_b32_e32 v8, 0x80000000, v9
	v_cmp_ngt_f32_e32 vcc_lo, 0xc2ce8ed0, v5
	s_wait_alu 0xfffd
	v_cndmask_b32_e32 v9, 0, v10, vcc_lo
	v_cmp_class_f32_e64 vcc_lo, v0, 0x1f8
	v_xor3_b32 v0, v1, v8, v6
	s_wait_alu 0xf1ff
	s_delay_alu instid0(VALU_DEP_3) | instskip(SKIP_3) | instid1(VALU_DEP_2)
	v_cndmask_b32_e64 v1, 0x7f800000, v9, s0
	s_wait_alu 0xfffd
	v_cndmask_b32_e32 v7, 0x7fc00000, v4, vcc_lo
	v_cndmask_b32_e32 v0, 0x7fc00000, v0, vcc_lo
	v_mul_f32_e32 v6, v1, v7
	s_delay_alu instid0(VALU_DEP_2) | instskip(SKIP_1) | instid1(VALU_DEP_2)
	v_mul_f32_e32 v0, v1, v0
	v_fma_f32 v1, v1, v7, 1.0
	v_max_num_f32_e64 v8, |v6|, |v0|
	s_delay_alu instid0(VALU_DEP_1) | instskip(SKIP_1) | instid1(VALU_DEP_2)
	v_cvt_f64_f32_e32 v[4:5], v8
	v_cmp_eq_f32_e32 vcc_lo, 0x7f800000, v8
	v_frexp_exp_i32_f64_e32 v4, v[4:5]
	s_delay_alu instid0(VALU_DEP_1) | instskip(NEXT) | instid1(VALU_DEP_1)
	v_sub_nc_u32_e32 v5, 0, v4
	v_ldexp_f32 v9, |v0|, v5
	v_ldexp_f32 v5, |v6|, v5
	s_delay_alu instid0(VALU_DEP_2) | instskip(NEXT) | instid1(VALU_DEP_1)
	v_mul_f32_e32 v9, v9, v9
	v_fmac_f32_e32 v9, v5, v5
	s_delay_alu instid0(VALU_DEP_1) | instskip(NEXT) | instid1(TRANS32_DEP_1)
	v_sqrt_f32_e32 v5, v9
	v_ldexp_f32 v4, v5, v4
	s_delay_alu instid0(VALU_DEP_1)
	v_cmp_ngt_f32_e64 s0, 0.5, v4
	v_max_num_f32_e64 v4, |v1|, |v0|
	s_or_b32 s0, vcc_lo, s0
	s_wait_alu 0xfffe
	s_and_saveexec_b32 s1, s0
	s_wait_alu 0xfffe
	s_xor_b32 s1, exec_lo, s1
	s_cbranch_execz .LBB268_16
; %bb.15:
	v_cvt_f64_f32_e32 v[5:6], v4
	v_cmp_neq_f32_e32 vcc_lo, 0x7f800000, v4
	s_delay_alu instid0(VALU_DEP_2) | instskip(NEXT) | instid1(VALU_DEP_1)
	v_frexp_exp_i32_f64_e32 v5, v[5:6]
	v_sub_nc_u32_e32 v6, 0, v5
	s_delay_alu instid0(VALU_DEP_1) | instskip(SKIP_1) | instid1(VALU_DEP_2)
	v_ldexp_f32 v7, |v0|, v6
	v_ldexp_f32 v6, |v1|, v6
	v_mul_f32_e32 v7, v7, v7
	s_delay_alu instid0(VALU_DEP_1) | instskip(NEXT) | instid1(VALU_DEP_1)
	v_fmac_f32_e32 v7, v6, v6
	v_sqrt_f32_e32 v6, v7
	s_delay_alu instid0(TRANS32_DEP_1) | instskip(SKIP_1) | instid1(VALU_DEP_1)
	v_ldexp_f32 v5, v6, v5
	s_wait_alu 0xfffd
	v_cndmask_b32_e32 v5, 0x7f800000, v5, vcc_lo
	s_delay_alu instid0(VALU_DEP_1) | instskip(SKIP_2) | instid1(VALU_DEP_1)
	v_cmp_gt_f32_e32 vcc_lo, 0x800000, v5
	s_wait_alu 0xfffd
	v_cndmask_b32_e64 v6, 0, 32, vcc_lo
	v_ldexp_f32 v5, v5, v6
	s_delay_alu instid0(VALU_DEP_1) | instskip(NEXT) | instid1(TRANS32_DEP_1)
	v_log_f32_e32 v5, v5
	v_mul_f32_e32 v6, 0x3f317217, v5
	v_cmp_gt_f32_e64 s0, 0x7f800000, |v5|
	s_delay_alu instid0(VALU_DEP_2) | instskip(NEXT) | instid1(VALU_DEP_1)
	v_fma_f32 v6, 0x3f317217, v5, -v6
	v_fmamk_f32 v6, v5, 0x3377d1cf, v6
	s_delay_alu instid0(VALU_DEP_1) | instskip(SKIP_1) | instid1(VALU_DEP_1)
	v_fmac_f32_e32 v6, 0x3f317217, v5
	s_wait_alu 0xf1ff
	v_cndmask_b32_e64 v5, v5, v6, s0
	v_cndmask_b32_e64 v6, 0, 0x41b17218, vcc_lo
	s_delay_alu instid0(VALU_DEP_1)
	v_sub_f32_e32 v6, v5, v6
.LBB268_16:
	s_wait_alu 0xfffe
	s_and_not1_saveexec_b32 s0, s1
	s_cbranch_execz .LBB268_20
; %bb.17:
	s_delay_alu instid0(VALU_DEP_1) | instskip(SKIP_2) | instid1(VALU_DEP_1)
	v_add_f32_e32 v7, 2.0, v6
	v_mul_f32_e32 v5, v0, v0
	s_mov_b32 s1, exec_lo
	v_fmac_f32_e32 v5, v6, v7
	s_delay_alu instid0(VALU_DEP_1)
	v_cmpx_neq_f32_e32 0, v5
	s_cbranch_execz .LBB268_19
; %bb.18:
	v_add_f32_e32 v8, 1.0, v5
	s_mov_b32 s4, 0x3e9b6dac
	s_delay_alu instid0(VALU_DEP_1) | instskip(NEXT) | instid1(VALU_DEP_1)
	v_cvt_f64_f32_e32 v[6:7], v8
	v_frexp_exp_i32_f64_e32 v6, v[6:7]
	v_frexp_mant_f32_e32 v7, v8
	s_delay_alu instid0(VALU_DEP_1) | instskip(SKIP_1) | instid1(VALU_DEP_1)
	v_cmp_gt_f32_e32 vcc_lo, 0x3f2aaaab, v7
	v_add_f32_e32 v7, -1.0, v8
	v_sub_f32_e32 v10, v7, v8
	s_delay_alu instid0(VALU_DEP_1) | instskip(SKIP_3) | instid1(VALU_DEP_2)
	v_dual_add_f32 v10, 1.0, v10 :: v_dual_sub_f32 v7, v5, v7
	s_wait_alu 0xfffd
	v_subrev_co_ci_u32_e64 v6, null, 0, v6, vcc_lo
	v_cmp_neq_f32_e32 vcc_lo, 0x7f800000, v5
	v_sub_nc_u32_e32 v9, 0, v6
	v_cvt_f32_i32_e32 v6, v6
	s_delay_alu instid0(VALU_DEP_2) | instskip(NEXT) | instid1(VALU_DEP_1)
	v_ldexp_f32 v8, v8, v9
	v_add_f32_e32 v11, 1.0, v8
	s_delay_alu instid0(VALU_DEP_1) | instskip(NEXT) | instid1(VALU_DEP_1)
	v_dual_add_f32 v7, v7, v10 :: v_dual_add_f32 v10, -1.0, v11
	v_ldexp_f32 v7, v7, v9
	s_delay_alu instid0(VALU_DEP_2) | instskip(NEXT) | instid1(VALU_DEP_1)
	v_dual_sub_f32 v10, v8, v10 :: v_dual_add_f32 v9, -1.0, v8
	v_add_f32_e32 v10, v7, v10
	s_delay_alu instid0(VALU_DEP_2) | instskip(NEXT) | instid1(VALU_DEP_1)
	v_add_f32_e32 v12, 1.0, v9
	v_sub_f32_e32 v8, v8, v12
	s_delay_alu instid0(VALU_DEP_1) | instskip(NEXT) | instid1(VALU_DEP_1)
	v_add_f32_e32 v7, v7, v8
	v_dual_add_f32 v13, v9, v7 :: v_dual_add_f32 v12, v11, v10
	s_delay_alu instid0(VALU_DEP_1) | instskip(NEXT) | instid1(VALU_DEP_2)
	v_sub_f32_e32 v9, v13, v9
	v_rcp_f32_e32 v8, v12
	v_sub_f32_e32 v11, v12, v11
	s_delay_alu instid0(VALU_DEP_1) | instskip(NEXT) | instid1(TRANS32_DEP_1)
	v_dual_sub_f32 v7, v7, v9 :: v_dual_sub_f32 v10, v10, v11
	v_mul_f32_e32 v14, v13, v8
	s_delay_alu instid0(VALU_DEP_1) | instskip(NEXT) | instid1(VALU_DEP_1)
	v_mul_f32_e32 v15, v12, v14
	v_fma_f32 v11, v14, v12, -v15
	s_delay_alu instid0(VALU_DEP_1) | instskip(NEXT) | instid1(VALU_DEP_1)
	v_fmac_f32_e32 v11, v14, v10
	v_add_f32_e32 v16, v15, v11
	s_delay_alu instid0(VALU_DEP_1) | instskip(SKIP_1) | instid1(VALU_DEP_2)
	v_sub_f32_e32 v17, v13, v16
	v_sub_f32_e32 v9, v16, v15
	;; [unrolled: 1-line block ×3, first 2 shown]
	s_delay_alu instid0(VALU_DEP_2) | instskip(NEXT) | instid1(VALU_DEP_2)
	v_sub_f32_e32 v9, v9, v11
	v_sub_f32_e32 v13, v13, v16
	s_delay_alu instid0(VALU_DEP_1) | instskip(NEXT) | instid1(VALU_DEP_1)
	v_add_f32_e32 v7, v7, v13
	v_add_f32_e32 v7, v9, v7
	s_delay_alu instid0(VALU_DEP_1) | instskip(NEXT) | instid1(VALU_DEP_1)
	v_add_f32_e32 v9, v17, v7
	v_mul_f32_e32 v11, v8, v9
	s_delay_alu instid0(VALU_DEP_1) | instskip(NEXT) | instid1(VALU_DEP_1)
	v_dual_sub_f32 v16, v17, v9 :: v_dual_mul_f32 v13, v12, v11
	v_add_f32_e32 v7, v7, v16
	s_delay_alu instid0(VALU_DEP_2) | instskip(NEXT) | instid1(VALU_DEP_1)
	v_fma_f32 v12, v11, v12, -v13
	v_fmac_f32_e32 v12, v11, v10
	s_delay_alu instid0(VALU_DEP_1) | instskip(NEXT) | instid1(VALU_DEP_1)
	v_add_f32_e32 v10, v13, v12
	v_sub_f32_e32 v15, v9, v10
	v_sub_f32_e32 v13, v10, v13
	s_delay_alu instid0(VALU_DEP_2) | instskip(NEXT) | instid1(VALU_DEP_1)
	v_sub_f32_e32 v9, v9, v15
	v_sub_f32_e32 v9, v9, v10
	s_delay_alu instid0(VALU_DEP_1) | instskip(SKIP_1) | instid1(VALU_DEP_1)
	v_dual_sub_f32 v10, v13, v12 :: v_dual_add_f32 v7, v7, v9
	v_add_f32_e32 v9, v14, v11
	v_dual_add_f32 v7, v10, v7 :: v_dual_sub_f32 v10, v9, v14
	s_delay_alu instid0(VALU_DEP_1) | instskip(NEXT) | instid1(VALU_DEP_1)
	v_add_f32_e32 v7, v15, v7
	v_dual_sub_f32 v10, v11, v10 :: v_dual_mul_f32 v7, v8, v7
	s_delay_alu instid0(VALU_DEP_1) | instskip(NEXT) | instid1(VALU_DEP_1)
	v_add_f32_e32 v7, v10, v7
	v_add_f32_e32 v8, v9, v7
	s_delay_alu instid0(VALU_DEP_1) | instskip(SKIP_1) | instid1(VALU_DEP_1)
	v_mul_f32_e32 v10, v8, v8
	s_wait_alu 0xfffe
	v_fmaak_f32 v11, s4, v10, 0x3ecc95a3
	v_mul_f32_e32 v12, v8, v10
	s_delay_alu instid0(VALU_DEP_2) | instskip(SKIP_2) | instid1(VALU_DEP_3)
	v_fmaak_f32 v10, v10, v11, 0x3f2aaada
	v_ldexp_f32 v11, v8, 1
	v_sub_f32_e32 v8, v8, v9
	v_mul_f32_e32 v10, v12, v10
	s_delay_alu instid0(VALU_DEP_2) | instskip(NEXT) | instid1(VALU_DEP_2)
	v_dual_mul_f32 v12, 0x3f317218, v6 :: v_dual_sub_f32 v7, v7, v8
	v_add_f32_e32 v9, v11, v10
	s_delay_alu instid0(VALU_DEP_2) | instskip(NEXT) | instid1(VALU_DEP_2)
	v_ldexp_f32 v7, v7, 1
	v_sub_f32_e32 v8, v9, v11
	s_delay_alu instid0(VALU_DEP_4) | instskip(NEXT) | instid1(VALU_DEP_2)
	v_fma_f32 v11, 0x3f317218, v6, -v12
	v_sub_f32_e32 v8, v10, v8
	s_delay_alu instid0(VALU_DEP_1) | instskip(NEXT) | instid1(VALU_DEP_1)
	v_dual_fmamk_f32 v6, v6, 0xb102e308, v11 :: v_dual_add_f32 v7, v7, v8
	v_add_f32_e32 v8, v12, v6
	s_delay_alu instid0(VALU_DEP_2) | instskip(NEXT) | instid1(VALU_DEP_2)
	v_add_f32_e32 v10, v9, v7
	v_sub_f32_e32 v12, v8, v12
	s_delay_alu instid0(VALU_DEP_2) | instskip(SKIP_1) | instid1(VALU_DEP_3)
	v_add_f32_e32 v11, v8, v10
	v_sub_f32_e32 v9, v10, v9
	v_sub_f32_e32 v6, v6, v12
	s_delay_alu instid0(VALU_DEP_3) | instskip(NEXT) | instid1(VALU_DEP_3)
	v_sub_f32_e32 v13, v11, v8
	v_sub_f32_e32 v7, v7, v9
	s_delay_alu instid0(VALU_DEP_2) | instskip(SKIP_1) | instid1(VALU_DEP_3)
	v_sub_f32_e32 v14, v11, v13
	v_sub_f32_e32 v9, v10, v13
	v_add_f32_e32 v10, v6, v7
	s_delay_alu instid0(VALU_DEP_3) | instskip(NEXT) | instid1(VALU_DEP_1)
	v_sub_f32_e32 v8, v8, v14
	v_dual_add_f32 v8, v9, v8 :: v_dual_sub_f32 v9, v10, v6
	s_delay_alu instid0(VALU_DEP_1) | instskip(NEXT) | instid1(VALU_DEP_2)
	v_add_f32_e32 v8, v10, v8
	v_sub_f32_e32 v10, v10, v9
	s_delay_alu instid0(VALU_DEP_2) | instskip(NEXT) | instid1(VALU_DEP_2)
	v_add_f32_e32 v12, v11, v8
	v_dual_sub_f32 v6, v6, v10 :: v_dual_sub_f32 v7, v7, v9
	s_delay_alu instid0(VALU_DEP_1) | instskip(NEXT) | instid1(VALU_DEP_1)
	v_dual_sub_f32 v9, v12, v11 :: v_dual_add_f32 v6, v7, v6
	v_sub_f32_e32 v7, v8, v9
	s_delay_alu instid0(VALU_DEP_1) | instskip(NEXT) | instid1(VALU_DEP_1)
	v_add_f32_e32 v6, v6, v7
	v_add_f32_e32 v6, v12, v6
	s_wait_alu 0xfffd
	s_delay_alu instid0(VALU_DEP_1) | instskip(SKIP_2) | instid1(VALU_DEP_2)
	v_cndmask_b32_e32 v6, 0x7f800000, v6, vcc_lo
	v_cmp_ngt_f32_e32 vcc_lo, -1.0, v5
	s_wait_alu 0xfffd
	v_cndmask_b32_e32 v6, 0x7fc00000, v6, vcc_lo
	v_cmp_neq_f32_e32 vcc_lo, -1.0, v5
	s_wait_alu 0xfffd
	s_delay_alu instid0(VALU_DEP_2) | instskip(SKIP_2) | instid1(VALU_DEP_2)
	v_cndmask_b32_e32 v6, 0xff800000, v6, vcc_lo
	v_cmp_gt_f32_e64 vcc_lo, 0x33800000, |v5|
	s_wait_alu 0xfffd
	v_cndmask_b32_e32 v5, v6, v5, vcc_lo
	s_delay_alu instid0(VALU_DEP_1)
	v_mul_f32_e32 v6, 0.5, v5
.LBB268_19:
	s_wait_alu 0xfffe
	s_or_b32 exec_lo, exec_lo, s1
.LBB268_20:
	s_wait_alu 0xfffe
	s_or_b32 exec_lo, exec_lo, s0
	v_max_num_f32_e64 v5, |v0|, |v0|
	v_max_num_f32_e64 v7, |v1|, |v1|
	v_frexp_mant_f32_e32 v8, v4
	v_frexp_exp_i32_f32_e32 v4, v4
	s_mov_b32 s0, 0x3b2d2a58
	v_cmp_gt_f32_e64 vcc_lo, |v0|, |v1|
	v_min_num_f32_e32 v5, v7, v5
	v_rcp_f32_e32 v7, v8
	v_cmp_class_f32_e64 s1, v1, 0x204
	s_delay_alu instid0(VALU_DEP_2)
	v_frexp_mant_f32_e32 v8, v5
	v_frexp_exp_i32_f32_e32 v5, v5
	s_delay_alu instid0(TRANS32_DEP_1) | instid1(VALU_DEP_2)
	v_mul_f32_e32 v7, v8, v7
	s_delay_alu instid0(VALU_DEP_2) | instskip(NEXT) | instid1(VALU_DEP_1)
	v_sub_nc_u32_e32 v4, v5, v4
	v_ldexp_f32 v4, v7, v4
	s_delay_alu instid0(VALU_DEP_1) | instskip(SKIP_1) | instid1(VALU_DEP_1)
	v_mul_f32_e32 v5, v4, v4
	s_wait_alu 0xfffe
	v_fmaak_f32 v7, s0, v5, 0xbc7a590c
	v_cmp_gt_i32_e64 s0, 0, v1
	s_delay_alu instid0(VALU_DEP_2) | instskip(SKIP_1) | instid1(VALU_DEP_2)
	v_fmaak_f32 v7, v5, v7, 0x3d29fb3f
	s_wait_alu 0xf1ff
	v_cndmask_b32_e64 v8, 0, 0x40490fdb, s0
	v_cmp_class_f32_e64 s0, v0, 0x204
	s_delay_alu instid0(VALU_DEP_3) | instskip(NEXT) | instid1(VALU_DEP_1)
	v_fmaak_f32 v7, v5, v7, 0xbd97d4d7
	v_fmaak_f32 v7, v5, v7, 0x3dd931b2
	s_delay_alu instid0(VALU_DEP_1) | instskip(NEXT) | instid1(VALU_DEP_1)
	v_fmaak_f32 v7, v5, v7, 0xbe1160e6
	v_fmaak_f32 v7, v5, v7, 0x3e4cb8bf
	s_delay_alu instid0(VALU_DEP_1) | instskip(NEXT) | instid1(VALU_DEP_1)
	v_fmaak_f32 v7, v5, v7, 0xbeaaaa62
	v_mul_f32_e32 v5, v5, v7
	s_delay_alu instid0(VALU_DEP_1) | instskip(NEXT) | instid1(VALU_DEP_1)
	v_fmac_f32_e32 v4, v4, v5
	v_sub_f32_e32 v5, 0x3fc90fdb, v4
	s_wait_alu 0xfffd
	s_delay_alu instid0(VALU_DEP_1) | instskip(SKIP_1) | instid1(VALU_DEP_2)
	v_dual_cndmask_b32 v4, v4, v5 :: v_dual_mov_b32 v5, 0x4016cbe4
	v_cmp_gt_f32_e32 vcc_lo, 0, v1
	v_sub_f32_e32 v7, 0x40490fdb, v4
	s_wait_alu 0xfffd
	s_delay_alu instid0(VALU_DEP_3) | instskip(NEXT) | instid1(VALU_DEP_2)
	v_cndmask_b32_e32 v5, 0x3f490fdb, v5, vcc_lo
	v_cndmask_b32_e32 v4, v4, v7, vcc_lo
	v_cmp_eq_f32_e32 vcc_lo, 0, v0
	s_wait_alu 0xfffd
	s_delay_alu instid0(VALU_DEP_2) | instskip(SKIP_2) | instid1(VALU_DEP_1)
	v_cndmask_b32_e32 v4, v4, v8, vcc_lo
	s_and_b32 vcc_lo, s1, s0
	s_wait_alu 0xfffe
	v_cndmask_b32_e32 v4, v4, v5, vcc_lo
	v_cmp_o_f32_e32 vcc_lo, v1, v0
	v_add_f32_e32 v5, v2, v6
	s_wait_alu 0xfffd
	s_delay_alu instid0(VALU_DEP_3) | instskip(NEXT) | instid1(VALU_DEP_1)
	v_cndmask_b32_e32 v1, 0x7fc00000, v4, vcc_lo
	v_bfi_b32 v0, 0x7fffffff, v1, v0
	s_delay_alu instid0(VALU_DEP_1)
	v_add_f32_e32 v4, v0, v3
                                        ; implicit-def: $vgpr3
.LBB268_21:
	s_wait_alu 0xfffe
	s_and_not1_saveexec_b32 s3, s3
	s_cbranch_execz .LBB268_47
; %bb.22:
	s_mov_b32 s4, exec_lo
	v_cmpx_ngt_f32_e32 0, v5
	s_cbranch_execz .LBB268_46
; %bb.23:
	v_and_b32_e32 v0, 0x7fffffff, v4
	v_cmp_ngt_f32_e64 s5, 0x48000000, |v4|
                                        ; implicit-def: $vgpr2
                                        ; implicit-def: $vgpr1
	s_delay_alu instid0(VALU_DEP_2)
	v_lshrrev_b32_e32 v6, 23, v0
	s_and_saveexec_b32 s0, s5
	s_wait_alu 0xfffe
	s_xor_b32 s6, exec_lo, s0
	s_cbranch_execz .LBB268_25
; %bb.24:
	s_mov_b32 s0, 0x7fffff
	s_wait_alu 0xfffe
	v_and_or_b32 v5, v0, s0, 0x800000
	s_delay_alu instid0(VALU_DEP_1) | instskip(NEXT) | instid1(VALU_DEP_1)
	v_mad_co_u64_u32 v[1:2], null, 0xfe5163ab, v5, 0
	v_dual_mov_b32 v8, 0 :: v_dual_mov_b32 v7, v2
	v_add_nc_u32_e32 v2, 0xffffff88, v6
	s_delay_alu instid0(VALU_DEP_2) | instskip(NEXT) | instid1(VALU_DEP_2)
	v_mad_co_u64_u32 v[9:10], null, 0x3c439041, v5, v[7:8]
	v_cmp_lt_u32_e32 vcc_lo, 63, v2
	s_wait_alu 0xfffd
	v_cndmask_b32_e64 v14, 0, 0xffffffc0, vcc_lo
	s_delay_alu instid0(VALU_DEP_3) | instskip(NEXT) | instid1(VALU_DEP_2)
	v_mov_b32_e32 v7, v10
	v_add_nc_u32_e32 v2, v14, v2
	s_delay_alu instid0(VALU_DEP_2) | instskip(NEXT) | instid1(VALU_DEP_2)
	v_mad_co_u64_u32 v[10:11], null, 0xdb629599, v5, v[7:8]
	v_cmp_lt_u32_e64 s0, 31, v2
	s_delay_alu instid0(VALU_DEP_2) | instskip(SKIP_1) | instid1(VALU_DEP_2)
	v_mov_b32_e32 v7, v11
	s_wait_alu 0xf1ff
	v_cndmask_b32_e64 v15, 0, 0xffffffe0, s0
	s_delay_alu instid0(VALU_DEP_2) | instskip(NEXT) | instid1(VALU_DEP_2)
	v_mad_co_u64_u32 v[11:12], null, 0xf534ddc0, v5, v[7:8]
	v_add_nc_u32_e32 v2, v15, v2
	s_delay_alu instid0(VALU_DEP_1) | instskip(NEXT) | instid1(VALU_DEP_3)
	v_cmp_lt_u32_e64 s1, 31, v2
	v_mov_b32_e32 v7, v12
	s_delay_alu instid0(VALU_DEP_1) | instskip(NEXT) | instid1(VALU_DEP_1)
	v_mad_co_u64_u32 v[12:13], null, 0xfc2757d1, v5, v[7:8]
	v_mov_b32_e32 v7, v13
	s_delay_alu instid0(VALU_DEP_1) | instskip(NEXT) | instid1(VALU_DEP_1)
	v_mad_co_u64_u32 v[13:14], null, 0x4e441529, v5, v[7:8]
	v_dual_mov_b32 v7, v14 :: v_dual_cndmask_b32 v14, v13, v11
	s_delay_alu instid0(VALU_DEP_1) | instskip(SKIP_2) | instid1(VALU_DEP_1)
	v_mad_co_u64_u32 v[7:8], null, 0xa2f9836e, v5, v[7:8]
	s_wait_alu 0xf1ff
	v_cndmask_b32_e64 v5, 0, 0xffffffe0, s1
	v_dual_cndmask_b32 v5, v11, v9 :: v_dual_add_nc_u32 v2, v5, v2
	s_delay_alu instid0(VALU_DEP_3) | instskip(NEXT) | instid1(VALU_DEP_4)
	v_dual_cndmask_b32 v7, v7, v12 :: v_dual_cndmask_b32 v12, v12, v10
	v_cndmask_b32_e32 v8, v8, v13, vcc_lo
	s_delay_alu instid0(VALU_DEP_3) | instskip(NEXT) | instid1(VALU_DEP_3)
	v_sub_nc_u32_e32 v11, 32, v2
	v_cndmask_b32_e64 v9, v7, v14, s0
	s_delay_alu instid0(VALU_DEP_3) | instskip(SKIP_2) | instid1(VALU_DEP_3)
	v_cndmask_b32_e64 v7, v8, v7, s0
	v_cndmask_b32_e64 v8, v14, v12, s0
	;; [unrolled: 1-line block ×4, first 2 shown]
	s_delay_alu instid0(VALU_DEP_3) | instskip(NEXT) | instid1(VALU_DEP_3)
	v_cndmask_b32_e64 v9, v9, v8, s1
	v_cndmask_b32_e64 v8, v8, v12, s1
	s_delay_alu instid0(VALU_DEP_2) | instskip(SKIP_2) | instid1(VALU_DEP_4)
	v_alignbit_b32 v13, v7, v9, v11
	v_cndmask_b32_e32 v1, v10, v1, vcc_lo
	v_cmp_eq_u32_e32 vcc_lo, 0, v2
	v_alignbit_b32 v10, v9, v8, v11
	s_wait_alu 0xfffd
	v_cndmask_b32_e32 v2, v13, v7, vcc_lo
	v_cndmask_b32_e64 v1, v5, v1, s0
	s_delay_alu instid0(VALU_DEP_2) | instskip(NEXT) | instid1(VALU_DEP_2)
	v_bfe_u32 v7, v2, 29, 1
	v_cndmask_b32_e64 v1, v12, v1, s1
	s_delay_alu instid0(VALU_DEP_1) | instskip(SKIP_1) | instid1(VALU_DEP_4)
	v_alignbit_b32 v11, v8, v1, v11
	v_cndmask_b32_e32 v5, v10, v9, vcc_lo
	v_sub_nc_u32_e32 v10, 0, v7
	s_delay_alu instid0(VALU_DEP_3) | instskip(NEXT) | instid1(VALU_DEP_3)
	v_cndmask_b32_e32 v8, v11, v8, vcc_lo
	v_alignbit_b32 v9, v2, v5, 30
	s_delay_alu instid0(VALU_DEP_2) | instskip(NEXT) | instid1(VALU_DEP_2)
	v_alignbit_b32 v5, v5, v8, 30
	v_xor_b32_e32 v9, v9, v10
	v_alignbit_b32 v1, v8, v1, 30
	s_delay_alu instid0(VALU_DEP_3) | instskip(NEXT) | instid1(VALU_DEP_3)
	v_xor_b32_e32 v5, v5, v10
	v_clz_i32_u32_e32 v11, v9
	s_delay_alu instid0(VALU_DEP_3) | instskip(SKIP_2) | instid1(VALU_DEP_4)
	v_xor_b32_e32 v1, v1, v10
	v_lshrrev_b32_e32 v10, 29, v2
	v_lshrrev_b32_e32 v2, 30, v2
	v_min_u32_e32 v11, 32, v11
	s_delay_alu instid0(VALU_DEP_2) | instskip(NEXT) | instid1(VALU_DEP_2)
	v_add_nc_u32_e32 v2, v7, v2
	v_sub_nc_u32_e32 v8, 31, v11
	v_lshlrev_b32_e32 v12, 23, v11
	s_delay_alu instid0(VALU_DEP_2) | instskip(SKIP_2) | instid1(VALU_DEP_2)
	v_alignbit_b32 v9, v9, v5, v8
	v_alignbit_b32 v1, v5, v1, v8
	v_lshlrev_b32_e32 v5, 31, v10
	v_alignbit_b32 v8, v9, v1, 9
	s_delay_alu instid0(VALU_DEP_2) | instskip(SKIP_1) | instid1(VALU_DEP_3)
	v_or_b32_e32 v10, 0.5, v5
	v_lshrrev_b32_e32 v9, 9, v9
	v_clz_i32_u32_e32 v13, v8
	s_delay_alu instid0(VALU_DEP_3) | instskip(NEXT) | instid1(VALU_DEP_2)
	v_sub_nc_u32_e32 v10, v10, v12
	v_min_u32_e32 v12, 32, v13
	s_delay_alu instid0(VALU_DEP_2) | instskip(NEXT) | instid1(VALU_DEP_2)
	v_or_b32_e32 v9, v9, v10
	v_not_b32_e32 v10, v12
	s_delay_alu instid0(VALU_DEP_2) | instskip(SKIP_1) | instid1(VALU_DEP_3)
	v_mul_f32_e32 v13, 0x3fc90fda, v9
	v_add_lshl_u32 v11, v12, v11, 23
	v_alignbit_b32 v1, v8, v1, v10
	s_delay_alu instid0(VALU_DEP_3) | instskip(NEXT) | instid1(VALU_DEP_2)
	v_fma_f32 v8, 0x3fc90fda, v9, -v13
	v_lshrrev_b32_e32 v1, 9, v1
	s_delay_alu instid0(VALU_DEP_2) | instskip(SKIP_1) | instid1(VALU_DEP_1)
	v_fmamk_f32 v8, v9, 0x33a22168, v8
	v_or_b32_e32 v5, 0x33000000, v5
	v_sub_nc_u32_e32 v5, v5, v11
	s_delay_alu instid0(VALU_DEP_1) | instskip(NEXT) | instid1(VALU_DEP_1)
	v_or_b32_e32 v1, v5, v1
	v_fmac_f32_e32 v8, 0x3fc90fda, v1
	s_delay_alu instid0(VALU_DEP_1)
	v_add_f32_e32 v1, v13, v8
	s_or_saveexec_b32 s0, s6
	v_mul_f32_e64 v8, 0x3f22f983, |v4|
	s_wait_alu 0xfffe
	s_xor_b32 exec_lo, exec_lo, s0
	s_branch .LBB268_26
.LBB268_25:
	s_wait_alu 0xfffe
	s_or_saveexec_b32 s0, s6
	v_mul_f32_e64 v8, 0x3f22f983, |v4|
	s_wait_alu 0xfffe
	s_xor_b32 exec_lo, exec_lo, s0
.LBB268_26:
	s_delay_alu instid0(VALU_DEP_1) | instskip(NEXT) | instid1(VALU_DEP_1)
	v_rndne_f32_e32 v2, v8
	v_fma_f32 v1, 0xbfc90fda, v2, |v4|
	s_delay_alu instid0(VALU_DEP_1) | instskip(NEXT) | instid1(VALU_DEP_1)
	v_fmamk_f32 v1, v2, 0xb3a22168, v1
	v_fmamk_f32 v1, v2, 0xa7c234c4, v1
	v_cvt_i32_f32_e32 v2, v2
; %bb.27:
	s_or_b32 exec_lo, exec_lo, s0
                                        ; implicit-def: $vgpr7
                                        ; implicit-def: $vgpr5
	s_and_saveexec_b32 s0, s5
	s_wait_alu 0xfffe
	s_xor_b32 s5, exec_lo, s0
	s_cbranch_execz .LBB268_29
; %bb.28:
	s_mov_b32 s0, 0x7fffff
	v_mov_b32_e32 v9, 0
	s_wait_alu 0xfffe
	v_and_or_b32 v15, v0, s0, 0x800000
	s_delay_alu instid0(VALU_DEP_1) | instskip(NEXT) | instid1(VALU_DEP_1)
	v_mad_co_u64_u32 v[7:8], null, 0xfe5163ab, v15, 0
	v_mad_co_u64_u32 v[10:11], null, 0x3c439041, v15, v[8:9]
	s_delay_alu instid0(VALU_DEP_1) | instskip(NEXT) | instid1(VALU_DEP_1)
	v_mov_b32_e32 v8, v11
	v_mad_co_u64_u32 v[11:12], null, 0xdb629599, v15, v[8:9]
	s_delay_alu instid0(VALU_DEP_1) | instskip(NEXT) | instid1(VALU_DEP_1)
	v_mov_b32_e32 v8, v12
	v_mad_co_u64_u32 v[12:13], null, 0xf534ddc0, v15, v[8:9]
	s_delay_alu instid0(VALU_DEP_1) | instskip(NEXT) | instid1(VALU_DEP_1)
	v_dual_mov_b32 v8, v13 :: v_dual_add_nc_u32 v13, 0xffffff88, v6
	v_cmp_lt_u32_e32 vcc_lo, 63, v13
	s_wait_alu 0xfffd
	v_cndmask_b32_e32 v7, v11, v7, vcc_lo
	s_delay_alu instid0(VALU_DEP_3) | instskip(SKIP_2) | instid1(VALU_DEP_3)
	v_mad_co_u64_u32 v[5:6], null, 0xfc2757d1, v15, v[8:9]
	v_cndmask_b32_e64 v14, 0, 0xffffffc0, vcc_lo
	v_cndmask_b32_e32 v10, v12, v10, vcc_lo
	v_mov_b32_e32 v8, v6
	s_delay_alu instid0(VALU_DEP_3) | instskip(NEXT) | instid1(VALU_DEP_2)
	v_add_nc_u32_e32 v6, v14, v13
	v_mad_co_u64_u32 v[13:14], null, 0x4e441529, v15, v[8:9]
	s_delay_alu instid0(VALU_DEP_1) | instskip(NEXT) | instid1(VALU_DEP_1)
	v_mov_b32_e32 v8, v14
	v_mad_co_u64_u32 v[8:9], null, 0xa2f9836e, v15, v[8:9]
	s_delay_alu instid0(VALU_DEP_1) | instskip(SKIP_2) | instid1(VALU_DEP_4)
	v_dual_cndmask_b32 v15, v13, v12 :: v_dual_cndmask_b32 v8, v8, v5
	v_cndmask_b32_e32 v5, v5, v11, vcc_lo
	v_cmp_lt_u32_e64 s0, 31, v6
	v_cndmask_b32_e32 v9, v9, v13, vcc_lo
	s_wait_alu 0xf1ff
	s_delay_alu instid0(VALU_DEP_2) | instskip(SKIP_1) | instid1(VALU_DEP_3)
	v_cndmask_b32_e64 v16, 0, 0xffffffe0, s0
	v_cndmask_b32_e64 v12, v8, v15, s0
	;; [unrolled: 1-line block ×5, first 2 shown]
	v_add_nc_u32_e32 v6, v16, v6
	v_cndmask_b32_e64 v7, v10, v7, s0
	s_delay_alu instid0(VALU_DEP_2) | instskip(SKIP_1) | instid1(VALU_DEP_1)
	v_cmp_lt_u32_e64 s1, 31, v6
	s_wait_alu 0xf1ff
	v_cndmask_b32_e64 v14, 0, 0xffffffe0, s1
	v_cndmask_b32_e64 v8, v8, v12, s1
	;; [unrolled: 1-line block ×5, first 2 shown]
	v_add_nc_u32_e32 v6, v14, v6
	s_delay_alu instid0(VALU_DEP_1) | instskip(SKIP_1) | instid1(VALU_DEP_2)
	v_sub_nc_u32_e32 v13, 32, v6
	v_cmp_eq_u32_e32 vcc_lo, 0, v6
	v_alignbit_b32 v14, v8, v12, v13
	v_alignbit_b32 v11, v12, v9, v13
	s_wait_alu 0xfffd
	s_delay_alu instid0(VALU_DEP_2) | instskip(NEXT) | instid1(VALU_DEP_2)
	v_cndmask_b32_e32 v6, v14, v8, vcc_lo
	v_cndmask_b32_e32 v8, v11, v12, vcc_lo
	v_alignbit_b32 v12, v9, v5, v13
	s_delay_alu instid0(VALU_DEP_3) | instskip(NEXT) | instid1(VALU_DEP_3)
	v_bfe_u32 v10, v6, 29, 1
	v_alignbit_b32 v7, v6, v8, 30
	s_delay_alu instid0(VALU_DEP_3) | instskip(NEXT) | instid1(VALU_DEP_3)
	v_cndmask_b32_e32 v9, v12, v9, vcc_lo
	v_sub_nc_u32_e32 v11, 0, v10
	s_delay_alu instid0(VALU_DEP_2) | instskip(SKIP_1) | instid1(VALU_DEP_3)
	v_alignbit_b32 v8, v8, v9, 30
	v_alignbit_b32 v5, v9, v5, 30
	v_xor_b32_e32 v7, v7, v11
	s_delay_alu instid0(VALU_DEP_3) | instskip(NEXT) | instid1(VALU_DEP_3)
	v_xor_b32_e32 v8, v8, v11
	v_xor_b32_e32 v5, v5, v11
	v_lshrrev_b32_e32 v11, 29, v6
	s_delay_alu instid0(VALU_DEP_4) | instskip(SKIP_1) | instid1(VALU_DEP_2)
	v_clz_i32_u32_e32 v12, v7
	v_lshrrev_b32_e32 v6, 30, v6
	v_min_u32_e32 v12, 32, v12
	s_delay_alu instid0(VALU_DEP_1) | instskip(SKIP_1) | instid1(VALU_DEP_2)
	v_sub_nc_u32_e32 v9, 31, v12
	v_lshlrev_b32_e32 v13, 23, v12
	v_alignbit_b32 v7, v7, v8, v9
	v_alignbit_b32 v5, v8, v5, v9
	v_lshlrev_b32_e32 v8, 31, v11
	s_delay_alu instid0(VALU_DEP_2) | instskip(NEXT) | instid1(VALU_DEP_2)
	v_alignbit_b32 v9, v7, v5, 9
	v_or_b32_e32 v11, 0.5, v8
	v_lshrrev_b32_e32 v7, 9, v7
	v_or_b32_e32 v8, 0x33000000, v8
	s_delay_alu instid0(VALU_DEP_4) | instskip(NEXT) | instid1(VALU_DEP_4)
	v_clz_i32_u32_e32 v14, v9
	v_sub_nc_u32_e32 v11, v11, v13
	s_delay_alu instid0(VALU_DEP_2) | instskip(NEXT) | instid1(VALU_DEP_2)
	v_min_u32_e32 v13, 32, v14
	v_or_b32_e32 v7, v7, v11
	s_delay_alu instid0(VALU_DEP_2) | instskip(NEXT) | instid1(VALU_DEP_2)
	v_not_b32_e32 v11, v13
	v_mul_f32_e32 v14, 0x3fc90fda, v7
	v_add_lshl_u32 v12, v13, v12, 23
	s_delay_alu instid0(VALU_DEP_3) | instskip(NEXT) | instid1(VALU_DEP_3)
	v_alignbit_b32 v5, v9, v5, v11
	v_fma_f32 v9, 0x3fc90fda, v7, -v14
	s_delay_alu instid0(VALU_DEP_3) | instskip(NEXT) | instid1(VALU_DEP_3)
	v_sub_nc_u32_e32 v8, v8, v12
	v_lshrrev_b32_e32 v5, 9, v5
	s_delay_alu instid0(VALU_DEP_3) | instskip(NEXT) | instid1(VALU_DEP_2)
	v_fmamk_f32 v7, v7, 0x33a22168, v9
	v_or_b32_e32 v5, v8, v5
                                        ; implicit-def: $vgpr8
	s_delay_alu instid0(VALU_DEP_1) | instskip(NEXT) | instid1(VALU_DEP_1)
	v_fmac_f32_e32 v7, 0x3fc90fda, v5
	v_add_f32_e32 v5, v14, v7
	v_add_nc_u32_e32 v7, v10, v6
	s_and_not1_saveexec_b32 s0, s5
	s_cbranch_execnz .LBB268_30
	s_branch .LBB268_31
.LBB268_29:
	s_wait_alu 0xfffe
	s_and_not1_saveexec_b32 s0, s5
.LBB268_30:
	v_rndne_f32_e32 v6, v8
	s_delay_alu instid0(VALU_DEP_1) | instskip(SKIP_1) | instid1(VALU_DEP_2)
	v_fma_f32 v5, 0xbfc90fda, v6, |v4|
	v_cvt_i32_f32_e32 v7, v6
	v_fmamk_f32 v5, v6, 0xb3a22168, v5
	s_delay_alu instid0(VALU_DEP_1)
	v_fmamk_f32 v5, v6, 0xa7c234c4, v5
.LBB268_31:
	s_wait_alu 0xfffe
	s_or_b32 exec_lo, exec_lo, s0
	v_and_b32_e32 v6, 0x7fffffff, v3
	v_cmp_ngt_f32_e64 s5, 0x48000000, |v3|
                                        ; implicit-def: $vgpr9
                                        ; implicit-def: $vgpr8
	s_delay_alu instid0(VALU_DEP_2)
	v_lshrrev_b32_e32 v10, 23, v6
	s_and_saveexec_b32 s0, s5
	s_wait_alu 0xfffe
	s_xor_b32 s6, exec_lo, s0
	s_cbranch_execz .LBB268_33
; %bb.32:
	s_mov_b32 s0, 0x7fffff
	s_wait_alu 0xfffe
	v_and_or_b32 v19, v6, s0, 0x800000
	s_delay_alu instid0(VALU_DEP_1) | instskip(NEXT) | instid1(VALU_DEP_1)
	v_mad_co_u64_u32 v[8:9], null, 0xfe5163ab, v19, 0
	v_dual_mov_b32 v12, 0 :: v_dual_mov_b32 v11, v9
	v_add_nc_u32_e32 v9, 0xffffff88, v10
	s_delay_alu instid0(VALU_DEP_2) | instskip(NEXT) | instid1(VALU_DEP_2)
	v_mad_co_u64_u32 v[13:14], null, 0x3c439041, v19, v[11:12]
	v_cmp_lt_u32_e32 vcc_lo, 63, v9
	s_wait_alu 0xfffd
	v_cndmask_b32_e64 v18, 0, 0xffffffc0, vcc_lo
	s_delay_alu instid0(VALU_DEP_3) | instskip(NEXT) | instid1(VALU_DEP_2)
	v_mov_b32_e32 v11, v14
	v_add_nc_u32_e32 v9, v18, v9
	s_delay_alu instid0(VALU_DEP_2) | instskip(NEXT) | instid1(VALU_DEP_2)
	v_mad_co_u64_u32 v[14:15], null, 0xdb629599, v19, v[11:12]
	v_cmp_lt_u32_e64 s0, 31, v9
	s_delay_alu instid0(VALU_DEP_2) | instskip(SKIP_1) | instid1(VALU_DEP_2)
	v_mov_b32_e32 v11, v15
	s_wait_alu 0xf1ff
	v_cndmask_b32_e64 v20, 0, 0xffffffe0, s0
	s_delay_alu instid0(VALU_DEP_4) | instskip(NEXT) | instid1(VALU_DEP_3)
	v_cndmask_b32_e32 v8, v14, v8, vcc_lo
	v_mad_co_u64_u32 v[15:16], null, 0xf534ddc0, v19, v[11:12]
	s_delay_alu instid0(VALU_DEP_3) | instskip(NEXT) | instid1(VALU_DEP_1)
	v_add_nc_u32_e32 v9, v20, v9
	v_cmp_lt_u32_e64 s1, 31, v9
	s_delay_alu instid0(VALU_DEP_3) | instskip(NEXT) | instid1(VALU_DEP_4)
	v_mov_b32_e32 v11, v16
	v_cndmask_b32_e32 v13, v15, v13, vcc_lo
	s_delay_alu instid0(VALU_DEP_2) | instskip(NEXT) | instid1(VALU_DEP_2)
	v_mad_co_u64_u32 v[16:17], null, 0xfc2757d1, v19, v[11:12]
	v_cndmask_b32_e64 v8, v13, v8, s0
	s_delay_alu instid0(VALU_DEP_2) | instskip(NEXT) | instid1(VALU_DEP_1)
	v_mov_b32_e32 v11, v17
	v_mad_co_u64_u32 v[17:18], null, 0x4e441529, v19, v[11:12]
	s_delay_alu instid0(VALU_DEP_1) | instskip(SKIP_2) | instid1(VALU_DEP_2)
	v_mov_b32_e32 v11, v18
	s_wait_alu 0xf1ff
	v_cndmask_b32_e64 v18, 0, 0xffffffe0, s1
	v_mad_co_u64_u32 v[11:12], null, 0xa2f9836e, v19, v[11:12]
	s_delay_alu instid0(VALU_DEP_4) | instskip(NEXT) | instid1(VALU_DEP_3)
	v_cndmask_b32_e32 v19, v17, v15, vcc_lo
	v_add_nc_u32_e32 v9, v18, v9
	s_delay_alu instid0(VALU_DEP_3) | instskip(SKIP_1) | instid1(VALU_DEP_3)
	v_dual_cndmask_b32 v11, v11, v16 :: v_dual_cndmask_b32 v12, v12, v17
	v_cndmask_b32_e32 v16, v16, v14, vcc_lo
	v_sub_nc_u32_e32 v17, 32, v9
	v_cmp_eq_u32_e32 vcc_lo, 0, v9
	s_delay_alu instid0(VALU_DEP_4) | instskip(SKIP_3) | instid1(VALU_DEP_3)
	v_cndmask_b32_e64 v15, v11, v19, s0
	v_cndmask_b32_e64 v11, v12, v11, s0
	v_cndmask_b32_e64 v12, v19, v16, s0
	v_cndmask_b32_e64 v16, v16, v13, s0
	v_cndmask_b32_e64 v11, v11, v15, s1
	s_delay_alu instid0(VALU_DEP_3) | instskip(NEXT) | instid1(VALU_DEP_3)
	v_cndmask_b32_e64 v15, v15, v12, s1
	v_cndmask_b32_e64 v12, v12, v16, s1
	;; [unrolled: 1-line block ×3, first 2 shown]
	s_delay_alu instid0(VALU_DEP_3) | instskip(NEXT) | instid1(VALU_DEP_3)
	v_alignbit_b32 v18, v11, v15, v17
	v_alignbit_b32 v14, v15, v12, v17
	s_delay_alu instid0(VALU_DEP_3) | instskip(SKIP_1) | instid1(VALU_DEP_3)
	v_alignbit_b32 v16, v12, v8, v17
	s_wait_alu 0xfffd
	v_cndmask_b32_e32 v9, v18, v11, vcc_lo
	s_delay_alu instid0(VALU_DEP_2) | instskip(NEXT) | instid1(VALU_DEP_2)
	v_dual_cndmask_b32 v11, v14, v15 :: v_dual_cndmask_b32 v12, v16, v12
	v_bfe_u32 v13, v9, 29, 1
	s_delay_alu instid0(VALU_DEP_2) | instskip(NEXT) | instid1(VALU_DEP_3)
	v_alignbit_b32 v14, v9, v11, 30
	v_alignbit_b32 v11, v11, v12, 30
	;; [unrolled: 1-line block ×3, first 2 shown]
	s_delay_alu instid0(VALU_DEP_4) | instskip(NEXT) | instid1(VALU_DEP_1)
	v_sub_nc_u32_e32 v15, 0, v13
	v_xor_b32_e32 v14, v14, v15
	s_delay_alu instid0(VALU_DEP_4) | instskip(NEXT) | instid1(VALU_DEP_4)
	v_xor_b32_e32 v11, v11, v15
	v_xor_b32_e32 v8, v8, v15
	v_lshrrev_b32_e32 v15, 29, v9
	v_lshrrev_b32_e32 v9, 30, v9
	v_clz_i32_u32_e32 v16, v14
	s_delay_alu instid0(VALU_DEP_2) | instskip(NEXT) | instid1(VALU_DEP_2)
	v_add_nc_u32_e32 v9, v13, v9
	v_min_u32_e32 v16, 32, v16
	s_delay_alu instid0(VALU_DEP_1) | instskip(SKIP_1) | instid1(VALU_DEP_2)
	v_sub_nc_u32_e32 v12, 31, v16
	v_lshlrev_b32_e32 v17, 23, v16
	v_alignbit_b32 v14, v14, v11, v12
	v_alignbit_b32 v8, v11, v8, v12
	v_lshlrev_b32_e32 v11, 31, v15
	s_delay_alu instid0(VALU_DEP_2) | instskip(NEXT) | instid1(VALU_DEP_2)
	v_alignbit_b32 v12, v14, v8, 9
	v_or_b32_e32 v15, 0.5, v11
	v_lshrrev_b32_e32 v14, 9, v14
	v_or_b32_e32 v11, 0x33000000, v11
	s_delay_alu instid0(VALU_DEP_4) | instskip(NEXT) | instid1(VALU_DEP_4)
	v_clz_i32_u32_e32 v18, v12
	v_sub_nc_u32_e32 v15, v15, v17
	s_delay_alu instid0(VALU_DEP_2) | instskip(NEXT) | instid1(VALU_DEP_2)
	v_min_u32_e32 v17, 32, v18
	v_or_b32_e32 v14, v14, v15
	s_delay_alu instid0(VALU_DEP_2) | instskip(NEXT) | instid1(VALU_DEP_2)
	v_not_b32_e32 v15, v17
	v_mul_f32_e32 v18, 0x3fc90fda, v14
	v_add_lshl_u32 v16, v17, v16, 23
	s_delay_alu instid0(VALU_DEP_3) | instskip(NEXT) | instid1(VALU_DEP_3)
	v_alignbit_b32 v8, v12, v8, v15
	v_fma_f32 v12, 0x3fc90fda, v14, -v18
	s_delay_alu instid0(VALU_DEP_3) | instskip(NEXT) | instid1(VALU_DEP_3)
	v_sub_nc_u32_e32 v11, v11, v16
	v_lshrrev_b32_e32 v8, 9, v8
	s_delay_alu instid0(VALU_DEP_3) | instskip(NEXT) | instid1(VALU_DEP_2)
	v_fmamk_f32 v12, v14, 0x33a22168, v12
	v_or_b32_e32 v8, v11, v8
	s_delay_alu instid0(VALU_DEP_1) | instskip(NEXT) | instid1(VALU_DEP_1)
	v_fmac_f32_e32 v12, 0x3fc90fda, v8
	v_add_f32_e32 v8, v18, v12
	s_or_saveexec_b32 s0, s6
	v_mul_f32_e64 v13, 0x3f22f983, |v3|
	s_wait_alu 0xfffe
	s_xor_b32 exec_lo, exec_lo, s0
	s_branch .LBB268_34
.LBB268_33:
	s_wait_alu 0xfffe
	s_or_saveexec_b32 s0, s6
	v_mul_f32_e64 v13, 0x3f22f983, |v3|
	s_wait_alu 0xfffe
	s_xor_b32 exec_lo, exec_lo, s0
.LBB268_34:
	s_delay_alu instid0(VALU_DEP_1) | instskip(NEXT) | instid1(VALU_DEP_1)
	v_rndne_f32_e32 v9, v13
	v_fma_f32 v8, 0xbfc90fda, v9, |v3|
	s_delay_alu instid0(VALU_DEP_1) | instskip(NEXT) | instid1(VALU_DEP_1)
	v_fmamk_f32 v8, v9, 0xb3a22168, v8
	v_fmamk_f32 v8, v9, 0xa7c234c4, v8
	v_cvt_i32_f32_e32 v9, v9
; %bb.35:
	s_or_b32 exec_lo, exec_lo, s0
                                        ; implicit-def: $vgpr12
                                        ; implicit-def: $vgpr11
	s_and_saveexec_b32 s0, s5
	s_wait_alu 0xfffe
	s_xor_b32 s5, exec_lo, s0
	s_cbranch_execz .LBB268_37
; %bb.36:
	s_mov_b32 s0, 0x7fffff
	v_mov_b32_e32 v13, 0
	s_wait_alu 0xfffe
	v_and_or_b32 v20, v6, s0, 0x800000
	s_delay_alu instid0(VALU_DEP_1) | instskip(NEXT) | instid1(VALU_DEP_1)
	v_mad_co_u64_u32 v[11:12], null, 0xfe5163ab, v20, 0
	v_mad_co_u64_u32 v[14:15], null, 0x3c439041, v20, v[12:13]
	s_delay_alu instid0(VALU_DEP_1) | instskip(NEXT) | instid1(VALU_DEP_1)
	v_mov_b32_e32 v12, v15
	v_mad_co_u64_u32 v[15:16], null, 0xdb629599, v20, v[12:13]
	v_add_nc_u32_e32 v10, 0xffffff88, v10
	s_delay_alu instid0(VALU_DEP_1) | instskip(NEXT) | instid1(VALU_DEP_3)
	v_cmp_lt_u32_e32 vcc_lo, 63, v10
	v_mov_b32_e32 v12, v16
	s_wait_alu 0xfffd
	v_cndmask_b32_e64 v19, 0, 0xffffffc0, vcc_lo
	s_delay_alu instid0(VALU_DEP_2) | instskip(SKIP_1) | instid1(VALU_DEP_3)
	v_mad_co_u64_u32 v[16:17], null, 0xf534ddc0, v20, v[12:13]
	v_cndmask_b32_e32 v11, v15, v11, vcc_lo
	v_add_nc_u32_e32 v10, v19, v10
	s_delay_alu instid0(VALU_DEP_3) | instskip(NEXT) | instid1(VALU_DEP_2)
	v_mov_b32_e32 v12, v17
	v_cmp_lt_u32_e64 s0, 31, v10
	v_cndmask_b32_e32 v14, v16, v14, vcc_lo
	s_delay_alu instid0(VALU_DEP_3) | instskip(SKIP_1) | instid1(VALU_DEP_3)
	v_mad_co_u64_u32 v[17:18], null, 0xfc2757d1, v20, v[12:13]
	s_wait_alu 0xf1ff
	v_cndmask_b32_e64 v21, 0, 0xffffffe0, s0
	s_delay_alu instid0(VALU_DEP_3) | instskip(NEXT) | instid1(VALU_DEP_2)
	v_cndmask_b32_e64 v11, v14, v11, s0
	v_add_nc_u32_e32 v10, v21, v10
	s_delay_alu instid0(VALU_DEP_4) | instskip(NEXT) | instid1(VALU_DEP_2)
	v_mov_b32_e32 v12, v18
	v_cmp_lt_u32_e64 s1, 31, v10
	s_delay_alu instid0(VALU_DEP_2) | instskip(NEXT) | instid1(VALU_DEP_1)
	v_mad_co_u64_u32 v[18:19], null, 0x4e441529, v20, v[12:13]
	v_mov_b32_e32 v12, v19
	s_wait_alu 0xf1ff
	s_delay_alu instid0(VALU_DEP_3) | instskip(NEXT) | instid1(VALU_DEP_2)
	v_cndmask_b32_e64 v19, 0, 0xffffffe0, s1
	v_mad_co_u64_u32 v[12:13], null, 0xa2f9836e, v20, v[12:13]
	s_delay_alu instid0(VALU_DEP_4) | instskip(NEXT) | instid1(VALU_DEP_3)
	v_cndmask_b32_e32 v20, v18, v16, vcc_lo
	v_add_nc_u32_e32 v10, v19, v10
	s_delay_alu instid0(VALU_DEP_3) | instskip(SKIP_1) | instid1(VALU_DEP_3)
	v_dual_cndmask_b32 v12, v12, v17 :: v_dual_cndmask_b32 v13, v13, v18
	v_cndmask_b32_e32 v17, v17, v15, vcc_lo
	v_sub_nc_u32_e32 v18, 32, v10
	v_cmp_eq_u32_e32 vcc_lo, 0, v10
	s_delay_alu instid0(VALU_DEP_4) | instskip(SKIP_3) | instid1(VALU_DEP_3)
	v_cndmask_b32_e64 v16, v12, v20, s0
	v_cndmask_b32_e64 v12, v13, v12, s0
	;; [unrolled: 1-line block ×5, first 2 shown]
	s_delay_alu instid0(VALU_DEP_3) | instskip(NEXT) | instid1(VALU_DEP_3)
	v_cndmask_b32_e64 v16, v16, v13, s1
	v_cndmask_b32_e64 v13, v13, v17, s1
	;; [unrolled: 1-line block ×3, first 2 shown]
	s_delay_alu instid0(VALU_DEP_3) | instskip(NEXT) | instid1(VALU_DEP_3)
	v_alignbit_b32 v19, v12, v16, v18
	v_alignbit_b32 v15, v16, v13, v18
	s_delay_alu instid0(VALU_DEP_3) | instskip(SKIP_1) | instid1(VALU_DEP_3)
	v_alignbit_b32 v17, v13, v11, v18
	s_wait_alu 0xfffd
	v_cndmask_b32_e32 v10, v19, v12, vcc_lo
	s_delay_alu instid0(VALU_DEP_2) | instskip(NEXT) | instid1(VALU_DEP_2)
	v_dual_cndmask_b32 v12, v15, v16 :: v_dual_cndmask_b32 v13, v17, v13
	v_bfe_u32 v14, v10, 29, 1
	s_delay_alu instid0(VALU_DEP_2) | instskip(NEXT) | instid1(VALU_DEP_3)
	v_alignbit_b32 v15, v10, v12, 30
	v_alignbit_b32 v12, v12, v13, 30
	;; [unrolled: 1-line block ×3, first 2 shown]
	s_delay_alu instid0(VALU_DEP_4) | instskip(NEXT) | instid1(VALU_DEP_1)
	v_sub_nc_u32_e32 v16, 0, v14
	v_xor_b32_e32 v15, v15, v16
	s_delay_alu instid0(VALU_DEP_4) | instskip(NEXT) | instid1(VALU_DEP_4)
	v_xor_b32_e32 v12, v12, v16
	v_xor_b32_e32 v11, v11, v16
	v_lshrrev_b32_e32 v16, 29, v10
	v_lshrrev_b32_e32 v10, 30, v10
	v_clz_i32_u32_e32 v17, v15
	s_delay_alu instid0(VALU_DEP_1) | instskip(NEXT) | instid1(VALU_DEP_1)
	v_min_u32_e32 v17, 32, v17
	v_sub_nc_u32_e32 v13, 31, v17
	v_lshlrev_b32_e32 v18, 23, v17
	s_delay_alu instid0(VALU_DEP_2) | instskip(SKIP_2) | instid1(VALU_DEP_2)
	v_alignbit_b32 v15, v15, v12, v13
	v_alignbit_b32 v11, v12, v11, v13
	v_lshlrev_b32_e32 v12, 31, v16
	v_alignbit_b32 v13, v15, v11, 9
	s_delay_alu instid0(VALU_DEP_2) | instskip(SKIP_2) | instid1(VALU_DEP_4)
	v_or_b32_e32 v16, 0.5, v12
	v_lshrrev_b32_e32 v15, 9, v15
	v_or_b32_e32 v12, 0x33000000, v12
	v_clz_i32_u32_e32 v19, v13
	s_delay_alu instid0(VALU_DEP_4) | instskip(NEXT) | instid1(VALU_DEP_2)
	v_sub_nc_u32_e32 v16, v16, v18
	v_min_u32_e32 v18, 32, v19
	s_delay_alu instid0(VALU_DEP_2) | instskip(NEXT) | instid1(VALU_DEP_2)
	v_or_b32_e32 v15, v15, v16
	v_not_b32_e32 v16, v18
	s_delay_alu instid0(VALU_DEP_2) | instskip(SKIP_1) | instid1(VALU_DEP_3)
	v_mul_f32_e32 v19, 0x3fc90fda, v15
	v_add_lshl_u32 v17, v18, v17, 23
	v_alignbit_b32 v11, v13, v11, v16
	s_delay_alu instid0(VALU_DEP_3) | instskip(NEXT) | instid1(VALU_DEP_3)
	v_fma_f32 v13, 0x3fc90fda, v15, -v19
	v_sub_nc_u32_e32 v12, v12, v17
	s_delay_alu instid0(VALU_DEP_3) | instskip(NEXT) | instid1(VALU_DEP_3)
	v_lshrrev_b32_e32 v11, 9, v11
	v_fmamk_f32 v13, v15, 0x33a22168, v13
	s_delay_alu instid0(VALU_DEP_2) | instskip(NEXT) | instid1(VALU_DEP_1)
	v_or_b32_e32 v11, v12, v11
	v_dual_fmac_f32 v13, 0x3fc90fda, v11 :: v_dual_add_nc_u32 v12, v14, v10
	s_delay_alu instid0(VALU_DEP_1)
	v_add_f32_e32 v11, v19, v13
                                        ; implicit-def: $vgpr13
	s_and_not1_saveexec_b32 s0, s5
	s_cbranch_execnz .LBB268_38
	s_branch .LBB268_39
.LBB268_37:
	s_wait_alu 0xfffe
	s_and_not1_saveexec_b32 s0, s5
.LBB268_38:
	v_rndne_f32_e32 v10, v13
	s_delay_alu instid0(VALU_DEP_1) | instskip(SKIP_1) | instid1(VALU_DEP_2)
	v_fma_f32 v11, 0xbfc90fda, v10, |v3|
	v_cvt_i32_f32_e32 v12, v10
	v_fmamk_f32 v11, v10, 0xb3a22168, v11
	s_delay_alu instid0(VALU_DEP_1)
	v_fmamk_f32 v11, v10, 0xa7c234c4, v11
.LBB268_39:
	s_wait_alu 0xfffe
	s_or_b32 exec_lo, exec_lo, s0
	v_dual_mul_f32 v10, v1, v1 :: v_dual_lshlrev_b32 v13, 30, v2
	s_mov_b32 s0, 0xb94c1982
	s_mov_b32 s1, 0x37d75334
	s_wait_alu 0xfffe
	s_delay_alu instid0(VALU_DEP_1) | instskip(SKIP_3) | instid1(VALU_DEP_4)
	v_dual_mul_f32 v16, v5, v5 :: v_dual_fmaak_f32 v15, s1, v10, 0xbab64f3b
	v_dual_fmaak_f32 v14, s0, v10, 0x3c0881c4 :: v_dual_and_b32 v17, 1, v7
	v_and_b32_e32 v2, 1, v2
	v_and_b32_e32 v13, 0x80000000, v13
	v_fmaak_f32 v15, v10, v15, 0x3d2aabf7
	s_delay_alu instid0(VALU_DEP_4) | instskip(SKIP_2) | instid1(VALU_DEP_3)
	v_dual_fmaak_f32 v14, v10, v14, 0xbe2aaa9d :: v_dual_lshlrev_b32 v7, 30, v7
	v_fmaak_f32 v19, s1, v16, 0xbab64f3b
	v_cmp_eq_u32_e32 vcc_lo, 0, v2
	v_mul_f32_e32 v14, v10, v14
	v_fmaak_f32 v18, s0, v16, 0x3c0881c4
	s_delay_alu instid0(VALU_DEP_4) | instskip(NEXT) | instid1(VALU_DEP_3)
	v_fmaak_f32 v19, v16, v19, 0x3d2aabf7
	v_fmac_f32_e32 v1, v1, v14
	s_delay_alu instid0(VALU_DEP_3) | instskip(NEXT) | instid1(VALU_DEP_1)
	v_fmaak_f32 v18, v16, v18, 0xbe2aaa9d
	v_dual_fmaak_f32 v15, v10, v15, 0xbf000004 :: v_dual_mul_f32 v14, v16, v18
	s_delay_alu instid0(VALU_DEP_1) | instskip(NEXT) | instid1(VALU_DEP_2)
	v_fma_f32 v10, v10, v15, 1.0
	v_fmac_f32_e32 v5, v5, v14
	s_wait_alu 0xfffd
	s_delay_alu instid0(VALU_DEP_2) | instskip(SKIP_3) | instid1(VALU_DEP_3)
	v_dual_cndmask_b32 v1, v10, v1 :: v_dual_mul_f32 v10, v8, v8
	v_xor_b32_e32 v0, v0, v13
	v_mul_f32_e32 v13, v11, v11
	v_cmp_eq_u32_e32 vcc_lo, 0, v17
	v_xor3_b32 v0, v0, v1, v4
	s_delay_alu instid0(VALU_DEP_3) | instskip(NEXT) | instid1(VALU_DEP_1)
	v_fmaak_f32 v14, s0, v13, 0x3c0881c4
	v_fmaak_f32 v14, v13, v14, 0xbe2aaa9d
	s_delay_alu instid0(VALU_DEP_1) | instskip(NEXT) | instid1(VALU_DEP_1)
	v_dual_fmaak_f32 v15, v16, v19, 0xbf000004 :: v_dual_mul_f32 v14, v13, v14
	v_fma_f32 v2, v16, v15, 1.0
	v_lshlrev_b32_e32 v16, 30, v9
	v_and_b32_e32 v9, 1, v9
	s_wait_alu 0xfffd
	s_delay_alu instid0(VALU_DEP_3)
	v_cndmask_b32_e64 v1, -v5, v2, vcc_lo
	v_fmaak_f32 v5, s0, v10, 0x3c0881c4
	v_and_b32_e32 v2, 0x80000000, v7
	v_and_b32_e32 v16, 0x80000000, v16
	v_fmaak_f32 v15, s1, v13, 0xbab64f3b
	v_cmp_eq_u32_e32 vcc_lo, 0, v9
	v_fmaak_f32 v5, v10, v5, 0xbe2aaa9d
	v_xor_b32_e32 v1, v2, v1
	v_xor_b32_e32 v6, v6, v16
	v_cmp_class_f32_e64 s0, v3, 0x1f8
	s_delay_alu instid0(VALU_DEP_4) | instskip(NEXT) | instid1(VALU_DEP_1)
	v_mul_f32_e32 v5, v10, v5
	v_dual_fmaak_f32 v7, s1, v10, 0xbab64f3b :: v_dual_fmac_f32 v8, v8, v5
	s_delay_alu instid0(VALU_DEP_1) | instskip(NEXT) | instid1(VALU_DEP_1)
	v_fmaak_f32 v7, v10, v7, 0x3d2aabf7
	v_fmaak_f32 v7, v10, v7, 0xbf000004
	s_delay_alu instid0(VALU_DEP_1)
	v_fma_f32 v5, v10, v7, 1.0
	v_and_b32_e32 v10, 1, v12
	v_dual_fmaak_f32 v15, v13, v15, 0x3d2aabf7 :: v_dual_lshlrev_b32 v12, 30, v12
	v_fmac_f32_e32 v11, v11, v14
	s_wait_alu 0xfffd
	v_cndmask_b32_e32 v5, v5, v8, vcc_lo
	v_cmp_eq_u32_e32 vcc_lo, 0, v10
	v_and_b32_e32 v8, 0x80000000, v12
	v_fmaak_f32 v15, v13, v15, 0xbf000004
	s_delay_alu instid0(VALU_DEP_1) | instskip(SKIP_1) | instid1(VALU_DEP_1)
	v_fma_f32 v7, v13, v15, 1.0
	s_wait_alu 0xfffd
	v_cndmask_b32_e64 v7, -v11, v7, vcc_lo
	v_cmp_class_f32_e64 vcc_lo, v4, 0x1f8
	s_wait_alu 0xfffd
	v_cndmask_b32_e32 v1, 0x7fc00000, v1, vcc_lo
	v_cndmask_b32_e32 v0, 0x7fc00000, v0, vcc_lo
	s_delay_alu instid0(VALU_DEP_2) | instskip(SKIP_4) | instid1(VALU_DEP_3)
	v_mul_f32_e32 v4, 0x7f800000, v1
	v_xor3_b32 v2, v6, v5, v3
	v_xor_b32_e32 v3, v8, v7
	v_cmp_neq_f32_e32 vcc_lo, 0, v1
	s_wait_alu 0xf1ff
	v_cndmask_b32_e64 v2, 0x7fc00000, v2, s0
	s_delay_alu instid0(VALU_DEP_3) | instskip(SKIP_3) | instid1(VALU_DEP_3)
	v_cndmask_b32_e64 v3, 0x7fc00000, v3, s0
	s_wait_alu 0xfffd
	v_cndmask_b32_e32 v1, 0, v4, vcc_lo
	v_mul_f32_e32 v4, 0x7f800000, v0
	v_dual_mul_f32 v6, 0x7f800000, v2 :: v_dual_mul_f32 v5, 0x7f800000, v3
	v_cmp_neq_f32_e32 vcc_lo, 0, v3
	s_wait_alu 0xfffd
	s_delay_alu instid0(VALU_DEP_2) | instskip(SKIP_2) | instid1(VALU_DEP_2)
	v_cndmask_b32_e32 v3, 0, v5, vcc_lo
	v_cmp_neq_f32_e32 vcc_lo, 0, v0
	s_wait_alu 0xfffd
	v_dual_add_f32 v1, v1, v3 :: v_dual_cndmask_b32 v0, 0, v4
	v_cmp_neq_f32_e32 vcc_lo, 0, v2
	s_wait_alu 0xfffd
	s_delay_alu instid0(VALU_DEP_2) | instskip(NEXT) | instid1(VALU_DEP_1)
	v_dual_add_f32 v5, -1.0, v1 :: v_dual_cndmask_b32 v2, 0, v6
	v_add_f32_e32 v0, v0, v2
	s_delay_alu instid0(VALU_DEP_1) | instskip(NEXT) | instid1(VALU_DEP_1)
	v_max_num_f32_e64 v3, |v5|, |v0|
	v_cvt_f64_f32_e32 v[1:2], v3
	v_cmp_eq_f32_e32 vcc_lo, 0x7f800000, v3
	s_delay_alu instid0(VALU_DEP_2) | instskip(NEXT) | instid1(VALU_DEP_1)
	v_frexp_exp_i32_f64_e32 v1, v[1:2]
	v_sub_nc_u32_e32 v2, 0, v1
	s_delay_alu instid0(VALU_DEP_1) | instskip(SKIP_1) | instid1(VALU_DEP_2)
	v_ldexp_f32 v4, |v0|, v2
	v_ldexp_f32 v2, |v5|, v2
	v_mul_f32_e32 v4, v4, v4
	s_delay_alu instid0(VALU_DEP_1) | instskip(NEXT) | instid1(VALU_DEP_1)
	v_fmac_f32_e32 v4, v2, v2
	v_sqrt_f32_e32 v2, v4
	s_delay_alu instid0(TRANS32_DEP_1) | instskip(SKIP_1) | instid1(VALU_DEP_2)
	v_ldexp_f32 v2, v2, v1
	v_add_f32_e32 v1, 1.0, v5
	v_cmp_ngt_f32_e64 s0, 0.5, v2
	s_delay_alu instid0(VALU_DEP_2)
	v_max_num_f32_e64 v2, |v1|, |v0|
	s_or_b32 s0, vcc_lo, s0
	s_wait_alu 0xfffe
	s_and_saveexec_b32 s1, s0
	s_wait_alu 0xfffe
	s_xor_b32 s1, exec_lo, s1
	s_cbranch_execz .LBB268_41
; %bb.40:
	v_cvt_f64_f32_e32 v[3:4], v2
	v_cmp_neq_f32_e32 vcc_lo, 0x7f800000, v2
	s_delay_alu instid0(VALU_DEP_2) | instskip(NEXT) | instid1(VALU_DEP_1)
	v_frexp_exp_i32_f64_e32 v3, v[3:4]
	v_sub_nc_u32_e32 v4, 0, v3
	s_delay_alu instid0(VALU_DEP_1) | instskip(SKIP_1) | instid1(VALU_DEP_2)
	v_ldexp_f32 v5, |v0|, v4
	v_ldexp_f32 v4, |v1|, v4
	v_mul_f32_e32 v5, v5, v5
	s_delay_alu instid0(VALU_DEP_1) | instskip(NEXT) | instid1(VALU_DEP_1)
	v_fmac_f32_e32 v5, v4, v4
	v_sqrt_f32_e32 v4, v5
	s_delay_alu instid0(TRANS32_DEP_1) | instskip(SKIP_1) | instid1(VALU_DEP_1)
	v_ldexp_f32 v3, v4, v3
	s_wait_alu 0xfffd
	v_cndmask_b32_e32 v3, 0x7f800000, v3, vcc_lo
	s_delay_alu instid0(VALU_DEP_1) | instskip(SKIP_2) | instid1(VALU_DEP_1)
	v_cmp_gt_f32_e32 vcc_lo, 0x800000, v3
	s_wait_alu 0xfffd
	v_cndmask_b32_e64 v4, 0, 32, vcc_lo
	v_ldexp_f32 v3, v3, v4
	s_delay_alu instid0(VALU_DEP_1) | instskip(NEXT) | instid1(TRANS32_DEP_1)
	v_log_f32_e32 v3, v3
	v_mul_f32_e32 v4, 0x3f317217, v3
	v_cmp_gt_f32_e64 s0, 0x7f800000, |v3|
	s_delay_alu instid0(VALU_DEP_2) | instskip(NEXT) | instid1(VALU_DEP_1)
	v_fma_f32 v4, 0x3f317217, v3, -v4
	v_fmamk_f32 v4, v3, 0x3377d1cf, v4
	s_delay_alu instid0(VALU_DEP_1) | instskip(SKIP_1) | instid1(VALU_DEP_1)
	v_fmac_f32_e32 v4, 0x3f317217, v3
	s_wait_alu 0xf1ff
	v_cndmask_b32_e64 v3, v3, v4, s0
	v_cndmask_b32_e64 v4, 0, 0x41b17218, vcc_lo
	s_delay_alu instid0(VALU_DEP_1)
	v_sub_f32_e32 v5, v3, v4
.LBB268_41:
	s_wait_alu 0xfffe
	s_and_not1_saveexec_b32 s0, s1
	s_cbranch_execz .LBB268_45
; %bb.42:
	s_delay_alu instid0(VALU_DEP_1) | instskip(SKIP_1) | instid1(VALU_DEP_1)
	v_add_f32_e32 v3, 2.0, v5
	s_mov_b32 s1, exec_lo
	v_mul_f32_e32 v3, v5, v3
	s_delay_alu instid0(VALU_DEP_1) | instskip(NEXT) | instid1(VALU_DEP_1)
	v_fmac_f32_e32 v3, v0, v0
	v_cmpx_neq_f32_e32 0, v3
	s_cbranch_execz .LBB268_44
; %bb.43:
	v_add_f32_e32 v6, 1.0, v3
	s_mov_b32 s5, 0x3e9b6dac
	s_delay_alu instid0(VALU_DEP_1) | instskip(NEXT) | instid1(VALU_DEP_1)
	v_cvt_f64_f32_e32 v[4:5], v6
	v_frexp_exp_i32_f64_e32 v4, v[4:5]
	v_frexp_mant_f32_e32 v5, v6
	s_delay_alu instid0(VALU_DEP_1) | instskip(SKIP_1) | instid1(VALU_DEP_1)
	v_cmp_gt_f32_e32 vcc_lo, 0x3f2aaaab, v5
	v_add_f32_e32 v5, -1.0, v6
	v_sub_f32_e32 v8, v5, v6
	s_delay_alu instid0(VALU_DEP_1) | instskip(SKIP_3) | instid1(VALU_DEP_2)
	v_dual_add_f32 v8, 1.0, v8 :: v_dual_sub_f32 v5, v3, v5
	s_wait_alu 0xfffd
	v_subrev_co_ci_u32_e64 v4, null, 0, v4, vcc_lo
	v_cmp_neq_f32_e32 vcc_lo, 0x7f800000, v3
	v_sub_nc_u32_e32 v7, 0, v4
	v_cvt_f32_i32_e32 v4, v4
	s_delay_alu instid0(VALU_DEP_2) | instskip(NEXT) | instid1(VALU_DEP_1)
	v_ldexp_f32 v6, v6, v7
	v_add_f32_e32 v9, 1.0, v6
	s_delay_alu instid0(VALU_DEP_1) | instskip(NEXT) | instid1(VALU_DEP_1)
	v_dual_add_f32 v5, v5, v8 :: v_dual_add_f32 v8, -1.0, v9
	v_ldexp_f32 v5, v5, v7
	s_delay_alu instid0(VALU_DEP_2) | instskip(NEXT) | instid1(VALU_DEP_1)
	v_dual_sub_f32 v8, v6, v8 :: v_dual_add_f32 v7, -1.0, v6
	v_add_f32_e32 v8, v5, v8
	s_delay_alu instid0(VALU_DEP_2) | instskip(NEXT) | instid1(VALU_DEP_1)
	v_add_f32_e32 v10, 1.0, v7
	v_sub_f32_e32 v6, v6, v10
	s_delay_alu instid0(VALU_DEP_1) | instskip(NEXT) | instid1(VALU_DEP_1)
	v_add_f32_e32 v5, v5, v6
	v_dual_add_f32 v11, v7, v5 :: v_dual_add_f32 v10, v9, v8
	s_delay_alu instid0(VALU_DEP_1) | instskip(NEXT) | instid1(VALU_DEP_2)
	v_sub_f32_e32 v7, v11, v7
	v_rcp_f32_e32 v6, v10
	v_sub_f32_e32 v9, v10, v9
	s_delay_alu instid0(VALU_DEP_1) | instskip(NEXT) | instid1(TRANS32_DEP_1)
	v_dual_sub_f32 v5, v5, v7 :: v_dual_sub_f32 v8, v8, v9
	v_mul_f32_e32 v12, v11, v6
	s_delay_alu instid0(VALU_DEP_1) | instskip(NEXT) | instid1(VALU_DEP_1)
	v_mul_f32_e32 v13, v10, v12
	v_fma_f32 v9, v12, v10, -v13
	s_delay_alu instid0(VALU_DEP_1) | instskip(NEXT) | instid1(VALU_DEP_1)
	v_fmac_f32_e32 v9, v12, v8
	v_add_f32_e32 v14, v13, v9
	s_delay_alu instid0(VALU_DEP_1) | instskip(SKIP_1) | instid1(VALU_DEP_2)
	v_sub_f32_e32 v15, v11, v14
	v_sub_f32_e32 v7, v14, v13
	;; [unrolled: 1-line block ×3, first 2 shown]
	s_delay_alu instid0(VALU_DEP_2) | instskip(NEXT) | instid1(VALU_DEP_2)
	v_sub_f32_e32 v7, v7, v9
	v_sub_f32_e32 v11, v11, v14
	s_delay_alu instid0(VALU_DEP_1) | instskip(NEXT) | instid1(VALU_DEP_1)
	v_add_f32_e32 v5, v5, v11
	v_add_f32_e32 v5, v7, v5
	s_delay_alu instid0(VALU_DEP_1) | instskip(NEXT) | instid1(VALU_DEP_1)
	v_add_f32_e32 v7, v15, v5
	v_mul_f32_e32 v9, v6, v7
	s_delay_alu instid0(VALU_DEP_1) | instskip(NEXT) | instid1(VALU_DEP_1)
	v_dual_sub_f32 v14, v15, v7 :: v_dual_mul_f32 v11, v10, v9
	v_add_f32_e32 v5, v5, v14
	s_delay_alu instid0(VALU_DEP_2) | instskip(NEXT) | instid1(VALU_DEP_1)
	v_fma_f32 v10, v9, v10, -v11
	v_fmac_f32_e32 v10, v9, v8
	s_delay_alu instid0(VALU_DEP_1) | instskip(NEXT) | instid1(VALU_DEP_1)
	v_add_f32_e32 v8, v11, v10
	v_sub_f32_e32 v13, v7, v8
	v_sub_f32_e32 v11, v8, v11
	s_delay_alu instid0(VALU_DEP_2) | instskip(NEXT) | instid1(VALU_DEP_1)
	v_sub_f32_e32 v7, v7, v13
	v_sub_f32_e32 v7, v7, v8
	s_delay_alu instid0(VALU_DEP_1) | instskip(SKIP_1) | instid1(VALU_DEP_1)
	v_dual_sub_f32 v8, v11, v10 :: v_dual_add_f32 v5, v5, v7
	v_add_f32_e32 v7, v12, v9
	v_dual_add_f32 v5, v8, v5 :: v_dual_sub_f32 v8, v7, v12
	s_delay_alu instid0(VALU_DEP_1) | instskip(NEXT) | instid1(VALU_DEP_1)
	v_add_f32_e32 v5, v13, v5
	v_dual_sub_f32 v8, v9, v8 :: v_dual_mul_f32 v5, v6, v5
	s_delay_alu instid0(VALU_DEP_1) | instskip(NEXT) | instid1(VALU_DEP_1)
	v_add_f32_e32 v5, v8, v5
	v_add_f32_e32 v6, v7, v5
	s_delay_alu instid0(VALU_DEP_1) | instskip(SKIP_1) | instid1(VALU_DEP_1)
	v_mul_f32_e32 v8, v6, v6
	s_wait_alu 0xfffe
	v_fmaak_f32 v9, s5, v8, 0x3ecc95a3
	v_mul_f32_e32 v10, v6, v8
	s_delay_alu instid0(VALU_DEP_2) | instskip(SKIP_2) | instid1(VALU_DEP_3)
	v_fmaak_f32 v8, v8, v9, 0x3f2aaada
	v_ldexp_f32 v9, v6, 1
	v_sub_f32_e32 v6, v6, v7
	v_mul_f32_e32 v8, v10, v8
	s_delay_alu instid0(VALU_DEP_2) | instskip(NEXT) | instid1(VALU_DEP_2)
	v_dual_mul_f32 v10, 0x3f317218, v4 :: v_dual_sub_f32 v5, v5, v6
	v_add_f32_e32 v7, v9, v8
	s_delay_alu instid0(VALU_DEP_2) | instskip(NEXT) | instid1(VALU_DEP_2)
	v_ldexp_f32 v5, v5, 1
	v_sub_f32_e32 v6, v7, v9
	s_delay_alu instid0(VALU_DEP_4) | instskip(NEXT) | instid1(VALU_DEP_2)
	v_fma_f32 v9, 0x3f317218, v4, -v10
	v_sub_f32_e32 v6, v8, v6
	s_delay_alu instid0(VALU_DEP_1) | instskip(NEXT) | instid1(VALU_DEP_1)
	v_dual_fmamk_f32 v4, v4, 0xb102e308, v9 :: v_dual_add_f32 v5, v5, v6
	v_add_f32_e32 v6, v10, v4
	s_delay_alu instid0(VALU_DEP_2) | instskip(NEXT) | instid1(VALU_DEP_2)
	v_add_f32_e32 v8, v7, v5
	v_sub_f32_e32 v10, v6, v10
	s_delay_alu instid0(VALU_DEP_2) | instskip(SKIP_1) | instid1(VALU_DEP_3)
	v_add_f32_e32 v9, v6, v8
	v_sub_f32_e32 v7, v8, v7
	v_sub_f32_e32 v4, v4, v10
	s_delay_alu instid0(VALU_DEP_3) | instskip(NEXT) | instid1(VALU_DEP_3)
	v_sub_f32_e32 v11, v9, v6
	v_sub_f32_e32 v5, v5, v7
	s_delay_alu instid0(VALU_DEP_2) | instskip(SKIP_1) | instid1(VALU_DEP_3)
	v_sub_f32_e32 v12, v9, v11
	v_sub_f32_e32 v7, v8, v11
	v_add_f32_e32 v8, v4, v5
	s_delay_alu instid0(VALU_DEP_3) | instskip(NEXT) | instid1(VALU_DEP_1)
	v_sub_f32_e32 v6, v6, v12
	v_dual_add_f32 v6, v7, v6 :: v_dual_sub_f32 v7, v8, v4
	s_delay_alu instid0(VALU_DEP_1) | instskip(NEXT) | instid1(VALU_DEP_2)
	v_add_f32_e32 v6, v8, v6
	v_sub_f32_e32 v8, v8, v7
	s_delay_alu instid0(VALU_DEP_2) | instskip(NEXT) | instid1(VALU_DEP_2)
	v_add_f32_e32 v10, v9, v6
	v_dual_sub_f32 v4, v4, v8 :: v_dual_sub_f32 v5, v5, v7
	s_delay_alu instid0(VALU_DEP_1) | instskip(NEXT) | instid1(VALU_DEP_1)
	v_dual_sub_f32 v7, v10, v9 :: v_dual_add_f32 v4, v5, v4
	v_sub_f32_e32 v5, v6, v7
	s_delay_alu instid0(VALU_DEP_1) | instskip(NEXT) | instid1(VALU_DEP_1)
	v_add_f32_e32 v4, v4, v5
	v_add_f32_e32 v4, v10, v4
	s_wait_alu 0xfffd
	s_delay_alu instid0(VALU_DEP_1) | instskip(SKIP_2) | instid1(VALU_DEP_2)
	v_cndmask_b32_e32 v4, 0x7f800000, v4, vcc_lo
	v_cmp_ngt_f32_e32 vcc_lo, -1.0, v3
	s_wait_alu 0xfffd
	v_cndmask_b32_e32 v4, 0x7fc00000, v4, vcc_lo
	v_cmp_neq_f32_e32 vcc_lo, -1.0, v3
	s_wait_alu 0xfffd
	s_delay_alu instid0(VALU_DEP_2) | instskip(SKIP_2) | instid1(VALU_DEP_2)
	v_cndmask_b32_e32 v4, 0xff800000, v4, vcc_lo
	v_cmp_gt_f32_e64 vcc_lo, 0x33800000, |v3|
	s_wait_alu 0xfffd
	v_cndmask_b32_e32 v3, v4, v3, vcc_lo
	s_delay_alu instid0(VALU_DEP_1)
	v_mul_f32_e32 v5, 0.5, v3
.LBB268_44:
	s_wait_alu 0xfffe
	s_or_b32 exec_lo, exec_lo, s1
.LBB268_45:
	s_wait_alu 0xfffe
	s_or_b32 exec_lo, exec_lo, s0
	v_max_num_f32_e64 v3, |v0|, |v0|
	v_max_num_f32_e64 v4, |v1|, |v1|
	v_frexp_mant_f32_e32 v6, v2
	v_frexp_exp_i32_f32_e32 v2, v2
	s_mov_b32 s0, 0x3b2d2a58
	v_cmp_gt_f32_e64 vcc_lo, |v0|, |v1|
	v_min_num_f32_e32 v3, v4, v3
	v_rcp_f32_e32 v4, v6
	v_cmp_class_f32_e64 s1, v1, 0x204
	s_delay_alu instid0(VALU_DEP_2)
	v_frexp_mant_f32_e32 v6, v3
	s_delay_alu instid0(TRANS32_DEP_1) | instid1(VALU_DEP_1)
	v_mul_f32_e32 v4, v6, v4
	v_frexp_exp_i32_f32_e32 v3, v3
	s_delay_alu instid0(VALU_DEP_1) | instskip(NEXT) | instid1(VALU_DEP_1)
	v_sub_nc_u32_e32 v2, v3, v2
	v_ldexp_f32 v2, v4, v2
	s_delay_alu instid0(VALU_DEP_1) | instskip(SKIP_1) | instid1(VALU_DEP_1)
	v_mul_f32_e32 v3, v2, v2
	s_wait_alu 0xfffe
	v_fmaak_f32 v4, s0, v3, 0xbc7a590c
	v_cmp_gt_i32_e64 s0, 0, v1
	s_delay_alu instid0(VALU_DEP_2) | instskip(SKIP_1) | instid1(VALU_DEP_2)
	v_fmaak_f32 v4, v3, v4, 0x3d29fb3f
	s_wait_alu 0xf1ff
	v_cndmask_b32_e64 v6, 0, 0x40490fdb, s0
	v_cmp_class_f32_e64 s0, v0, 0x204
	s_delay_alu instid0(VALU_DEP_3) | instskip(NEXT) | instid1(VALU_DEP_1)
	v_fmaak_f32 v4, v3, v4, 0xbd97d4d7
	v_fmaak_f32 v4, v3, v4, 0x3dd931b2
	s_delay_alu instid0(VALU_DEP_1) | instskip(NEXT) | instid1(VALU_DEP_1)
	v_fmaak_f32 v4, v3, v4, 0xbe1160e6
	v_fmaak_f32 v4, v3, v4, 0x3e4cb8bf
	s_delay_alu instid0(VALU_DEP_1) | instskip(NEXT) | instid1(VALU_DEP_1)
	v_fmaak_f32 v4, v3, v4, 0xbeaaaa62
	v_mul_f32_e32 v3, v3, v4
	s_delay_alu instid0(VALU_DEP_1) | instskip(NEXT) | instid1(VALU_DEP_1)
	v_fmac_f32_e32 v2, v2, v3
	v_sub_f32_e32 v3, 0x3fc90fdb, v2
	s_wait_alu 0xfffd
	s_delay_alu instid0(VALU_DEP_1) | instskip(SKIP_1) | instid1(VALU_DEP_2)
	v_dual_cndmask_b32 v2, v2, v3 :: v_dual_mov_b32 v3, 0x4016cbe4
	v_cmp_gt_f32_e32 vcc_lo, 0, v1
	v_sub_f32_e32 v4, 0x40490fdb, v2
	s_wait_alu 0xfffd
	s_delay_alu instid0(VALU_DEP_3) | instskip(NEXT) | instid1(VALU_DEP_2)
	v_cndmask_b32_e32 v3, 0x3f490fdb, v3, vcc_lo
	v_cndmask_b32_e32 v2, v2, v4, vcc_lo
	v_cmp_eq_f32_e32 vcc_lo, 0, v0
	s_wait_alu 0xfffd
	s_delay_alu instid0(VALU_DEP_2) | instskip(SKIP_2) | instid1(VALU_DEP_1)
	v_cndmask_b32_e32 v2, v2, v6, vcc_lo
	s_and_b32 vcc_lo, s0, s1
	s_wait_alu 0xfffe
	v_cndmask_b32_e32 v2, v2, v3, vcc_lo
	v_cmp_o_f32_e32 vcc_lo, v1, v0
	s_wait_alu 0xfffd
	s_delay_alu instid0(VALU_DEP_2) | instskip(NEXT) | instid1(VALU_DEP_1)
	v_cndmask_b32_e32 v1, 0x7fc00000, v2, vcc_lo
	v_bfi_b32 v4, 0x7fffffff, v1, v0
.LBB268_46:
	s_wait_alu 0xfffe
	s_or_b32 exec_lo, exec_lo, s4
.LBB268_47:
	s_wait_alu 0xfffe
	s_or_b32 exec_lo, exec_lo, s3
	v_dual_mov_b32 v0, v5 :: v_dual_mov_b32 v1, v4
.LBB268_48:
	s_wait_alu 0xfffe
	s_or_b32 exec_lo, exec_lo, s2
	s_setpc_b64 s[30:31]
.Lfunc_end268:
	.size	_ZZZZN2at6native31launch_logcumsumexp_cuda_kernelERKNS_10TensorBaseES3_lENKUlvE_clEvENKUlvE2_clEvENKUlN3c107complexIfEES8_E_clES8_S8_, .Lfunc_end268-_ZZZZN2at6native31launch_logcumsumexp_cuda_kernelERKNS_10TensorBaseES3_lENKUlvE_clEvENKUlvE2_clEvENKUlN3c107complexIfEES8_E_clES8_S8_
                                        ; -- End function
	.set .L_ZZZZN2at6native31launch_logcumsumexp_cuda_kernelERKNS_10TensorBaseES3_lENKUlvE_clEvENKUlvE2_clEvENKUlN3c107complexIfEES8_E_clES8_S8_.num_vgpr, 22
	.set .L_ZZZZN2at6native31launch_logcumsumexp_cuda_kernelERKNS_10TensorBaseES3_lENKUlvE_clEvENKUlvE2_clEvENKUlN3c107complexIfEES8_E_clES8_S8_.num_agpr, 0
	.set .L_ZZZZN2at6native31launch_logcumsumexp_cuda_kernelERKNS_10TensorBaseES3_lENKUlvE_clEvENKUlvE2_clEvENKUlN3c107complexIfEES8_E_clES8_S8_.numbered_sgpr, 32
	.set .L_ZZZZN2at6native31launch_logcumsumexp_cuda_kernelERKNS_10TensorBaseES3_lENKUlvE_clEvENKUlvE2_clEvENKUlN3c107complexIfEES8_E_clES8_S8_.num_named_barrier, 0
	.set .L_ZZZZN2at6native31launch_logcumsumexp_cuda_kernelERKNS_10TensorBaseES3_lENKUlvE_clEvENKUlvE2_clEvENKUlN3c107complexIfEES8_E_clES8_S8_.private_seg_size, 0
	.set .L_ZZZZN2at6native31launch_logcumsumexp_cuda_kernelERKNS_10TensorBaseES3_lENKUlvE_clEvENKUlvE2_clEvENKUlN3c107complexIfEES8_E_clES8_S8_.uses_vcc, 1
	.set .L_ZZZZN2at6native31launch_logcumsumexp_cuda_kernelERKNS_10TensorBaseES3_lENKUlvE_clEvENKUlvE2_clEvENKUlN3c107complexIfEES8_E_clES8_S8_.uses_flat_scratch, 0
	.set .L_ZZZZN2at6native31launch_logcumsumexp_cuda_kernelERKNS_10TensorBaseES3_lENKUlvE_clEvENKUlvE2_clEvENKUlN3c107complexIfEES8_E_clES8_S8_.has_dyn_sized_stack, 0
	.set .L_ZZZZN2at6native31launch_logcumsumexp_cuda_kernelERKNS_10TensorBaseES3_lENKUlvE_clEvENKUlvE2_clEvENKUlN3c107complexIfEES8_E_clES8_S8_.has_recursion, 0
	.set .L_ZZZZN2at6native31launch_logcumsumexp_cuda_kernelERKNS_10TensorBaseES3_lENKUlvE_clEvENKUlvE2_clEvENKUlN3c107complexIfEES8_E_clES8_S8_.has_indirect_call, 0
	.section	.AMDGPU.csdata,"",@progbits
; Function info:
; codeLenInByte = 9104
; TotalNumSgprs: 34
; NumVgprs: 22
; ScratchSize: 0
; MemoryBound: 0
	.section	.text._ZN7rocprim17ROCPRIM_400000_NS6detail17trampoline_kernelINS0_14default_configENS1_20scan_config_selectorIN3c107complexIfEEEEZZNS1_9scan_implILNS1_25lookback_scan_determinismE0ELb0ELb0ES3_PKS7_PS7_S7_ZZZN2at6native31launch_logcumsumexp_cuda_kernelERKNSE_10TensorBaseESI_lENKUlvE_clEvENKUlvE2_clEvEUlS7_S7_E_S7_EEDaPvRmT3_T4_T5_mT6_P12ihipStream_tbENKUlT_T0_E_clISt17integral_constantIbLb0EESZ_EEDaSU_SV_EUlSU_E_NS1_11comp_targetILNS1_3genE10ELNS1_11target_archE1201ELNS1_3gpuE5ELNS1_3repE0EEENS1_30default_config_static_selectorELNS0_4arch9wavefront6targetE0EEEvT1_,"axG",@progbits,_ZN7rocprim17ROCPRIM_400000_NS6detail17trampoline_kernelINS0_14default_configENS1_20scan_config_selectorIN3c107complexIfEEEEZZNS1_9scan_implILNS1_25lookback_scan_determinismE0ELb0ELb0ES3_PKS7_PS7_S7_ZZZN2at6native31launch_logcumsumexp_cuda_kernelERKNSE_10TensorBaseESI_lENKUlvE_clEvENKUlvE2_clEvEUlS7_S7_E_S7_EEDaPvRmT3_T4_T5_mT6_P12ihipStream_tbENKUlT_T0_E_clISt17integral_constantIbLb0EESZ_EEDaSU_SV_EUlSU_E_NS1_11comp_targetILNS1_3genE10ELNS1_11target_archE1201ELNS1_3gpuE5ELNS1_3repE0EEENS1_30default_config_static_selectorELNS0_4arch9wavefront6targetE0EEEvT1_,comdat
	.globl	_ZN7rocprim17ROCPRIM_400000_NS6detail17trampoline_kernelINS0_14default_configENS1_20scan_config_selectorIN3c107complexIfEEEEZZNS1_9scan_implILNS1_25lookback_scan_determinismE0ELb0ELb0ES3_PKS7_PS7_S7_ZZZN2at6native31launch_logcumsumexp_cuda_kernelERKNSE_10TensorBaseESI_lENKUlvE_clEvENKUlvE2_clEvEUlS7_S7_E_S7_EEDaPvRmT3_T4_T5_mT6_P12ihipStream_tbENKUlT_T0_E_clISt17integral_constantIbLb0EESZ_EEDaSU_SV_EUlSU_E_NS1_11comp_targetILNS1_3genE10ELNS1_11target_archE1201ELNS1_3gpuE5ELNS1_3repE0EEENS1_30default_config_static_selectorELNS0_4arch9wavefront6targetE0EEEvT1_ ; -- Begin function _ZN7rocprim17ROCPRIM_400000_NS6detail17trampoline_kernelINS0_14default_configENS1_20scan_config_selectorIN3c107complexIfEEEEZZNS1_9scan_implILNS1_25lookback_scan_determinismE0ELb0ELb0ES3_PKS7_PS7_S7_ZZZN2at6native31launch_logcumsumexp_cuda_kernelERKNSE_10TensorBaseESI_lENKUlvE_clEvENKUlvE2_clEvEUlS7_S7_E_S7_EEDaPvRmT3_T4_T5_mT6_P12ihipStream_tbENKUlT_T0_E_clISt17integral_constantIbLb0EESZ_EEDaSU_SV_EUlSU_E_NS1_11comp_targetILNS1_3genE10ELNS1_11target_archE1201ELNS1_3gpuE5ELNS1_3repE0EEENS1_30default_config_static_selectorELNS0_4arch9wavefront6targetE0EEEvT1_
	.p2align	8
	.type	_ZN7rocprim17ROCPRIM_400000_NS6detail17trampoline_kernelINS0_14default_configENS1_20scan_config_selectorIN3c107complexIfEEEEZZNS1_9scan_implILNS1_25lookback_scan_determinismE0ELb0ELb0ES3_PKS7_PS7_S7_ZZZN2at6native31launch_logcumsumexp_cuda_kernelERKNSE_10TensorBaseESI_lENKUlvE_clEvENKUlvE2_clEvEUlS7_S7_E_S7_EEDaPvRmT3_T4_T5_mT6_P12ihipStream_tbENKUlT_T0_E_clISt17integral_constantIbLb0EESZ_EEDaSU_SV_EUlSU_E_NS1_11comp_targetILNS1_3genE10ELNS1_11target_archE1201ELNS1_3gpuE5ELNS1_3repE0EEENS1_30default_config_static_selectorELNS0_4arch9wavefront6targetE0EEEvT1_,@function
_ZN7rocprim17ROCPRIM_400000_NS6detail17trampoline_kernelINS0_14default_configENS1_20scan_config_selectorIN3c107complexIfEEEEZZNS1_9scan_implILNS1_25lookback_scan_determinismE0ELb0ELb0ES3_PKS7_PS7_S7_ZZZN2at6native31launch_logcumsumexp_cuda_kernelERKNSE_10TensorBaseESI_lENKUlvE_clEvENKUlvE2_clEvEUlS7_S7_E_S7_EEDaPvRmT3_T4_T5_mT6_P12ihipStream_tbENKUlT_T0_E_clISt17integral_constantIbLb0EESZ_EEDaSU_SV_EUlSU_E_NS1_11comp_targetILNS1_3genE10ELNS1_11target_archE1201ELNS1_3gpuE5ELNS1_3repE0EEENS1_30default_config_static_selectorELNS0_4arch9wavefront6targetE0EEEvT1_: ; @_ZN7rocprim17ROCPRIM_400000_NS6detail17trampoline_kernelINS0_14default_configENS1_20scan_config_selectorIN3c107complexIfEEEEZZNS1_9scan_implILNS1_25lookback_scan_determinismE0ELb0ELb0ES3_PKS7_PS7_S7_ZZZN2at6native31launch_logcumsumexp_cuda_kernelERKNSE_10TensorBaseESI_lENKUlvE_clEvENKUlvE2_clEvEUlS7_S7_E_S7_EEDaPvRmT3_T4_T5_mT6_P12ihipStream_tbENKUlT_T0_E_clISt17integral_constantIbLb0EESZ_EEDaSU_SV_EUlSU_E_NS1_11comp_targetILNS1_3genE10ELNS1_11target_archE1201ELNS1_3gpuE5ELNS1_3repE0EEENS1_30default_config_static_selectorELNS0_4arch9wavefront6targetE0EEEvT1_
; %bb.0:
	s_mov_b64 s[8:9], s[0:1]
	s_clause 0x1
	s_load_b32 s0, s[0:1], 0x38
	s_load_b256 s[12:19], s[8:9], 0x0
	v_mov_b32_e32 v63, v0
	s_mov_b32 s1, 0
	s_lshl_b32 s2, ttmp9, 12
	s_mov_b32 s3, s1
	s_mov_b32 s4, -1
	v_lshlrev_b32_e32 v107, 3, v63
	v_lshrrev_b32_e32 v108, 2, v63
	v_or_b32_e32 v106, 0x100, v63
	v_or_b32_e32 v105, 0x200, v63
	;; [unrolled: 1-line block ×11, first 2 shown]
	s_wait_kmcnt 0x0
	s_add_co_i32 s5, s0, -1
	s_lshl_b64 s[14:15], s[14:15], 3
	s_lshl_b32 s0, s5, 12
	s_cmp_lg_u32 ttmp9, s5
	v_or_b32_e32 v95, 0xc00, v63
	v_or_b32_e32 v94, 0xd00, v63
	v_or_b32_e32 v93, 0xe00, v63
	v_or_b32_e32 v92, 0xf00, v63
	s_add_nc_u64 s[6:7], s[12:13], s[14:15]
	s_cselect_b32 s33, -1, 0
	s_lshl_b64 s[28:29], s[2:3], 3
	s_and_b32 vcc_lo, exec_lo, s33
	s_add_nc_u64 s[2:3], s[6:7], s[28:29]
	s_mov_b32 s32, 0
	s_cbranch_vccz .LBB269_2
; %bb.1:
	s_clause 0xf
	global_load_b64 v[0:1], v107, s[2:3]
	global_load_b64 v[2:3], v107, s[2:3] offset:2048
	global_load_b64 v[4:5], v107, s[2:3] offset:4096
	;; [unrolled: 1-line block ×15, first 2 shown]
	v_lshrrev_b32_e32 v33, 2, v106
	v_lshrrev_b32_e32 v34, 2, v105
	;; [unrolled: 1-line block ×4, first 2 shown]
	v_and_b32_e32 v32, 56, v108
	v_lshrrev_b32_e32 v37, 2, v102
	v_lshrrev_b32_e32 v38, 2, v101
	;; [unrolled: 1-line block ×11, first 2 shown]
	v_and_b32_e32 v33, 0x78, v33
	v_and_b32_e32 v34, 0xb8, v34
	;; [unrolled: 1-line block ×4, first 2 shown]
	v_add_nc_u32_e32 v32, v32, v107
	v_and_b32_e32 v37, 0x178, v37
	v_and_b32_e32 v38, 0x1b8, v38
	;; [unrolled: 1-line block ×11, first 2 shown]
	v_add_nc_u32_e32 v33, v33, v107
	v_add_nc_u32_e32 v34, v34, v107
	;; [unrolled: 1-line block ×4, first 2 shown]
	s_mov_b32 s4, s1
	v_add_nc_u32_e32 v37, v37, v107
	v_add_nc_u32_e32 v38, v38, v107
	v_add_nc_u32_e32 v39, v39, v107
	v_add_nc_u32_e32 v40, v40, v107
	v_add_nc_u32_e32 v41, v41, v107
	v_add_nc_u32_e32 v42, v42, v107
	v_add_nc_u32_e32 v43, v43, v107
	v_add_nc_u32_e32 v44, v44, v107
	v_add_nc_u32_e32 v45, v45, v107
	v_add_nc_u32_e32 v46, v46, v107
	v_add_nc_u32_e32 v47, v47, v107
	s_wait_loadcnt 0xf
	ds_store_b64 v32, v[0:1]
	s_wait_loadcnt 0xe
	ds_store_b64 v33, v[2:3] offset:2048
	s_wait_loadcnt 0xd
	ds_store_b64 v34, v[4:5] offset:4096
	;; [unrolled: 2-line block ×15, first 2 shown]
	s_wait_dscnt 0x0
	s_barrier_signal -1
	s_barrier_wait -1
.LBB269_2:
	s_sub_nc_u64 s[12:13], s[18:19], s[0:1]
	s_and_not1_b32 vcc_lo, exec_lo, s4
	v_cmp_gt_u32_e64 s0, s12, v63
	s_cbranch_vccnz .LBB269_36
; %bb.3:
	s_load_b64 s[4:5], s[2:3], 0x0
	s_wait_kmcnt 0x0
	v_dual_mov_b32 v1, s5 :: v_dual_mov_b32 v0, s4
	s_and_saveexec_b32 s1, s0
	s_cbranch_execz .LBB269_5
; %bb.4:
	global_load_b64 v[0:1], v107, s[2:3]
.LBB269_5:
	s_or_b32 exec_lo, exec_lo, s1
	v_dual_mov_b32 v3, s5 :: v_dual_mov_b32 v2, s4
	s_mov_b32 s0, exec_lo
	v_cmpx_gt_u32_e64 s12, v106
	s_cbranch_execz .LBB269_7
; %bb.6:
	global_load_b64 v[2:3], v107, s[2:3] offset:2048
.LBB269_7:
	s_or_b32 exec_lo, exec_lo, s0
	v_dual_mov_b32 v5, s5 :: v_dual_mov_b32 v4, s4
	s_mov_b32 s0, exec_lo
	v_cmpx_gt_u32_e64 s12, v105
	s_cbranch_execz .LBB269_9
; %bb.8:
	global_load_b64 v[4:5], v107, s[2:3] offset:4096
.LBB269_9:
	;; [unrolled: 8-line block ×15, first 2 shown]
	s_or_b32 exec_lo, exec_lo, s0
	v_lshrrev_b32_e32 v32, 2, v106
	v_lshrrev_b32_e32 v33, 2, v105
	;; [unrolled: 1-line block ×3, first 2 shown]
	v_and_b32_e32 v35, 56, v108
	v_lshrrev_b32_e32 v36, 2, v103
	v_and_b32_e32 v32, 0x78, v32
	v_and_b32_e32 v33, 0xf8, v33
	;; [unrolled: 1-line block ×3, first 2 shown]
	v_lshrrev_b32_e32 v37, 2, v102
	v_add_nc_u32_e32 v35, v35, v107
	v_add_nc_u32_e32 v32, v32, v107
	v_lshrrev_b32_e32 v38, 2, v101
	v_add_nc_u32_e32 v33, v33, v107
	v_lshrrev_b32_e32 v39, 2, v100
	v_add_nc_u32_e32 v34, v34, v107
	v_and_b32_e32 v36, 0x1f8, v36
	v_and_b32_e32 v37, 0x1f8, v37
	s_wait_loadcnt 0x0
	ds_store_b64 v35, v[0:1]
	ds_store_b64 v32, v[2:3] offset:2048
	ds_store_b64 v33, v[4:5] offset:4096
	;; [unrolled: 1-line block ×3, first 2 shown]
	v_lshrrev_b32_e32 v4, 2, v99
	v_and_b32_e32 v2, 0x1f8, v38
	v_lshrrev_b32_e32 v5, 2, v98
	v_and_b32_e32 v3, 0x1f8, v39
	v_add_nc_u32_e32 v0, v36, v107
	v_add_nc_u32_e32 v1, v37, v107
	v_and_b32_e32 v4, 0x3f8, v4
	v_add_nc_u32_e32 v2, v2, v107
	v_and_b32_e32 v5, 0x3f8, v5
	v_add_nc_u32_e32 v3, v3, v107
	v_lshrrev_b32_e32 v8, 2, v97
	ds_store_b64 v0, v[6:7] offset:8192
	ds_store_b64 v1, v[10:11] offset:10240
	;; [unrolled: 1-line block ×4, first 2 shown]
	v_lshrrev_b32_e32 v3, 2, v96
	v_add_nc_u32_e32 v0, v4, v107
	v_lshrrev_b32_e32 v4, 2, v95
	v_add_nc_u32_e32 v1, v5, v107
	v_lshrrev_b32_e32 v5, 2, v94
	v_lshrrev_b32_e32 v6, 2, v93
	;; [unrolled: 1-line block ×3, first 2 shown]
	v_and_b32_e32 v8, 0x3f8, v8
	v_and_b32_e32 v3, 0x3f8, v3
	;; [unrolled: 1-line block ×6, first 2 shown]
	v_add_nc_u32_e32 v2, v8, v107
	v_add_nc_u32_e32 v3, v3, v107
	;; [unrolled: 1-line block ×6, first 2 shown]
	ds_store_b64 v0, v[12:13] offset:16384
	ds_store_b64 v1, v[16:17] offset:18432
	;; [unrolled: 1-line block ×8, first 2 shown]
	s_wait_dscnt 0x0
	s_barrier_signal -1
	s_barrier_wait -1
.LBB269_36:
	v_lshlrev_b32_e32 v0, 2, v63
	global_inv scope:SCOPE_SE
	s_load_b64 s[18:19], s[8:9], 0x30
	s_cmp_lg_u32 ttmp9, 0
	v_and_b32_e32 v0, 0x3f8, v0
	s_delay_alu instid0(VALU_DEP_1)
	v_lshl_add_u32 v109, v63, 7, v0
	ds_load_2addr_b64 v[22:25], v109 offset1:1
	ds_load_2addr_b64 v[50:53], v109 offset0:2 offset1:3
	ds_load_2addr_b64 v[46:49], v109 offset0:4 offset1:5
	;; [unrolled: 1-line block ×7, first 2 shown]
	s_wait_loadcnt_dscnt 0x0
	s_barrier_signal -1
	s_barrier_wait -1
	global_inv scope:SCOPE_SE
	s_cbranch_scc0 .LBB269_87
; %bb.37:
	v_dual_mov_b32 v0, v22 :: v_dual_mov_b32 v1, v23
	v_dual_mov_b32 v2, v24 :: v_dual_mov_b32 v3, v25
	s_getpc_b64 s[20:21]
	s_sext_i32_i16 s21, s21
	s_add_co_u32 s20, s20, _ZZZZN2at6native31launch_logcumsumexp_cuda_kernelERKNS_10TensorBaseES3_lENKUlvE_clEvENKUlvE2_clEvENKUlN3c107complexIfEES8_E_clES8_S8_@rel32@lo+8
	s_add_co_ci_u32 s21, s21, _ZZZZN2at6native31launch_logcumsumexp_cuda_kernelERKNS_10TensorBaseES3_lENKUlvE_clEvENKUlvE2_clEvENKUlN3c107complexIfEES8_E_clES8_S8_@rel32@hi+16
	s_delay_alu instid0(SALU_CYCLE_1)
	s_swappc_b64 s[30:31], s[20:21]
	v_dual_mov_b32 v2, v50 :: v_dual_mov_b32 v3, v51
	s_wait_alu 0xfffe
	s_swappc_b64 s[30:31], s[20:21]
	v_dual_mov_b32 v2, v52 :: v_dual_mov_b32 v3, v53
	s_wait_alu 0xfffe
	;; [unrolled: 3-line block ×14, first 2 shown]
	s_swappc_b64 s[30:31], s[20:21]
	v_dual_mov_b32 v64, v0 :: v_dual_mov_b32 v65, v1
	v_and_b32_e32 v0, 56, v108
	v_cmp_gt_u32_e64 s11, 32, v63
	s_delay_alu instid0(VALU_DEP_2)
	v_lshl_add_u32 v0, v63, 3, v0
	ds_store_b64 v0, v[64:65]
	s_wait_storecnt_dscnt 0x0
	s_barrier_signal -1
	s_barrier_wait -1
	global_inv scope:SCOPE_SE
	s_and_saveexec_b32 s7, s11
	s_cbranch_execz .LBB269_49
; %bb.38:
	v_lshlrev_b32_e32 v0, 1, v63
	v_lshlrev_b32_e32 v1, 6, v63
	s_delay_alu instid0(VALU_DEP_2) | instskip(NEXT) | instid1(VALU_DEP_1)
	v_and_b32_e32 v0, 0x1f8, v0
	v_add_nc_u32_e32 v60, v0, v1
	ds_load_b64 v[54:55], v60
	ds_load_2addr_b64 v[56:59], v60 offset0:1 offset1:2
	s_wait_dscnt 0x1
	v_dual_mov_b32 v0, v54 :: v_dual_mov_b32 v1, v55
	s_wait_dscnt 0x0
	v_dual_mov_b32 v2, v56 :: v_dual_mov_b32 v3, v57
	s_wait_alu 0xfffe
	s_swappc_b64 s[30:31], s[20:21]
	v_dual_mov_b32 v2, v58 :: v_dual_mov_b32 v3, v59
	s_wait_alu 0xfffe
	s_swappc_b64 s[30:31], s[20:21]
	ds_load_2addr_b64 v[56:59], v60 offset0:3 offset1:4
	s_wait_dscnt 0x0
	v_dual_mov_b32 v2, v56 :: v_dual_mov_b32 v3, v57
	s_wait_alu 0xfffe
	s_swappc_b64 s[30:31], s[20:21]
	v_dual_mov_b32 v2, v58 :: v_dual_mov_b32 v3, v59
	s_wait_alu 0xfffe
	s_swappc_b64 s[30:31], s[20:21]
	ds_load_2addr_b64 v[56:59], v60 offset0:5 offset1:6
	s_wait_dscnt 0x0
	v_dual_mov_b32 v2, v56 :: v_dual_mov_b32 v3, v57
	s_wait_alu 0xfffe
	s_swappc_b64 s[30:31], s[20:21]
	v_dual_mov_b32 v2, v58 :: v_dual_mov_b32 v3, v59
	s_wait_alu 0xfffe
	s_swappc_b64 s[30:31], s[20:21]
	ds_load_b64 v[2:3], v60 offset:56
	s_wait_alu 0xfffe
	s_swappc_b64 s[30:31], s[20:21]
	v_dual_mov_b32 v2, v0 :: v_dual_mov_b32 v3, v1
	v_mbcnt_lo_u32_b32 v56, -1, 0
	s_mov_b32 s10, exec_lo
	s_delay_alu instid0(VALU_DEP_2) | instskip(NEXT) | instid1(VALU_DEP_3)
	v_mov_b32_dpp v0, v2 row_shr:1 row_mask:0xf bank_mask:0xf
	v_mov_b32_dpp v1, v3 row_shr:1 row_mask:0xf bank_mask:0xf
	s_delay_alu instid0(VALU_DEP_3) | instskip(NEXT) | instid1(VALU_DEP_1)
	v_and_b32_e32 v57, 15, v56
	v_cmpx_ne_u32_e32 0, v57
	s_cbranch_execz .LBB269_40
; %bb.39:
	s_getpc_b64 s[0:1]
	s_wait_alu 0xfffe
	s_sext_i32_i16 s1, s1
	s_add_co_u32 s0, s0, _ZZZZN2at6native31launch_logcumsumexp_cuda_kernelERKNS_10TensorBaseES3_lENKUlvE_clEvENKUlvE2_clEvENKUlN3c107complexIfEES8_E_clES8_S8_@rel32@lo+12
	s_wait_alu 0xfffe
	s_add_co_ci_u32 s1, s1, _ZZZZN2at6native31launch_logcumsumexp_cuda_kernelERKNS_10TensorBaseES3_lENKUlvE_clEvENKUlvE2_clEvENKUlN3c107complexIfEES8_E_clES8_S8_@rel32@hi+24
	s_wait_alu 0xfffe
	s_swappc_b64 s[30:31], s[0:1]
	v_dual_mov_b32 v2, v0 :: v_dual_mov_b32 v3, v1
.LBB269_40:
	s_wait_alu 0xfffe
	s_or_b32 exec_lo, exec_lo, s10
	s_delay_alu instid0(VALU_DEP_1) | instskip(NEXT) | instid1(VALU_DEP_2)
	v_mov_b32_dpp v0, v2 row_shr:2 row_mask:0xf bank_mask:0xf
	v_mov_b32_dpp v1, v3 row_shr:2 row_mask:0xf bank_mask:0xf
	s_mov_b32 s10, exec_lo
	v_cmpx_lt_u32_e32 1, v57
	s_cbranch_execz .LBB269_42
; %bb.41:
	s_getpc_b64 s[0:1]
	s_wait_alu 0xfffe
	s_sext_i32_i16 s1, s1
	s_add_co_u32 s0, s0, _ZZZZN2at6native31launch_logcumsumexp_cuda_kernelERKNS_10TensorBaseES3_lENKUlvE_clEvENKUlvE2_clEvENKUlN3c107complexIfEES8_E_clES8_S8_@rel32@lo+12
	s_wait_alu 0xfffe
	s_add_co_ci_u32 s1, s1, _ZZZZN2at6native31launch_logcumsumexp_cuda_kernelERKNS_10TensorBaseES3_lENKUlvE_clEvENKUlvE2_clEvENKUlN3c107complexIfEES8_E_clES8_S8_@rel32@hi+24
	s_wait_alu 0xfffe
	s_swappc_b64 s[30:31], s[0:1]
	v_dual_mov_b32 v2, v0 :: v_dual_mov_b32 v3, v1
.LBB269_42:
	s_wait_alu 0xfffe
	s_or_b32 exec_lo, exec_lo, s10
	s_delay_alu instid0(VALU_DEP_1) | instskip(NEXT) | instid1(VALU_DEP_2)
	v_mov_b32_dpp v0, v2 row_shr:4 row_mask:0xf bank_mask:0xf
	v_mov_b32_dpp v1, v3 row_shr:4 row_mask:0xf bank_mask:0xf
	s_mov_b32 s10, exec_lo
	v_cmpx_lt_u32_e32 3, v57
	;; [unrolled: 19-line block ×3, first 2 shown]
	s_cbranch_execz .LBB269_46
; %bb.45:
	s_getpc_b64 s[0:1]
	s_wait_alu 0xfffe
	s_sext_i32_i16 s1, s1
	s_add_co_u32 s0, s0, _ZZZZN2at6native31launch_logcumsumexp_cuda_kernelERKNS_10TensorBaseES3_lENKUlvE_clEvENKUlvE2_clEvENKUlN3c107complexIfEES8_E_clES8_S8_@rel32@lo+12
	s_wait_alu 0xfffe
	s_add_co_ci_u32 s1, s1, _ZZZZN2at6native31launch_logcumsumexp_cuda_kernelERKNS_10TensorBaseES3_lENKUlvE_clEvENKUlvE2_clEvENKUlN3c107complexIfEES8_E_clES8_S8_@rel32@hi+24
	s_wait_alu 0xfffe
	s_swappc_b64 s[30:31], s[0:1]
	v_dual_mov_b32 v2, v0 :: v_dual_mov_b32 v3, v1
.LBB269_46:
	s_wait_alu 0xfffe
	s_or_b32 exec_lo, exec_lo, s10
	ds_swizzle_b32 v0, v2 offset:swizzle(BROADCAST,32,15)
	ds_swizzle_b32 v1, v3 offset:swizzle(BROADCAST,32,15)
	v_and_b32_e32 v4, 16, v56
	s_mov_b32 s10, exec_lo
	s_delay_alu instid0(VALU_DEP_1)
	v_cmpx_ne_u32_e32 0, v4
	s_cbranch_execz .LBB269_48
; %bb.47:
	s_getpc_b64 s[0:1]
	s_wait_alu 0xfffe
	s_sext_i32_i16 s1, s1
	s_add_co_u32 s0, s0, _ZZZZN2at6native31launch_logcumsumexp_cuda_kernelERKNS_10TensorBaseES3_lENKUlvE_clEvENKUlvE2_clEvENKUlN3c107complexIfEES8_E_clES8_S8_@rel32@lo+12
	s_wait_alu 0xfffe
	s_add_co_ci_u32 s1, s1, _ZZZZN2at6native31launch_logcumsumexp_cuda_kernelERKNS_10TensorBaseES3_lENKUlvE_clEvENKUlvE2_clEvENKUlN3c107complexIfEES8_E_clES8_S8_@rel32@hi+24
	s_wait_alu 0xfffe
	s_swappc_b64 s[30:31], s[0:1]
	v_dual_mov_b32 v2, v0 :: v_dual_mov_b32 v3, v1
.LBB269_48:
	s_wait_alu 0xfffe
	s_or_b32 exec_lo, exec_lo, s10
	s_wait_dscnt 0x1
	v_add_nc_u32_e32 v0, -1, v56
	s_getpc_b64 s[20:21]
	s_wait_alu 0xfffe
	s_sext_i32_i16 s21, s21
	s_add_co_u32 s20, s20, _ZZZZN2at6native31launch_logcumsumexp_cuda_kernelERKNS_10TensorBaseES3_lENKUlvE_clEvENKUlvE2_clEvENKUlN3c107complexIfEES8_E_clES8_S8_@rel32@lo+12
	s_wait_alu 0xfffe
	s_add_co_ci_u32 s21, s21, _ZZZZN2at6native31launch_logcumsumexp_cuda_kernelERKNS_10TensorBaseES3_lENKUlvE_clEvENKUlvE2_clEvENKUlN3c107complexIfEES8_E_clES8_S8_@rel32@hi+24
	v_cmp_gt_i32_e32 vcc_lo, 0, v0
	s_wait_alu 0xfffd
	v_cndmask_b32_e32 v0, v0, v56, vcc_lo
	s_wait_dscnt 0x0
	s_delay_alu instid0(VALU_DEP_1)
	v_lshlrev_b32_e32 v1, 2, v0
	ds_bpermute_b32 v0, v1, v2
	v_mov_b32_e32 v2, v54
	ds_bpermute_b32 v1, v1, v3
	v_mov_b32_e32 v3, v55
	s_wait_alu 0xfffe
	s_swappc_b64 s[30:31], s[20:21]
	v_cmp_eq_u32_e32 vcc_lo, 0, v63
	; wave barrier
	s_wait_alu 0xfffd
	v_dual_cndmask_b32 v0, v0, v64 :: v_dual_cndmask_b32 v1, v1, v65
	ds_store_b64 v60, v[0:1]
	; wave barrier
	ds_load_2addr_b64 v[54:57], v60 offset0:1 offset1:2
	s_wait_dscnt 0x0
	v_dual_mov_b32 v2, v54 :: v_dual_mov_b32 v3, v55
	s_wait_alu 0xfffe
	s_swappc_b64 s[30:31], s[20:21]
	v_dual_mov_b32 v2, v56 :: v_dual_mov_b32 v3, v57
	v_dual_mov_b32 v58, v0 :: v_dual_mov_b32 v59, v1
	s_wait_alu 0xfffe
	s_swappc_b64 s[30:31], s[20:21]
	ds_load_2addr_b64 v[54:57], v60 offset0:3 offset1:4
	ds_store_2addr_b64 v60, v[58:59], v[0:1] offset0:1 offset1:2
	s_wait_dscnt 0x1
	v_dual_mov_b32 v2, v54 :: v_dual_mov_b32 v3, v55
	s_wait_alu 0xfffe
	s_swappc_b64 s[30:31], s[20:21]
	v_dual_mov_b32 v2, v56 :: v_dual_mov_b32 v3, v57
	v_dual_mov_b32 v58, v0 :: v_dual_mov_b32 v59, v1
	s_wait_alu 0xfffe
	s_swappc_b64 s[30:31], s[20:21]
	ds_load_2addr_b64 v[54:57], v60 offset0:5 offset1:6
	ds_store_2addr_b64 v60, v[58:59], v[0:1] offset0:3 offset1:4
	s_wait_dscnt 0x1
	v_dual_mov_b32 v2, v54 :: v_dual_mov_b32 v3, v55
	s_wait_alu 0xfffe
	s_swappc_b64 s[30:31], s[20:21]
	v_dual_mov_b32 v2, v56 :: v_dual_mov_b32 v3, v57
	v_dual_mov_b32 v54, v0 :: v_dual_mov_b32 v55, v1
	s_wait_alu 0xfffe
	s_swappc_b64 s[30:31], s[20:21]
	ds_load_b64 v[2:3], v60 offset:56
	ds_store_2addr_b64 v60, v[54:55], v[0:1] offset0:5 offset1:6
	s_wait_alu 0xfffe
	s_swappc_b64 s[30:31], s[20:21]
	ds_store_b64 v60, v[0:1] offset:56
.LBB269_49:
	s_wait_alu 0xfffe
	s_or_b32 exec_lo, exec_lo, s7
	v_cmp_eq_u32_e64 s10, 0, v63
	v_cmp_ne_u32_e64 s7, 0, v63
	s_wait_storecnt 0x0
	s_wait_loadcnt_dscnt 0x0
	s_barrier_signal -1
	s_barrier_wait -1
	global_inv scope:SCOPE_SE
	s_and_saveexec_b32 s0, s7
	s_cbranch_execz .LBB269_51
; %bb.50:
	v_add_nc_u32_e32 v0, -1, v63
	s_delay_alu instid0(VALU_DEP_1) | instskip(NEXT) | instid1(VALU_DEP_1)
	v_lshrrev_b32_e32 v1, 2, v0
	v_and_b32_e32 v1, 0x3ffffff8, v1
	s_delay_alu instid0(VALU_DEP_1)
	v_lshl_add_u32 v0, v0, 3, v1
	ds_load_b64 v[64:65], v0
.LBB269_51:
	s_wait_alu 0xfffe
	s_or_b32 exec_lo, exec_lo, s0
	s_and_saveexec_b32 s20, s11
	s_cbranch_execz .LBB269_92
; %bb.52:
	v_mov_b32_e32 v57, 0
	v_mbcnt_lo_u32_b32 v70, -1, 0
	s_mov_b32 s1, 0
	ds_load_b64 v[54:55], v57 offset:2096
	v_cmp_eq_u32_e64 s11, 0, v70
	s_and_saveexec_b32 s2, s11
	s_cbranch_execz .LBB269_54
; %bb.53:
	s_add_co_i32 s0, ttmp9, 32
	s_wait_alu 0xfffe
	s_lshl_b64 s[0:1], s[0:1], 4
	s_wait_alu 0xfffe
	s_add_nc_u64 s[0:1], s[18:19], s[0:1]
	v_mov_b32_e32 v56, 1
	s_wait_alu 0xfffe
	v_dual_mov_b32 v0, s0 :: v_dual_mov_b32 v1, s1
	s_wait_dscnt 0x0
	;;#ASMSTART
	global_store_b128 v[0:1], v[54:57] off scope:SCOPE_DEV	
s_wait_storecnt 0x0
	;;#ASMEND
.LBB269_54:
	s_wait_alu 0xfffe
	s_or_b32 exec_lo, exec_lo, s2
	v_xad_u32 v71, v70, -1, ttmp9
	s_mov_b32 s0, exec_lo
	s_delay_alu instid0(VALU_DEP_1) | instskip(NEXT) | instid1(VALU_DEP_1)
	v_add_nc_u32_e32 v56, 32, v71
	v_lshlrev_b64_e32 v[0:1], 4, v[56:57]
	s_delay_alu instid0(VALU_DEP_1) | instskip(SKIP_1) | instid1(VALU_DEP_2)
	v_add_co_u32 v0, vcc_lo, s18, v0
	s_wait_alu 0xfffd
	v_add_co_ci_u32_e64 v1, null, s19, v1, vcc_lo
	;;#ASMSTART
	global_load_b128 v[56:59], v[0:1] off scope:SCOPE_DEV	
s_wait_loadcnt 0x0
	;;#ASMEND
	v_and_b32_e32 v2, 0xff, v58
	s_delay_alu instid0(VALU_DEP_1)
	v_cmpx_eq_u16_e32 0, v2
	s_cbranch_execz .LBB269_58
; %bb.55:
	s_mov_b32 s1, 0
.LBB269_56:                             ; =>This Inner Loop Header: Depth=1
	;;#ASMSTART
	global_load_b128 v[56:59], v[0:1] off scope:SCOPE_DEV	
s_wait_loadcnt 0x0
	;;#ASMEND
	v_and_b32_e32 v2, 0xff, v58
	s_delay_alu instid0(VALU_DEP_1)
	v_cmp_ne_u16_e32 vcc_lo, 0, v2
	s_wait_alu 0xfffe
	s_or_b32 s1, vcc_lo, s1
	s_wait_alu 0xfffe
	s_and_not1_b32 exec_lo, exec_lo, s1
	s_cbranch_execnz .LBB269_56
; %bb.57:
	s_or_b32 exec_lo, exec_lo, s1
.LBB269_58:
	s_wait_alu 0xfffe
	s_or_b32 exec_lo, exec_lo, s0
	v_cmp_ne_u32_e32 vcc_lo, 31, v70
	v_and_b32_e32 v1, 0xff, v58
	v_lshlrev_b32_e64 v73, v70, -1
	s_mov_b32 s21, exec_lo
	s_wait_alu 0xfffd
	v_add_co_ci_u32_e64 v0, null, 0, v70, vcc_lo
	v_cmp_eq_u16_e32 vcc_lo, 2, v1
	s_delay_alu instid0(VALU_DEP_2)
	v_lshlrev_b32_e32 v72, 2, v0
	s_wait_alu 0xfffd
	v_and_or_b32 v2, vcc_lo, v73, 0x80000000
	ds_bpermute_b32 v0, v72, v56
	ds_bpermute_b32 v1, v72, v57
	v_ctz_i32_b32_e32 v61, v2
	s_delay_alu instid0(VALU_DEP_1)
	v_cmpx_lt_u32_e64 v70, v61
	s_cbranch_execz .LBB269_60
; %bb.59:
	v_dual_mov_b32 v2, v56 :: v_dual_mov_b32 v3, v57
	s_getpc_b64 s[0:1]
	s_wait_alu 0xfffe
	s_sext_i32_i16 s1, s1
	s_add_co_u32 s0, s0, _ZZZZN2at6native31launch_logcumsumexp_cuda_kernelERKNS_10TensorBaseES3_lENKUlvE_clEvENKUlvE2_clEvENKUlN3c107complexIfEES8_E_clES8_S8_@rel32@lo+12
	s_wait_alu 0xfffe
	s_add_co_ci_u32 s1, s1, _ZZZZN2at6native31launch_logcumsumexp_cuda_kernelERKNS_10TensorBaseES3_lENKUlvE_clEvENKUlvE2_clEvENKUlN3c107complexIfEES8_E_clES8_S8_@rel32@hi+24
	s_wait_alu 0xfffe
	s_swappc_b64 s[30:31], s[0:1]
	v_dual_mov_b32 v56, v0 :: v_dual_mov_b32 v57, v1
.LBB269_60:
	s_wait_alu 0xfffe
	s_or_b32 exec_lo, exec_lo, s21
	v_cmp_gt_u32_e32 vcc_lo, 30, v70
	v_add_nc_u32_e32 v75, 2, v70
	s_mov_b32 s21, exec_lo
	s_wait_dscnt 0x1
	s_wait_alu 0xfffd
	v_cndmask_b32_e64 v0, 0, 2, vcc_lo
	s_delay_alu instid0(VALU_DEP_1)
	v_add_lshl_u32 v74, v0, v70, 2
	ds_bpermute_b32 v0, v74, v56
	s_wait_dscnt 0x1
	ds_bpermute_b32 v1, v74, v57
	v_cmpx_le_u32_e64 v75, v61
	s_cbranch_execz .LBB269_62
; %bb.61:
	v_dual_mov_b32 v2, v56 :: v_dual_mov_b32 v3, v57
	s_getpc_b64 s[0:1]
	s_wait_alu 0xfffe
	s_sext_i32_i16 s1, s1
	s_add_co_u32 s0, s0, _ZZZZN2at6native31launch_logcumsumexp_cuda_kernelERKNS_10TensorBaseES3_lENKUlvE_clEvENKUlvE2_clEvENKUlN3c107complexIfEES8_E_clES8_S8_@rel32@lo+12
	s_wait_alu 0xfffe
	s_add_co_ci_u32 s1, s1, _ZZZZN2at6native31launch_logcumsumexp_cuda_kernelERKNS_10TensorBaseES3_lENKUlvE_clEvENKUlvE2_clEvENKUlN3c107complexIfEES8_E_clES8_S8_@rel32@hi+24
	s_wait_alu 0xfffe
	s_swappc_b64 s[30:31], s[0:1]
	v_dual_mov_b32 v56, v0 :: v_dual_mov_b32 v57, v1
.LBB269_62:
	s_wait_alu 0xfffe
	s_or_b32 exec_lo, exec_lo, s21
	v_cmp_gt_u32_e32 vcc_lo, 28, v70
	v_add_nc_u32_e32 v77, 4, v70
	s_mov_b32 s21, exec_lo
	s_wait_dscnt 0x1
	s_wait_alu 0xfffd
	v_cndmask_b32_e64 v0, 0, 4, vcc_lo
	s_delay_alu instid0(VALU_DEP_1)
	v_add_lshl_u32 v76, v0, v70, 2
	ds_bpermute_b32 v0, v76, v56
	s_wait_dscnt 0x1
	ds_bpermute_b32 v1, v76, v57
	v_cmpx_le_u32_e64 v77, v61
	;; [unrolled: 27-line block ×3, first 2 shown]
	s_cbranch_execz .LBB269_66
; %bb.65:
	v_dual_mov_b32 v2, v56 :: v_dual_mov_b32 v3, v57
	s_getpc_b64 s[0:1]
	s_wait_alu 0xfffe
	s_sext_i32_i16 s1, s1
	s_add_co_u32 s0, s0, _ZZZZN2at6native31launch_logcumsumexp_cuda_kernelERKNS_10TensorBaseES3_lENKUlvE_clEvENKUlvE2_clEvENKUlN3c107complexIfEES8_E_clES8_S8_@rel32@lo+12
	s_wait_alu 0xfffe
	s_add_co_ci_u32 s1, s1, _ZZZZN2at6native31launch_logcumsumexp_cuda_kernelERKNS_10TensorBaseES3_lENKUlvE_clEvENKUlvE2_clEvENKUlN3c107complexIfEES8_E_clES8_S8_@rel32@hi+24
	s_wait_alu 0xfffe
	s_swappc_b64 s[30:31], s[0:1]
	v_dual_mov_b32 v56, v0 :: v_dual_mov_b32 v57, v1
.LBB269_66:
	s_wait_alu 0xfffe
	s_or_b32 exec_lo, exec_lo, s21
	v_lshl_or_b32 v80, v70, 2, 64
	v_dual_mov_b32 v62, v71 :: v_dual_add_nc_u32 v81, 16, v70
	v_dual_mov_b32 v69, 0 :: v_dual_mov_b32 v2, v56
	ds_bpermute_b32 v59, v80, v56
	ds_bpermute_b32 v60, v80, v57
	v_cmp_le_u32_e64 s21, v81, v61
	v_mov_b32_e32 v61, v58
	v_mov_b32_e32 v3, v57
.LBB269_67:                             ; =>This Loop Header: Depth=1
                                        ;     Child Loop BB269_72 Depth 2
	s_wait_dscnt 0x1
	v_dual_mov_b32 v0, v58 :: v_dual_mov_b32 v67, v57
	v_mov_b32_e32 v68, v71
	v_mov_b32_e32 v66, v56
	s_and_saveexec_b32 s0, s21
	s_wait_alu 0xfffe
	s_xor_b32 s21, exec_lo, s0
	s_cbranch_execz .LBB269_69
; %bb.68:                               ;   in Loop: Header=BB269_67 Depth=1
	s_wait_dscnt 0x0
	v_dual_mov_b32 v0, v59 :: v_dual_mov_b32 v1, v60
	s_getpc_b64 s[0:1]
	s_wait_alu 0xfffe
	s_sext_i32_i16 s1, s1
	s_add_co_u32 s0, s0, _ZZZZN2at6native31launch_logcumsumexp_cuda_kernelERKNS_10TensorBaseES3_lENKUlvE_clEvENKUlvE2_clEvENKUlN3c107complexIfEES8_E_clES8_S8_@rel32@lo+12
	s_wait_alu 0xfffe
	s_add_co_ci_u32 s1, s1, _ZZZZN2at6native31launch_logcumsumexp_cuda_kernelERKNS_10TensorBaseES3_lENKUlvE_clEvENKUlvE2_clEvENKUlN3c107complexIfEES8_E_clES8_S8_@rel32@hi+24
	s_wait_alu 0xfffe
	s_swappc_b64 s[30:31], s[0:1]
	v_dual_mov_b32 v66, v0 :: v_dual_mov_b32 v67, v1
	v_mov_b32_e32 v0, v61
	v_mov_b32_e32 v68, v62
.LBB269_69:                             ;   in Loop: Header=BB269_67 Depth=1
	s_wait_alu 0xfffe
	s_or_b32 exec_lo, exec_lo, s21
	s_delay_alu instid0(VALU_DEP_2) | instskip(SKIP_2) | instid1(VALU_DEP_1)
	v_and_b32_e32 v0, 0xff, v0
	s_mov_b32 s21, -1
	s_mov_b32 s0, -1
                                        ; implicit-def: $vgpr59
                                        ; implicit-def: $vgpr62
	v_cmp_ne_u16_e32 vcc_lo, 2, v0
	s_cmp_lg_u32 vcc_lo, exec_lo
	s_cbranch_scc1 .LBB269_85
; %bb.70:                               ;   in Loop: Header=BB269_67 Depth=1
	s_wait_dscnt 0x0
	v_lshlrev_b64_e32 v[0:1], 4, v[68:69]
	s_mov_b32 s0, exec_lo
	s_delay_alu instid0(VALU_DEP_1) | instskip(SKIP_1) | instid1(VALU_DEP_2)
	v_add_co_u32 v0, vcc_lo, s18, v0
	s_wait_alu 0xfffd
	v_add_co_ci_u32_e64 v1, null, s19, v1, vcc_lo
	s_wait_dscnt 0x0
	;;#ASMSTART
	global_load_b128 v[59:62], v[0:1] off scope:SCOPE_DEV	
s_wait_loadcnt 0x0
	;;#ASMEND
	v_and_b32_e32 v2, 0xff, v61
	s_delay_alu instid0(VALU_DEP_1)
	v_cmpx_eq_u16_e32 0, v2
	s_cbranch_execz .LBB269_74
; %bb.71:                               ;   in Loop: Header=BB269_67 Depth=1
	s_mov_b32 s1, 0
.LBB269_72:                             ;   Parent Loop BB269_67 Depth=1
                                        ; =>  This Inner Loop Header: Depth=2
	;;#ASMSTART
	global_load_b128 v[59:62], v[0:1] off scope:SCOPE_DEV	
s_wait_loadcnt 0x0
	;;#ASMEND
	v_and_b32_e32 v2, 0xff, v61
	s_delay_alu instid0(VALU_DEP_1)
	v_cmp_ne_u16_e32 vcc_lo, 0, v2
	s_wait_alu 0xfffe
	s_or_b32 s1, vcc_lo, s1
	s_wait_alu 0xfffe
	s_and_not1_b32 exec_lo, exec_lo, s1
	s_cbranch_execnz .LBB269_72
; %bb.73:                               ;   in Loop: Header=BB269_67 Depth=1
	s_or_b32 exec_lo, exec_lo, s1
.LBB269_74:                             ;   in Loop: Header=BB269_67 Depth=1
	s_wait_alu 0xfffe
	s_or_b32 exec_lo, exec_lo, s0
	v_and_b32_e32 v1, 0xff, v61
	ds_bpermute_b32 v0, v72, v59
	s_mov_b32 s22, exec_lo
	v_cmp_eq_u16_e32 vcc_lo, 2, v1
	ds_bpermute_b32 v1, v72, v60
	s_wait_alu 0xfffd
	v_and_or_b32 v2, vcc_lo, v73, 0x80000000
	s_delay_alu instid0(VALU_DEP_1) | instskip(NEXT) | instid1(VALU_DEP_1)
	v_ctz_i32_b32_e32 v62, v2
	v_cmpx_lt_u32_e64 v70, v62
	s_cbranch_execz .LBB269_76
; %bb.75:                               ;   in Loop: Header=BB269_67 Depth=1
	v_dual_mov_b32 v2, v59 :: v_dual_mov_b32 v3, v60
	s_getpc_b64 s[0:1]
	s_wait_alu 0xfffe
	s_sext_i32_i16 s1, s1
	s_add_co_u32 s0, s0, _ZZZZN2at6native31launch_logcumsumexp_cuda_kernelERKNS_10TensorBaseES3_lENKUlvE_clEvENKUlvE2_clEvENKUlN3c107complexIfEES8_E_clES8_S8_@rel32@lo+12
	s_wait_alu 0xfffe
	s_add_co_ci_u32 s1, s1, _ZZZZN2at6native31launch_logcumsumexp_cuda_kernelERKNS_10TensorBaseES3_lENKUlvE_clEvENKUlvE2_clEvENKUlN3c107complexIfEES8_E_clES8_S8_@rel32@hi+24
	s_wait_alu 0xfffe
	s_swappc_b64 s[30:31], s[0:1]
	v_dual_mov_b32 v59, v0 :: v_dual_mov_b32 v60, v1
.LBB269_76:                             ;   in Loop: Header=BB269_67 Depth=1
	s_wait_alu 0xfffe
	s_or_b32 exec_lo, exec_lo, s22
	s_wait_dscnt 0x1
	ds_bpermute_b32 v0, v74, v59
	s_wait_dscnt 0x1
	ds_bpermute_b32 v1, v74, v60
	s_mov_b32 s22, exec_lo
	v_cmpx_le_u32_e64 v75, v62
	s_cbranch_execz .LBB269_78
; %bb.77:                               ;   in Loop: Header=BB269_67 Depth=1
	v_dual_mov_b32 v2, v59 :: v_dual_mov_b32 v3, v60
	s_getpc_b64 s[0:1]
	s_wait_alu 0xfffe
	s_sext_i32_i16 s1, s1
	s_add_co_u32 s0, s0, _ZZZZN2at6native31launch_logcumsumexp_cuda_kernelERKNS_10TensorBaseES3_lENKUlvE_clEvENKUlvE2_clEvENKUlN3c107complexIfEES8_E_clES8_S8_@rel32@lo+12
	s_wait_alu 0xfffe
	s_add_co_ci_u32 s1, s1, _ZZZZN2at6native31launch_logcumsumexp_cuda_kernelERKNS_10TensorBaseES3_lENKUlvE_clEvENKUlvE2_clEvENKUlN3c107complexIfEES8_E_clES8_S8_@rel32@hi+24
	s_wait_alu 0xfffe
	s_swappc_b64 s[30:31], s[0:1]
	v_dual_mov_b32 v59, v0 :: v_dual_mov_b32 v60, v1
.LBB269_78:                             ;   in Loop: Header=BB269_67 Depth=1
	s_wait_alu 0xfffe
	s_or_b32 exec_lo, exec_lo, s22
	s_wait_dscnt 0x1
	ds_bpermute_b32 v0, v76, v59
	s_wait_dscnt 0x1
	ds_bpermute_b32 v1, v76, v60
	s_mov_b32 s22, exec_lo
	v_cmpx_le_u32_e64 v77, v62
	;; [unrolled: 21-line block ×4, first 2 shown]
	s_cbranch_execz .LBB269_84
; %bb.83:                               ;   in Loop: Header=BB269_67 Depth=1
	v_dual_mov_b32 v2, v59 :: v_dual_mov_b32 v3, v60
	s_getpc_b64 s[0:1]
	s_wait_alu 0xfffe
	s_sext_i32_i16 s1, s1
	s_add_co_u32 s0, s0, _ZZZZN2at6native31launch_logcumsumexp_cuda_kernelERKNS_10TensorBaseES3_lENKUlvE_clEvENKUlvE2_clEvENKUlN3c107complexIfEES8_E_clES8_S8_@rel32@lo+12
	s_wait_alu 0xfffe
	s_add_co_ci_u32 s1, s1, _ZZZZN2at6native31launch_logcumsumexp_cuda_kernelERKNS_10TensorBaseES3_lENKUlvE_clEvENKUlvE2_clEvENKUlN3c107complexIfEES8_E_clES8_S8_@rel32@hi+24
	s_wait_alu 0xfffe
	s_swappc_b64 s[30:31], s[0:1]
	v_dual_mov_b32 v59, v0 :: v_dual_mov_b32 v60, v1
.LBB269_84:                             ;   in Loop: Header=BB269_67 Depth=1
	s_wait_alu 0xfffe
	s_or_b32 exec_lo, exec_lo, s22
	v_subrev_nc_u32_e32 v62, 32, v68
	s_mov_b32 s0, 0
.LBB269_85:                             ;   in Loop: Header=BB269_67 Depth=1
	s_wait_alu 0xfffe
	s_and_b32 vcc_lo, exec_lo, s0
	s_wait_alu 0xfffe
	s_cbranch_vccnz .LBB269_88
; %bb.86:                               ;   in Loop: Header=BB269_67 Depth=1
	v_dual_mov_b32 v3, v67 :: v_dual_mov_b32 v2, v66
	s_branch .LBB269_67
.LBB269_87:
                                        ; implicit-def: $vgpr54
                                        ; implicit-def: $vgpr56
                                        ; implicit-def: $vgpr60
                                        ; implicit-def: $vgpr66
                                        ; implicit-def: $vgpr70
                                        ; implicit-def: $vgpr74
                                        ; implicit-def: $vgpr78
                                        ; implicit-def: $vgpr82
                                        ; implicit-def: $vgpr84_vgpr85
                                        ; implicit-def: $vgpr80_vgpr81
                                        ; implicit-def: $vgpr76_vgpr77
                                        ; implicit-def: $vgpr72_vgpr73
                                        ; implicit-def: $vgpr68_vgpr69
                                        ; implicit-def: $vgpr64_vgpr65
                                        ; implicit-def: $vgpr58_vgpr59
                                        ; implicit-def: $vgpr86_vgpr87
	s_load_b256 s[20:27], s[8:9], 0x40
	s_cbranch_execnz .LBB269_95
	s_branch .LBB269_114
.LBB269_88:
	s_and_saveexec_b32 s21, s11
	s_cbranch_execz .LBB269_90
; %bb.89:
	s_wait_dscnt 0x0
	v_dual_mov_b32 v0, v66 :: v_dual_mov_b32 v1, v67
	v_dual_mov_b32 v2, v54 :: v_dual_mov_b32 v3, v55
	s_getpc_b64 s[0:1]
	s_wait_alu 0xfffe
	s_sext_i32_i16 s1, s1
	s_add_co_u32 s0, s0, _ZZZZN2at6native31launch_logcumsumexp_cuda_kernelERKNS_10TensorBaseES3_lENKUlvE_clEvENKUlvE2_clEvENKUlN3c107complexIfEES8_E_clES8_S8_@rel32@lo+12
	s_wait_alu 0xfffe
	s_add_co_ci_u32 s1, s1, _ZZZZN2at6native31launch_logcumsumexp_cuda_kernelERKNS_10TensorBaseES3_lENKUlvE_clEvENKUlvE2_clEvENKUlN3c107complexIfEES8_E_clES8_S8_@rel32@hi+24
	s_wait_alu 0xfffe
	s_swappc_b64 s[30:31], s[0:1]
	s_add_co_i32 s0, ttmp9, 32
	s_mov_b32 s1, 0
	v_dual_mov_b32 v2, 2 :: v_dual_mov_b32 v3, 0
	s_wait_alu 0xfffe
	s_lshl_b64 s[0:1], s[0:1], 4
	s_wait_alu 0xfffe
	s_add_nc_u64 s[0:1], s[18:19], s[0:1]
	s_wait_alu 0xfffe
	v_dual_mov_b32 v5, s1 :: v_dual_mov_b32 v4, s0
	;;#ASMSTART
	global_store_b128 v[4:5], v[0:3] off scope:SCOPE_DEV	
s_wait_storecnt 0x0
	;;#ASMEND
.LBB269_90:
	s_wait_alu 0xfffe
	s_or_b32 exec_lo, exec_lo, s21
	s_delay_alu instid0(SALU_CYCLE_1)
	s_and_b32 exec_lo, exec_lo, s10
	s_cbranch_execz .LBB269_92
; %bb.91:
	s_wait_dscnt 0x1
	v_mov_b32_e32 v0, 0
	ds_store_b64 v0, v[66:67]
.LBB269_92:
	s_wait_alu 0xfffe
	s_or_b32 exec_lo, exec_lo, s20
	s_wait_dscnt 0x1
	v_dual_mov_b32 v0, 0 :: v_dual_mov_b32 v3, v23
	s_wait_storecnt 0x0
	s_wait_loadcnt_dscnt 0x0
	s_barrier_signal -1
	s_barrier_wait -1
	global_inv scope:SCOPE_SE
	ds_load_b64 v[54:55], v0
	v_mov_b32_e32 v2, v22
	s_and_saveexec_b32 s10, s7
	s_cbranch_execz .LBB269_94
; %bb.93:
	v_dual_mov_b32 v0, v64 :: v_dual_mov_b32 v1, v65
	v_dual_mov_b32 v2, v22 :: v_dual_mov_b32 v3, v23
	s_getpc_b64 s[0:1]
	s_wait_alu 0xfffe
	s_sext_i32_i16 s1, s1
	s_add_co_u32 s0, s0, _ZZZZN2at6native31launch_logcumsumexp_cuda_kernelERKNS_10TensorBaseES3_lENKUlvE_clEvENKUlvE2_clEvENKUlN3c107complexIfEES8_E_clES8_S8_@rel32@lo+12
	s_wait_alu 0xfffe
	s_add_co_ci_u32 s1, s1, _ZZZZN2at6native31launch_logcumsumexp_cuda_kernelERKNS_10TensorBaseES3_lENKUlvE_clEvENKUlvE2_clEvENKUlN3c107complexIfEES8_E_clES8_S8_@rel32@hi+24
	s_wait_alu 0xfffe
	s_swappc_b64 s[30:31], s[0:1]
	v_dual_mov_b32 v2, v0 :: v_dual_mov_b32 v3, v1
.LBB269_94:
	s_wait_alu 0xfffe
	s_or_b32 exec_lo, exec_lo, s10
	s_wait_dscnt 0x0
	v_dual_mov_b32 v0, v54 :: v_dual_mov_b32 v1, v55
	s_getpc_b64 s[10:11]
	s_wait_alu 0xfffe
	s_sext_i32_i16 s11, s11
	s_add_co_u32 s10, s10, _ZZZZN2at6native31launch_logcumsumexp_cuda_kernelERKNS_10TensorBaseES3_lENKUlvE_clEvENKUlvE2_clEvENKUlN3c107complexIfEES8_E_clES8_S8_@rel32@lo+12
	s_wait_alu 0xfffe
	s_add_co_ci_u32 s11, s11, _ZZZZN2at6native31launch_logcumsumexp_cuda_kernelERKNS_10TensorBaseES3_lENKUlvE_clEvENKUlvE2_clEvENKUlN3c107complexIfEES8_E_clES8_S8_@rel32@hi+24
	s_wait_alu 0xfffe
	s_swappc_b64 s[30:31], s[10:11]
	v_dual_mov_b32 v2, v24 :: v_dual_mov_b32 v3, v25
	v_dual_mov_b32 v86, v0 :: v_dual_mov_b32 v87, v1
	s_wait_alu 0xfffe
	s_swappc_b64 s[30:31], s[10:11]
	v_dual_mov_b32 v2, v50 :: v_dual_mov_b32 v3, v51
	v_dual_mov_b32 v54, v0 :: v_dual_mov_b32 v55, v1
	;; [unrolled: 4-line block ×15, first 2 shown]
	s_wait_alu 0xfffe
	s_swappc_b64 s[30:31], s[10:11]
	v_dual_mov_b32 v84, v0 :: v_dual_mov_b32 v85, v1
	s_load_b256 s[20:27], s[8:9], 0x40
	s_branch .LBB269_114
.LBB269_95:
	v_cmp_eq_u32_e64 s8, 0, v63
	s_wait_kmcnt 0x0
	s_cmp_lg_u64 s[24:25], 0
	v_cmp_ne_u32_e64 s7, 0, v63
	s_cselect_b32 s0, -1, 0
	s_delay_alu instid0(SALU_CYCLE_1) | instskip(NEXT) | instid1(SALU_CYCLE_1)
	s_and_b32 s0, s8, s0
	s_and_saveexec_b32 s9, s0
	s_cbranch_execz .LBB269_97
; %bb.96:
	v_dual_mov_b32 v0, 0 :: v_dual_mov_b32 v3, v23
	v_mov_b32_e32 v2, v22
	s_getpc_b64 s[0:1]
	s_sext_i32_i16 s1, s1
	s_add_co_u32 s0, s0, _ZZZZN2at6native31launch_logcumsumexp_cuda_kernelERKNS_10TensorBaseES3_lENKUlvE_clEvENKUlvE2_clEvENKUlN3c107complexIfEES8_E_clES8_S8_@rel32@lo+8
	s_add_co_ci_u32 s1, s1, _ZZZZN2at6native31launch_logcumsumexp_cuda_kernelERKNS_10TensorBaseES3_lENKUlvE_clEvENKUlvE2_clEvENKUlN3c107complexIfEES8_E_clES8_S8_@rel32@hi+16
	global_load_b64 v[0:1], v0, s[20:21]
	s_swappc_b64 s[30:31], s[0:1]
	v_dual_mov_b32 v22, v0 :: v_dual_mov_b32 v23, v1
.LBB269_97:
	s_or_b32 exec_lo, exec_lo, s9
	s_delay_alu instid0(VALU_DEP_1)
	v_dual_mov_b32 v0, v22 :: v_dual_mov_b32 v1, v23
	v_dual_mov_b32 v2, v24 :: v_dual_mov_b32 v3, v25
	s_getpc_b64 s[10:11]
	s_wait_alu 0xfffe
	s_sext_i32_i16 s11, s11
	s_add_co_u32 s10, s10, _ZZZZN2at6native31launch_logcumsumexp_cuda_kernelERKNS_10TensorBaseES3_lENKUlvE_clEvENKUlvE2_clEvENKUlN3c107complexIfEES8_E_clES8_S8_@rel32@lo+12
	s_wait_alu 0xfffe
	s_add_co_ci_u32 s11, s11, _ZZZZN2at6native31launch_logcumsumexp_cuda_kernelERKNS_10TensorBaseES3_lENKUlvE_clEvENKUlvE2_clEvENKUlN3c107complexIfEES8_E_clES8_S8_@rel32@hi+24
	s_wait_alu 0xfffe
	s_swappc_b64 s[30:31], s[10:11]
	v_dual_mov_b32 v2, v50 :: v_dual_mov_b32 v3, v51
	v_dual_mov_b32 v54, v0 :: v_dual_mov_b32 v55, v1
	s_wait_alu 0xfffe
	s_swappc_b64 s[30:31], s[10:11]
	v_dual_mov_b32 v2, v52 :: v_dual_mov_b32 v3, v53
	v_dual_mov_b32 v56, v0 :: v_dual_mov_b32 v57, v1
	s_wait_alu 0xfffe
	s_swappc_b64 s[30:31], s[10:11]
	v_dual_mov_b32 v2, v46 :: v_dual_mov_b32 v3, v47
	v_dual_mov_b32 v58, v0 :: v_dual_mov_b32 v59, v1
	s_wait_alu 0xfffe
	s_swappc_b64 s[30:31], s[10:11]
	v_dual_mov_b32 v2, v48 :: v_dual_mov_b32 v3, v49
	v_dual_mov_b32 v60, v0 :: v_dual_mov_b32 v61, v1
	s_wait_alu 0xfffe
	s_swappc_b64 s[30:31], s[10:11]
	v_dual_mov_b32 v2, v42 :: v_dual_mov_b32 v3, v43
	v_dual_mov_b32 v64, v0 :: v_dual_mov_b32 v65, v1
	s_wait_alu 0xfffe
	s_swappc_b64 s[30:31], s[10:11]
	v_dual_mov_b32 v2, v44 :: v_dual_mov_b32 v3, v45
	v_dual_mov_b32 v66, v0 :: v_dual_mov_b32 v67, v1
	s_wait_alu 0xfffe
	s_swappc_b64 s[30:31], s[10:11]
	v_dual_mov_b32 v2, v38 :: v_dual_mov_b32 v3, v39
	v_dual_mov_b32 v68, v0 :: v_dual_mov_b32 v69, v1
	s_wait_alu 0xfffe
	s_swappc_b64 s[30:31], s[10:11]
	v_dual_mov_b32 v2, v40 :: v_dual_mov_b32 v3, v41
	v_dual_mov_b32 v70, v0 :: v_dual_mov_b32 v71, v1
	s_wait_alu 0xfffe
	s_swappc_b64 s[30:31], s[10:11]
	v_dual_mov_b32 v2, v34 :: v_dual_mov_b32 v3, v35
	v_dual_mov_b32 v72, v0 :: v_dual_mov_b32 v73, v1
	s_wait_alu 0xfffe
	s_swappc_b64 s[30:31], s[10:11]
	v_dual_mov_b32 v2, v36 :: v_dual_mov_b32 v3, v37
	v_dual_mov_b32 v74, v0 :: v_dual_mov_b32 v75, v1
	s_wait_alu 0xfffe
	s_swappc_b64 s[30:31], s[10:11]
	v_dual_mov_b32 v2, v30 :: v_dual_mov_b32 v3, v31
	v_dual_mov_b32 v76, v0 :: v_dual_mov_b32 v77, v1
	s_wait_alu 0xfffe
	s_swappc_b64 s[30:31], s[10:11]
	v_dual_mov_b32 v2, v32 :: v_dual_mov_b32 v3, v33
	v_dual_mov_b32 v78, v0 :: v_dual_mov_b32 v79, v1
	s_wait_alu 0xfffe
	s_swappc_b64 s[30:31], s[10:11]
	v_dual_mov_b32 v2, v26 :: v_dual_mov_b32 v3, v27
	v_dual_mov_b32 v80, v0 :: v_dual_mov_b32 v81, v1
	s_wait_alu 0xfffe
	s_swappc_b64 s[30:31], s[10:11]
	v_dual_mov_b32 v2, v28 :: v_dual_mov_b32 v3, v29
	v_dual_mov_b32 v82, v0 :: v_dual_mov_b32 v83, v1
	s_wait_alu 0xfffe
	s_swappc_b64 s[30:31], s[10:11]
	v_dual_mov_b32 v84, v0 :: v_dual_mov_b32 v85, v1
	v_and_b32_e32 v0, 56, v108
	s_mov_b32 s9, exec_lo
	s_delay_alu instid0(VALU_DEP_1)
	v_lshl_add_u32 v0, v63, 3, v0
	ds_store_b64 v0, v[84:85]
	s_wait_storecnt_dscnt 0x0
	s_barrier_signal -1
	s_barrier_wait -1
	global_inv scope:SCOPE_SE
	v_cmpx_gt_u32_e32 32, v63
	s_cbranch_execz .LBB269_109
; %bb.98:
	v_lshlrev_b32_e32 v0, 1, v63
	v_lshlrev_b32_e32 v1, 6, v63
	s_delay_alu instid0(VALU_DEP_2) | instskip(NEXT) | instid1(VALU_DEP_1)
	v_and_b32_e32 v0, 0x1f8, v0
	v_add_nc_u32_e32 v62, v0, v1
	ds_load_b64 v[86:87], v62
	ds_load_2addr_b64 v[88:91], v62 offset0:1 offset1:2
	s_wait_dscnt 0x1
	v_dual_mov_b32 v0, v86 :: v_dual_mov_b32 v1, v87
	s_wait_dscnt 0x0
	v_dual_mov_b32 v2, v88 :: v_dual_mov_b32 v3, v89
	s_wait_alu 0xfffe
	s_swappc_b64 s[30:31], s[10:11]
	v_dual_mov_b32 v2, v90 :: v_dual_mov_b32 v3, v91
	s_wait_alu 0xfffe
	s_swappc_b64 s[30:31], s[10:11]
	ds_load_2addr_b64 v[88:91], v62 offset0:3 offset1:4
	s_wait_dscnt 0x0
	v_dual_mov_b32 v2, v88 :: v_dual_mov_b32 v3, v89
	s_wait_alu 0xfffe
	s_swappc_b64 s[30:31], s[10:11]
	v_dual_mov_b32 v2, v90 :: v_dual_mov_b32 v3, v91
	s_wait_alu 0xfffe
	s_swappc_b64 s[30:31], s[10:11]
	ds_load_2addr_b64 v[88:91], v62 offset0:5 offset1:6
	s_wait_dscnt 0x0
	v_dual_mov_b32 v2, v88 :: v_dual_mov_b32 v3, v89
	s_wait_alu 0xfffe
	s_swappc_b64 s[30:31], s[10:11]
	v_dual_mov_b32 v2, v90 :: v_dual_mov_b32 v3, v91
	s_wait_alu 0xfffe
	s_swappc_b64 s[30:31], s[10:11]
	ds_load_b64 v[2:3], v62 offset:56
	s_wait_alu 0xfffe
	s_swappc_b64 s[30:31], s[10:11]
	v_dual_mov_b32 v2, v0 :: v_dual_mov_b32 v3, v1
	v_mbcnt_lo_u32_b32 v88, -1, 0
	s_mov_b32 s10, exec_lo
	s_delay_alu instid0(VALU_DEP_2) | instskip(NEXT) | instid1(VALU_DEP_3)
	v_mov_b32_dpp v0, v2 row_shr:1 row_mask:0xf bank_mask:0xf
	v_mov_b32_dpp v1, v3 row_shr:1 row_mask:0xf bank_mask:0xf
	s_delay_alu instid0(VALU_DEP_3) | instskip(NEXT) | instid1(VALU_DEP_1)
	v_and_b32_e32 v89, 15, v88
	v_cmpx_ne_u32_e32 0, v89
	s_cbranch_execz .LBB269_100
; %bb.99:
	s_getpc_b64 s[0:1]
	s_wait_alu 0xfffe
	s_sext_i32_i16 s1, s1
	s_add_co_u32 s0, s0, _ZZZZN2at6native31launch_logcumsumexp_cuda_kernelERKNS_10TensorBaseES3_lENKUlvE_clEvENKUlvE2_clEvENKUlN3c107complexIfEES8_E_clES8_S8_@rel32@lo+12
	s_wait_alu 0xfffe
	s_add_co_ci_u32 s1, s1, _ZZZZN2at6native31launch_logcumsumexp_cuda_kernelERKNS_10TensorBaseES3_lENKUlvE_clEvENKUlvE2_clEvENKUlN3c107complexIfEES8_E_clES8_S8_@rel32@hi+24
	s_wait_alu 0xfffe
	s_swappc_b64 s[30:31], s[0:1]
	v_dual_mov_b32 v2, v0 :: v_dual_mov_b32 v3, v1
.LBB269_100:
	s_wait_alu 0xfffe
	s_or_b32 exec_lo, exec_lo, s10
	s_delay_alu instid0(VALU_DEP_1) | instskip(NEXT) | instid1(VALU_DEP_2)
	v_mov_b32_dpp v0, v2 row_shr:2 row_mask:0xf bank_mask:0xf
	v_mov_b32_dpp v1, v3 row_shr:2 row_mask:0xf bank_mask:0xf
	s_mov_b32 s10, exec_lo
	v_cmpx_lt_u32_e32 1, v89
	s_cbranch_execz .LBB269_102
; %bb.101:
	s_getpc_b64 s[0:1]
	s_wait_alu 0xfffe
	s_sext_i32_i16 s1, s1
	s_add_co_u32 s0, s0, _ZZZZN2at6native31launch_logcumsumexp_cuda_kernelERKNS_10TensorBaseES3_lENKUlvE_clEvENKUlvE2_clEvENKUlN3c107complexIfEES8_E_clES8_S8_@rel32@lo+12
	s_wait_alu 0xfffe
	s_add_co_ci_u32 s1, s1, _ZZZZN2at6native31launch_logcumsumexp_cuda_kernelERKNS_10TensorBaseES3_lENKUlvE_clEvENKUlvE2_clEvENKUlN3c107complexIfEES8_E_clES8_S8_@rel32@hi+24
	s_wait_alu 0xfffe
	s_swappc_b64 s[30:31], s[0:1]
	v_dual_mov_b32 v2, v0 :: v_dual_mov_b32 v3, v1
.LBB269_102:
	s_wait_alu 0xfffe
	s_or_b32 exec_lo, exec_lo, s10
	s_delay_alu instid0(VALU_DEP_1) | instskip(NEXT) | instid1(VALU_DEP_2)
	v_mov_b32_dpp v0, v2 row_shr:4 row_mask:0xf bank_mask:0xf
	v_mov_b32_dpp v1, v3 row_shr:4 row_mask:0xf bank_mask:0xf
	s_mov_b32 s10, exec_lo
	v_cmpx_lt_u32_e32 3, v89
	;; [unrolled: 19-line block ×3, first 2 shown]
	s_cbranch_execz .LBB269_106
; %bb.105:
	s_getpc_b64 s[0:1]
	s_wait_alu 0xfffe
	s_sext_i32_i16 s1, s1
	s_add_co_u32 s0, s0, _ZZZZN2at6native31launch_logcumsumexp_cuda_kernelERKNS_10TensorBaseES3_lENKUlvE_clEvENKUlvE2_clEvENKUlN3c107complexIfEES8_E_clES8_S8_@rel32@lo+12
	s_wait_alu 0xfffe
	s_add_co_ci_u32 s1, s1, _ZZZZN2at6native31launch_logcumsumexp_cuda_kernelERKNS_10TensorBaseES3_lENKUlvE_clEvENKUlvE2_clEvENKUlN3c107complexIfEES8_E_clES8_S8_@rel32@hi+24
	s_wait_alu 0xfffe
	s_swappc_b64 s[30:31], s[0:1]
	v_dual_mov_b32 v2, v0 :: v_dual_mov_b32 v3, v1
.LBB269_106:
	s_wait_alu 0xfffe
	s_or_b32 exec_lo, exec_lo, s10
	ds_swizzle_b32 v0, v2 offset:swizzle(BROADCAST,32,15)
	ds_swizzle_b32 v1, v3 offset:swizzle(BROADCAST,32,15)
	v_and_b32_e32 v4, 16, v88
	s_mov_b32 s10, exec_lo
	s_delay_alu instid0(VALU_DEP_1)
	v_cmpx_ne_u32_e32 0, v4
	s_cbranch_execz .LBB269_108
; %bb.107:
	s_getpc_b64 s[0:1]
	s_wait_alu 0xfffe
	s_sext_i32_i16 s1, s1
	s_add_co_u32 s0, s0, _ZZZZN2at6native31launch_logcumsumexp_cuda_kernelERKNS_10TensorBaseES3_lENKUlvE_clEvENKUlvE2_clEvENKUlN3c107complexIfEES8_E_clES8_S8_@rel32@lo+12
	s_wait_alu 0xfffe
	s_add_co_ci_u32 s1, s1, _ZZZZN2at6native31launch_logcumsumexp_cuda_kernelERKNS_10TensorBaseES3_lENKUlvE_clEvENKUlvE2_clEvENKUlN3c107complexIfEES8_E_clES8_S8_@rel32@hi+24
	s_wait_alu 0xfffe
	s_swappc_b64 s[30:31], s[0:1]
	v_dual_mov_b32 v2, v0 :: v_dual_mov_b32 v3, v1
.LBB269_108:
	s_wait_alu 0xfffe
	s_or_b32 exec_lo, exec_lo, s10
	s_wait_dscnt 0x1
	v_add_nc_u32_e32 v0, -1, v88
	s_getpc_b64 s[10:11]
	s_wait_alu 0xfffe
	s_sext_i32_i16 s11, s11
	s_add_co_u32 s10, s10, _ZZZZN2at6native31launch_logcumsumexp_cuda_kernelERKNS_10TensorBaseES3_lENKUlvE_clEvENKUlvE2_clEvENKUlN3c107complexIfEES8_E_clES8_S8_@rel32@lo+12
	s_wait_alu 0xfffe
	s_add_co_ci_u32 s11, s11, _ZZZZN2at6native31launch_logcumsumexp_cuda_kernelERKNS_10TensorBaseES3_lENKUlvE_clEvENKUlvE2_clEvENKUlN3c107complexIfEES8_E_clES8_S8_@rel32@hi+24
	v_cmp_gt_i32_e32 vcc_lo, 0, v0
	s_wait_alu 0xfffd
	v_cndmask_b32_e32 v0, v0, v88, vcc_lo
	s_wait_dscnt 0x0
	s_delay_alu instid0(VALU_DEP_1)
	v_lshlrev_b32_e32 v1, 2, v0
	ds_bpermute_b32 v0, v1, v2
	v_mov_b32_e32 v2, v86
	ds_bpermute_b32 v1, v1, v3
	v_mov_b32_e32 v3, v87
	s_wait_alu 0xfffe
	s_swappc_b64 s[30:31], s[10:11]
	v_cndmask_b32_e64 v0, v0, v84, s8
	v_cndmask_b32_e64 v1, v1, v85, s8
	; wave barrier
	ds_store_b64 v62, v[0:1]
	; wave barrier
	ds_load_2addr_b64 v[86:89], v62 offset0:1 offset1:2
	s_wait_dscnt 0x0
	v_dual_mov_b32 v2, v86 :: v_dual_mov_b32 v3, v87
	s_wait_alu 0xfffe
	s_swappc_b64 s[30:31], s[10:11]
	v_dual_mov_b32 v2, v88 :: v_dual_mov_b32 v3, v89
	v_dual_mov_b32 v90, v0 :: v_dual_mov_b32 v91, v1
	s_wait_alu 0xfffe
	s_swappc_b64 s[30:31], s[10:11]
	ds_load_2addr_b64 v[86:89], v62 offset0:3 offset1:4
	ds_store_2addr_b64 v62, v[90:91], v[0:1] offset0:1 offset1:2
	s_wait_dscnt 0x1
	v_dual_mov_b32 v2, v86 :: v_dual_mov_b32 v3, v87
	s_wait_alu 0xfffe
	s_swappc_b64 s[30:31], s[10:11]
	v_dual_mov_b32 v2, v88 :: v_dual_mov_b32 v3, v89
	v_dual_mov_b32 v90, v0 :: v_dual_mov_b32 v91, v1
	s_wait_alu 0xfffe
	s_swappc_b64 s[30:31], s[10:11]
	ds_load_2addr_b64 v[86:89], v62 offset0:5 offset1:6
	ds_store_2addr_b64 v62, v[90:91], v[0:1] offset0:3 offset1:4
	s_wait_dscnt 0x1
	v_dual_mov_b32 v2, v86 :: v_dual_mov_b32 v3, v87
	s_wait_alu 0xfffe
	s_swappc_b64 s[30:31], s[10:11]
	v_dual_mov_b32 v2, v88 :: v_dual_mov_b32 v3, v89
	v_dual_mov_b32 v86, v0 :: v_dual_mov_b32 v87, v1
	s_wait_alu 0xfffe
	s_swappc_b64 s[30:31], s[10:11]
	ds_load_b64 v[2:3], v62 offset:56
	ds_store_2addr_b64 v62, v[86:87], v[0:1] offset0:5 offset1:6
	s_wait_alu 0xfffe
	s_swappc_b64 s[30:31], s[10:11]
	ds_store_b64 v62, v[0:1] offset:56
.LBB269_109:
	s_wait_alu 0xfffe
	s_or_b32 exec_lo, exec_lo, s9
	s_wait_storecnt 0x0
	s_wait_loadcnt_dscnt 0x0
	s_barrier_signal -1
	s_barrier_wait -1
	global_inv scope:SCOPE_SE
	s_and_saveexec_b32 s10, s7
	s_cbranch_execz .LBB269_111
; %bb.110:
	v_dual_mov_b32 v3, v23 :: v_dual_add_nc_u32 v0, -1, v63
	s_getpc_b64 s[8:9]
	s_wait_alu 0xfffe
	s_sext_i32_i16 s9, s9
	s_add_co_u32 s8, s8, _ZZZZN2at6native31launch_logcumsumexp_cuda_kernelERKNS_10TensorBaseES3_lENKUlvE_clEvENKUlvE2_clEvENKUlN3c107complexIfEES8_E_clES8_S8_@rel32@lo+12
	s_wait_alu 0xfffe
	s_add_co_ci_u32 s9, s9, _ZZZZN2at6native31launch_logcumsumexp_cuda_kernelERKNS_10TensorBaseES3_lENKUlvE_clEvENKUlvE2_clEvENKUlN3c107complexIfEES8_E_clES8_S8_@rel32@hi+24
	v_mov_b32_e32 v2, v22
	v_lshrrev_b32_e32 v1, 2, v0
	s_delay_alu instid0(VALU_DEP_1) | instskip(NEXT) | instid1(VALU_DEP_1)
	v_and_b32_e32 v1, 0x3ffffff8, v1
	v_lshl_add_u32 v0, v0, 3, v1
	ds_load_b64 v[0:1], v0
	s_wait_alu 0xfffe
	s_swappc_b64 s[30:31], s[8:9]
	v_dual_mov_b32 v2, v24 :: v_dual_mov_b32 v3, v25
	v_dual_mov_b32 v22, v0 :: v_dual_mov_b32 v23, v1
	;;#ASMSTART
	;;#ASMEND
	s_wait_alu 0xfffe
	s_swappc_b64 s[30:31], s[8:9]
	v_dual_mov_b32 v2, v50 :: v_dual_mov_b32 v3, v51
	v_dual_mov_b32 v54, v0 :: v_dual_mov_b32 v55, v1
	s_wait_alu 0xfffe
	s_swappc_b64 s[30:31], s[8:9]
	v_dual_mov_b32 v2, v52 :: v_dual_mov_b32 v3, v53
	v_dual_mov_b32 v56, v0 :: v_dual_mov_b32 v57, v1
	;; [unrolled: 4-line block ×14, first 2 shown]
	s_wait_alu 0xfffe
	s_swappc_b64 s[30:31], s[8:9]
	v_dual_mov_b32 v84, v0 :: v_dual_mov_b32 v85, v1
.LBB269_111:
	s_wait_alu 0xfffe
	s_or_b32 exec_lo, exec_lo, s10
	s_delay_alu instid0(SALU_CYCLE_1)
	s_mov_b32 s0, exec_lo
	v_cmpx_eq_u32_e32 0xff, v63
	s_cbranch_execz .LBB269_113
; %bb.112:
	s_add_nc_u64 s[2:3], s[18:19], 0x200
	v_dual_mov_b32 v2, 2 :: v_dual_mov_b32 v3, 0
	v_dual_mov_b32 v0, v84 :: v_dual_mov_b32 v1, v85
	s_wait_alu 0xfffe
	v_dual_mov_b32 v5, s3 :: v_dual_mov_b32 v4, s2
	;;#ASMSTART
	global_store_b128 v[4:5], v[0:3] off scope:SCOPE_DEV	
s_wait_storecnt 0x0
	;;#ASMEND
.LBB269_113:
	s_wait_alu 0xfffe
	s_or_b32 exec_lo, exec_lo, s0
	v_dual_mov_b32 v86, v22 :: v_dual_mov_b32 v87, v23
.LBB269_114:
	s_add_nc_u64 s[0:1], s[16:17], s[14:15]
	s_and_b32 vcc_lo, exec_lo, s33
	s_wait_alu 0xfffe
	s_add_nc_u64 s[0:1], s[0:1], s[28:29]
	s_mov_b32 s2, -1
	s_wait_loadcnt 0x0
	s_wait_storecnt 0x0
	s_barrier_signal -1
	s_barrier_wait -1
	global_inv scope:SCOPE_SE
	s_cbranch_vccz .LBB269_116
; %bb.115:
	v_lshrrev_b32_e32 v1, 2, v106
	v_lshrrev_b32_e32 v2, 2, v105
	;; [unrolled: 1-line block ×3, first 2 shown]
	v_and_b32_e32 v0, 56, v108
	v_lshrrev_b32_e32 v4, 2, v103
	v_and_b32_e32 v1, 0x78, v1
	v_and_b32_e32 v2, 0xb8, v2
	;; [unrolled: 1-line block ×3, first 2 shown]
	v_add_nc_u32_e32 v0, v0, v107
	v_lshrrev_b32_e32 v5, 2, v102
	v_and_b32_e32 v9, 0x138, v4
	v_lshrrev_b32_e32 v11, 2, v101
	v_lshrrev_b32_e32 v12, 2, v100
	v_add_nc_u32_e32 v6, v1, v107
	v_add_nc_u32_e32 v7, v2, v107
	;; [unrolled: 1-line block ×3, first 2 shown]
	v_lshrrev_b32_e32 v14, 2, v97
	ds_store_2addr_b64 v109, v[86:87], v[54:55] offset1:1
	ds_store_2addr_b64 v109, v[56:57], v[58:59] offset0:2 offset1:3
	ds_store_2addr_b64 v109, v[60:61], v[64:65] offset0:4 offset1:5
	;; [unrolled: 1-line block ×7, first 2 shown]
	s_wait_loadcnt_dscnt 0x0
	s_barrier_signal -1
	s_barrier_wait -1
	global_inv scope:SCOPE_SE
	v_and_b32_e32 v10, 0x178, v5
	ds_load_b64 v[0:1], v0
	ds_load_b64 v[2:3], v6 offset:2048
	ds_load_b64 v[4:5], v7 offset:4096
	;; [unrolled: 1-line block ×3, first 2 shown]
	v_add_nc_u32_e32 v8, v9, v107
	v_and_b32_e32 v9, 0x1b8, v11
	v_and_b32_e32 v11, 0x1f8, v12
	v_lshrrev_b32_e32 v12, 2, v99
	v_and_b32_e32 v19, 0x2b8, v14
	v_lshrrev_b32_e32 v13, 2, v98
	v_lshrrev_b32_e32 v20, 2, v96
	v_add_nc_u32_e32 v10, v10, v107
	v_and_b32_e32 v17, 0x238, v12
	v_add_nc_u32_e32 v15, v9, v107
	v_add_nc_u32_e32 v16, v11, v107
	;; [unrolled: 1-line block ×3, first 2 shown]
	v_lshrrev_b32_e32 v19, 2, v95
	v_and_b32_e32 v18, 0x278, v13
	ds_load_b64 v[8:9], v8 offset:8192
	ds_load_b64 v[10:11], v10 offset:10240
	;; [unrolled: 1-line block ×4, first 2 shown]
	v_add_nc_u32_e32 v16, v17, v107
	v_and_b32_e32 v17, 0x2f8, v20
	v_lshrrev_b32_e32 v20, 2, v94
	v_lshrrev_b32_e32 v22, 2, v93
	v_lshrrev_b32_e32 v23, 2, v92
	v_and_b32_e32 v25, 0x338, v19
	v_add_nc_u32_e32 v18, v18, v107
	v_and_b32_e32 v26, 0x378, v20
	v_and_b32_e32 v27, 0x3b8, v22
	v_add_nc_u32_e32 v24, v17, v107
	v_and_b32_e32 v28, 0x3f8, v23
	ds_load_b64 v[16:17], v16 offset:16384
	ds_load_b64 v[18:19], v18 offset:18432
	;; [unrolled: 1-line block ×4, first 2 shown]
	v_add_nc_u32_e32 v24, v25, v107
	v_add_nc_u32_e32 v26, v26, v107
	;; [unrolled: 1-line block ×4, first 2 shown]
	ds_load_b64 v[24:25], v24 offset:24576
	ds_load_b64 v[26:27], v26 offset:26624
	;; [unrolled: 1-line block ×4, first 2 shown]
	s_wait_dscnt 0xf
	global_store_b64 v107, v[0:1], s[0:1]
	s_wait_dscnt 0xe
	global_store_b64 v107, v[2:3], s[0:1] offset:2048
	s_wait_dscnt 0xd
	global_store_b64 v107, v[4:5], s[0:1] offset:4096
	;; [unrolled: 2-line block ×11, first 2 shown]
	s_mov_b32 s2, 0
	s_wait_dscnt 0x3
	global_store_b64 v107, v[24:25], s[0:1] offset:24576
	s_wait_dscnt 0x2
	global_store_b64 v107, v[26:27], s[0:1] offset:26624
	;; [unrolled: 2-line block ×4, first 2 shown]
.LBB269_116:
	s_wait_alu 0xfffe
	s_and_not1_b32 vcc_lo, exec_lo, s2
	s_wait_alu 0xfffe
	s_cbranch_vccnz .LBB269_134
; %bb.117:
	v_and_b32_e32 v0, 56, v108
	v_lshrrev_b32_e32 v1, 2, v106
	v_lshrrev_b32_e32 v2, 2, v105
	;; [unrolled: 1-line block ×4, first 2 shown]
	v_add_nc_u32_e32 v34, v0, v107
	v_and_b32_e32 v0, 0x78, v1
	v_and_b32_e32 v1, 0xb8, v2
	;; [unrolled: 1-line block ×3, first 2 shown]
	v_lshrrev_b32_e32 v3, 2, v103
	v_and_b32_e32 v9, 0x178, v4
	v_lshrrev_b32_e32 v10, 2, v101
	v_lshrrev_b32_e32 v11, 2, v100
	;; [unrolled: 1-line block ×3, first 2 shown]
	v_and_b32_e32 v8, 0x138, v3
	v_add_nc_u32_e32 v12, v9, v107
	v_and_b32_e32 v9, 0x1b8, v10
	v_and_b32_e32 v10, 0x1f8, v11
	v_lshrrev_b32_e32 v11, 2, v99
	v_add_nc_u32_e32 v8, v8, v107
	v_lshrrev_b32_e32 v13, 2, v98
	v_add_nc_u32_e32 v0, v0, v107
	v_and_b32_e32 v19, 0x2b8, v14
	v_and_b32_e32 v17, 0x238, v11
	ds_store_2addr_b64 v109, v[86:87], v[54:55] offset1:1
	ds_store_2addr_b64 v109, v[56:57], v[58:59] offset0:2 offset1:3
	ds_store_2addr_b64 v109, v[60:61], v[64:65] offset0:4 offset1:5
	;; [unrolled: 1-line block ×7, first 2 shown]
	v_dual_mov_b32 v64, 0 :: v_dual_add_nc_u32 v15, v9, v107
	v_add_nc_u32_e32 v5, v1, v107
	v_add_nc_u32_e32 v6, v2, v107
	v_add_nc_u32_e32 v16, v10, v107
	s_wait_storecnt 0x0
	s_wait_loadcnt_dscnt 0x0
	s_barrier_signal -1
	s_barrier_wait -1
	global_inv scope:SCOPE_SE
	ds_load_b64 v[2:3], v34
	ds_load_b64 v[0:1], v0 offset:2048
	ds_load_b64 v[4:5], v5 offset:4096
	;; [unrolled: 1-line block ×3, first 2 shown]
	v_and_b32_e32 v18, 0x278, v13
	ds_load_b64 v[8:9], v8 offset:8192
	ds_load_b64 v[10:11], v12 offset:10240
	;; [unrolled: 1-line block ×4, first 2 shown]
	v_add_nc_u32_e32 v16, v17, v107
	v_lshrrev_b32_e32 v17, 2, v96
	v_add_nc_u32_e32 v20, v19, v107
	v_lshrrev_b32_e32 v19, 2, v95
	v_lshrrev_b32_e32 v21, 2, v94
	;; [unrolled: 1-line block ×4, first 2 shown]
	v_and_b32_e32 v17, 0x2f8, v17
	v_and_b32_e32 v19, 0x338, v19
	;; [unrolled: 1-line block ×5, first 2 shown]
	v_add_nc_u32_e32 v18, v18, v107
	v_add_nc_u32_e32 v24, v17, v107
	;; [unrolled: 1-line block ×6, first 2 shown]
	ds_load_b64 v[16:17], v16 offset:16384
	ds_load_b64 v[18:19], v18 offset:18432
	;; [unrolled: 1-line block ×8, first 2 shown]
	v_add_co_u32 v32, s0, s0, v107
	s_wait_alu 0xf1ff
	v_add_co_ci_u32_e64 v33, null, s1, 0, s0
	s_mov_b32 s0, exec_lo
	v_cmpx_gt_u32_e64 s12, v63
	s_cbranch_execnz .LBB269_135
; %bb.118:
	s_wait_alu 0xfffe
	s_or_b32 exec_lo, exec_lo, s0
	s_delay_alu instid0(SALU_CYCLE_1)
	s_mov_b32 s0, exec_lo
	v_cmpx_gt_u32_e64 s12, v106
	s_cbranch_execnz .LBB269_136
.LBB269_119:
	s_wait_alu 0xfffe
	s_or_b32 exec_lo, exec_lo, s0
	s_delay_alu instid0(SALU_CYCLE_1)
	s_mov_b32 s0, exec_lo
	v_cmpx_gt_u32_e64 s12, v105
	s_cbranch_execnz .LBB269_137
.LBB269_120:
	s_wait_alu 0xfffe
	s_or_b32 exec_lo, exec_lo, s0
	s_delay_alu instid0(SALU_CYCLE_1)
	s_mov_b32 s0, exec_lo
	v_cmpx_gt_u32_e64 s12, v104
	s_cbranch_execnz .LBB269_138
.LBB269_121:
	s_wait_alu 0xfffe
	s_or_b32 exec_lo, exec_lo, s0
	s_delay_alu instid0(SALU_CYCLE_1)
	s_mov_b32 s0, exec_lo
	v_cmpx_gt_u32_e64 s12, v103
	s_cbranch_execnz .LBB269_139
.LBB269_122:
	s_wait_alu 0xfffe
	s_or_b32 exec_lo, exec_lo, s0
	s_delay_alu instid0(SALU_CYCLE_1)
	s_mov_b32 s0, exec_lo
	v_cmpx_gt_u32_e64 s12, v102
	s_cbranch_execnz .LBB269_140
.LBB269_123:
	s_wait_alu 0xfffe
	s_or_b32 exec_lo, exec_lo, s0
	s_delay_alu instid0(SALU_CYCLE_1)
	s_mov_b32 s0, exec_lo
	v_cmpx_gt_u32_e64 s12, v101
	s_cbranch_execnz .LBB269_141
.LBB269_124:
	s_wait_alu 0xfffe
	s_or_b32 exec_lo, exec_lo, s0
	s_delay_alu instid0(SALU_CYCLE_1)
	s_mov_b32 s0, exec_lo
	v_cmpx_gt_u32_e64 s12, v100
	s_cbranch_execnz .LBB269_142
.LBB269_125:
	s_wait_alu 0xfffe
	s_or_b32 exec_lo, exec_lo, s0
	s_delay_alu instid0(SALU_CYCLE_1)
	s_mov_b32 s0, exec_lo
	v_cmpx_gt_u32_e64 s12, v99
	s_cbranch_execnz .LBB269_143
.LBB269_126:
	s_wait_alu 0xfffe
	s_or_b32 exec_lo, exec_lo, s0
	s_delay_alu instid0(SALU_CYCLE_1)
	s_mov_b32 s0, exec_lo
	v_cmpx_gt_u32_e64 s12, v98
	s_cbranch_execnz .LBB269_144
.LBB269_127:
	s_wait_alu 0xfffe
	s_or_b32 exec_lo, exec_lo, s0
	s_delay_alu instid0(SALU_CYCLE_1)
	s_mov_b32 s0, exec_lo
	v_cmpx_gt_u32_e64 s12, v97
	s_cbranch_execnz .LBB269_145
.LBB269_128:
	s_wait_alu 0xfffe
	s_or_b32 exec_lo, exec_lo, s0
	s_delay_alu instid0(SALU_CYCLE_1)
	s_mov_b32 s0, exec_lo
	v_cmpx_gt_u32_e64 s12, v96
	s_cbranch_execnz .LBB269_146
.LBB269_129:
	s_wait_alu 0xfffe
	s_or_b32 exec_lo, exec_lo, s0
	s_delay_alu instid0(SALU_CYCLE_1)
	s_mov_b32 s0, exec_lo
	v_cmpx_gt_u32_e64 s12, v95
	s_cbranch_execnz .LBB269_147
.LBB269_130:
	s_wait_alu 0xfffe
	s_or_b32 exec_lo, exec_lo, s0
	s_delay_alu instid0(SALU_CYCLE_1)
	s_mov_b32 s0, exec_lo
	v_cmpx_gt_u32_e64 s12, v94
	s_cbranch_execnz .LBB269_148
.LBB269_131:
	s_wait_alu 0xfffe
	s_or_b32 exec_lo, exec_lo, s0
	s_delay_alu instid0(SALU_CYCLE_1)
	s_mov_b32 s0, exec_lo
	v_cmpx_gt_u32_e64 s12, v93
	s_cbranch_execnz .LBB269_149
.LBB269_132:
	s_wait_alu 0xfffe
	s_or_b32 exec_lo, exec_lo, s0
	s_delay_alu instid0(SALU_CYCLE_1)
	s_mov_b32 s0, exec_lo
	v_cmpx_gt_u32_e64 s12, v92
	s_cbranch_execnz .LBB269_150
.LBB269_133:
	s_wait_alu 0xfffe
	s_or_b32 exec_lo, exec_lo, s0
	s_wait_kmcnt 0x0
	v_cmp_lt_u64_e64 s0, s[26:27], 2
	s_and_b32 vcc_lo, exec_lo, s0
	s_wait_alu 0xfffe
	s_cbranch_vccz .LBB269_151
.LBB269_134:
	s_nop 0
	s_sendmsg sendmsg(MSG_DEALLOC_VGPRS)
	s_endpgm
.LBB269_135:
	ds_load_b64 v[34:35], v34
	s_wait_dscnt 0x0
	global_store_b64 v[32:33], v[34:35], off
	s_wait_alu 0xfffe
	s_or_b32 exec_lo, exec_lo, s0
	s_delay_alu instid0(SALU_CYCLE_1)
	s_mov_b32 s0, exec_lo
	v_cmpx_gt_u32_e64 s12, v106
	s_cbranch_execz .LBB269_119
.LBB269_136:
	s_wait_dscnt 0xe
	global_store_b64 v[32:33], v[0:1], off offset:2048
	s_wait_alu 0xfffe
	s_or_b32 exec_lo, exec_lo, s0
	s_delay_alu instid0(SALU_CYCLE_1)
	s_mov_b32 s0, exec_lo
	v_cmpx_gt_u32_e64 s12, v105
	s_cbranch_execz .LBB269_120
.LBB269_137:
	s_wait_dscnt 0xd
	global_store_b64 v[32:33], v[4:5], off offset:4096
	s_wait_alu 0xfffe
	s_or_b32 exec_lo, exec_lo, s0
	s_delay_alu instid0(SALU_CYCLE_1)
	s_mov_b32 s0, exec_lo
	v_cmpx_gt_u32_e64 s12, v104
	s_cbranch_execz .LBB269_121
.LBB269_138:
	s_wait_dscnt 0xc
	global_store_b64 v[32:33], v[6:7], off offset:6144
	s_wait_alu 0xfffe
	s_or_b32 exec_lo, exec_lo, s0
	s_delay_alu instid0(SALU_CYCLE_1)
	s_mov_b32 s0, exec_lo
	v_cmpx_gt_u32_e64 s12, v103
	s_cbranch_execz .LBB269_122
.LBB269_139:
	s_wait_dscnt 0xb
	global_store_b64 v[32:33], v[8:9], off offset:8192
	s_wait_alu 0xfffe
	s_or_b32 exec_lo, exec_lo, s0
	s_delay_alu instid0(SALU_CYCLE_1)
	s_mov_b32 s0, exec_lo
	v_cmpx_gt_u32_e64 s12, v102
	s_cbranch_execz .LBB269_123
.LBB269_140:
	s_wait_dscnt 0xa
	global_store_b64 v[32:33], v[10:11], off offset:10240
	s_wait_alu 0xfffe
	s_or_b32 exec_lo, exec_lo, s0
	s_delay_alu instid0(SALU_CYCLE_1)
	s_mov_b32 s0, exec_lo
	v_cmpx_gt_u32_e64 s12, v101
	s_cbranch_execz .LBB269_124
.LBB269_141:
	s_wait_dscnt 0x9
	global_store_b64 v[32:33], v[12:13], off offset:12288
	s_wait_alu 0xfffe
	s_or_b32 exec_lo, exec_lo, s0
	s_delay_alu instid0(SALU_CYCLE_1)
	s_mov_b32 s0, exec_lo
	v_cmpx_gt_u32_e64 s12, v100
	s_cbranch_execz .LBB269_125
.LBB269_142:
	s_wait_dscnt 0x8
	global_store_b64 v[32:33], v[14:15], off offset:14336
	s_wait_alu 0xfffe
	s_or_b32 exec_lo, exec_lo, s0
	s_delay_alu instid0(SALU_CYCLE_1)
	s_mov_b32 s0, exec_lo
	v_cmpx_gt_u32_e64 s12, v99
	s_cbranch_execz .LBB269_126
.LBB269_143:
	s_wait_dscnt 0x7
	global_store_b64 v[32:33], v[16:17], off offset:16384
	s_wait_alu 0xfffe
	s_or_b32 exec_lo, exec_lo, s0
	s_delay_alu instid0(SALU_CYCLE_1)
	s_mov_b32 s0, exec_lo
	v_cmpx_gt_u32_e64 s12, v98
	s_cbranch_execz .LBB269_127
.LBB269_144:
	s_wait_dscnt 0x6
	global_store_b64 v[32:33], v[18:19], off offset:18432
	s_wait_alu 0xfffe
	s_or_b32 exec_lo, exec_lo, s0
	s_delay_alu instid0(SALU_CYCLE_1)
	s_mov_b32 s0, exec_lo
	v_cmpx_gt_u32_e64 s12, v97
	s_cbranch_execz .LBB269_128
.LBB269_145:
	s_wait_dscnt 0x5
	global_store_b64 v[32:33], v[20:21], off offset:20480
	s_wait_alu 0xfffe
	s_or_b32 exec_lo, exec_lo, s0
	s_delay_alu instid0(SALU_CYCLE_1)
	s_mov_b32 s0, exec_lo
	v_cmpx_gt_u32_e64 s12, v96
	s_cbranch_execz .LBB269_129
.LBB269_146:
	s_wait_dscnt 0x4
	global_store_b64 v[32:33], v[22:23], off offset:22528
	s_wait_alu 0xfffe
	s_or_b32 exec_lo, exec_lo, s0
	s_delay_alu instid0(SALU_CYCLE_1)
	s_mov_b32 s0, exec_lo
	v_cmpx_gt_u32_e64 s12, v95
	s_cbranch_execz .LBB269_130
.LBB269_147:
	s_wait_dscnt 0x3
	global_store_b64 v[32:33], v[24:25], off offset:24576
	s_wait_alu 0xfffe
	s_or_b32 exec_lo, exec_lo, s0
	s_delay_alu instid0(SALU_CYCLE_1)
	s_mov_b32 s0, exec_lo
	v_cmpx_gt_u32_e64 s12, v94
	s_cbranch_execz .LBB269_131
.LBB269_148:
	s_wait_dscnt 0x2
	global_store_b64 v[32:33], v[26:27], off offset:26624
	s_wait_alu 0xfffe
	s_or_b32 exec_lo, exec_lo, s0
	s_delay_alu instid0(SALU_CYCLE_1)
	s_mov_b32 s0, exec_lo
	v_cmpx_gt_u32_e64 s12, v93
	s_cbranch_execz .LBB269_132
.LBB269_149:
	s_wait_dscnt 0x1
	global_store_b64 v[32:33], v[28:29], off offset:28672
	s_wait_alu 0xfffe
	s_or_b32 exec_lo, exec_lo, s0
	s_delay_alu instid0(SALU_CYCLE_1)
	s_mov_b32 s0, exec_lo
	v_cmpx_gt_u32_e64 s12, v92
	s_cbranch_execz .LBB269_133
.LBB269_150:
	s_wait_dscnt 0x0
	global_store_b64 v[32:33], v[30:31], off offset:30720
	s_wait_alu 0xfffe
	s_or_b32 exec_lo, exec_lo, s0
	s_wait_kmcnt 0x0
	v_cmp_lt_u64_e64 s0, s[26:27], 2
	s_and_b32 vcc_lo, exec_lo, s0
	s_wait_alu 0xfffe
	s_cbranch_vccnz .LBB269_134
.LBB269_151:
	s_add_nc_u64 s[0:1], s[12:13], -1
	s_wait_alu 0xfffe
	s_lshr_b64 s[2:3], s[0:1], 4
	s_mov_b32 s1, exec_lo
	s_wait_alu 0xfffe
	v_cmpx_eq_u64_e64 s[2:3], v[63:64]
	s_cbranch_execz .LBB269_134
; %bb.152:
	s_and_b32 s0, s0, 15
	s_mov_b32 s1, 0
	s_wait_alu 0xfffe
	v_cmp_lt_i64_e64 s2, s[0:1], 8
	s_and_b32 vcc_lo, exec_lo, s2
	s_mov_b32 s2, -1
	s_wait_alu 0xfffe
	s_cbranch_vccnz .LBB269_179
; %bb.153:
	v_cmp_lt_i64_e64 s2, s[0:1], 12
	s_and_b32 vcc_lo, exec_lo, s2
	s_mov_b32 s2, -1
	s_wait_alu 0xfffe
	s_cbranch_vccnz .LBB269_166
; %bb.154:
	;; [unrolled: 6-line block ×3, first 2 shown]
	v_cmp_gt_i64_e64 s2, s[0:1], 14
	s_and_b32 vcc_lo, exec_lo, s2
	s_mov_b32 s2, -1
	s_wait_alu 0xfffe
	s_cbranch_vccz .LBB269_157
; %bb.156:
	v_mov_b32_e32 v32, 0
	s_mov_b32 s2, 0
	s_wait_dscnt 0x0
	global_store_b64 v32, v[30:31], s[22:23]
.LBB269_157:
	s_wait_alu 0xfffe
	s_and_not1_b32 vcc_lo, exec_lo, s2
	s_wait_alu 0xfffe
	s_cbranch_vccnz .LBB269_159
; %bb.158:
	s_wait_dscnt 0x0
	v_mov_b32_e32 v30, 0
	global_store_b64 v30, v[28:29], s[22:23]
.LBB269_159:
	s_mov_b32 s2, 0
.LBB269_160:
	s_wait_alu 0xfffe
	s_and_not1_b32 vcc_lo, exec_lo, s2
	s_wait_alu 0xfffe
	s_cbranch_vccnz .LBB269_165
; %bb.161:
	v_cmp_gt_i64_e64 s2, s[0:1], 12
	s_and_b32 vcc_lo, exec_lo, s2
	s_mov_b32 s2, -1
	s_wait_alu 0xfffe
	s_cbranch_vccz .LBB269_163
; %bb.162:
	s_wait_dscnt 0x1
	v_mov_b32_e32 v28, 0
	s_mov_b32 s2, 0
	global_store_b64 v28, v[26:27], s[22:23]
.LBB269_163:
	s_wait_alu 0xfffe
	s_and_not1_b32 vcc_lo, exec_lo, s2
	s_wait_alu 0xfffe
	s_cbranch_vccnz .LBB269_165
; %bb.164:
	s_wait_dscnt 0x2
	v_mov_b32_e32 v26, 0
	global_store_b64 v26, v[24:25], s[22:23]
.LBB269_165:
	s_mov_b32 s2, 0
.LBB269_166:
	s_wait_alu 0xfffe
	s_and_not1_b32 vcc_lo, exec_lo, s2
	s_wait_alu 0xfffe
	s_cbranch_vccnz .LBB269_178
; %bb.167:
	v_cmp_lt_i64_e64 s2, s[0:1], 10
	s_and_b32 vcc_lo, exec_lo, s2
	s_mov_b32 s2, -1
	s_wait_alu 0xfffe
	s_cbranch_vccnz .LBB269_173
; %bb.168:
	v_cmp_gt_i64_e64 s2, s[0:1], 10
	s_and_b32 vcc_lo, exec_lo, s2
	s_mov_b32 s2, -1
	s_wait_alu 0xfffe
	s_cbranch_vccz .LBB269_170
; %bb.169:
	s_wait_dscnt 0x3
	v_mov_b32_e32 v24, 0
	s_mov_b32 s2, 0
	global_store_b64 v24, v[22:23], s[22:23]
.LBB269_170:
	s_wait_alu 0xfffe
	s_and_not1_b32 vcc_lo, exec_lo, s2
	s_wait_alu 0xfffe
	s_cbranch_vccnz .LBB269_172
; %bb.171:
	s_wait_dscnt 0x4
	v_mov_b32_e32 v22, 0
	global_store_b64 v22, v[20:21], s[22:23]
.LBB269_172:
	s_mov_b32 s2, 0
.LBB269_173:
	s_wait_alu 0xfffe
	s_and_not1_b32 vcc_lo, exec_lo, s2
	s_wait_alu 0xfffe
	s_cbranch_vccnz .LBB269_178
; %bb.174:
	v_cmp_gt_i64_e64 s2, s[0:1], 8
	s_and_b32 vcc_lo, exec_lo, s2
	s_mov_b32 s2, -1
	s_wait_alu 0xfffe
	s_cbranch_vccz .LBB269_176
; %bb.175:
	s_wait_dscnt 0x5
	v_mov_b32_e32 v20, 0
	s_mov_b32 s2, 0
	global_store_b64 v20, v[18:19], s[22:23]
.LBB269_176:
	s_wait_alu 0xfffe
	s_and_not1_b32 vcc_lo, exec_lo, s2
	s_wait_alu 0xfffe
	s_cbranch_vccnz .LBB269_178
; %bb.177:
	s_wait_dscnt 0x6
	v_mov_b32_e32 v18, 0
	global_store_b64 v18, v[16:17], s[22:23]
.LBB269_178:
	s_mov_b32 s2, 0
.LBB269_179:
	s_wait_alu 0xfffe
	s_and_not1_b32 vcc_lo, exec_lo, s2
	s_wait_alu 0xfffe
	s_cbranch_vccnz .LBB269_134
; %bb.180:
	v_cmp_lt_i64_e64 s2, s[0:1], 4
	s_and_b32 vcc_lo, exec_lo, s2
	s_mov_b32 s2, -1
	s_wait_alu 0xfffe
	s_cbranch_vccnz .LBB269_193
; %bb.181:
	v_cmp_lt_i64_e64 s2, s[0:1], 6
	s_and_b32 vcc_lo, exec_lo, s2
	s_mov_b32 s2, -1
	s_wait_alu 0xfffe
	s_cbranch_vccnz .LBB269_187
; %bb.182:
	v_cmp_gt_i64_e64 s2, s[0:1], 6
	s_and_b32 vcc_lo, exec_lo, s2
	s_mov_b32 s2, -1
	s_wait_alu 0xfffe
	s_cbranch_vccz .LBB269_184
; %bb.183:
	s_wait_dscnt 0x7
	v_mov_b32_e32 v16, 0
	s_mov_b32 s2, 0
	global_store_b64 v16, v[14:15], s[22:23]
.LBB269_184:
	s_wait_alu 0xfffe
	s_and_not1_b32 vcc_lo, exec_lo, s2
	s_wait_alu 0xfffe
	s_cbranch_vccnz .LBB269_186
; %bb.185:
	s_wait_dscnt 0x8
	v_mov_b32_e32 v14, 0
	global_store_b64 v14, v[12:13], s[22:23]
.LBB269_186:
	s_mov_b32 s2, 0
.LBB269_187:
	s_wait_alu 0xfffe
	s_and_not1_b32 vcc_lo, exec_lo, s2
	s_wait_alu 0xfffe
	s_cbranch_vccnz .LBB269_192
; %bb.188:
	v_cmp_gt_i64_e64 s2, s[0:1], 4
	s_and_b32 vcc_lo, exec_lo, s2
	s_mov_b32 s2, -1
	s_wait_alu 0xfffe
	s_cbranch_vccz .LBB269_190
; %bb.189:
	s_wait_dscnt 0x9
	v_mov_b32_e32 v12, 0
	s_mov_b32 s2, 0
	global_store_b64 v12, v[10:11], s[22:23]
.LBB269_190:
	s_wait_alu 0xfffe
	s_and_not1_b32 vcc_lo, exec_lo, s2
	s_wait_alu 0xfffe
	s_cbranch_vccnz .LBB269_192
; %bb.191:
	s_wait_dscnt 0xa
	v_mov_b32_e32 v10, 0
	global_store_b64 v10, v[8:9], s[22:23]
.LBB269_192:
	s_mov_b32 s2, 0
.LBB269_193:
	s_wait_alu 0xfffe
	s_and_not1_b32 vcc_lo, exec_lo, s2
	s_wait_alu 0xfffe
	s_cbranch_vccnz .LBB269_134
; %bb.194:
	v_cmp_lt_i64_e64 s2, s[0:1], 2
	s_and_b32 vcc_lo, exec_lo, s2
	s_mov_b32 s2, -1
	s_wait_alu 0xfffe
	s_cbranch_vccnz .LBB269_200
; %bb.195:
	v_cmp_gt_i64_e64 s2, s[0:1], 2
	s_and_b32 vcc_lo, exec_lo, s2
	s_mov_b32 s2, -1
	s_wait_alu 0xfffe
	s_cbranch_vccz .LBB269_197
; %bb.196:
	s_wait_dscnt 0xb
	v_mov_b32_e32 v8, 0
	s_mov_b32 s2, 0
	global_store_b64 v8, v[6:7], s[22:23]
.LBB269_197:
	s_wait_alu 0xfffe
	s_and_not1_b32 vcc_lo, exec_lo, s2
	s_wait_alu 0xfffe
	s_cbranch_vccnz .LBB269_199
; %bb.198:
	s_wait_dscnt 0xc
	v_mov_b32_e32 v6, 0
	global_store_b64 v6, v[4:5], s[22:23]
.LBB269_199:
	s_mov_b32 s2, 0
.LBB269_200:
	s_wait_alu 0xfffe
	s_and_not1_b32 vcc_lo, exec_lo, s2
	s_wait_alu 0xfffe
	s_cbranch_vccnz .LBB269_134
; %bb.201:
	s_cmp_eq_u64 s[0:1], 1
	s_mov_b32 s0, -1
	s_cbranch_scc1 .LBB269_203
; %bb.202:
	s_wait_dscnt 0xd
	v_mov_b32_e32 v4, 0
	s_mov_b32 s0, 0
	global_store_b64 v4, v[2:3], s[22:23]
.LBB269_203:
	s_wait_alu 0xfffe
	s_and_not1_b32 vcc_lo, exec_lo, s0
	s_wait_alu 0xfffe
	s_cbranch_vccnz .LBB269_134
; %bb.204:
	s_wait_dscnt 0xf
	v_mov_b32_e32 v2, 0
	s_wait_dscnt 0xe
	global_store_b64 v2, v[0:1], s[22:23]
	s_nop 0
	s_sendmsg sendmsg(MSG_DEALLOC_VGPRS)
	s_endpgm
	.section	.rodata,"a",@progbits
	.p2align	6, 0x0
	.amdhsa_kernel _ZN7rocprim17ROCPRIM_400000_NS6detail17trampoline_kernelINS0_14default_configENS1_20scan_config_selectorIN3c107complexIfEEEEZZNS1_9scan_implILNS1_25lookback_scan_determinismE0ELb0ELb0ES3_PKS7_PS7_S7_ZZZN2at6native31launch_logcumsumexp_cuda_kernelERKNSE_10TensorBaseESI_lENKUlvE_clEvENKUlvE2_clEvEUlS7_S7_E_S7_EEDaPvRmT3_T4_T5_mT6_P12ihipStream_tbENKUlT_T0_E_clISt17integral_constantIbLb0EESZ_EEDaSU_SV_EUlSU_E_NS1_11comp_targetILNS1_3genE10ELNS1_11target_archE1201ELNS1_3gpuE5ELNS1_3repE0EEENS1_30default_config_static_selectorELNS0_4arch9wavefront6targetE0EEEvT1_
		.amdhsa_group_segment_fixed_size 33792
		.amdhsa_private_segment_fixed_size 0
		.amdhsa_kernarg_size 104
		.amdhsa_user_sgpr_count 2
		.amdhsa_user_sgpr_dispatch_ptr 0
		.amdhsa_user_sgpr_queue_ptr 0
		.amdhsa_user_sgpr_kernarg_segment_ptr 1
		.amdhsa_user_sgpr_dispatch_id 0
		.amdhsa_user_sgpr_private_segment_size 0
		.amdhsa_wavefront_size32 1
		.amdhsa_uses_dynamic_stack 0
		.amdhsa_enable_private_segment 0
		.amdhsa_system_sgpr_workgroup_id_x 1
		.amdhsa_system_sgpr_workgroup_id_y 0
		.amdhsa_system_sgpr_workgroup_id_z 0
		.amdhsa_system_sgpr_workgroup_info 0
		.amdhsa_system_vgpr_workitem_id 0
		.amdhsa_next_free_vgpr 217
		.amdhsa_next_free_sgpr 34
		.amdhsa_reserve_vcc 1
		.amdhsa_float_round_mode_32 0
		.amdhsa_float_round_mode_16_64 0
		.amdhsa_float_denorm_mode_32 3
		.amdhsa_float_denorm_mode_16_64 3
		.amdhsa_fp16_overflow 0
		.amdhsa_workgroup_processor_mode 1
		.amdhsa_memory_ordered 1
		.amdhsa_forward_progress 1
		.amdhsa_inst_pref_size 91
		.amdhsa_round_robin_scheduling 0
		.amdhsa_exception_fp_ieee_invalid_op 0
		.amdhsa_exception_fp_denorm_src 0
		.amdhsa_exception_fp_ieee_div_zero 0
		.amdhsa_exception_fp_ieee_overflow 0
		.amdhsa_exception_fp_ieee_underflow 0
		.amdhsa_exception_fp_ieee_inexact 0
		.amdhsa_exception_int_div_zero 0
	.end_amdhsa_kernel
	.section	.text._ZN7rocprim17ROCPRIM_400000_NS6detail17trampoline_kernelINS0_14default_configENS1_20scan_config_selectorIN3c107complexIfEEEEZZNS1_9scan_implILNS1_25lookback_scan_determinismE0ELb0ELb0ES3_PKS7_PS7_S7_ZZZN2at6native31launch_logcumsumexp_cuda_kernelERKNSE_10TensorBaseESI_lENKUlvE_clEvENKUlvE2_clEvEUlS7_S7_E_S7_EEDaPvRmT3_T4_T5_mT6_P12ihipStream_tbENKUlT_T0_E_clISt17integral_constantIbLb0EESZ_EEDaSU_SV_EUlSU_E_NS1_11comp_targetILNS1_3genE10ELNS1_11target_archE1201ELNS1_3gpuE5ELNS1_3repE0EEENS1_30default_config_static_selectorELNS0_4arch9wavefront6targetE0EEEvT1_,"axG",@progbits,_ZN7rocprim17ROCPRIM_400000_NS6detail17trampoline_kernelINS0_14default_configENS1_20scan_config_selectorIN3c107complexIfEEEEZZNS1_9scan_implILNS1_25lookback_scan_determinismE0ELb0ELb0ES3_PKS7_PS7_S7_ZZZN2at6native31launch_logcumsumexp_cuda_kernelERKNSE_10TensorBaseESI_lENKUlvE_clEvENKUlvE2_clEvEUlS7_S7_E_S7_EEDaPvRmT3_T4_T5_mT6_P12ihipStream_tbENKUlT_T0_E_clISt17integral_constantIbLb0EESZ_EEDaSU_SV_EUlSU_E_NS1_11comp_targetILNS1_3genE10ELNS1_11target_archE1201ELNS1_3gpuE5ELNS1_3repE0EEENS1_30default_config_static_selectorELNS0_4arch9wavefront6targetE0EEEvT1_,comdat
.Lfunc_end269:
	.size	_ZN7rocprim17ROCPRIM_400000_NS6detail17trampoline_kernelINS0_14default_configENS1_20scan_config_selectorIN3c107complexIfEEEEZZNS1_9scan_implILNS1_25lookback_scan_determinismE0ELb0ELb0ES3_PKS7_PS7_S7_ZZZN2at6native31launch_logcumsumexp_cuda_kernelERKNSE_10TensorBaseESI_lENKUlvE_clEvENKUlvE2_clEvEUlS7_S7_E_S7_EEDaPvRmT3_T4_T5_mT6_P12ihipStream_tbENKUlT_T0_E_clISt17integral_constantIbLb0EESZ_EEDaSU_SV_EUlSU_E_NS1_11comp_targetILNS1_3genE10ELNS1_11target_archE1201ELNS1_3gpuE5ELNS1_3repE0EEENS1_30default_config_static_selectorELNS0_4arch9wavefront6targetE0EEEvT1_, .Lfunc_end269-_ZN7rocprim17ROCPRIM_400000_NS6detail17trampoline_kernelINS0_14default_configENS1_20scan_config_selectorIN3c107complexIfEEEEZZNS1_9scan_implILNS1_25lookback_scan_determinismE0ELb0ELb0ES3_PKS7_PS7_S7_ZZZN2at6native31launch_logcumsumexp_cuda_kernelERKNSE_10TensorBaseESI_lENKUlvE_clEvENKUlvE2_clEvEUlS7_S7_E_S7_EEDaPvRmT3_T4_T5_mT6_P12ihipStream_tbENKUlT_T0_E_clISt17integral_constantIbLb0EESZ_EEDaSU_SV_EUlSU_E_NS1_11comp_targetILNS1_3genE10ELNS1_11target_archE1201ELNS1_3gpuE5ELNS1_3repE0EEENS1_30default_config_static_selectorELNS0_4arch9wavefront6targetE0EEEvT1_
                                        ; -- End function
	.set _ZN7rocprim17ROCPRIM_400000_NS6detail17trampoline_kernelINS0_14default_configENS1_20scan_config_selectorIN3c107complexIfEEEEZZNS1_9scan_implILNS1_25lookback_scan_determinismE0ELb0ELb0ES3_PKS7_PS7_S7_ZZZN2at6native31launch_logcumsumexp_cuda_kernelERKNSE_10TensorBaseESI_lENKUlvE_clEvENKUlvE2_clEvEUlS7_S7_E_S7_EEDaPvRmT3_T4_T5_mT6_P12ihipStream_tbENKUlT_T0_E_clISt17integral_constantIbLb0EESZ_EEDaSU_SV_EUlSU_E_NS1_11comp_targetILNS1_3genE10ELNS1_11target_archE1201ELNS1_3gpuE5ELNS1_3repE0EEENS1_30default_config_static_selectorELNS0_4arch9wavefront6targetE0EEEvT1_.num_vgpr, max(110, .L_ZZZZN2at6native31launch_logcumsumexp_cuda_kernelERKNS_10TensorBaseES3_lENKUlvE_clEvENKUlvE2_clEvENKUlN3c107complexIfEES8_E_clES8_S8_.num_vgpr)
	.set _ZN7rocprim17ROCPRIM_400000_NS6detail17trampoline_kernelINS0_14default_configENS1_20scan_config_selectorIN3c107complexIfEEEEZZNS1_9scan_implILNS1_25lookback_scan_determinismE0ELb0ELb0ES3_PKS7_PS7_S7_ZZZN2at6native31launch_logcumsumexp_cuda_kernelERKNSE_10TensorBaseESI_lENKUlvE_clEvENKUlvE2_clEvEUlS7_S7_E_S7_EEDaPvRmT3_T4_T5_mT6_P12ihipStream_tbENKUlT_T0_E_clISt17integral_constantIbLb0EESZ_EEDaSU_SV_EUlSU_E_NS1_11comp_targetILNS1_3genE10ELNS1_11target_archE1201ELNS1_3gpuE5ELNS1_3repE0EEENS1_30default_config_static_selectorELNS0_4arch9wavefront6targetE0EEEvT1_.num_agpr, max(0, .L_ZZZZN2at6native31launch_logcumsumexp_cuda_kernelERKNS_10TensorBaseES3_lENKUlvE_clEvENKUlvE2_clEvENKUlN3c107complexIfEES8_E_clES8_S8_.num_agpr)
	.set _ZN7rocprim17ROCPRIM_400000_NS6detail17trampoline_kernelINS0_14default_configENS1_20scan_config_selectorIN3c107complexIfEEEEZZNS1_9scan_implILNS1_25lookback_scan_determinismE0ELb0ELb0ES3_PKS7_PS7_S7_ZZZN2at6native31launch_logcumsumexp_cuda_kernelERKNSE_10TensorBaseESI_lENKUlvE_clEvENKUlvE2_clEvEUlS7_S7_E_S7_EEDaPvRmT3_T4_T5_mT6_P12ihipStream_tbENKUlT_T0_E_clISt17integral_constantIbLb0EESZ_EEDaSU_SV_EUlSU_E_NS1_11comp_targetILNS1_3genE10ELNS1_11target_archE1201ELNS1_3gpuE5ELNS1_3repE0EEENS1_30default_config_static_selectorELNS0_4arch9wavefront6targetE0EEEvT1_.numbered_sgpr, max(34, .L_ZZZZN2at6native31launch_logcumsumexp_cuda_kernelERKNS_10TensorBaseES3_lENKUlvE_clEvENKUlvE2_clEvENKUlN3c107complexIfEES8_E_clES8_S8_.numbered_sgpr)
	.set _ZN7rocprim17ROCPRIM_400000_NS6detail17trampoline_kernelINS0_14default_configENS1_20scan_config_selectorIN3c107complexIfEEEEZZNS1_9scan_implILNS1_25lookback_scan_determinismE0ELb0ELb0ES3_PKS7_PS7_S7_ZZZN2at6native31launch_logcumsumexp_cuda_kernelERKNSE_10TensorBaseESI_lENKUlvE_clEvENKUlvE2_clEvEUlS7_S7_E_S7_EEDaPvRmT3_T4_T5_mT6_P12ihipStream_tbENKUlT_T0_E_clISt17integral_constantIbLb0EESZ_EEDaSU_SV_EUlSU_E_NS1_11comp_targetILNS1_3genE10ELNS1_11target_archE1201ELNS1_3gpuE5ELNS1_3repE0EEENS1_30default_config_static_selectorELNS0_4arch9wavefront6targetE0EEEvT1_.num_named_barrier, max(0, .L_ZZZZN2at6native31launch_logcumsumexp_cuda_kernelERKNS_10TensorBaseES3_lENKUlvE_clEvENKUlvE2_clEvENKUlN3c107complexIfEES8_E_clES8_S8_.num_named_barrier)
	.set _ZN7rocprim17ROCPRIM_400000_NS6detail17trampoline_kernelINS0_14default_configENS1_20scan_config_selectorIN3c107complexIfEEEEZZNS1_9scan_implILNS1_25lookback_scan_determinismE0ELb0ELb0ES3_PKS7_PS7_S7_ZZZN2at6native31launch_logcumsumexp_cuda_kernelERKNSE_10TensorBaseESI_lENKUlvE_clEvENKUlvE2_clEvEUlS7_S7_E_S7_EEDaPvRmT3_T4_T5_mT6_P12ihipStream_tbENKUlT_T0_E_clISt17integral_constantIbLb0EESZ_EEDaSU_SV_EUlSU_E_NS1_11comp_targetILNS1_3genE10ELNS1_11target_archE1201ELNS1_3gpuE5ELNS1_3repE0EEENS1_30default_config_static_selectorELNS0_4arch9wavefront6targetE0EEEvT1_.private_seg_size, 0+max(.L_ZZZZN2at6native31launch_logcumsumexp_cuda_kernelERKNS_10TensorBaseES3_lENKUlvE_clEvENKUlvE2_clEvENKUlN3c107complexIfEES8_E_clES8_S8_.private_seg_size)
	.set _ZN7rocprim17ROCPRIM_400000_NS6detail17trampoline_kernelINS0_14default_configENS1_20scan_config_selectorIN3c107complexIfEEEEZZNS1_9scan_implILNS1_25lookback_scan_determinismE0ELb0ELb0ES3_PKS7_PS7_S7_ZZZN2at6native31launch_logcumsumexp_cuda_kernelERKNSE_10TensorBaseESI_lENKUlvE_clEvENKUlvE2_clEvEUlS7_S7_E_S7_EEDaPvRmT3_T4_T5_mT6_P12ihipStream_tbENKUlT_T0_E_clISt17integral_constantIbLb0EESZ_EEDaSU_SV_EUlSU_E_NS1_11comp_targetILNS1_3genE10ELNS1_11target_archE1201ELNS1_3gpuE5ELNS1_3repE0EEENS1_30default_config_static_selectorELNS0_4arch9wavefront6targetE0EEEvT1_.uses_vcc, or(1, .L_ZZZZN2at6native31launch_logcumsumexp_cuda_kernelERKNS_10TensorBaseES3_lENKUlvE_clEvENKUlvE2_clEvENKUlN3c107complexIfEES8_E_clES8_S8_.uses_vcc)
	.set _ZN7rocprim17ROCPRIM_400000_NS6detail17trampoline_kernelINS0_14default_configENS1_20scan_config_selectorIN3c107complexIfEEEEZZNS1_9scan_implILNS1_25lookback_scan_determinismE0ELb0ELb0ES3_PKS7_PS7_S7_ZZZN2at6native31launch_logcumsumexp_cuda_kernelERKNSE_10TensorBaseESI_lENKUlvE_clEvENKUlvE2_clEvEUlS7_S7_E_S7_EEDaPvRmT3_T4_T5_mT6_P12ihipStream_tbENKUlT_T0_E_clISt17integral_constantIbLb0EESZ_EEDaSU_SV_EUlSU_E_NS1_11comp_targetILNS1_3genE10ELNS1_11target_archE1201ELNS1_3gpuE5ELNS1_3repE0EEENS1_30default_config_static_selectorELNS0_4arch9wavefront6targetE0EEEvT1_.uses_flat_scratch, or(0, .L_ZZZZN2at6native31launch_logcumsumexp_cuda_kernelERKNS_10TensorBaseES3_lENKUlvE_clEvENKUlvE2_clEvENKUlN3c107complexIfEES8_E_clES8_S8_.uses_flat_scratch)
	.set _ZN7rocprim17ROCPRIM_400000_NS6detail17trampoline_kernelINS0_14default_configENS1_20scan_config_selectorIN3c107complexIfEEEEZZNS1_9scan_implILNS1_25lookback_scan_determinismE0ELb0ELb0ES3_PKS7_PS7_S7_ZZZN2at6native31launch_logcumsumexp_cuda_kernelERKNSE_10TensorBaseESI_lENKUlvE_clEvENKUlvE2_clEvEUlS7_S7_E_S7_EEDaPvRmT3_T4_T5_mT6_P12ihipStream_tbENKUlT_T0_E_clISt17integral_constantIbLb0EESZ_EEDaSU_SV_EUlSU_E_NS1_11comp_targetILNS1_3genE10ELNS1_11target_archE1201ELNS1_3gpuE5ELNS1_3repE0EEENS1_30default_config_static_selectorELNS0_4arch9wavefront6targetE0EEEvT1_.has_dyn_sized_stack, or(0, .L_ZZZZN2at6native31launch_logcumsumexp_cuda_kernelERKNS_10TensorBaseES3_lENKUlvE_clEvENKUlvE2_clEvENKUlN3c107complexIfEES8_E_clES8_S8_.has_dyn_sized_stack)
	.set _ZN7rocprim17ROCPRIM_400000_NS6detail17trampoline_kernelINS0_14default_configENS1_20scan_config_selectorIN3c107complexIfEEEEZZNS1_9scan_implILNS1_25lookback_scan_determinismE0ELb0ELb0ES3_PKS7_PS7_S7_ZZZN2at6native31launch_logcumsumexp_cuda_kernelERKNSE_10TensorBaseESI_lENKUlvE_clEvENKUlvE2_clEvEUlS7_S7_E_S7_EEDaPvRmT3_T4_T5_mT6_P12ihipStream_tbENKUlT_T0_E_clISt17integral_constantIbLb0EESZ_EEDaSU_SV_EUlSU_E_NS1_11comp_targetILNS1_3genE10ELNS1_11target_archE1201ELNS1_3gpuE5ELNS1_3repE0EEENS1_30default_config_static_selectorELNS0_4arch9wavefront6targetE0EEEvT1_.has_recursion, or(0, .L_ZZZZN2at6native31launch_logcumsumexp_cuda_kernelERKNS_10TensorBaseES3_lENKUlvE_clEvENKUlvE2_clEvENKUlN3c107complexIfEES8_E_clES8_S8_.has_recursion)
	.set _ZN7rocprim17ROCPRIM_400000_NS6detail17trampoline_kernelINS0_14default_configENS1_20scan_config_selectorIN3c107complexIfEEEEZZNS1_9scan_implILNS1_25lookback_scan_determinismE0ELb0ELb0ES3_PKS7_PS7_S7_ZZZN2at6native31launch_logcumsumexp_cuda_kernelERKNSE_10TensorBaseESI_lENKUlvE_clEvENKUlvE2_clEvEUlS7_S7_E_S7_EEDaPvRmT3_T4_T5_mT6_P12ihipStream_tbENKUlT_T0_E_clISt17integral_constantIbLb0EESZ_EEDaSU_SV_EUlSU_E_NS1_11comp_targetILNS1_3genE10ELNS1_11target_archE1201ELNS1_3gpuE5ELNS1_3repE0EEENS1_30default_config_static_selectorELNS0_4arch9wavefront6targetE0EEEvT1_.has_indirect_call, or(0, .L_ZZZZN2at6native31launch_logcumsumexp_cuda_kernelERKNS_10TensorBaseES3_lENKUlvE_clEvENKUlvE2_clEvENKUlN3c107complexIfEES8_E_clES8_S8_.has_indirect_call)
	.section	.AMDGPU.csdata,"",@progbits
; Kernel info:
; codeLenInByte = 11564
; TotalNumSgprs: 36
; NumVgprs: 110
; ScratchSize: 0
; MemoryBound: 0
; FloatMode: 240
; IeeeMode: 1
; LDSByteSize: 33792 bytes/workgroup (compile time only)
; SGPRBlocks: 0
; VGPRBlocks: 27
; NumSGPRsForWavesPerEU: 36
; NumVGPRsForWavesPerEU: 217
; Occupancy: 6
; WaveLimiterHint : 0
; COMPUTE_PGM_RSRC2:SCRATCH_EN: 0
; COMPUTE_PGM_RSRC2:USER_SGPR: 2
; COMPUTE_PGM_RSRC2:TRAP_HANDLER: 0
; COMPUTE_PGM_RSRC2:TGID_X_EN: 1
; COMPUTE_PGM_RSRC2:TGID_Y_EN: 0
; COMPUTE_PGM_RSRC2:TGID_Z_EN: 0
; COMPUTE_PGM_RSRC2:TIDIG_COMP_CNT: 0
	.section	.text._ZN7rocprim17ROCPRIM_400000_NS6detail17trampoline_kernelINS0_14default_configENS1_20scan_config_selectorIN3c107complexIfEEEEZZNS1_9scan_implILNS1_25lookback_scan_determinismE0ELb0ELb0ES3_PKS7_PS7_S7_ZZZN2at6native31launch_logcumsumexp_cuda_kernelERKNSE_10TensorBaseESI_lENKUlvE_clEvENKUlvE2_clEvEUlS7_S7_E_S7_EEDaPvRmT3_T4_T5_mT6_P12ihipStream_tbENKUlT_T0_E_clISt17integral_constantIbLb0EESZ_EEDaSU_SV_EUlSU_E_NS1_11comp_targetILNS1_3genE10ELNS1_11target_archE1200ELNS1_3gpuE4ELNS1_3repE0EEENS1_30default_config_static_selectorELNS0_4arch9wavefront6targetE0EEEvT1_,"axG",@progbits,_ZN7rocprim17ROCPRIM_400000_NS6detail17trampoline_kernelINS0_14default_configENS1_20scan_config_selectorIN3c107complexIfEEEEZZNS1_9scan_implILNS1_25lookback_scan_determinismE0ELb0ELb0ES3_PKS7_PS7_S7_ZZZN2at6native31launch_logcumsumexp_cuda_kernelERKNSE_10TensorBaseESI_lENKUlvE_clEvENKUlvE2_clEvEUlS7_S7_E_S7_EEDaPvRmT3_T4_T5_mT6_P12ihipStream_tbENKUlT_T0_E_clISt17integral_constantIbLb0EESZ_EEDaSU_SV_EUlSU_E_NS1_11comp_targetILNS1_3genE10ELNS1_11target_archE1200ELNS1_3gpuE4ELNS1_3repE0EEENS1_30default_config_static_selectorELNS0_4arch9wavefront6targetE0EEEvT1_,comdat
	.globl	_ZN7rocprim17ROCPRIM_400000_NS6detail17trampoline_kernelINS0_14default_configENS1_20scan_config_selectorIN3c107complexIfEEEEZZNS1_9scan_implILNS1_25lookback_scan_determinismE0ELb0ELb0ES3_PKS7_PS7_S7_ZZZN2at6native31launch_logcumsumexp_cuda_kernelERKNSE_10TensorBaseESI_lENKUlvE_clEvENKUlvE2_clEvEUlS7_S7_E_S7_EEDaPvRmT3_T4_T5_mT6_P12ihipStream_tbENKUlT_T0_E_clISt17integral_constantIbLb0EESZ_EEDaSU_SV_EUlSU_E_NS1_11comp_targetILNS1_3genE10ELNS1_11target_archE1200ELNS1_3gpuE4ELNS1_3repE0EEENS1_30default_config_static_selectorELNS0_4arch9wavefront6targetE0EEEvT1_ ; -- Begin function _ZN7rocprim17ROCPRIM_400000_NS6detail17trampoline_kernelINS0_14default_configENS1_20scan_config_selectorIN3c107complexIfEEEEZZNS1_9scan_implILNS1_25lookback_scan_determinismE0ELb0ELb0ES3_PKS7_PS7_S7_ZZZN2at6native31launch_logcumsumexp_cuda_kernelERKNSE_10TensorBaseESI_lENKUlvE_clEvENKUlvE2_clEvEUlS7_S7_E_S7_EEDaPvRmT3_T4_T5_mT6_P12ihipStream_tbENKUlT_T0_E_clISt17integral_constantIbLb0EESZ_EEDaSU_SV_EUlSU_E_NS1_11comp_targetILNS1_3genE10ELNS1_11target_archE1200ELNS1_3gpuE4ELNS1_3repE0EEENS1_30default_config_static_selectorELNS0_4arch9wavefront6targetE0EEEvT1_
	.p2align	8
	.type	_ZN7rocprim17ROCPRIM_400000_NS6detail17trampoline_kernelINS0_14default_configENS1_20scan_config_selectorIN3c107complexIfEEEEZZNS1_9scan_implILNS1_25lookback_scan_determinismE0ELb0ELb0ES3_PKS7_PS7_S7_ZZZN2at6native31launch_logcumsumexp_cuda_kernelERKNSE_10TensorBaseESI_lENKUlvE_clEvENKUlvE2_clEvEUlS7_S7_E_S7_EEDaPvRmT3_T4_T5_mT6_P12ihipStream_tbENKUlT_T0_E_clISt17integral_constantIbLb0EESZ_EEDaSU_SV_EUlSU_E_NS1_11comp_targetILNS1_3genE10ELNS1_11target_archE1200ELNS1_3gpuE4ELNS1_3repE0EEENS1_30default_config_static_selectorELNS0_4arch9wavefront6targetE0EEEvT1_,@function
_ZN7rocprim17ROCPRIM_400000_NS6detail17trampoline_kernelINS0_14default_configENS1_20scan_config_selectorIN3c107complexIfEEEEZZNS1_9scan_implILNS1_25lookback_scan_determinismE0ELb0ELb0ES3_PKS7_PS7_S7_ZZZN2at6native31launch_logcumsumexp_cuda_kernelERKNSE_10TensorBaseESI_lENKUlvE_clEvENKUlvE2_clEvEUlS7_S7_E_S7_EEDaPvRmT3_T4_T5_mT6_P12ihipStream_tbENKUlT_T0_E_clISt17integral_constantIbLb0EESZ_EEDaSU_SV_EUlSU_E_NS1_11comp_targetILNS1_3genE10ELNS1_11target_archE1200ELNS1_3gpuE4ELNS1_3repE0EEENS1_30default_config_static_selectorELNS0_4arch9wavefront6targetE0EEEvT1_: ; @_ZN7rocprim17ROCPRIM_400000_NS6detail17trampoline_kernelINS0_14default_configENS1_20scan_config_selectorIN3c107complexIfEEEEZZNS1_9scan_implILNS1_25lookback_scan_determinismE0ELb0ELb0ES3_PKS7_PS7_S7_ZZZN2at6native31launch_logcumsumexp_cuda_kernelERKNSE_10TensorBaseESI_lENKUlvE_clEvENKUlvE2_clEvEUlS7_S7_E_S7_EEDaPvRmT3_T4_T5_mT6_P12ihipStream_tbENKUlT_T0_E_clISt17integral_constantIbLb0EESZ_EEDaSU_SV_EUlSU_E_NS1_11comp_targetILNS1_3genE10ELNS1_11target_archE1200ELNS1_3gpuE4ELNS1_3repE0EEENS1_30default_config_static_selectorELNS0_4arch9wavefront6targetE0EEEvT1_
; %bb.0:
	.section	.rodata,"a",@progbits
	.p2align	6, 0x0
	.amdhsa_kernel _ZN7rocprim17ROCPRIM_400000_NS6detail17trampoline_kernelINS0_14default_configENS1_20scan_config_selectorIN3c107complexIfEEEEZZNS1_9scan_implILNS1_25lookback_scan_determinismE0ELb0ELb0ES3_PKS7_PS7_S7_ZZZN2at6native31launch_logcumsumexp_cuda_kernelERKNSE_10TensorBaseESI_lENKUlvE_clEvENKUlvE2_clEvEUlS7_S7_E_S7_EEDaPvRmT3_T4_T5_mT6_P12ihipStream_tbENKUlT_T0_E_clISt17integral_constantIbLb0EESZ_EEDaSU_SV_EUlSU_E_NS1_11comp_targetILNS1_3genE10ELNS1_11target_archE1200ELNS1_3gpuE4ELNS1_3repE0EEENS1_30default_config_static_selectorELNS0_4arch9wavefront6targetE0EEEvT1_
		.amdhsa_group_segment_fixed_size 0
		.amdhsa_private_segment_fixed_size 0
		.amdhsa_kernarg_size 104
		.amdhsa_user_sgpr_count 2
		.amdhsa_user_sgpr_dispatch_ptr 0
		.amdhsa_user_sgpr_queue_ptr 0
		.amdhsa_user_sgpr_kernarg_segment_ptr 1
		.amdhsa_user_sgpr_dispatch_id 0
		.amdhsa_user_sgpr_private_segment_size 0
		.amdhsa_wavefront_size32 1
		.amdhsa_uses_dynamic_stack 0
		.amdhsa_enable_private_segment 0
		.amdhsa_system_sgpr_workgroup_id_x 1
		.amdhsa_system_sgpr_workgroup_id_y 0
		.amdhsa_system_sgpr_workgroup_id_z 0
		.amdhsa_system_sgpr_workgroup_info 0
		.amdhsa_system_vgpr_workitem_id 0
		.amdhsa_next_free_vgpr 1
		.amdhsa_next_free_sgpr 1
		.amdhsa_reserve_vcc 0
		.amdhsa_float_round_mode_32 0
		.amdhsa_float_round_mode_16_64 0
		.amdhsa_float_denorm_mode_32 3
		.amdhsa_float_denorm_mode_16_64 3
		.amdhsa_fp16_overflow 0
		.amdhsa_workgroup_processor_mode 1
		.amdhsa_memory_ordered 1
		.amdhsa_forward_progress 1
		.amdhsa_inst_pref_size 0
		.amdhsa_round_robin_scheduling 0
		.amdhsa_exception_fp_ieee_invalid_op 0
		.amdhsa_exception_fp_denorm_src 0
		.amdhsa_exception_fp_ieee_div_zero 0
		.amdhsa_exception_fp_ieee_overflow 0
		.amdhsa_exception_fp_ieee_underflow 0
		.amdhsa_exception_fp_ieee_inexact 0
		.amdhsa_exception_int_div_zero 0
	.end_amdhsa_kernel
	.section	.text._ZN7rocprim17ROCPRIM_400000_NS6detail17trampoline_kernelINS0_14default_configENS1_20scan_config_selectorIN3c107complexIfEEEEZZNS1_9scan_implILNS1_25lookback_scan_determinismE0ELb0ELb0ES3_PKS7_PS7_S7_ZZZN2at6native31launch_logcumsumexp_cuda_kernelERKNSE_10TensorBaseESI_lENKUlvE_clEvENKUlvE2_clEvEUlS7_S7_E_S7_EEDaPvRmT3_T4_T5_mT6_P12ihipStream_tbENKUlT_T0_E_clISt17integral_constantIbLb0EESZ_EEDaSU_SV_EUlSU_E_NS1_11comp_targetILNS1_3genE10ELNS1_11target_archE1200ELNS1_3gpuE4ELNS1_3repE0EEENS1_30default_config_static_selectorELNS0_4arch9wavefront6targetE0EEEvT1_,"axG",@progbits,_ZN7rocprim17ROCPRIM_400000_NS6detail17trampoline_kernelINS0_14default_configENS1_20scan_config_selectorIN3c107complexIfEEEEZZNS1_9scan_implILNS1_25lookback_scan_determinismE0ELb0ELb0ES3_PKS7_PS7_S7_ZZZN2at6native31launch_logcumsumexp_cuda_kernelERKNSE_10TensorBaseESI_lENKUlvE_clEvENKUlvE2_clEvEUlS7_S7_E_S7_EEDaPvRmT3_T4_T5_mT6_P12ihipStream_tbENKUlT_T0_E_clISt17integral_constantIbLb0EESZ_EEDaSU_SV_EUlSU_E_NS1_11comp_targetILNS1_3genE10ELNS1_11target_archE1200ELNS1_3gpuE4ELNS1_3repE0EEENS1_30default_config_static_selectorELNS0_4arch9wavefront6targetE0EEEvT1_,comdat
.Lfunc_end270:
	.size	_ZN7rocprim17ROCPRIM_400000_NS6detail17trampoline_kernelINS0_14default_configENS1_20scan_config_selectorIN3c107complexIfEEEEZZNS1_9scan_implILNS1_25lookback_scan_determinismE0ELb0ELb0ES3_PKS7_PS7_S7_ZZZN2at6native31launch_logcumsumexp_cuda_kernelERKNSE_10TensorBaseESI_lENKUlvE_clEvENKUlvE2_clEvEUlS7_S7_E_S7_EEDaPvRmT3_T4_T5_mT6_P12ihipStream_tbENKUlT_T0_E_clISt17integral_constantIbLb0EESZ_EEDaSU_SV_EUlSU_E_NS1_11comp_targetILNS1_3genE10ELNS1_11target_archE1200ELNS1_3gpuE4ELNS1_3repE0EEENS1_30default_config_static_selectorELNS0_4arch9wavefront6targetE0EEEvT1_, .Lfunc_end270-_ZN7rocprim17ROCPRIM_400000_NS6detail17trampoline_kernelINS0_14default_configENS1_20scan_config_selectorIN3c107complexIfEEEEZZNS1_9scan_implILNS1_25lookback_scan_determinismE0ELb0ELb0ES3_PKS7_PS7_S7_ZZZN2at6native31launch_logcumsumexp_cuda_kernelERKNSE_10TensorBaseESI_lENKUlvE_clEvENKUlvE2_clEvEUlS7_S7_E_S7_EEDaPvRmT3_T4_T5_mT6_P12ihipStream_tbENKUlT_T0_E_clISt17integral_constantIbLb0EESZ_EEDaSU_SV_EUlSU_E_NS1_11comp_targetILNS1_3genE10ELNS1_11target_archE1200ELNS1_3gpuE4ELNS1_3repE0EEENS1_30default_config_static_selectorELNS0_4arch9wavefront6targetE0EEEvT1_
                                        ; -- End function
	.set _ZN7rocprim17ROCPRIM_400000_NS6detail17trampoline_kernelINS0_14default_configENS1_20scan_config_selectorIN3c107complexIfEEEEZZNS1_9scan_implILNS1_25lookback_scan_determinismE0ELb0ELb0ES3_PKS7_PS7_S7_ZZZN2at6native31launch_logcumsumexp_cuda_kernelERKNSE_10TensorBaseESI_lENKUlvE_clEvENKUlvE2_clEvEUlS7_S7_E_S7_EEDaPvRmT3_T4_T5_mT6_P12ihipStream_tbENKUlT_T0_E_clISt17integral_constantIbLb0EESZ_EEDaSU_SV_EUlSU_E_NS1_11comp_targetILNS1_3genE10ELNS1_11target_archE1200ELNS1_3gpuE4ELNS1_3repE0EEENS1_30default_config_static_selectorELNS0_4arch9wavefront6targetE0EEEvT1_.num_vgpr, 0
	.set _ZN7rocprim17ROCPRIM_400000_NS6detail17trampoline_kernelINS0_14default_configENS1_20scan_config_selectorIN3c107complexIfEEEEZZNS1_9scan_implILNS1_25lookback_scan_determinismE0ELb0ELb0ES3_PKS7_PS7_S7_ZZZN2at6native31launch_logcumsumexp_cuda_kernelERKNSE_10TensorBaseESI_lENKUlvE_clEvENKUlvE2_clEvEUlS7_S7_E_S7_EEDaPvRmT3_T4_T5_mT6_P12ihipStream_tbENKUlT_T0_E_clISt17integral_constantIbLb0EESZ_EEDaSU_SV_EUlSU_E_NS1_11comp_targetILNS1_3genE10ELNS1_11target_archE1200ELNS1_3gpuE4ELNS1_3repE0EEENS1_30default_config_static_selectorELNS0_4arch9wavefront6targetE0EEEvT1_.num_agpr, 0
	.set _ZN7rocprim17ROCPRIM_400000_NS6detail17trampoline_kernelINS0_14default_configENS1_20scan_config_selectorIN3c107complexIfEEEEZZNS1_9scan_implILNS1_25lookback_scan_determinismE0ELb0ELb0ES3_PKS7_PS7_S7_ZZZN2at6native31launch_logcumsumexp_cuda_kernelERKNSE_10TensorBaseESI_lENKUlvE_clEvENKUlvE2_clEvEUlS7_S7_E_S7_EEDaPvRmT3_T4_T5_mT6_P12ihipStream_tbENKUlT_T0_E_clISt17integral_constantIbLb0EESZ_EEDaSU_SV_EUlSU_E_NS1_11comp_targetILNS1_3genE10ELNS1_11target_archE1200ELNS1_3gpuE4ELNS1_3repE0EEENS1_30default_config_static_selectorELNS0_4arch9wavefront6targetE0EEEvT1_.numbered_sgpr, 0
	.set _ZN7rocprim17ROCPRIM_400000_NS6detail17trampoline_kernelINS0_14default_configENS1_20scan_config_selectorIN3c107complexIfEEEEZZNS1_9scan_implILNS1_25lookback_scan_determinismE0ELb0ELb0ES3_PKS7_PS7_S7_ZZZN2at6native31launch_logcumsumexp_cuda_kernelERKNSE_10TensorBaseESI_lENKUlvE_clEvENKUlvE2_clEvEUlS7_S7_E_S7_EEDaPvRmT3_T4_T5_mT6_P12ihipStream_tbENKUlT_T0_E_clISt17integral_constantIbLb0EESZ_EEDaSU_SV_EUlSU_E_NS1_11comp_targetILNS1_3genE10ELNS1_11target_archE1200ELNS1_3gpuE4ELNS1_3repE0EEENS1_30default_config_static_selectorELNS0_4arch9wavefront6targetE0EEEvT1_.num_named_barrier, 0
	.set _ZN7rocprim17ROCPRIM_400000_NS6detail17trampoline_kernelINS0_14default_configENS1_20scan_config_selectorIN3c107complexIfEEEEZZNS1_9scan_implILNS1_25lookback_scan_determinismE0ELb0ELb0ES3_PKS7_PS7_S7_ZZZN2at6native31launch_logcumsumexp_cuda_kernelERKNSE_10TensorBaseESI_lENKUlvE_clEvENKUlvE2_clEvEUlS7_S7_E_S7_EEDaPvRmT3_T4_T5_mT6_P12ihipStream_tbENKUlT_T0_E_clISt17integral_constantIbLb0EESZ_EEDaSU_SV_EUlSU_E_NS1_11comp_targetILNS1_3genE10ELNS1_11target_archE1200ELNS1_3gpuE4ELNS1_3repE0EEENS1_30default_config_static_selectorELNS0_4arch9wavefront6targetE0EEEvT1_.private_seg_size, 0
	.set _ZN7rocprim17ROCPRIM_400000_NS6detail17trampoline_kernelINS0_14default_configENS1_20scan_config_selectorIN3c107complexIfEEEEZZNS1_9scan_implILNS1_25lookback_scan_determinismE0ELb0ELb0ES3_PKS7_PS7_S7_ZZZN2at6native31launch_logcumsumexp_cuda_kernelERKNSE_10TensorBaseESI_lENKUlvE_clEvENKUlvE2_clEvEUlS7_S7_E_S7_EEDaPvRmT3_T4_T5_mT6_P12ihipStream_tbENKUlT_T0_E_clISt17integral_constantIbLb0EESZ_EEDaSU_SV_EUlSU_E_NS1_11comp_targetILNS1_3genE10ELNS1_11target_archE1200ELNS1_3gpuE4ELNS1_3repE0EEENS1_30default_config_static_selectorELNS0_4arch9wavefront6targetE0EEEvT1_.uses_vcc, 0
	.set _ZN7rocprim17ROCPRIM_400000_NS6detail17trampoline_kernelINS0_14default_configENS1_20scan_config_selectorIN3c107complexIfEEEEZZNS1_9scan_implILNS1_25lookback_scan_determinismE0ELb0ELb0ES3_PKS7_PS7_S7_ZZZN2at6native31launch_logcumsumexp_cuda_kernelERKNSE_10TensorBaseESI_lENKUlvE_clEvENKUlvE2_clEvEUlS7_S7_E_S7_EEDaPvRmT3_T4_T5_mT6_P12ihipStream_tbENKUlT_T0_E_clISt17integral_constantIbLb0EESZ_EEDaSU_SV_EUlSU_E_NS1_11comp_targetILNS1_3genE10ELNS1_11target_archE1200ELNS1_3gpuE4ELNS1_3repE0EEENS1_30default_config_static_selectorELNS0_4arch9wavefront6targetE0EEEvT1_.uses_flat_scratch, 0
	.set _ZN7rocprim17ROCPRIM_400000_NS6detail17trampoline_kernelINS0_14default_configENS1_20scan_config_selectorIN3c107complexIfEEEEZZNS1_9scan_implILNS1_25lookback_scan_determinismE0ELb0ELb0ES3_PKS7_PS7_S7_ZZZN2at6native31launch_logcumsumexp_cuda_kernelERKNSE_10TensorBaseESI_lENKUlvE_clEvENKUlvE2_clEvEUlS7_S7_E_S7_EEDaPvRmT3_T4_T5_mT6_P12ihipStream_tbENKUlT_T0_E_clISt17integral_constantIbLb0EESZ_EEDaSU_SV_EUlSU_E_NS1_11comp_targetILNS1_3genE10ELNS1_11target_archE1200ELNS1_3gpuE4ELNS1_3repE0EEENS1_30default_config_static_selectorELNS0_4arch9wavefront6targetE0EEEvT1_.has_dyn_sized_stack, 0
	.set _ZN7rocprim17ROCPRIM_400000_NS6detail17trampoline_kernelINS0_14default_configENS1_20scan_config_selectorIN3c107complexIfEEEEZZNS1_9scan_implILNS1_25lookback_scan_determinismE0ELb0ELb0ES3_PKS7_PS7_S7_ZZZN2at6native31launch_logcumsumexp_cuda_kernelERKNSE_10TensorBaseESI_lENKUlvE_clEvENKUlvE2_clEvEUlS7_S7_E_S7_EEDaPvRmT3_T4_T5_mT6_P12ihipStream_tbENKUlT_T0_E_clISt17integral_constantIbLb0EESZ_EEDaSU_SV_EUlSU_E_NS1_11comp_targetILNS1_3genE10ELNS1_11target_archE1200ELNS1_3gpuE4ELNS1_3repE0EEENS1_30default_config_static_selectorELNS0_4arch9wavefront6targetE0EEEvT1_.has_recursion, 0
	.set _ZN7rocprim17ROCPRIM_400000_NS6detail17trampoline_kernelINS0_14default_configENS1_20scan_config_selectorIN3c107complexIfEEEEZZNS1_9scan_implILNS1_25lookback_scan_determinismE0ELb0ELb0ES3_PKS7_PS7_S7_ZZZN2at6native31launch_logcumsumexp_cuda_kernelERKNSE_10TensorBaseESI_lENKUlvE_clEvENKUlvE2_clEvEUlS7_S7_E_S7_EEDaPvRmT3_T4_T5_mT6_P12ihipStream_tbENKUlT_T0_E_clISt17integral_constantIbLb0EESZ_EEDaSU_SV_EUlSU_E_NS1_11comp_targetILNS1_3genE10ELNS1_11target_archE1200ELNS1_3gpuE4ELNS1_3repE0EEENS1_30default_config_static_selectorELNS0_4arch9wavefront6targetE0EEEvT1_.has_indirect_call, 0
	.section	.AMDGPU.csdata,"",@progbits
; Kernel info:
; codeLenInByte = 0
; TotalNumSgprs: 0
; NumVgprs: 0
; ScratchSize: 0
; MemoryBound: 0
; FloatMode: 240
; IeeeMode: 1
; LDSByteSize: 0 bytes/workgroup (compile time only)
; SGPRBlocks: 0
; VGPRBlocks: 0
; NumSGPRsForWavesPerEU: 1
; NumVGPRsForWavesPerEU: 1
; Occupancy: 16
; WaveLimiterHint : 0
; COMPUTE_PGM_RSRC2:SCRATCH_EN: 0
; COMPUTE_PGM_RSRC2:USER_SGPR: 2
; COMPUTE_PGM_RSRC2:TRAP_HANDLER: 0
; COMPUTE_PGM_RSRC2:TGID_X_EN: 1
; COMPUTE_PGM_RSRC2:TGID_Y_EN: 0
; COMPUTE_PGM_RSRC2:TGID_Z_EN: 0
; COMPUTE_PGM_RSRC2:TIDIG_COMP_CNT: 0
	.section	.text._ZN7rocprim17ROCPRIM_400000_NS6detail17trampoline_kernelINS0_14default_configENS1_20scan_config_selectorIN3c107complexIfEEEEZZNS1_9scan_implILNS1_25lookback_scan_determinismE0ELb0ELb0ES3_PKS7_PS7_S7_ZZZN2at6native31launch_logcumsumexp_cuda_kernelERKNSE_10TensorBaseESI_lENKUlvE_clEvENKUlvE2_clEvEUlS7_S7_E_S7_EEDaPvRmT3_T4_T5_mT6_P12ihipStream_tbENKUlT_T0_E_clISt17integral_constantIbLb0EESZ_EEDaSU_SV_EUlSU_E_NS1_11comp_targetILNS1_3genE9ELNS1_11target_archE1100ELNS1_3gpuE3ELNS1_3repE0EEENS1_30default_config_static_selectorELNS0_4arch9wavefront6targetE0EEEvT1_,"axG",@progbits,_ZN7rocprim17ROCPRIM_400000_NS6detail17trampoline_kernelINS0_14default_configENS1_20scan_config_selectorIN3c107complexIfEEEEZZNS1_9scan_implILNS1_25lookback_scan_determinismE0ELb0ELb0ES3_PKS7_PS7_S7_ZZZN2at6native31launch_logcumsumexp_cuda_kernelERKNSE_10TensorBaseESI_lENKUlvE_clEvENKUlvE2_clEvEUlS7_S7_E_S7_EEDaPvRmT3_T4_T5_mT6_P12ihipStream_tbENKUlT_T0_E_clISt17integral_constantIbLb0EESZ_EEDaSU_SV_EUlSU_E_NS1_11comp_targetILNS1_3genE9ELNS1_11target_archE1100ELNS1_3gpuE3ELNS1_3repE0EEENS1_30default_config_static_selectorELNS0_4arch9wavefront6targetE0EEEvT1_,comdat
	.globl	_ZN7rocprim17ROCPRIM_400000_NS6detail17trampoline_kernelINS0_14default_configENS1_20scan_config_selectorIN3c107complexIfEEEEZZNS1_9scan_implILNS1_25lookback_scan_determinismE0ELb0ELb0ES3_PKS7_PS7_S7_ZZZN2at6native31launch_logcumsumexp_cuda_kernelERKNSE_10TensorBaseESI_lENKUlvE_clEvENKUlvE2_clEvEUlS7_S7_E_S7_EEDaPvRmT3_T4_T5_mT6_P12ihipStream_tbENKUlT_T0_E_clISt17integral_constantIbLb0EESZ_EEDaSU_SV_EUlSU_E_NS1_11comp_targetILNS1_3genE9ELNS1_11target_archE1100ELNS1_3gpuE3ELNS1_3repE0EEENS1_30default_config_static_selectorELNS0_4arch9wavefront6targetE0EEEvT1_ ; -- Begin function _ZN7rocprim17ROCPRIM_400000_NS6detail17trampoline_kernelINS0_14default_configENS1_20scan_config_selectorIN3c107complexIfEEEEZZNS1_9scan_implILNS1_25lookback_scan_determinismE0ELb0ELb0ES3_PKS7_PS7_S7_ZZZN2at6native31launch_logcumsumexp_cuda_kernelERKNSE_10TensorBaseESI_lENKUlvE_clEvENKUlvE2_clEvEUlS7_S7_E_S7_EEDaPvRmT3_T4_T5_mT6_P12ihipStream_tbENKUlT_T0_E_clISt17integral_constantIbLb0EESZ_EEDaSU_SV_EUlSU_E_NS1_11comp_targetILNS1_3genE9ELNS1_11target_archE1100ELNS1_3gpuE3ELNS1_3repE0EEENS1_30default_config_static_selectorELNS0_4arch9wavefront6targetE0EEEvT1_
	.p2align	8
	.type	_ZN7rocprim17ROCPRIM_400000_NS6detail17trampoline_kernelINS0_14default_configENS1_20scan_config_selectorIN3c107complexIfEEEEZZNS1_9scan_implILNS1_25lookback_scan_determinismE0ELb0ELb0ES3_PKS7_PS7_S7_ZZZN2at6native31launch_logcumsumexp_cuda_kernelERKNSE_10TensorBaseESI_lENKUlvE_clEvENKUlvE2_clEvEUlS7_S7_E_S7_EEDaPvRmT3_T4_T5_mT6_P12ihipStream_tbENKUlT_T0_E_clISt17integral_constantIbLb0EESZ_EEDaSU_SV_EUlSU_E_NS1_11comp_targetILNS1_3genE9ELNS1_11target_archE1100ELNS1_3gpuE3ELNS1_3repE0EEENS1_30default_config_static_selectorELNS0_4arch9wavefront6targetE0EEEvT1_,@function
_ZN7rocprim17ROCPRIM_400000_NS6detail17trampoline_kernelINS0_14default_configENS1_20scan_config_selectorIN3c107complexIfEEEEZZNS1_9scan_implILNS1_25lookback_scan_determinismE0ELb0ELb0ES3_PKS7_PS7_S7_ZZZN2at6native31launch_logcumsumexp_cuda_kernelERKNSE_10TensorBaseESI_lENKUlvE_clEvENKUlvE2_clEvEUlS7_S7_E_S7_EEDaPvRmT3_T4_T5_mT6_P12ihipStream_tbENKUlT_T0_E_clISt17integral_constantIbLb0EESZ_EEDaSU_SV_EUlSU_E_NS1_11comp_targetILNS1_3genE9ELNS1_11target_archE1100ELNS1_3gpuE3ELNS1_3repE0EEENS1_30default_config_static_selectorELNS0_4arch9wavefront6targetE0EEEvT1_: ; @_ZN7rocprim17ROCPRIM_400000_NS6detail17trampoline_kernelINS0_14default_configENS1_20scan_config_selectorIN3c107complexIfEEEEZZNS1_9scan_implILNS1_25lookback_scan_determinismE0ELb0ELb0ES3_PKS7_PS7_S7_ZZZN2at6native31launch_logcumsumexp_cuda_kernelERKNSE_10TensorBaseESI_lENKUlvE_clEvENKUlvE2_clEvEUlS7_S7_E_S7_EEDaPvRmT3_T4_T5_mT6_P12ihipStream_tbENKUlT_T0_E_clISt17integral_constantIbLb0EESZ_EEDaSU_SV_EUlSU_E_NS1_11comp_targetILNS1_3genE9ELNS1_11target_archE1100ELNS1_3gpuE3ELNS1_3repE0EEENS1_30default_config_static_selectorELNS0_4arch9wavefront6targetE0EEEvT1_
; %bb.0:
	.section	.rodata,"a",@progbits
	.p2align	6, 0x0
	.amdhsa_kernel _ZN7rocprim17ROCPRIM_400000_NS6detail17trampoline_kernelINS0_14default_configENS1_20scan_config_selectorIN3c107complexIfEEEEZZNS1_9scan_implILNS1_25lookback_scan_determinismE0ELb0ELb0ES3_PKS7_PS7_S7_ZZZN2at6native31launch_logcumsumexp_cuda_kernelERKNSE_10TensorBaseESI_lENKUlvE_clEvENKUlvE2_clEvEUlS7_S7_E_S7_EEDaPvRmT3_T4_T5_mT6_P12ihipStream_tbENKUlT_T0_E_clISt17integral_constantIbLb0EESZ_EEDaSU_SV_EUlSU_E_NS1_11comp_targetILNS1_3genE9ELNS1_11target_archE1100ELNS1_3gpuE3ELNS1_3repE0EEENS1_30default_config_static_selectorELNS0_4arch9wavefront6targetE0EEEvT1_
		.amdhsa_group_segment_fixed_size 0
		.amdhsa_private_segment_fixed_size 0
		.amdhsa_kernarg_size 104
		.amdhsa_user_sgpr_count 2
		.amdhsa_user_sgpr_dispatch_ptr 0
		.amdhsa_user_sgpr_queue_ptr 0
		.amdhsa_user_sgpr_kernarg_segment_ptr 1
		.amdhsa_user_sgpr_dispatch_id 0
		.amdhsa_user_sgpr_private_segment_size 0
		.amdhsa_wavefront_size32 1
		.amdhsa_uses_dynamic_stack 0
		.amdhsa_enable_private_segment 0
		.amdhsa_system_sgpr_workgroup_id_x 1
		.amdhsa_system_sgpr_workgroup_id_y 0
		.amdhsa_system_sgpr_workgroup_id_z 0
		.amdhsa_system_sgpr_workgroup_info 0
		.amdhsa_system_vgpr_workitem_id 0
		.amdhsa_next_free_vgpr 1
		.amdhsa_next_free_sgpr 1
		.amdhsa_reserve_vcc 0
		.amdhsa_float_round_mode_32 0
		.amdhsa_float_round_mode_16_64 0
		.amdhsa_float_denorm_mode_32 3
		.amdhsa_float_denorm_mode_16_64 3
		.amdhsa_fp16_overflow 0
		.amdhsa_workgroup_processor_mode 1
		.amdhsa_memory_ordered 1
		.amdhsa_forward_progress 1
		.amdhsa_inst_pref_size 0
		.amdhsa_round_robin_scheduling 0
		.amdhsa_exception_fp_ieee_invalid_op 0
		.amdhsa_exception_fp_denorm_src 0
		.amdhsa_exception_fp_ieee_div_zero 0
		.amdhsa_exception_fp_ieee_overflow 0
		.amdhsa_exception_fp_ieee_underflow 0
		.amdhsa_exception_fp_ieee_inexact 0
		.amdhsa_exception_int_div_zero 0
	.end_amdhsa_kernel
	.section	.text._ZN7rocprim17ROCPRIM_400000_NS6detail17trampoline_kernelINS0_14default_configENS1_20scan_config_selectorIN3c107complexIfEEEEZZNS1_9scan_implILNS1_25lookback_scan_determinismE0ELb0ELb0ES3_PKS7_PS7_S7_ZZZN2at6native31launch_logcumsumexp_cuda_kernelERKNSE_10TensorBaseESI_lENKUlvE_clEvENKUlvE2_clEvEUlS7_S7_E_S7_EEDaPvRmT3_T4_T5_mT6_P12ihipStream_tbENKUlT_T0_E_clISt17integral_constantIbLb0EESZ_EEDaSU_SV_EUlSU_E_NS1_11comp_targetILNS1_3genE9ELNS1_11target_archE1100ELNS1_3gpuE3ELNS1_3repE0EEENS1_30default_config_static_selectorELNS0_4arch9wavefront6targetE0EEEvT1_,"axG",@progbits,_ZN7rocprim17ROCPRIM_400000_NS6detail17trampoline_kernelINS0_14default_configENS1_20scan_config_selectorIN3c107complexIfEEEEZZNS1_9scan_implILNS1_25lookback_scan_determinismE0ELb0ELb0ES3_PKS7_PS7_S7_ZZZN2at6native31launch_logcumsumexp_cuda_kernelERKNSE_10TensorBaseESI_lENKUlvE_clEvENKUlvE2_clEvEUlS7_S7_E_S7_EEDaPvRmT3_T4_T5_mT6_P12ihipStream_tbENKUlT_T0_E_clISt17integral_constantIbLb0EESZ_EEDaSU_SV_EUlSU_E_NS1_11comp_targetILNS1_3genE9ELNS1_11target_archE1100ELNS1_3gpuE3ELNS1_3repE0EEENS1_30default_config_static_selectorELNS0_4arch9wavefront6targetE0EEEvT1_,comdat
.Lfunc_end271:
	.size	_ZN7rocprim17ROCPRIM_400000_NS6detail17trampoline_kernelINS0_14default_configENS1_20scan_config_selectorIN3c107complexIfEEEEZZNS1_9scan_implILNS1_25lookback_scan_determinismE0ELb0ELb0ES3_PKS7_PS7_S7_ZZZN2at6native31launch_logcumsumexp_cuda_kernelERKNSE_10TensorBaseESI_lENKUlvE_clEvENKUlvE2_clEvEUlS7_S7_E_S7_EEDaPvRmT3_T4_T5_mT6_P12ihipStream_tbENKUlT_T0_E_clISt17integral_constantIbLb0EESZ_EEDaSU_SV_EUlSU_E_NS1_11comp_targetILNS1_3genE9ELNS1_11target_archE1100ELNS1_3gpuE3ELNS1_3repE0EEENS1_30default_config_static_selectorELNS0_4arch9wavefront6targetE0EEEvT1_, .Lfunc_end271-_ZN7rocprim17ROCPRIM_400000_NS6detail17trampoline_kernelINS0_14default_configENS1_20scan_config_selectorIN3c107complexIfEEEEZZNS1_9scan_implILNS1_25lookback_scan_determinismE0ELb0ELb0ES3_PKS7_PS7_S7_ZZZN2at6native31launch_logcumsumexp_cuda_kernelERKNSE_10TensorBaseESI_lENKUlvE_clEvENKUlvE2_clEvEUlS7_S7_E_S7_EEDaPvRmT3_T4_T5_mT6_P12ihipStream_tbENKUlT_T0_E_clISt17integral_constantIbLb0EESZ_EEDaSU_SV_EUlSU_E_NS1_11comp_targetILNS1_3genE9ELNS1_11target_archE1100ELNS1_3gpuE3ELNS1_3repE0EEENS1_30default_config_static_selectorELNS0_4arch9wavefront6targetE0EEEvT1_
                                        ; -- End function
	.set _ZN7rocprim17ROCPRIM_400000_NS6detail17trampoline_kernelINS0_14default_configENS1_20scan_config_selectorIN3c107complexIfEEEEZZNS1_9scan_implILNS1_25lookback_scan_determinismE0ELb0ELb0ES3_PKS7_PS7_S7_ZZZN2at6native31launch_logcumsumexp_cuda_kernelERKNSE_10TensorBaseESI_lENKUlvE_clEvENKUlvE2_clEvEUlS7_S7_E_S7_EEDaPvRmT3_T4_T5_mT6_P12ihipStream_tbENKUlT_T0_E_clISt17integral_constantIbLb0EESZ_EEDaSU_SV_EUlSU_E_NS1_11comp_targetILNS1_3genE9ELNS1_11target_archE1100ELNS1_3gpuE3ELNS1_3repE0EEENS1_30default_config_static_selectorELNS0_4arch9wavefront6targetE0EEEvT1_.num_vgpr, 0
	.set _ZN7rocprim17ROCPRIM_400000_NS6detail17trampoline_kernelINS0_14default_configENS1_20scan_config_selectorIN3c107complexIfEEEEZZNS1_9scan_implILNS1_25lookback_scan_determinismE0ELb0ELb0ES3_PKS7_PS7_S7_ZZZN2at6native31launch_logcumsumexp_cuda_kernelERKNSE_10TensorBaseESI_lENKUlvE_clEvENKUlvE2_clEvEUlS7_S7_E_S7_EEDaPvRmT3_T4_T5_mT6_P12ihipStream_tbENKUlT_T0_E_clISt17integral_constantIbLb0EESZ_EEDaSU_SV_EUlSU_E_NS1_11comp_targetILNS1_3genE9ELNS1_11target_archE1100ELNS1_3gpuE3ELNS1_3repE0EEENS1_30default_config_static_selectorELNS0_4arch9wavefront6targetE0EEEvT1_.num_agpr, 0
	.set _ZN7rocprim17ROCPRIM_400000_NS6detail17trampoline_kernelINS0_14default_configENS1_20scan_config_selectorIN3c107complexIfEEEEZZNS1_9scan_implILNS1_25lookback_scan_determinismE0ELb0ELb0ES3_PKS7_PS7_S7_ZZZN2at6native31launch_logcumsumexp_cuda_kernelERKNSE_10TensorBaseESI_lENKUlvE_clEvENKUlvE2_clEvEUlS7_S7_E_S7_EEDaPvRmT3_T4_T5_mT6_P12ihipStream_tbENKUlT_T0_E_clISt17integral_constantIbLb0EESZ_EEDaSU_SV_EUlSU_E_NS1_11comp_targetILNS1_3genE9ELNS1_11target_archE1100ELNS1_3gpuE3ELNS1_3repE0EEENS1_30default_config_static_selectorELNS0_4arch9wavefront6targetE0EEEvT1_.numbered_sgpr, 0
	.set _ZN7rocprim17ROCPRIM_400000_NS6detail17trampoline_kernelINS0_14default_configENS1_20scan_config_selectorIN3c107complexIfEEEEZZNS1_9scan_implILNS1_25lookback_scan_determinismE0ELb0ELb0ES3_PKS7_PS7_S7_ZZZN2at6native31launch_logcumsumexp_cuda_kernelERKNSE_10TensorBaseESI_lENKUlvE_clEvENKUlvE2_clEvEUlS7_S7_E_S7_EEDaPvRmT3_T4_T5_mT6_P12ihipStream_tbENKUlT_T0_E_clISt17integral_constantIbLb0EESZ_EEDaSU_SV_EUlSU_E_NS1_11comp_targetILNS1_3genE9ELNS1_11target_archE1100ELNS1_3gpuE3ELNS1_3repE0EEENS1_30default_config_static_selectorELNS0_4arch9wavefront6targetE0EEEvT1_.num_named_barrier, 0
	.set _ZN7rocprim17ROCPRIM_400000_NS6detail17trampoline_kernelINS0_14default_configENS1_20scan_config_selectorIN3c107complexIfEEEEZZNS1_9scan_implILNS1_25lookback_scan_determinismE0ELb0ELb0ES3_PKS7_PS7_S7_ZZZN2at6native31launch_logcumsumexp_cuda_kernelERKNSE_10TensorBaseESI_lENKUlvE_clEvENKUlvE2_clEvEUlS7_S7_E_S7_EEDaPvRmT3_T4_T5_mT6_P12ihipStream_tbENKUlT_T0_E_clISt17integral_constantIbLb0EESZ_EEDaSU_SV_EUlSU_E_NS1_11comp_targetILNS1_3genE9ELNS1_11target_archE1100ELNS1_3gpuE3ELNS1_3repE0EEENS1_30default_config_static_selectorELNS0_4arch9wavefront6targetE0EEEvT1_.private_seg_size, 0
	.set _ZN7rocprim17ROCPRIM_400000_NS6detail17trampoline_kernelINS0_14default_configENS1_20scan_config_selectorIN3c107complexIfEEEEZZNS1_9scan_implILNS1_25lookback_scan_determinismE0ELb0ELb0ES3_PKS7_PS7_S7_ZZZN2at6native31launch_logcumsumexp_cuda_kernelERKNSE_10TensorBaseESI_lENKUlvE_clEvENKUlvE2_clEvEUlS7_S7_E_S7_EEDaPvRmT3_T4_T5_mT6_P12ihipStream_tbENKUlT_T0_E_clISt17integral_constantIbLb0EESZ_EEDaSU_SV_EUlSU_E_NS1_11comp_targetILNS1_3genE9ELNS1_11target_archE1100ELNS1_3gpuE3ELNS1_3repE0EEENS1_30default_config_static_selectorELNS0_4arch9wavefront6targetE0EEEvT1_.uses_vcc, 0
	.set _ZN7rocprim17ROCPRIM_400000_NS6detail17trampoline_kernelINS0_14default_configENS1_20scan_config_selectorIN3c107complexIfEEEEZZNS1_9scan_implILNS1_25lookback_scan_determinismE0ELb0ELb0ES3_PKS7_PS7_S7_ZZZN2at6native31launch_logcumsumexp_cuda_kernelERKNSE_10TensorBaseESI_lENKUlvE_clEvENKUlvE2_clEvEUlS7_S7_E_S7_EEDaPvRmT3_T4_T5_mT6_P12ihipStream_tbENKUlT_T0_E_clISt17integral_constantIbLb0EESZ_EEDaSU_SV_EUlSU_E_NS1_11comp_targetILNS1_3genE9ELNS1_11target_archE1100ELNS1_3gpuE3ELNS1_3repE0EEENS1_30default_config_static_selectorELNS0_4arch9wavefront6targetE0EEEvT1_.uses_flat_scratch, 0
	.set _ZN7rocprim17ROCPRIM_400000_NS6detail17trampoline_kernelINS0_14default_configENS1_20scan_config_selectorIN3c107complexIfEEEEZZNS1_9scan_implILNS1_25lookback_scan_determinismE0ELb0ELb0ES3_PKS7_PS7_S7_ZZZN2at6native31launch_logcumsumexp_cuda_kernelERKNSE_10TensorBaseESI_lENKUlvE_clEvENKUlvE2_clEvEUlS7_S7_E_S7_EEDaPvRmT3_T4_T5_mT6_P12ihipStream_tbENKUlT_T0_E_clISt17integral_constantIbLb0EESZ_EEDaSU_SV_EUlSU_E_NS1_11comp_targetILNS1_3genE9ELNS1_11target_archE1100ELNS1_3gpuE3ELNS1_3repE0EEENS1_30default_config_static_selectorELNS0_4arch9wavefront6targetE0EEEvT1_.has_dyn_sized_stack, 0
	.set _ZN7rocprim17ROCPRIM_400000_NS6detail17trampoline_kernelINS0_14default_configENS1_20scan_config_selectorIN3c107complexIfEEEEZZNS1_9scan_implILNS1_25lookback_scan_determinismE0ELb0ELb0ES3_PKS7_PS7_S7_ZZZN2at6native31launch_logcumsumexp_cuda_kernelERKNSE_10TensorBaseESI_lENKUlvE_clEvENKUlvE2_clEvEUlS7_S7_E_S7_EEDaPvRmT3_T4_T5_mT6_P12ihipStream_tbENKUlT_T0_E_clISt17integral_constantIbLb0EESZ_EEDaSU_SV_EUlSU_E_NS1_11comp_targetILNS1_3genE9ELNS1_11target_archE1100ELNS1_3gpuE3ELNS1_3repE0EEENS1_30default_config_static_selectorELNS0_4arch9wavefront6targetE0EEEvT1_.has_recursion, 0
	.set _ZN7rocprim17ROCPRIM_400000_NS6detail17trampoline_kernelINS0_14default_configENS1_20scan_config_selectorIN3c107complexIfEEEEZZNS1_9scan_implILNS1_25lookback_scan_determinismE0ELb0ELb0ES3_PKS7_PS7_S7_ZZZN2at6native31launch_logcumsumexp_cuda_kernelERKNSE_10TensorBaseESI_lENKUlvE_clEvENKUlvE2_clEvEUlS7_S7_E_S7_EEDaPvRmT3_T4_T5_mT6_P12ihipStream_tbENKUlT_T0_E_clISt17integral_constantIbLb0EESZ_EEDaSU_SV_EUlSU_E_NS1_11comp_targetILNS1_3genE9ELNS1_11target_archE1100ELNS1_3gpuE3ELNS1_3repE0EEENS1_30default_config_static_selectorELNS0_4arch9wavefront6targetE0EEEvT1_.has_indirect_call, 0
	.section	.AMDGPU.csdata,"",@progbits
; Kernel info:
; codeLenInByte = 0
; TotalNumSgprs: 0
; NumVgprs: 0
; ScratchSize: 0
; MemoryBound: 0
; FloatMode: 240
; IeeeMode: 1
; LDSByteSize: 0 bytes/workgroup (compile time only)
; SGPRBlocks: 0
; VGPRBlocks: 0
; NumSGPRsForWavesPerEU: 1
; NumVGPRsForWavesPerEU: 1
; Occupancy: 16
; WaveLimiterHint : 0
; COMPUTE_PGM_RSRC2:SCRATCH_EN: 0
; COMPUTE_PGM_RSRC2:USER_SGPR: 2
; COMPUTE_PGM_RSRC2:TRAP_HANDLER: 0
; COMPUTE_PGM_RSRC2:TGID_X_EN: 1
; COMPUTE_PGM_RSRC2:TGID_Y_EN: 0
; COMPUTE_PGM_RSRC2:TGID_Z_EN: 0
; COMPUTE_PGM_RSRC2:TIDIG_COMP_CNT: 0
	.section	.text._ZN7rocprim17ROCPRIM_400000_NS6detail17trampoline_kernelINS0_14default_configENS1_20scan_config_selectorIN3c107complexIfEEEEZZNS1_9scan_implILNS1_25lookback_scan_determinismE0ELb0ELb0ES3_PKS7_PS7_S7_ZZZN2at6native31launch_logcumsumexp_cuda_kernelERKNSE_10TensorBaseESI_lENKUlvE_clEvENKUlvE2_clEvEUlS7_S7_E_S7_EEDaPvRmT3_T4_T5_mT6_P12ihipStream_tbENKUlT_T0_E_clISt17integral_constantIbLb0EESZ_EEDaSU_SV_EUlSU_E_NS1_11comp_targetILNS1_3genE8ELNS1_11target_archE1030ELNS1_3gpuE2ELNS1_3repE0EEENS1_30default_config_static_selectorELNS0_4arch9wavefront6targetE0EEEvT1_,"axG",@progbits,_ZN7rocprim17ROCPRIM_400000_NS6detail17trampoline_kernelINS0_14default_configENS1_20scan_config_selectorIN3c107complexIfEEEEZZNS1_9scan_implILNS1_25lookback_scan_determinismE0ELb0ELb0ES3_PKS7_PS7_S7_ZZZN2at6native31launch_logcumsumexp_cuda_kernelERKNSE_10TensorBaseESI_lENKUlvE_clEvENKUlvE2_clEvEUlS7_S7_E_S7_EEDaPvRmT3_T4_T5_mT6_P12ihipStream_tbENKUlT_T0_E_clISt17integral_constantIbLb0EESZ_EEDaSU_SV_EUlSU_E_NS1_11comp_targetILNS1_3genE8ELNS1_11target_archE1030ELNS1_3gpuE2ELNS1_3repE0EEENS1_30default_config_static_selectorELNS0_4arch9wavefront6targetE0EEEvT1_,comdat
	.globl	_ZN7rocprim17ROCPRIM_400000_NS6detail17trampoline_kernelINS0_14default_configENS1_20scan_config_selectorIN3c107complexIfEEEEZZNS1_9scan_implILNS1_25lookback_scan_determinismE0ELb0ELb0ES3_PKS7_PS7_S7_ZZZN2at6native31launch_logcumsumexp_cuda_kernelERKNSE_10TensorBaseESI_lENKUlvE_clEvENKUlvE2_clEvEUlS7_S7_E_S7_EEDaPvRmT3_T4_T5_mT6_P12ihipStream_tbENKUlT_T0_E_clISt17integral_constantIbLb0EESZ_EEDaSU_SV_EUlSU_E_NS1_11comp_targetILNS1_3genE8ELNS1_11target_archE1030ELNS1_3gpuE2ELNS1_3repE0EEENS1_30default_config_static_selectorELNS0_4arch9wavefront6targetE0EEEvT1_ ; -- Begin function _ZN7rocprim17ROCPRIM_400000_NS6detail17trampoline_kernelINS0_14default_configENS1_20scan_config_selectorIN3c107complexIfEEEEZZNS1_9scan_implILNS1_25lookback_scan_determinismE0ELb0ELb0ES3_PKS7_PS7_S7_ZZZN2at6native31launch_logcumsumexp_cuda_kernelERKNSE_10TensorBaseESI_lENKUlvE_clEvENKUlvE2_clEvEUlS7_S7_E_S7_EEDaPvRmT3_T4_T5_mT6_P12ihipStream_tbENKUlT_T0_E_clISt17integral_constantIbLb0EESZ_EEDaSU_SV_EUlSU_E_NS1_11comp_targetILNS1_3genE8ELNS1_11target_archE1030ELNS1_3gpuE2ELNS1_3repE0EEENS1_30default_config_static_selectorELNS0_4arch9wavefront6targetE0EEEvT1_
	.p2align	8
	.type	_ZN7rocprim17ROCPRIM_400000_NS6detail17trampoline_kernelINS0_14default_configENS1_20scan_config_selectorIN3c107complexIfEEEEZZNS1_9scan_implILNS1_25lookback_scan_determinismE0ELb0ELb0ES3_PKS7_PS7_S7_ZZZN2at6native31launch_logcumsumexp_cuda_kernelERKNSE_10TensorBaseESI_lENKUlvE_clEvENKUlvE2_clEvEUlS7_S7_E_S7_EEDaPvRmT3_T4_T5_mT6_P12ihipStream_tbENKUlT_T0_E_clISt17integral_constantIbLb0EESZ_EEDaSU_SV_EUlSU_E_NS1_11comp_targetILNS1_3genE8ELNS1_11target_archE1030ELNS1_3gpuE2ELNS1_3repE0EEENS1_30default_config_static_selectorELNS0_4arch9wavefront6targetE0EEEvT1_,@function
_ZN7rocprim17ROCPRIM_400000_NS6detail17trampoline_kernelINS0_14default_configENS1_20scan_config_selectorIN3c107complexIfEEEEZZNS1_9scan_implILNS1_25lookback_scan_determinismE0ELb0ELb0ES3_PKS7_PS7_S7_ZZZN2at6native31launch_logcumsumexp_cuda_kernelERKNSE_10TensorBaseESI_lENKUlvE_clEvENKUlvE2_clEvEUlS7_S7_E_S7_EEDaPvRmT3_T4_T5_mT6_P12ihipStream_tbENKUlT_T0_E_clISt17integral_constantIbLb0EESZ_EEDaSU_SV_EUlSU_E_NS1_11comp_targetILNS1_3genE8ELNS1_11target_archE1030ELNS1_3gpuE2ELNS1_3repE0EEENS1_30default_config_static_selectorELNS0_4arch9wavefront6targetE0EEEvT1_: ; @_ZN7rocprim17ROCPRIM_400000_NS6detail17trampoline_kernelINS0_14default_configENS1_20scan_config_selectorIN3c107complexIfEEEEZZNS1_9scan_implILNS1_25lookback_scan_determinismE0ELb0ELb0ES3_PKS7_PS7_S7_ZZZN2at6native31launch_logcumsumexp_cuda_kernelERKNSE_10TensorBaseESI_lENKUlvE_clEvENKUlvE2_clEvEUlS7_S7_E_S7_EEDaPvRmT3_T4_T5_mT6_P12ihipStream_tbENKUlT_T0_E_clISt17integral_constantIbLb0EESZ_EEDaSU_SV_EUlSU_E_NS1_11comp_targetILNS1_3genE8ELNS1_11target_archE1030ELNS1_3gpuE2ELNS1_3repE0EEENS1_30default_config_static_selectorELNS0_4arch9wavefront6targetE0EEEvT1_
; %bb.0:
	.section	.rodata,"a",@progbits
	.p2align	6, 0x0
	.amdhsa_kernel _ZN7rocprim17ROCPRIM_400000_NS6detail17trampoline_kernelINS0_14default_configENS1_20scan_config_selectorIN3c107complexIfEEEEZZNS1_9scan_implILNS1_25lookback_scan_determinismE0ELb0ELb0ES3_PKS7_PS7_S7_ZZZN2at6native31launch_logcumsumexp_cuda_kernelERKNSE_10TensorBaseESI_lENKUlvE_clEvENKUlvE2_clEvEUlS7_S7_E_S7_EEDaPvRmT3_T4_T5_mT6_P12ihipStream_tbENKUlT_T0_E_clISt17integral_constantIbLb0EESZ_EEDaSU_SV_EUlSU_E_NS1_11comp_targetILNS1_3genE8ELNS1_11target_archE1030ELNS1_3gpuE2ELNS1_3repE0EEENS1_30default_config_static_selectorELNS0_4arch9wavefront6targetE0EEEvT1_
		.amdhsa_group_segment_fixed_size 0
		.amdhsa_private_segment_fixed_size 0
		.amdhsa_kernarg_size 104
		.amdhsa_user_sgpr_count 2
		.amdhsa_user_sgpr_dispatch_ptr 0
		.amdhsa_user_sgpr_queue_ptr 0
		.amdhsa_user_sgpr_kernarg_segment_ptr 1
		.amdhsa_user_sgpr_dispatch_id 0
		.amdhsa_user_sgpr_private_segment_size 0
		.amdhsa_wavefront_size32 1
		.amdhsa_uses_dynamic_stack 0
		.amdhsa_enable_private_segment 0
		.amdhsa_system_sgpr_workgroup_id_x 1
		.amdhsa_system_sgpr_workgroup_id_y 0
		.amdhsa_system_sgpr_workgroup_id_z 0
		.amdhsa_system_sgpr_workgroup_info 0
		.amdhsa_system_vgpr_workitem_id 0
		.amdhsa_next_free_vgpr 1
		.amdhsa_next_free_sgpr 1
		.amdhsa_reserve_vcc 0
		.amdhsa_float_round_mode_32 0
		.amdhsa_float_round_mode_16_64 0
		.amdhsa_float_denorm_mode_32 3
		.amdhsa_float_denorm_mode_16_64 3
		.amdhsa_fp16_overflow 0
		.amdhsa_workgroup_processor_mode 1
		.amdhsa_memory_ordered 1
		.amdhsa_forward_progress 1
		.amdhsa_inst_pref_size 0
		.amdhsa_round_robin_scheduling 0
		.amdhsa_exception_fp_ieee_invalid_op 0
		.amdhsa_exception_fp_denorm_src 0
		.amdhsa_exception_fp_ieee_div_zero 0
		.amdhsa_exception_fp_ieee_overflow 0
		.amdhsa_exception_fp_ieee_underflow 0
		.amdhsa_exception_fp_ieee_inexact 0
		.amdhsa_exception_int_div_zero 0
	.end_amdhsa_kernel
	.section	.text._ZN7rocprim17ROCPRIM_400000_NS6detail17trampoline_kernelINS0_14default_configENS1_20scan_config_selectorIN3c107complexIfEEEEZZNS1_9scan_implILNS1_25lookback_scan_determinismE0ELb0ELb0ES3_PKS7_PS7_S7_ZZZN2at6native31launch_logcumsumexp_cuda_kernelERKNSE_10TensorBaseESI_lENKUlvE_clEvENKUlvE2_clEvEUlS7_S7_E_S7_EEDaPvRmT3_T4_T5_mT6_P12ihipStream_tbENKUlT_T0_E_clISt17integral_constantIbLb0EESZ_EEDaSU_SV_EUlSU_E_NS1_11comp_targetILNS1_3genE8ELNS1_11target_archE1030ELNS1_3gpuE2ELNS1_3repE0EEENS1_30default_config_static_selectorELNS0_4arch9wavefront6targetE0EEEvT1_,"axG",@progbits,_ZN7rocprim17ROCPRIM_400000_NS6detail17trampoline_kernelINS0_14default_configENS1_20scan_config_selectorIN3c107complexIfEEEEZZNS1_9scan_implILNS1_25lookback_scan_determinismE0ELb0ELb0ES3_PKS7_PS7_S7_ZZZN2at6native31launch_logcumsumexp_cuda_kernelERKNSE_10TensorBaseESI_lENKUlvE_clEvENKUlvE2_clEvEUlS7_S7_E_S7_EEDaPvRmT3_T4_T5_mT6_P12ihipStream_tbENKUlT_T0_E_clISt17integral_constantIbLb0EESZ_EEDaSU_SV_EUlSU_E_NS1_11comp_targetILNS1_3genE8ELNS1_11target_archE1030ELNS1_3gpuE2ELNS1_3repE0EEENS1_30default_config_static_selectorELNS0_4arch9wavefront6targetE0EEEvT1_,comdat
.Lfunc_end272:
	.size	_ZN7rocprim17ROCPRIM_400000_NS6detail17trampoline_kernelINS0_14default_configENS1_20scan_config_selectorIN3c107complexIfEEEEZZNS1_9scan_implILNS1_25lookback_scan_determinismE0ELb0ELb0ES3_PKS7_PS7_S7_ZZZN2at6native31launch_logcumsumexp_cuda_kernelERKNSE_10TensorBaseESI_lENKUlvE_clEvENKUlvE2_clEvEUlS7_S7_E_S7_EEDaPvRmT3_T4_T5_mT6_P12ihipStream_tbENKUlT_T0_E_clISt17integral_constantIbLb0EESZ_EEDaSU_SV_EUlSU_E_NS1_11comp_targetILNS1_3genE8ELNS1_11target_archE1030ELNS1_3gpuE2ELNS1_3repE0EEENS1_30default_config_static_selectorELNS0_4arch9wavefront6targetE0EEEvT1_, .Lfunc_end272-_ZN7rocprim17ROCPRIM_400000_NS6detail17trampoline_kernelINS0_14default_configENS1_20scan_config_selectorIN3c107complexIfEEEEZZNS1_9scan_implILNS1_25lookback_scan_determinismE0ELb0ELb0ES3_PKS7_PS7_S7_ZZZN2at6native31launch_logcumsumexp_cuda_kernelERKNSE_10TensorBaseESI_lENKUlvE_clEvENKUlvE2_clEvEUlS7_S7_E_S7_EEDaPvRmT3_T4_T5_mT6_P12ihipStream_tbENKUlT_T0_E_clISt17integral_constantIbLb0EESZ_EEDaSU_SV_EUlSU_E_NS1_11comp_targetILNS1_3genE8ELNS1_11target_archE1030ELNS1_3gpuE2ELNS1_3repE0EEENS1_30default_config_static_selectorELNS0_4arch9wavefront6targetE0EEEvT1_
                                        ; -- End function
	.set _ZN7rocprim17ROCPRIM_400000_NS6detail17trampoline_kernelINS0_14default_configENS1_20scan_config_selectorIN3c107complexIfEEEEZZNS1_9scan_implILNS1_25lookback_scan_determinismE0ELb0ELb0ES3_PKS7_PS7_S7_ZZZN2at6native31launch_logcumsumexp_cuda_kernelERKNSE_10TensorBaseESI_lENKUlvE_clEvENKUlvE2_clEvEUlS7_S7_E_S7_EEDaPvRmT3_T4_T5_mT6_P12ihipStream_tbENKUlT_T0_E_clISt17integral_constantIbLb0EESZ_EEDaSU_SV_EUlSU_E_NS1_11comp_targetILNS1_3genE8ELNS1_11target_archE1030ELNS1_3gpuE2ELNS1_3repE0EEENS1_30default_config_static_selectorELNS0_4arch9wavefront6targetE0EEEvT1_.num_vgpr, 0
	.set _ZN7rocprim17ROCPRIM_400000_NS6detail17trampoline_kernelINS0_14default_configENS1_20scan_config_selectorIN3c107complexIfEEEEZZNS1_9scan_implILNS1_25lookback_scan_determinismE0ELb0ELb0ES3_PKS7_PS7_S7_ZZZN2at6native31launch_logcumsumexp_cuda_kernelERKNSE_10TensorBaseESI_lENKUlvE_clEvENKUlvE2_clEvEUlS7_S7_E_S7_EEDaPvRmT3_T4_T5_mT6_P12ihipStream_tbENKUlT_T0_E_clISt17integral_constantIbLb0EESZ_EEDaSU_SV_EUlSU_E_NS1_11comp_targetILNS1_3genE8ELNS1_11target_archE1030ELNS1_3gpuE2ELNS1_3repE0EEENS1_30default_config_static_selectorELNS0_4arch9wavefront6targetE0EEEvT1_.num_agpr, 0
	.set _ZN7rocprim17ROCPRIM_400000_NS6detail17trampoline_kernelINS0_14default_configENS1_20scan_config_selectorIN3c107complexIfEEEEZZNS1_9scan_implILNS1_25lookback_scan_determinismE0ELb0ELb0ES3_PKS7_PS7_S7_ZZZN2at6native31launch_logcumsumexp_cuda_kernelERKNSE_10TensorBaseESI_lENKUlvE_clEvENKUlvE2_clEvEUlS7_S7_E_S7_EEDaPvRmT3_T4_T5_mT6_P12ihipStream_tbENKUlT_T0_E_clISt17integral_constantIbLb0EESZ_EEDaSU_SV_EUlSU_E_NS1_11comp_targetILNS1_3genE8ELNS1_11target_archE1030ELNS1_3gpuE2ELNS1_3repE0EEENS1_30default_config_static_selectorELNS0_4arch9wavefront6targetE0EEEvT1_.numbered_sgpr, 0
	.set _ZN7rocprim17ROCPRIM_400000_NS6detail17trampoline_kernelINS0_14default_configENS1_20scan_config_selectorIN3c107complexIfEEEEZZNS1_9scan_implILNS1_25lookback_scan_determinismE0ELb0ELb0ES3_PKS7_PS7_S7_ZZZN2at6native31launch_logcumsumexp_cuda_kernelERKNSE_10TensorBaseESI_lENKUlvE_clEvENKUlvE2_clEvEUlS7_S7_E_S7_EEDaPvRmT3_T4_T5_mT6_P12ihipStream_tbENKUlT_T0_E_clISt17integral_constantIbLb0EESZ_EEDaSU_SV_EUlSU_E_NS1_11comp_targetILNS1_3genE8ELNS1_11target_archE1030ELNS1_3gpuE2ELNS1_3repE0EEENS1_30default_config_static_selectorELNS0_4arch9wavefront6targetE0EEEvT1_.num_named_barrier, 0
	.set _ZN7rocprim17ROCPRIM_400000_NS6detail17trampoline_kernelINS0_14default_configENS1_20scan_config_selectorIN3c107complexIfEEEEZZNS1_9scan_implILNS1_25lookback_scan_determinismE0ELb0ELb0ES3_PKS7_PS7_S7_ZZZN2at6native31launch_logcumsumexp_cuda_kernelERKNSE_10TensorBaseESI_lENKUlvE_clEvENKUlvE2_clEvEUlS7_S7_E_S7_EEDaPvRmT3_T4_T5_mT6_P12ihipStream_tbENKUlT_T0_E_clISt17integral_constantIbLb0EESZ_EEDaSU_SV_EUlSU_E_NS1_11comp_targetILNS1_3genE8ELNS1_11target_archE1030ELNS1_3gpuE2ELNS1_3repE0EEENS1_30default_config_static_selectorELNS0_4arch9wavefront6targetE0EEEvT1_.private_seg_size, 0
	.set _ZN7rocprim17ROCPRIM_400000_NS6detail17trampoline_kernelINS0_14default_configENS1_20scan_config_selectorIN3c107complexIfEEEEZZNS1_9scan_implILNS1_25lookback_scan_determinismE0ELb0ELb0ES3_PKS7_PS7_S7_ZZZN2at6native31launch_logcumsumexp_cuda_kernelERKNSE_10TensorBaseESI_lENKUlvE_clEvENKUlvE2_clEvEUlS7_S7_E_S7_EEDaPvRmT3_T4_T5_mT6_P12ihipStream_tbENKUlT_T0_E_clISt17integral_constantIbLb0EESZ_EEDaSU_SV_EUlSU_E_NS1_11comp_targetILNS1_3genE8ELNS1_11target_archE1030ELNS1_3gpuE2ELNS1_3repE0EEENS1_30default_config_static_selectorELNS0_4arch9wavefront6targetE0EEEvT1_.uses_vcc, 0
	.set _ZN7rocprim17ROCPRIM_400000_NS6detail17trampoline_kernelINS0_14default_configENS1_20scan_config_selectorIN3c107complexIfEEEEZZNS1_9scan_implILNS1_25lookback_scan_determinismE0ELb0ELb0ES3_PKS7_PS7_S7_ZZZN2at6native31launch_logcumsumexp_cuda_kernelERKNSE_10TensorBaseESI_lENKUlvE_clEvENKUlvE2_clEvEUlS7_S7_E_S7_EEDaPvRmT3_T4_T5_mT6_P12ihipStream_tbENKUlT_T0_E_clISt17integral_constantIbLb0EESZ_EEDaSU_SV_EUlSU_E_NS1_11comp_targetILNS1_3genE8ELNS1_11target_archE1030ELNS1_3gpuE2ELNS1_3repE0EEENS1_30default_config_static_selectorELNS0_4arch9wavefront6targetE0EEEvT1_.uses_flat_scratch, 0
	.set _ZN7rocprim17ROCPRIM_400000_NS6detail17trampoline_kernelINS0_14default_configENS1_20scan_config_selectorIN3c107complexIfEEEEZZNS1_9scan_implILNS1_25lookback_scan_determinismE0ELb0ELb0ES3_PKS7_PS7_S7_ZZZN2at6native31launch_logcumsumexp_cuda_kernelERKNSE_10TensorBaseESI_lENKUlvE_clEvENKUlvE2_clEvEUlS7_S7_E_S7_EEDaPvRmT3_T4_T5_mT6_P12ihipStream_tbENKUlT_T0_E_clISt17integral_constantIbLb0EESZ_EEDaSU_SV_EUlSU_E_NS1_11comp_targetILNS1_3genE8ELNS1_11target_archE1030ELNS1_3gpuE2ELNS1_3repE0EEENS1_30default_config_static_selectorELNS0_4arch9wavefront6targetE0EEEvT1_.has_dyn_sized_stack, 0
	.set _ZN7rocprim17ROCPRIM_400000_NS6detail17trampoline_kernelINS0_14default_configENS1_20scan_config_selectorIN3c107complexIfEEEEZZNS1_9scan_implILNS1_25lookback_scan_determinismE0ELb0ELb0ES3_PKS7_PS7_S7_ZZZN2at6native31launch_logcumsumexp_cuda_kernelERKNSE_10TensorBaseESI_lENKUlvE_clEvENKUlvE2_clEvEUlS7_S7_E_S7_EEDaPvRmT3_T4_T5_mT6_P12ihipStream_tbENKUlT_T0_E_clISt17integral_constantIbLb0EESZ_EEDaSU_SV_EUlSU_E_NS1_11comp_targetILNS1_3genE8ELNS1_11target_archE1030ELNS1_3gpuE2ELNS1_3repE0EEENS1_30default_config_static_selectorELNS0_4arch9wavefront6targetE0EEEvT1_.has_recursion, 0
	.set _ZN7rocprim17ROCPRIM_400000_NS6detail17trampoline_kernelINS0_14default_configENS1_20scan_config_selectorIN3c107complexIfEEEEZZNS1_9scan_implILNS1_25lookback_scan_determinismE0ELb0ELb0ES3_PKS7_PS7_S7_ZZZN2at6native31launch_logcumsumexp_cuda_kernelERKNSE_10TensorBaseESI_lENKUlvE_clEvENKUlvE2_clEvEUlS7_S7_E_S7_EEDaPvRmT3_T4_T5_mT6_P12ihipStream_tbENKUlT_T0_E_clISt17integral_constantIbLb0EESZ_EEDaSU_SV_EUlSU_E_NS1_11comp_targetILNS1_3genE8ELNS1_11target_archE1030ELNS1_3gpuE2ELNS1_3repE0EEENS1_30default_config_static_selectorELNS0_4arch9wavefront6targetE0EEEvT1_.has_indirect_call, 0
	.section	.AMDGPU.csdata,"",@progbits
; Kernel info:
; codeLenInByte = 0
; TotalNumSgprs: 0
; NumVgprs: 0
; ScratchSize: 0
; MemoryBound: 0
; FloatMode: 240
; IeeeMode: 1
; LDSByteSize: 0 bytes/workgroup (compile time only)
; SGPRBlocks: 0
; VGPRBlocks: 0
; NumSGPRsForWavesPerEU: 1
; NumVGPRsForWavesPerEU: 1
; Occupancy: 16
; WaveLimiterHint : 0
; COMPUTE_PGM_RSRC2:SCRATCH_EN: 0
; COMPUTE_PGM_RSRC2:USER_SGPR: 2
; COMPUTE_PGM_RSRC2:TRAP_HANDLER: 0
; COMPUTE_PGM_RSRC2:TGID_X_EN: 1
; COMPUTE_PGM_RSRC2:TGID_Y_EN: 0
; COMPUTE_PGM_RSRC2:TGID_Z_EN: 0
; COMPUTE_PGM_RSRC2:TIDIG_COMP_CNT: 0
	.section	.text._ZN7rocprim17ROCPRIM_400000_NS6detail17trampoline_kernelINS0_14default_configENS1_25transform_config_selectorIN3c107complexIfEELb1EEEZNS1_14transform_implILb1ES3_S8_PS7_SA_NS0_8identityIS7_EEEE10hipError_tT2_T3_mT4_P12ihipStream_tbEUlT_E_NS1_11comp_targetILNS1_3genE0ELNS1_11target_archE4294967295ELNS1_3gpuE0ELNS1_3repE0EEENS1_30default_config_static_selectorELNS0_4arch9wavefront6targetE0EEEvT1_,"axG",@progbits,_ZN7rocprim17ROCPRIM_400000_NS6detail17trampoline_kernelINS0_14default_configENS1_25transform_config_selectorIN3c107complexIfEELb1EEEZNS1_14transform_implILb1ES3_S8_PS7_SA_NS0_8identityIS7_EEEE10hipError_tT2_T3_mT4_P12ihipStream_tbEUlT_E_NS1_11comp_targetILNS1_3genE0ELNS1_11target_archE4294967295ELNS1_3gpuE0ELNS1_3repE0EEENS1_30default_config_static_selectorELNS0_4arch9wavefront6targetE0EEEvT1_,comdat
	.protected	_ZN7rocprim17ROCPRIM_400000_NS6detail17trampoline_kernelINS0_14default_configENS1_25transform_config_selectorIN3c107complexIfEELb1EEEZNS1_14transform_implILb1ES3_S8_PS7_SA_NS0_8identityIS7_EEEE10hipError_tT2_T3_mT4_P12ihipStream_tbEUlT_E_NS1_11comp_targetILNS1_3genE0ELNS1_11target_archE4294967295ELNS1_3gpuE0ELNS1_3repE0EEENS1_30default_config_static_selectorELNS0_4arch9wavefront6targetE0EEEvT1_ ; -- Begin function _ZN7rocprim17ROCPRIM_400000_NS6detail17trampoline_kernelINS0_14default_configENS1_25transform_config_selectorIN3c107complexIfEELb1EEEZNS1_14transform_implILb1ES3_S8_PS7_SA_NS0_8identityIS7_EEEE10hipError_tT2_T3_mT4_P12ihipStream_tbEUlT_E_NS1_11comp_targetILNS1_3genE0ELNS1_11target_archE4294967295ELNS1_3gpuE0ELNS1_3repE0EEENS1_30default_config_static_selectorELNS0_4arch9wavefront6targetE0EEEvT1_
	.globl	_ZN7rocprim17ROCPRIM_400000_NS6detail17trampoline_kernelINS0_14default_configENS1_25transform_config_selectorIN3c107complexIfEELb1EEEZNS1_14transform_implILb1ES3_S8_PS7_SA_NS0_8identityIS7_EEEE10hipError_tT2_T3_mT4_P12ihipStream_tbEUlT_E_NS1_11comp_targetILNS1_3genE0ELNS1_11target_archE4294967295ELNS1_3gpuE0ELNS1_3repE0EEENS1_30default_config_static_selectorELNS0_4arch9wavefront6targetE0EEEvT1_
	.p2align	8
	.type	_ZN7rocprim17ROCPRIM_400000_NS6detail17trampoline_kernelINS0_14default_configENS1_25transform_config_selectorIN3c107complexIfEELb1EEEZNS1_14transform_implILb1ES3_S8_PS7_SA_NS0_8identityIS7_EEEE10hipError_tT2_T3_mT4_P12ihipStream_tbEUlT_E_NS1_11comp_targetILNS1_3genE0ELNS1_11target_archE4294967295ELNS1_3gpuE0ELNS1_3repE0EEENS1_30default_config_static_selectorELNS0_4arch9wavefront6targetE0EEEvT1_,@function
_ZN7rocprim17ROCPRIM_400000_NS6detail17trampoline_kernelINS0_14default_configENS1_25transform_config_selectorIN3c107complexIfEELb1EEEZNS1_14transform_implILb1ES3_S8_PS7_SA_NS0_8identityIS7_EEEE10hipError_tT2_T3_mT4_P12ihipStream_tbEUlT_E_NS1_11comp_targetILNS1_3genE0ELNS1_11target_archE4294967295ELNS1_3gpuE0ELNS1_3repE0EEENS1_30default_config_static_selectorELNS0_4arch9wavefront6targetE0EEEvT1_: ; @_ZN7rocprim17ROCPRIM_400000_NS6detail17trampoline_kernelINS0_14default_configENS1_25transform_config_selectorIN3c107complexIfEELb1EEEZNS1_14transform_implILb1ES3_S8_PS7_SA_NS0_8identityIS7_EEEE10hipError_tT2_T3_mT4_P12ihipStream_tbEUlT_E_NS1_11comp_targetILNS1_3genE0ELNS1_11target_archE4294967295ELNS1_3gpuE0ELNS1_3repE0EEENS1_30default_config_static_selectorELNS0_4arch9wavefront6targetE0EEEvT1_
; %bb.0:
	.section	.rodata,"a",@progbits
	.p2align	6, 0x0
	.amdhsa_kernel _ZN7rocprim17ROCPRIM_400000_NS6detail17trampoline_kernelINS0_14default_configENS1_25transform_config_selectorIN3c107complexIfEELb1EEEZNS1_14transform_implILb1ES3_S8_PS7_SA_NS0_8identityIS7_EEEE10hipError_tT2_T3_mT4_P12ihipStream_tbEUlT_E_NS1_11comp_targetILNS1_3genE0ELNS1_11target_archE4294967295ELNS1_3gpuE0ELNS1_3repE0EEENS1_30default_config_static_selectorELNS0_4arch9wavefront6targetE0EEEvT1_
		.amdhsa_group_segment_fixed_size 0
		.amdhsa_private_segment_fixed_size 0
		.amdhsa_kernarg_size 40
		.amdhsa_user_sgpr_count 2
		.amdhsa_user_sgpr_dispatch_ptr 0
		.amdhsa_user_sgpr_queue_ptr 0
		.amdhsa_user_sgpr_kernarg_segment_ptr 1
		.amdhsa_user_sgpr_dispatch_id 0
		.amdhsa_user_sgpr_private_segment_size 0
		.amdhsa_wavefront_size32 1
		.amdhsa_uses_dynamic_stack 0
		.amdhsa_enable_private_segment 0
		.amdhsa_system_sgpr_workgroup_id_x 1
		.amdhsa_system_sgpr_workgroup_id_y 0
		.amdhsa_system_sgpr_workgroup_id_z 0
		.amdhsa_system_sgpr_workgroup_info 0
		.amdhsa_system_vgpr_workitem_id 0
		.amdhsa_next_free_vgpr 1
		.amdhsa_next_free_sgpr 1
		.amdhsa_reserve_vcc 0
		.amdhsa_float_round_mode_32 0
		.amdhsa_float_round_mode_16_64 0
		.amdhsa_float_denorm_mode_32 3
		.amdhsa_float_denorm_mode_16_64 3
		.amdhsa_fp16_overflow 0
		.amdhsa_workgroup_processor_mode 1
		.amdhsa_memory_ordered 1
		.amdhsa_forward_progress 1
		.amdhsa_inst_pref_size 0
		.amdhsa_round_robin_scheduling 0
		.amdhsa_exception_fp_ieee_invalid_op 0
		.amdhsa_exception_fp_denorm_src 0
		.amdhsa_exception_fp_ieee_div_zero 0
		.amdhsa_exception_fp_ieee_overflow 0
		.amdhsa_exception_fp_ieee_underflow 0
		.amdhsa_exception_fp_ieee_inexact 0
		.amdhsa_exception_int_div_zero 0
	.end_amdhsa_kernel
	.section	.text._ZN7rocprim17ROCPRIM_400000_NS6detail17trampoline_kernelINS0_14default_configENS1_25transform_config_selectorIN3c107complexIfEELb1EEEZNS1_14transform_implILb1ES3_S8_PS7_SA_NS0_8identityIS7_EEEE10hipError_tT2_T3_mT4_P12ihipStream_tbEUlT_E_NS1_11comp_targetILNS1_3genE0ELNS1_11target_archE4294967295ELNS1_3gpuE0ELNS1_3repE0EEENS1_30default_config_static_selectorELNS0_4arch9wavefront6targetE0EEEvT1_,"axG",@progbits,_ZN7rocprim17ROCPRIM_400000_NS6detail17trampoline_kernelINS0_14default_configENS1_25transform_config_selectorIN3c107complexIfEELb1EEEZNS1_14transform_implILb1ES3_S8_PS7_SA_NS0_8identityIS7_EEEE10hipError_tT2_T3_mT4_P12ihipStream_tbEUlT_E_NS1_11comp_targetILNS1_3genE0ELNS1_11target_archE4294967295ELNS1_3gpuE0ELNS1_3repE0EEENS1_30default_config_static_selectorELNS0_4arch9wavefront6targetE0EEEvT1_,comdat
.Lfunc_end273:
	.size	_ZN7rocprim17ROCPRIM_400000_NS6detail17trampoline_kernelINS0_14default_configENS1_25transform_config_selectorIN3c107complexIfEELb1EEEZNS1_14transform_implILb1ES3_S8_PS7_SA_NS0_8identityIS7_EEEE10hipError_tT2_T3_mT4_P12ihipStream_tbEUlT_E_NS1_11comp_targetILNS1_3genE0ELNS1_11target_archE4294967295ELNS1_3gpuE0ELNS1_3repE0EEENS1_30default_config_static_selectorELNS0_4arch9wavefront6targetE0EEEvT1_, .Lfunc_end273-_ZN7rocprim17ROCPRIM_400000_NS6detail17trampoline_kernelINS0_14default_configENS1_25transform_config_selectorIN3c107complexIfEELb1EEEZNS1_14transform_implILb1ES3_S8_PS7_SA_NS0_8identityIS7_EEEE10hipError_tT2_T3_mT4_P12ihipStream_tbEUlT_E_NS1_11comp_targetILNS1_3genE0ELNS1_11target_archE4294967295ELNS1_3gpuE0ELNS1_3repE0EEENS1_30default_config_static_selectorELNS0_4arch9wavefront6targetE0EEEvT1_
                                        ; -- End function
	.set _ZN7rocprim17ROCPRIM_400000_NS6detail17trampoline_kernelINS0_14default_configENS1_25transform_config_selectorIN3c107complexIfEELb1EEEZNS1_14transform_implILb1ES3_S8_PS7_SA_NS0_8identityIS7_EEEE10hipError_tT2_T3_mT4_P12ihipStream_tbEUlT_E_NS1_11comp_targetILNS1_3genE0ELNS1_11target_archE4294967295ELNS1_3gpuE0ELNS1_3repE0EEENS1_30default_config_static_selectorELNS0_4arch9wavefront6targetE0EEEvT1_.num_vgpr, 0
	.set _ZN7rocprim17ROCPRIM_400000_NS6detail17trampoline_kernelINS0_14default_configENS1_25transform_config_selectorIN3c107complexIfEELb1EEEZNS1_14transform_implILb1ES3_S8_PS7_SA_NS0_8identityIS7_EEEE10hipError_tT2_T3_mT4_P12ihipStream_tbEUlT_E_NS1_11comp_targetILNS1_3genE0ELNS1_11target_archE4294967295ELNS1_3gpuE0ELNS1_3repE0EEENS1_30default_config_static_selectorELNS0_4arch9wavefront6targetE0EEEvT1_.num_agpr, 0
	.set _ZN7rocprim17ROCPRIM_400000_NS6detail17trampoline_kernelINS0_14default_configENS1_25transform_config_selectorIN3c107complexIfEELb1EEEZNS1_14transform_implILb1ES3_S8_PS7_SA_NS0_8identityIS7_EEEE10hipError_tT2_T3_mT4_P12ihipStream_tbEUlT_E_NS1_11comp_targetILNS1_3genE0ELNS1_11target_archE4294967295ELNS1_3gpuE0ELNS1_3repE0EEENS1_30default_config_static_selectorELNS0_4arch9wavefront6targetE0EEEvT1_.numbered_sgpr, 0
	.set _ZN7rocprim17ROCPRIM_400000_NS6detail17trampoline_kernelINS0_14default_configENS1_25transform_config_selectorIN3c107complexIfEELb1EEEZNS1_14transform_implILb1ES3_S8_PS7_SA_NS0_8identityIS7_EEEE10hipError_tT2_T3_mT4_P12ihipStream_tbEUlT_E_NS1_11comp_targetILNS1_3genE0ELNS1_11target_archE4294967295ELNS1_3gpuE0ELNS1_3repE0EEENS1_30default_config_static_selectorELNS0_4arch9wavefront6targetE0EEEvT1_.num_named_barrier, 0
	.set _ZN7rocprim17ROCPRIM_400000_NS6detail17trampoline_kernelINS0_14default_configENS1_25transform_config_selectorIN3c107complexIfEELb1EEEZNS1_14transform_implILb1ES3_S8_PS7_SA_NS0_8identityIS7_EEEE10hipError_tT2_T3_mT4_P12ihipStream_tbEUlT_E_NS1_11comp_targetILNS1_3genE0ELNS1_11target_archE4294967295ELNS1_3gpuE0ELNS1_3repE0EEENS1_30default_config_static_selectorELNS0_4arch9wavefront6targetE0EEEvT1_.private_seg_size, 0
	.set _ZN7rocprim17ROCPRIM_400000_NS6detail17trampoline_kernelINS0_14default_configENS1_25transform_config_selectorIN3c107complexIfEELb1EEEZNS1_14transform_implILb1ES3_S8_PS7_SA_NS0_8identityIS7_EEEE10hipError_tT2_T3_mT4_P12ihipStream_tbEUlT_E_NS1_11comp_targetILNS1_3genE0ELNS1_11target_archE4294967295ELNS1_3gpuE0ELNS1_3repE0EEENS1_30default_config_static_selectorELNS0_4arch9wavefront6targetE0EEEvT1_.uses_vcc, 0
	.set _ZN7rocprim17ROCPRIM_400000_NS6detail17trampoline_kernelINS0_14default_configENS1_25transform_config_selectorIN3c107complexIfEELb1EEEZNS1_14transform_implILb1ES3_S8_PS7_SA_NS0_8identityIS7_EEEE10hipError_tT2_T3_mT4_P12ihipStream_tbEUlT_E_NS1_11comp_targetILNS1_3genE0ELNS1_11target_archE4294967295ELNS1_3gpuE0ELNS1_3repE0EEENS1_30default_config_static_selectorELNS0_4arch9wavefront6targetE0EEEvT1_.uses_flat_scratch, 0
	.set _ZN7rocprim17ROCPRIM_400000_NS6detail17trampoline_kernelINS0_14default_configENS1_25transform_config_selectorIN3c107complexIfEELb1EEEZNS1_14transform_implILb1ES3_S8_PS7_SA_NS0_8identityIS7_EEEE10hipError_tT2_T3_mT4_P12ihipStream_tbEUlT_E_NS1_11comp_targetILNS1_3genE0ELNS1_11target_archE4294967295ELNS1_3gpuE0ELNS1_3repE0EEENS1_30default_config_static_selectorELNS0_4arch9wavefront6targetE0EEEvT1_.has_dyn_sized_stack, 0
	.set _ZN7rocprim17ROCPRIM_400000_NS6detail17trampoline_kernelINS0_14default_configENS1_25transform_config_selectorIN3c107complexIfEELb1EEEZNS1_14transform_implILb1ES3_S8_PS7_SA_NS0_8identityIS7_EEEE10hipError_tT2_T3_mT4_P12ihipStream_tbEUlT_E_NS1_11comp_targetILNS1_3genE0ELNS1_11target_archE4294967295ELNS1_3gpuE0ELNS1_3repE0EEENS1_30default_config_static_selectorELNS0_4arch9wavefront6targetE0EEEvT1_.has_recursion, 0
	.set _ZN7rocprim17ROCPRIM_400000_NS6detail17trampoline_kernelINS0_14default_configENS1_25transform_config_selectorIN3c107complexIfEELb1EEEZNS1_14transform_implILb1ES3_S8_PS7_SA_NS0_8identityIS7_EEEE10hipError_tT2_T3_mT4_P12ihipStream_tbEUlT_E_NS1_11comp_targetILNS1_3genE0ELNS1_11target_archE4294967295ELNS1_3gpuE0ELNS1_3repE0EEENS1_30default_config_static_selectorELNS0_4arch9wavefront6targetE0EEEvT1_.has_indirect_call, 0
	.section	.AMDGPU.csdata,"",@progbits
; Kernel info:
; codeLenInByte = 0
; TotalNumSgprs: 0
; NumVgprs: 0
; ScratchSize: 0
; MemoryBound: 0
; FloatMode: 240
; IeeeMode: 1
; LDSByteSize: 0 bytes/workgroup (compile time only)
; SGPRBlocks: 0
; VGPRBlocks: 0
; NumSGPRsForWavesPerEU: 1
; NumVGPRsForWavesPerEU: 1
; Occupancy: 16
; WaveLimiterHint : 0
; COMPUTE_PGM_RSRC2:SCRATCH_EN: 0
; COMPUTE_PGM_RSRC2:USER_SGPR: 2
; COMPUTE_PGM_RSRC2:TRAP_HANDLER: 0
; COMPUTE_PGM_RSRC2:TGID_X_EN: 1
; COMPUTE_PGM_RSRC2:TGID_Y_EN: 0
; COMPUTE_PGM_RSRC2:TGID_Z_EN: 0
; COMPUTE_PGM_RSRC2:TIDIG_COMP_CNT: 0
	.section	.text._ZN7rocprim17ROCPRIM_400000_NS6detail17trampoline_kernelINS0_14default_configENS1_25transform_config_selectorIN3c107complexIfEELb1EEEZNS1_14transform_implILb1ES3_S8_PS7_SA_NS0_8identityIS7_EEEE10hipError_tT2_T3_mT4_P12ihipStream_tbEUlT_E_NS1_11comp_targetILNS1_3genE10ELNS1_11target_archE1201ELNS1_3gpuE5ELNS1_3repE0EEENS1_30default_config_static_selectorELNS0_4arch9wavefront6targetE0EEEvT1_,"axG",@progbits,_ZN7rocprim17ROCPRIM_400000_NS6detail17trampoline_kernelINS0_14default_configENS1_25transform_config_selectorIN3c107complexIfEELb1EEEZNS1_14transform_implILb1ES3_S8_PS7_SA_NS0_8identityIS7_EEEE10hipError_tT2_T3_mT4_P12ihipStream_tbEUlT_E_NS1_11comp_targetILNS1_3genE10ELNS1_11target_archE1201ELNS1_3gpuE5ELNS1_3repE0EEENS1_30default_config_static_selectorELNS0_4arch9wavefront6targetE0EEEvT1_,comdat
	.protected	_ZN7rocprim17ROCPRIM_400000_NS6detail17trampoline_kernelINS0_14default_configENS1_25transform_config_selectorIN3c107complexIfEELb1EEEZNS1_14transform_implILb1ES3_S8_PS7_SA_NS0_8identityIS7_EEEE10hipError_tT2_T3_mT4_P12ihipStream_tbEUlT_E_NS1_11comp_targetILNS1_3genE10ELNS1_11target_archE1201ELNS1_3gpuE5ELNS1_3repE0EEENS1_30default_config_static_selectorELNS0_4arch9wavefront6targetE0EEEvT1_ ; -- Begin function _ZN7rocprim17ROCPRIM_400000_NS6detail17trampoline_kernelINS0_14default_configENS1_25transform_config_selectorIN3c107complexIfEELb1EEEZNS1_14transform_implILb1ES3_S8_PS7_SA_NS0_8identityIS7_EEEE10hipError_tT2_T3_mT4_P12ihipStream_tbEUlT_E_NS1_11comp_targetILNS1_3genE10ELNS1_11target_archE1201ELNS1_3gpuE5ELNS1_3repE0EEENS1_30default_config_static_selectorELNS0_4arch9wavefront6targetE0EEEvT1_
	.globl	_ZN7rocprim17ROCPRIM_400000_NS6detail17trampoline_kernelINS0_14default_configENS1_25transform_config_selectorIN3c107complexIfEELb1EEEZNS1_14transform_implILb1ES3_S8_PS7_SA_NS0_8identityIS7_EEEE10hipError_tT2_T3_mT4_P12ihipStream_tbEUlT_E_NS1_11comp_targetILNS1_3genE10ELNS1_11target_archE1201ELNS1_3gpuE5ELNS1_3repE0EEENS1_30default_config_static_selectorELNS0_4arch9wavefront6targetE0EEEvT1_
	.p2align	8
	.type	_ZN7rocprim17ROCPRIM_400000_NS6detail17trampoline_kernelINS0_14default_configENS1_25transform_config_selectorIN3c107complexIfEELb1EEEZNS1_14transform_implILb1ES3_S8_PS7_SA_NS0_8identityIS7_EEEE10hipError_tT2_T3_mT4_P12ihipStream_tbEUlT_E_NS1_11comp_targetILNS1_3genE10ELNS1_11target_archE1201ELNS1_3gpuE5ELNS1_3repE0EEENS1_30default_config_static_selectorELNS0_4arch9wavefront6targetE0EEEvT1_,@function
_ZN7rocprim17ROCPRIM_400000_NS6detail17trampoline_kernelINS0_14default_configENS1_25transform_config_selectorIN3c107complexIfEELb1EEEZNS1_14transform_implILb1ES3_S8_PS7_SA_NS0_8identityIS7_EEEE10hipError_tT2_T3_mT4_P12ihipStream_tbEUlT_E_NS1_11comp_targetILNS1_3genE10ELNS1_11target_archE1201ELNS1_3gpuE5ELNS1_3repE0EEENS1_30default_config_static_selectorELNS0_4arch9wavefront6targetE0EEEvT1_: ; @_ZN7rocprim17ROCPRIM_400000_NS6detail17trampoline_kernelINS0_14default_configENS1_25transform_config_selectorIN3c107complexIfEELb1EEEZNS1_14transform_implILb1ES3_S8_PS7_SA_NS0_8identityIS7_EEEE10hipError_tT2_T3_mT4_P12ihipStream_tbEUlT_E_NS1_11comp_targetILNS1_3genE10ELNS1_11target_archE1201ELNS1_3gpuE5ELNS1_3repE0EEENS1_30default_config_static_selectorELNS0_4arch9wavefront6targetE0EEEvT1_
; %bb.0:
	s_clause 0x1
	s_load_b256 s[4:11], s[0:1], 0x0
	s_load_b32 s12, s[0:1], 0x28
	s_lshl_b32 s0, ttmp9, 11
	s_mov_b32 s1, 0
	s_wait_kmcnt 0x0
	s_mov_b32 s9, -1
	s_lshl_b64 s[2:3], s[6:7], 3
	s_add_co_i32 s12, s12, -1
	s_add_nc_u64 s[6:7], s[4:5], s[2:3]
	s_lshl_b64 s[4:5], s[0:1], 3
	s_add_nc_u64 s[2:3], s[10:11], s[2:3]
	s_cmp_lg_u32 ttmp9, s12
	s_add_nc_u64 s[6:7], s[6:7], s[4:5]
	s_cbranch_scc0 .LBB274_2
; %bb.1:
	v_lshlrev_b32_e32 v5, 4, v0
	s_add_nc_u64 s[10:11], s[2:3], s[4:5]
	s_mov_b32 s9, 0
	global_load_b128 v[1:4], v5, s[6:7]
	s_wait_loadcnt 0x0
	global_store_b128 v5, v[1:4], s[10:11]
.LBB274_2:
	s_and_not1_b32 vcc_lo, exec_lo, s9
	s_cbranch_vccnz .LBB274_13
; %bb.3:
	s_sub_co_i32 s1, s8, s0
	v_dual_mov_b32 v2, 0 :: v_dual_lshlrev_b32 v5, 3, v0
	v_cmp_gt_u32_e32 vcc_lo, s1, v0
	v_mov_b32_e32 v1, 0
	s_and_saveexec_b32 s0, vcc_lo
	s_cbranch_execz .LBB274_5
; %bb.4:
	global_load_b64 v[1:2], v5, s[6:7]
.LBB274_5:
	s_wait_alu 0xfffe
	s_or_b32 exec_lo, exec_lo, s0
	v_or_b32_e32 v3, 0x400, v0
	s_delay_alu instid0(VALU_DEP_1) | instskip(SKIP_2) | instid1(SALU_CYCLE_1)
	v_cmp_gt_u32_e64 s0, s1, v3
	v_cmp_le_u32_e64 s1, s1, v3
	s_and_saveexec_b32 s8, s1
	s_xor_b32 s1, exec_lo, s8
; %bb.6:
                                        ; implicit-def: $vgpr5
; %bb.7:
	s_wait_alu 0xfffe
	s_or_saveexec_b32 s1, s1
	v_dual_mov_b32 v3, 0 :: v_dual_mov_b32 v4, 0
	s_wait_alu 0xfffe
	s_xor_b32 exec_lo, exec_lo, s1
	s_cbranch_execz .LBB274_9
; %bb.8:
	global_load_b64 v[3:4], v5, s[6:7] offset:8192
.LBB274_9:
	s_or_b32 exec_lo, exec_lo, s1
	v_lshlrev_b32_e32 v0, 3, v0
	s_add_nc_u64 s[2:3], s[2:3], s[4:5]
	s_delay_alu instid0(VALU_DEP_1) | instid1(SALU_CYCLE_1)
	v_add_co_u32 v5, s1, s2, v0
	s_wait_alu 0xf1ff
	v_add_co_ci_u32_e64 v6, null, s3, 0, s1
	s_and_saveexec_b32 s1, vcc_lo
	s_cbranch_execz .LBB274_11
; %bb.10:
	s_wait_loadcnt 0x0
	global_store_b64 v[5:6], v[1:2], off
.LBB274_11:
	s_wait_alu 0xfffe
	s_or_b32 exec_lo, exec_lo, s1
	s_and_saveexec_b32 s1, s0
	s_cbranch_execz .LBB274_13
; %bb.12:
	s_wait_loadcnt 0x0
	global_store_b64 v[5:6], v[3:4], off offset:8192
.LBB274_13:
	s_endpgm
	.section	.rodata,"a",@progbits
	.p2align	6, 0x0
	.amdhsa_kernel _ZN7rocprim17ROCPRIM_400000_NS6detail17trampoline_kernelINS0_14default_configENS1_25transform_config_selectorIN3c107complexIfEELb1EEEZNS1_14transform_implILb1ES3_S8_PS7_SA_NS0_8identityIS7_EEEE10hipError_tT2_T3_mT4_P12ihipStream_tbEUlT_E_NS1_11comp_targetILNS1_3genE10ELNS1_11target_archE1201ELNS1_3gpuE5ELNS1_3repE0EEENS1_30default_config_static_selectorELNS0_4arch9wavefront6targetE0EEEvT1_
		.amdhsa_group_segment_fixed_size 0
		.amdhsa_private_segment_fixed_size 0
		.amdhsa_kernarg_size 296
		.amdhsa_user_sgpr_count 2
		.amdhsa_user_sgpr_dispatch_ptr 0
		.amdhsa_user_sgpr_queue_ptr 0
		.amdhsa_user_sgpr_kernarg_segment_ptr 1
		.amdhsa_user_sgpr_dispatch_id 0
		.amdhsa_user_sgpr_private_segment_size 0
		.amdhsa_wavefront_size32 1
		.amdhsa_uses_dynamic_stack 0
		.amdhsa_enable_private_segment 0
		.amdhsa_system_sgpr_workgroup_id_x 1
		.amdhsa_system_sgpr_workgroup_id_y 0
		.amdhsa_system_sgpr_workgroup_id_z 0
		.amdhsa_system_sgpr_workgroup_info 0
		.amdhsa_system_vgpr_workitem_id 0
		.amdhsa_next_free_vgpr 7
		.amdhsa_next_free_sgpr 13
		.amdhsa_reserve_vcc 1
		.amdhsa_float_round_mode_32 0
		.amdhsa_float_round_mode_16_64 0
		.amdhsa_float_denorm_mode_32 3
		.amdhsa_float_denorm_mode_16_64 3
		.amdhsa_fp16_overflow 0
		.amdhsa_workgroup_processor_mode 1
		.amdhsa_memory_ordered 1
		.amdhsa_forward_progress 1
		.amdhsa_inst_pref_size 3
		.amdhsa_round_robin_scheduling 0
		.amdhsa_exception_fp_ieee_invalid_op 0
		.amdhsa_exception_fp_denorm_src 0
		.amdhsa_exception_fp_ieee_div_zero 0
		.amdhsa_exception_fp_ieee_overflow 0
		.amdhsa_exception_fp_ieee_underflow 0
		.amdhsa_exception_fp_ieee_inexact 0
		.amdhsa_exception_int_div_zero 0
	.end_amdhsa_kernel
	.section	.text._ZN7rocprim17ROCPRIM_400000_NS6detail17trampoline_kernelINS0_14default_configENS1_25transform_config_selectorIN3c107complexIfEELb1EEEZNS1_14transform_implILb1ES3_S8_PS7_SA_NS0_8identityIS7_EEEE10hipError_tT2_T3_mT4_P12ihipStream_tbEUlT_E_NS1_11comp_targetILNS1_3genE10ELNS1_11target_archE1201ELNS1_3gpuE5ELNS1_3repE0EEENS1_30default_config_static_selectorELNS0_4arch9wavefront6targetE0EEEvT1_,"axG",@progbits,_ZN7rocprim17ROCPRIM_400000_NS6detail17trampoline_kernelINS0_14default_configENS1_25transform_config_selectorIN3c107complexIfEELb1EEEZNS1_14transform_implILb1ES3_S8_PS7_SA_NS0_8identityIS7_EEEE10hipError_tT2_T3_mT4_P12ihipStream_tbEUlT_E_NS1_11comp_targetILNS1_3genE10ELNS1_11target_archE1201ELNS1_3gpuE5ELNS1_3repE0EEENS1_30default_config_static_selectorELNS0_4arch9wavefront6targetE0EEEvT1_,comdat
.Lfunc_end274:
	.size	_ZN7rocprim17ROCPRIM_400000_NS6detail17trampoline_kernelINS0_14default_configENS1_25transform_config_selectorIN3c107complexIfEELb1EEEZNS1_14transform_implILb1ES3_S8_PS7_SA_NS0_8identityIS7_EEEE10hipError_tT2_T3_mT4_P12ihipStream_tbEUlT_E_NS1_11comp_targetILNS1_3genE10ELNS1_11target_archE1201ELNS1_3gpuE5ELNS1_3repE0EEENS1_30default_config_static_selectorELNS0_4arch9wavefront6targetE0EEEvT1_, .Lfunc_end274-_ZN7rocprim17ROCPRIM_400000_NS6detail17trampoline_kernelINS0_14default_configENS1_25transform_config_selectorIN3c107complexIfEELb1EEEZNS1_14transform_implILb1ES3_S8_PS7_SA_NS0_8identityIS7_EEEE10hipError_tT2_T3_mT4_P12ihipStream_tbEUlT_E_NS1_11comp_targetILNS1_3genE10ELNS1_11target_archE1201ELNS1_3gpuE5ELNS1_3repE0EEENS1_30default_config_static_selectorELNS0_4arch9wavefront6targetE0EEEvT1_
                                        ; -- End function
	.set _ZN7rocprim17ROCPRIM_400000_NS6detail17trampoline_kernelINS0_14default_configENS1_25transform_config_selectorIN3c107complexIfEELb1EEEZNS1_14transform_implILb1ES3_S8_PS7_SA_NS0_8identityIS7_EEEE10hipError_tT2_T3_mT4_P12ihipStream_tbEUlT_E_NS1_11comp_targetILNS1_3genE10ELNS1_11target_archE1201ELNS1_3gpuE5ELNS1_3repE0EEENS1_30default_config_static_selectorELNS0_4arch9wavefront6targetE0EEEvT1_.num_vgpr, 7
	.set _ZN7rocprim17ROCPRIM_400000_NS6detail17trampoline_kernelINS0_14default_configENS1_25transform_config_selectorIN3c107complexIfEELb1EEEZNS1_14transform_implILb1ES3_S8_PS7_SA_NS0_8identityIS7_EEEE10hipError_tT2_T3_mT4_P12ihipStream_tbEUlT_E_NS1_11comp_targetILNS1_3genE10ELNS1_11target_archE1201ELNS1_3gpuE5ELNS1_3repE0EEENS1_30default_config_static_selectorELNS0_4arch9wavefront6targetE0EEEvT1_.num_agpr, 0
	.set _ZN7rocprim17ROCPRIM_400000_NS6detail17trampoline_kernelINS0_14default_configENS1_25transform_config_selectorIN3c107complexIfEELb1EEEZNS1_14transform_implILb1ES3_S8_PS7_SA_NS0_8identityIS7_EEEE10hipError_tT2_T3_mT4_P12ihipStream_tbEUlT_E_NS1_11comp_targetILNS1_3genE10ELNS1_11target_archE1201ELNS1_3gpuE5ELNS1_3repE0EEENS1_30default_config_static_selectorELNS0_4arch9wavefront6targetE0EEEvT1_.numbered_sgpr, 13
	.set _ZN7rocprim17ROCPRIM_400000_NS6detail17trampoline_kernelINS0_14default_configENS1_25transform_config_selectorIN3c107complexIfEELb1EEEZNS1_14transform_implILb1ES3_S8_PS7_SA_NS0_8identityIS7_EEEE10hipError_tT2_T3_mT4_P12ihipStream_tbEUlT_E_NS1_11comp_targetILNS1_3genE10ELNS1_11target_archE1201ELNS1_3gpuE5ELNS1_3repE0EEENS1_30default_config_static_selectorELNS0_4arch9wavefront6targetE0EEEvT1_.num_named_barrier, 0
	.set _ZN7rocprim17ROCPRIM_400000_NS6detail17trampoline_kernelINS0_14default_configENS1_25transform_config_selectorIN3c107complexIfEELb1EEEZNS1_14transform_implILb1ES3_S8_PS7_SA_NS0_8identityIS7_EEEE10hipError_tT2_T3_mT4_P12ihipStream_tbEUlT_E_NS1_11comp_targetILNS1_3genE10ELNS1_11target_archE1201ELNS1_3gpuE5ELNS1_3repE0EEENS1_30default_config_static_selectorELNS0_4arch9wavefront6targetE0EEEvT1_.private_seg_size, 0
	.set _ZN7rocprim17ROCPRIM_400000_NS6detail17trampoline_kernelINS0_14default_configENS1_25transform_config_selectorIN3c107complexIfEELb1EEEZNS1_14transform_implILb1ES3_S8_PS7_SA_NS0_8identityIS7_EEEE10hipError_tT2_T3_mT4_P12ihipStream_tbEUlT_E_NS1_11comp_targetILNS1_3genE10ELNS1_11target_archE1201ELNS1_3gpuE5ELNS1_3repE0EEENS1_30default_config_static_selectorELNS0_4arch9wavefront6targetE0EEEvT1_.uses_vcc, 1
	.set _ZN7rocprim17ROCPRIM_400000_NS6detail17trampoline_kernelINS0_14default_configENS1_25transform_config_selectorIN3c107complexIfEELb1EEEZNS1_14transform_implILb1ES3_S8_PS7_SA_NS0_8identityIS7_EEEE10hipError_tT2_T3_mT4_P12ihipStream_tbEUlT_E_NS1_11comp_targetILNS1_3genE10ELNS1_11target_archE1201ELNS1_3gpuE5ELNS1_3repE0EEENS1_30default_config_static_selectorELNS0_4arch9wavefront6targetE0EEEvT1_.uses_flat_scratch, 0
	.set _ZN7rocprim17ROCPRIM_400000_NS6detail17trampoline_kernelINS0_14default_configENS1_25transform_config_selectorIN3c107complexIfEELb1EEEZNS1_14transform_implILb1ES3_S8_PS7_SA_NS0_8identityIS7_EEEE10hipError_tT2_T3_mT4_P12ihipStream_tbEUlT_E_NS1_11comp_targetILNS1_3genE10ELNS1_11target_archE1201ELNS1_3gpuE5ELNS1_3repE0EEENS1_30default_config_static_selectorELNS0_4arch9wavefront6targetE0EEEvT1_.has_dyn_sized_stack, 0
	.set _ZN7rocprim17ROCPRIM_400000_NS6detail17trampoline_kernelINS0_14default_configENS1_25transform_config_selectorIN3c107complexIfEELb1EEEZNS1_14transform_implILb1ES3_S8_PS7_SA_NS0_8identityIS7_EEEE10hipError_tT2_T3_mT4_P12ihipStream_tbEUlT_E_NS1_11comp_targetILNS1_3genE10ELNS1_11target_archE1201ELNS1_3gpuE5ELNS1_3repE0EEENS1_30default_config_static_selectorELNS0_4arch9wavefront6targetE0EEEvT1_.has_recursion, 0
	.set _ZN7rocprim17ROCPRIM_400000_NS6detail17trampoline_kernelINS0_14default_configENS1_25transform_config_selectorIN3c107complexIfEELb1EEEZNS1_14transform_implILb1ES3_S8_PS7_SA_NS0_8identityIS7_EEEE10hipError_tT2_T3_mT4_P12ihipStream_tbEUlT_E_NS1_11comp_targetILNS1_3genE10ELNS1_11target_archE1201ELNS1_3gpuE5ELNS1_3repE0EEENS1_30default_config_static_selectorELNS0_4arch9wavefront6targetE0EEEvT1_.has_indirect_call, 0
	.section	.AMDGPU.csdata,"",@progbits
; Kernel info:
; codeLenInByte = 336
; TotalNumSgprs: 15
; NumVgprs: 7
; ScratchSize: 0
; MemoryBound: 0
; FloatMode: 240
; IeeeMode: 1
; LDSByteSize: 0 bytes/workgroup (compile time only)
; SGPRBlocks: 0
; VGPRBlocks: 0
; NumSGPRsForWavesPerEU: 15
; NumVGPRsForWavesPerEU: 7
; Occupancy: 16
; WaveLimiterHint : 0
; COMPUTE_PGM_RSRC2:SCRATCH_EN: 0
; COMPUTE_PGM_RSRC2:USER_SGPR: 2
; COMPUTE_PGM_RSRC2:TRAP_HANDLER: 0
; COMPUTE_PGM_RSRC2:TGID_X_EN: 1
; COMPUTE_PGM_RSRC2:TGID_Y_EN: 0
; COMPUTE_PGM_RSRC2:TGID_Z_EN: 0
; COMPUTE_PGM_RSRC2:TIDIG_COMP_CNT: 0
	.section	.text._ZN7rocprim17ROCPRIM_400000_NS6detail17trampoline_kernelINS0_14default_configENS1_25transform_config_selectorIN3c107complexIfEELb1EEEZNS1_14transform_implILb1ES3_S8_PS7_SA_NS0_8identityIS7_EEEE10hipError_tT2_T3_mT4_P12ihipStream_tbEUlT_E_NS1_11comp_targetILNS1_3genE5ELNS1_11target_archE942ELNS1_3gpuE9ELNS1_3repE0EEENS1_30default_config_static_selectorELNS0_4arch9wavefront6targetE0EEEvT1_,"axG",@progbits,_ZN7rocprim17ROCPRIM_400000_NS6detail17trampoline_kernelINS0_14default_configENS1_25transform_config_selectorIN3c107complexIfEELb1EEEZNS1_14transform_implILb1ES3_S8_PS7_SA_NS0_8identityIS7_EEEE10hipError_tT2_T3_mT4_P12ihipStream_tbEUlT_E_NS1_11comp_targetILNS1_3genE5ELNS1_11target_archE942ELNS1_3gpuE9ELNS1_3repE0EEENS1_30default_config_static_selectorELNS0_4arch9wavefront6targetE0EEEvT1_,comdat
	.protected	_ZN7rocprim17ROCPRIM_400000_NS6detail17trampoline_kernelINS0_14default_configENS1_25transform_config_selectorIN3c107complexIfEELb1EEEZNS1_14transform_implILb1ES3_S8_PS7_SA_NS0_8identityIS7_EEEE10hipError_tT2_T3_mT4_P12ihipStream_tbEUlT_E_NS1_11comp_targetILNS1_3genE5ELNS1_11target_archE942ELNS1_3gpuE9ELNS1_3repE0EEENS1_30default_config_static_selectorELNS0_4arch9wavefront6targetE0EEEvT1_ ; -- Begin function _ZN7rocprim17ROCPRIM_400000_NS6detail17trampoline_kernelINS0_14default_configENS1_25transform_config_selectorIN3c107complexIfEELb1EEEZNS1_14transform_implILb1ES3_S8_PS7_SA_NS0_8identityIS7_EEEE10hipError_tT2_T3_mT4_P12ihipStream_tbEUlT_E_NS1_11comp_targetILNS1_3genE5ELNS1_11target_archE942ELNS1_3gpuE9ELNS1_3repE0EEENS1_30default_config_static_selectorELNS0_4arch9wavefront6targetE0EEEvT1_
	.globl	_ZN7rocprim17ROCPRIM_400000_NS6detail17trampoline_kernelINS0_14default_configENS1_25transform_config_selectorIN3c107complexIfEELb1EEEZNS1_14transform_implILb1ES3_S8_PS7_SA_NS0_8identityIS7_EEEE10hipError_tT2_T3_mT4_P12ihipStream_tbEUlT_E_NS1_11comp_targetILNS1_3genE5ELNS1_11target_archE942ELNS1_3gpuE9ELNS1_3repE0EEENS1_30default_config_static_selectorELNS0_4arch9wavefront6targetE0EEEvT1_
	.p2align	8
	.type	_ZN7rocprim17ROCPRIM_400000_NS6detail17trampoline_kernelINS0_14default_configENS1_25transform_config_selectorIN3c107complexIfEELb1EEEZNS1_14transform_implILb1ES3_S8_PS7_SA_NS0_8identityIS7_EEEE10hipError_tT2_T3_mT4_P12ihipStream_tbEUlT_E_NS1_11comp_targetILNS1_3genE5ELNS1_11target_archE942ELNS1_3gpuE9ELNS1_3repE0EEENS1_30default_config_static_selectorELNS0_4arch9wavefront6targetE0EEEvT1_,@function
_ZN7rocprim17ROCPRIM_400000_NS6detail17trampoline_kernelINS0_14default_configENS1_25transform_config_selectorIN3c107complexIfEELb1EEEZNS1_14transform_implILb1ES3_S8_PS7_SA_NS0_8identityIS7_EEEE10hipError_tT2_T3_mT4_P12ihipStream_tbEUlT_E_NS1_11comp_targetILNS1_3genE5ELNS1_11target_archE942ELNS1_3gpuE9ELNS1_3repE0EEENS1_30default_config_static_selectorELNS0_4arch9wavefront6targetE0EEEvT1_: ; @_ZN7rocprim17ROCPRIM_400000_NS6detail17trampoline_kernelINS0_14default_configENS1_25transform_config_selectorIN3c107complexIfEELb1EEEZNS1_14transform_implILb1ES3_S8_PS7_SA_NS0_8identityIS7_EEEE10hipError_tT2_T3_mT4_P12ihipStream_tbEUlT_E_NS1_11comp_targetILNS1_3genE5ELNS1_11target_archE942ELNS1_3gpuE9ELNS1_3repE0EEENS1_30default_config_static_selectorELNS0_4arch9wavefront6targetE0EEEvT1_
; %bb.0:
	.section	.rodata,"a",@progbits
	.p2align	6, 0x0
	.amdhsa_kernel _ZN7rocprim17ROCPRIM_400000_NS6detail17trampoline_kernelINS0_14default_configENS1_25transform_config_selectorIN3c107complexIfEELb1EEEZNS1_14transform_implILb1ES3_S8_PS7_SA_NS0_8identityIS7_EEEE10hipError_tT2_T3_mT4_P12ihipStream_tbEUlT_E_NS1_11comp_targetILNS1_3genE5ELNS1_11target_archE942ELNS1_3gpuE9ELNS1_3repE0EEENS1_30default_config_static_selectorELNS0_4arch9wavefront6targetE0EEEvT1_
		.amdhsa_group_segment_fixed_size 0
		.amdhsa_private_segment_fixed_size 0
		.amdhsa_kernarg_size 40
		.amdhsa_user_sgpr_count 2
		.amdhsa_user_sgpr_dispatch_ptr 0
		.amdhsa_user_sgpr_queue_ptr 0
		.amdhsa_user_sgpr_kernarg_segment_ptr 1
		.amdhsa_user_sgpr_dispatch_id 0
		.amdhsa_user_sgpr_private_segment_size 0
		.amdhsa_wavefront_size32 1
		.amdhsa_uses_dynamic_stack 0
		.amdhsa_enable_private_segment 0
		.amdhsa_system_sgpr_workgroup_id_x 1
		.amdhsa_system_sgpr_workgroup_id_y 0
		.amdhsa_system_sgpr_workgroup_id_z 0
		.amdhsa_system_sgpr_workgroup_info 0
		.amdhsa_system_vgpr_workitem_id 0
		.amdhsa_next_free_vgpr 1
		.amdhsa_next_free_sgpr 1
		.amdhsa_reserve_vcc 0
		.amdhsa_float_round_mode_32 0
		.amdhsa_float_round_mode_16_64 0
		.amdhsa_float_denorm_mode_32 3
		.amdhsa_float_denorm_mode_16_64 3
		.amdhsa_fp16_overflow 0
		.amdhsa_workgroup_processor_mode 1
		.amdhsa_memory_ordered 1
		.amdhsa_forward_progress 1
		.amdhsa_inst_pref_size 0
		.amdhsa_round_robin_scheduling 0
		.amdhsa_exception_fp_ieee_invalid_op 0
		.amdhsa_exception_fp_denorm_src 0
		.amdhsa_exception_fp_ieee_div_zero 0
		.amdhsa_exception_fp_ieee_overflow 0
		.amdhsa_exception_fp_ieee_underflow 0
		.amdhsa_exception_fp_ieee_inexact 0
		.amdhsa_exception_int_div_zero 0
	.end_amdhsa_kernel
	.section	.text._ZN7rocprim17ROCPRIM_400000_NS6detail17trampoline_kernelINS0_14default_configENS1_25transform_config_selectorIN3c107complexIfEELb1EEEZNS1_14transform_implILb1ES3_S8_PS7_SA_NS0_8identityIS7_EEEE10hipError_tT2_T3_mT4_P12ihipStream_tbEUlT_E_NS1_11comp_targetILNS1_3genE5ELNS1_11target_archE942ELNS1_3gpuE9ELNS1_3repE0EEENS1_30default_config_static_selectorELNS0_4arch9wavefront6targetE0EEEvT1_,"axG",@progbits,_ZN7rocprim17ROCPRIM_400000_NS6detail17trampoline_kernelINS0_14default_configENS1_25transform_config_selectorIN3c107complexIfEELb1EEEZNS1_14transform_implILb1ES3_S8_PS7_SA_NS0_8identityIS7_EEEE10hipError_tT2_T3_mT4_P12ihipStream_tbEUlT_E_NS1_11comp_targetILNS1_3genE5ELNS1_11target_archE942ELNS1_3gpuE9ELNS1_3repE0EEENS1_30default_config_static_selectorELNS0_4arch9wavefront6targetE0EEEvT1_,comdat
.Lfunc_end275:
	.size	_ZN7rocprim17ROCPRIM_400000_NS6detail17trampoline_kernelINS0_14default_configENS1_25transform_config_selectorIN3c107complexIfEELb1EEEZNS1_14transform_implILb1ES3_S8_PS7_SA_NS0_8identityIS7_EEEE10hipError_tT2_T3_mT4_P12ihipStream_tbEUlT_E_NS1_11comp_targetILNS1_3genE5ELNS1_11target_archE942ELNS1_3gpuE9ELNS1_3repE0EEENS1_30default_config_static_selectorELNS0_4arch9wavefront6targetE0EEEvT1_, .Lfunc_end275-_ZN7rocprim17ROCPRIM_400000_NS6detail17trampoline_kernelINS0_14default_configENS1_25transform_config_selectorIN3c107complexIfEELb1EEEZNS1_14transform_implILb1ES3_S8_PS7_SA_NS0_8identityIS7_EEEE10hipError_tT2_T3_mT4_P12ihipStream_tbEUlT_E_NS1_11comp_targetILNS1_3genE5ELNS1_11target_archE942ELNS1_3gpuE9ELNS1_3repE0EEENS1_30default_config_static_selectorELNS0_4arch9wavefront6targetE0EEEvT1_
                                        ; -- End function
	.set _ZN7rocprim17ROCPRIM_400000_NS6detail17trampoline_kernelINS0_14default_configENS1_25transform_config_selectorIN3c107complexIfEELb1EEEZNS1_14transform_implILb1ES3_S8_PS7_SA_NS0_8identityIS7_EEEE10hipError_tT2_T3_mT4_P12ihipStream_tbEUlT_E_NS1_11comp_targetILNS1_3genE5ELNS1_11target_archE942ELNS1_3gpuE9ELNS1_3repE0EEENS1_30default_config_static_selectorELNS0_4arch9wavefront6targetE0EEEvT1_.num_vgpr, 0
	.set _ZN7rocprim17ROCPRIM_400000_NS6detail17trampoline_kernelINS0_14default_configENS1_25transform_config_selectorIN3c107complexIfEELb1EEEZNS1_14transform_implILb1ES3_S8_PS7_SA_NS0_8identityIS7_EEEE10hipError_tT2_T3_mT4_P12ihipStream_tbEUlT_E_NS1_11comp_targetILNS1_3genE5ELNS1_11target_archE942ELNS1_3gpuE9ELNS1_3repE0EEENS1_30default_config_static_selectorELNS0_4arch9wavefront6targetE0EEEvT1_.num_agpr, 0
	.set _ZN7rocprim17ROCPRIM_400000_NS6detail17trampoline_kernelINS0_14default_configENS1_25transform_config_selectorIN3c107complexIfEELb1EEEZNS1_14transform_implILb1ES3_S8_PS7_SA_NS0_8identityIS7_EEEE10hipError_tT2_T3_mT4_P12ihipStream_tbEUlT_E_NS1_11comp_targetILNS1_3genE5ELNS1_11target_archE942ELNS1_3gpuE9ELNS1_3repE0EEENS1_30default_config_static_selectorELNS0_4arch9wavefront6targetE0EEEvT1_.numbered_sgpr, 0
	.set _ZN7rocprim17ROCPRIM_400000_NS6detail17trampoline_kernelINS0_14default_configENS1_25transform_config_selectorIN3c107complexIfEELb1EEEZNS1_14transform_implILb1ES3_S8_PS7_SA_NS0_8identityIS7_EEEE10hipError_tT2_T3_mT4_P12ihipStream_tbEUlT_E_NS1_11comp_targetILNS1_3genE5ELNS1_11target_archE942ELNS1_3gpuE9ELNS1_3repE0EEENS1_30default_config_static_selectorELNS0_4arch9wavefront6targetE0EEEvT1_.num_named_barrier, 0
	.set _ZN7rocprim17ROCPRIM_400000_NS6detail17trampoline_kernelINS0_14default_configENS1_25transform_config_selectorIN3c107complexIfEELb1EEEZNS1_14transform_implILb1ES3_S8_PS7_SA_NS0_8identityIS7_EEEE10hipError_tT2_T3_mT4_P12ihipStream_tbEUlT_E_NS1_11comp_targetILNS1_3genE5ELNS1_11target_archE942ELNS1_3gpuE9ELNS1_3repE0EEENS1_30default_config_static_selectorELNS0_4arch9wavefront6targetE0EEEvT1_.private_seg_size, 0
	.set _ZN7rocprim17ROCPRIM_400000_NS6detail17trampoline_kernelINS0_14default_configENS1_25transform_config_selectorIN3c107complexIfEELb1EEEZNS1_14transform_implILb1ES3_S8_PS7_SA_NS0_8identityIS7_EEEE10hipError_tT2_T3_mT4_P12ihipStream_tbEUlT_E_NS1_11comp_targetILNS1_3genE5ELNS1_11target_archE942ELNS1_3gpuE9ELNS1_3repE0EEENS1_30default_config_static_selectorELNS0_4arch9wavefront6targetE0EEEvT1_.uses_vcc, 0
	.set _ZN7rocprim17ROCPRIM_400000_NS6detail17trampoline_kernelINS0_14default_configENS1_25transform_config_selectorIN3c107complexIfEELb1EEEZNS1_14transform_implILb1ES3_S8_PS7_SA_NS0_8identityIS7_EEEE10hipError_tT2_T3_mT4_P12ihipStream_tbEUlT_E_NS1_11comp_targetILNS1_3genE5ELNS1_11target_archE942ELNS1_3gpuE9ELNS1_3repE0EEENS1_30default_config_static_selectorELNS0_4arch9wavefront6targetE0EEEvT1_.uses_flat_scratch, 0
	.set _ZN7rocprim17ROCPRIM_400000_NS6detail17trampoline_kernelINS0_14default_configENS1_25transform_config_selectorIN3c107complexIfEELb1EEEZNS1_14transform_implILb1ES3_S8_PS7_SA_NS0_8identityIS7_EEEE10hipError_tT2_T3_mT4_P12ihipStream_tbEUlT_E_NS1_11comp_targetILNS1_3genE5ELNS1_11target_archE942ELNS1_3gpuE9ELNS1_3repE0EEENS1_30default_config_static_selectorELNS0_4arch9wavefront6targetE0EEEvT1_.has_dyn_sized_stack, 0
	.set _ZN7rocprim17ROCPRIM_400000_NS6detail17trampoline_kernelINS0_14default_configENS1_25transform_config_selectorIN3c107complexIfEELb1EEEZNS1_14transform_implILb1ES3_S8_PS7_SA_NS0_8identityIS7_EEEE10hipError_tT2_T3_mT4_P12ihipStream_tbEUlT_E_NS1_11comp_targetILNS1_3genE5ELNS1_11target_archE942ELNS1_3gpuE9ELNS1_3repE0EEENS1_30default_config_static_selectorELNS0_4arch9wavefront6targetE0EEEvT1_.has_recursion, 0
	.set _ZN7rocprim17ROCPRIM_400000_NS6detail17trampoline_kernelINS0_14default_configENS1_25transform_config_selectorIN3c107complexIfEELb1EEEZNS1_14transform_implILb1ES3_S8_PS7_SA_NS0_8identityIS7_EEEE10hipError_tT2_T3_mT4_P12ihipStream_tbEUlT_E_NS1_11comp_targetILNS1_3genE5ELNS1_11target_archE942ELNS1_3gpuE9ELNS1_3repE0EEENS1_30default_config_static_selectorELNS0_4arch9wavefront6targetE0EEEvT1_.has_indirect_call, 0
	.section	.AMDGPU.csdata,"",@progbits
; Kernel info:
; codeLenInByte = 0
; TotalNumSgprs: 0
; NumVgprs: 0
; ScratchSize: 0
; MemoryBound: 0
; FloatMode: 240
; IeeeMode: 1
; LDSByteSize: 0 bytes/workgroup (compile time only)
; SGPRBlocks: 0
; VGPRBlocks: 0
; NumSGPRsForWavesPerEU: 1
; NumVGPRsForWavesPerEU: 1
; Occupancy: 16
; WaveLimiterHint : 0
; COMPUTE_PGM_RSRC2:SCRATCH_EN: 0
; COMPUTE_PGM_RSRC2:USER_SGPR: 2
; COMPUTE_PGM_RSRC2:TRAP_HANDLER: 0
; COMPUTE_PGM_RSRC2:TGID_X_EN: 1
; COMPUTE_PGM_RSRC2:TGID_Y_EN: 0
; COMPUTE_PGM_RSRC2:TGID_Z_EN: 0
; COMPUTE_PGM_RSRC2:TIDIG_COMP_CNT: 0
	.section	.text._ZN7rocprim17ROCPRIM_400000_NS6detail17trampoline_kernelINS0_14default_configENS1_25transform_config_selectorIN3c107complexIfEELb1EEEZNS1_14transform_implILb1ES3_S8_PS7_SA_NS0_8identityIS7_EEEE10hipError_tT2_T3_mT4_P12ihipStream_tbEUlT_E_NS1_11comp_targetILNS1_3genE4ELNS1_11target_archE910ELNS1_3gpuE8ELNS1_3repE0EEENS1_30default_config_static_selectorELNS0_4arch9wavefront6targetE0EEEvT1_,"axG",@progbits,_ZN7rocprim17ROCPRIM_400000_NS6detail17trampoline_kernelINS0_14default_configENS1_25transform_config_selectorIN3c107complexIfEELb1EEEZNS1_14transform_implILb1ES3_S8_PS7_SA_NS0_8identityIS7_EEEE10hipError_tT2_T3_mT4_P12ihipStream_tbEUlT_E_NS1_11comp_targetILNS1_3genE4ELNS1_11target_archE910ELNS1_3gpuE8ELNS1_3repE0EEENS1_30default_config_static_selectorELNS0_4arch9wavefront6targetE0EEEvT1_,comdat
	.protected	_ZN7rocprim17ROCPRIM_400000_NS6detail17trampoline_kernelINS0_14default_configENS1_25transform_config_selectorIN3c107complexIfEELb1EEEZNS1_14transform_implILb1ES3_S8_PS7_SA_NS0_8identityIS7_EEEE10hipError_tT2_T3_mT4_P12ihipStream_tbEUlT_E_NS1_11comp_targetILNS1_3genE4ELNS1_11target_archE910ELNS1_3gpuE8ELNS1_3repE0EEENS1_30default_config_static_selectorELNS0_4arch9wavefront6targetE0EEEvT1_ ; -- Begin function _ZN7rocprim17ROCPRIM_400000_NS6detail17trampoline_kernelINS0_14default_configENS1_25transform_config_selectorIN3c107complexIfEELb1EEEZNS1_14transform_implILb1ES3_S8_PS7_SA_NS0_8identityIS7_EEEE10hipError_tT2_T3_mT4_P12ihipStream_tbEUlT_E_NS1_11comp_targetILNS1_3genE4ELNS1_11target_archE910ELNS1_3gpuE8ELNS1_3repE0EEENS1_30default_config_static_selectorELNS0_4arch9wavefront6targetE0EEEvT1_
	.globl	_ZN7rocprim17ROCPRIM_400000_NS6detail17trampoline_kernelINS0_14default_configENS1_25transform_config_selectorIN3c107complexIfEELb1EEEZNS1_14transform_implILb1ES3_S8_PS7_SA_NS0_8identityIS7_EEEE10hipError_tT2_T3_mT4_P12ihipStream_tbEUlT_E_NS1_11comp_targetILNS1_3genE4ELNS1_11target_archE910ELNS1_3gpuE8ELNS1_3repE0EEENS1_30default_config_static_selectorELNS0_4arch9wavefront6targetE0EEEvT1_
	.p2align	8
	.type	_ZN7rocprim17ROCPRIM_400000_NS6detail17trampoline_kernelINS0_14default_configENS1_25transform_config_selectorIN3c107complexIfEELb1EEEZNS1_14transform_implILb1ES3_S8_PS7_SA_NS0_8identityIS7_EEEE10hipError_tT2_T3_mT4_P12ihipStream_tbEUlT_E_NS1_11comp_targetILNS1_3genE4ELNS1_11target_archE910ELNS1_3gpuE8ELNS1_3repE0EEENS1_30default_config_static_selectorELNS0_4arch9wavefront6targetE0EEEvT1_,@function
_ZN7rocprim17ROCPRIM_400000_NS6detail17trampoline_kernelINS0_14default_configENS1_25transform_config_selectorIN3c107complexIfEELb1EEEZNS1_14transform_implILb1ES3_S8_PS7_SA_NS0_8identityIS7_EEEE10hipError_tT2_T3_mT4_P12ihipStream_tbEUlT_E_NS1_11comp_targetILNS1_3genE4ELNS1_11target_archE910ELNS1_3gpuE8ELNS1_3repE0EEENS1_30default_config_static_selectorELNS0_4arch9wavefront6targetE0EEEvT1_: ; @_ZN7rocprim17ROCPRIM_400000_NS6detail17trampoline_kernelINS0_14default_configENS1_25transform_config_selectorIN3c107complexIfEELb1EEEZNS1_14transform_implILb1ES3_S8_PS7_SA_NS0_8identityIS7_EEEE10hipError_tT2_T3_mT4_P12ihipStream_tbEUlT_E_NS1_11comp_targetILNS1_3genE4ELNS1_11target_archE910ELNS1_3gpuE8ELNS1_3repE0EEENS1_30default_config_static_selectorELNS0_4arch9wavefront6targetE0EEEvT1_
; %bb.0:
	.section	.rodata,"a",@progbits
	.p2align	6, 0x0
	.amdhsa_kernel _ZN7rocprim17ROCPRIM_400000_NS6detail17trampoline_kernelINS0_14default_configENS1_25transform_config_selectorIN3c107complexIfEELb1EEEZNS1_14transform_implILb1ES3_S8_PS7_SA_NS0_8identityIS7_EEEE10hipError_tT2_T3_mT4_P12ihipStream_tbEUlT_E_NS1_11comp_targetILNS1_3genE4ELNS1_11target_archE910ELNS1_3gpuE8ELNS1_3repE0EEENS1_30default_config_static_selectorELNS0_4arch9wavefront6targetE0EEEvT1_
		.amdhsa_group_segment_fixed_size 0
		.amdhsa_private_segment_fixed_size 0
		.amdhsa_kernarg_size 40
		.amdhsa_user_sgpr_count 2
		.amdhsa_user_sgpr_dispatch_ptr 0
		.amdhsa_user_sgpr_queue_ptr 0
		.amdhsa_user_sgpr_kernarg_segment_ptr 1
		.amdhsa_user_sgpr_dispatch_id 0
		.amdhsa_user_sgpr_private_segment_size 0
		.amdhsa_wavefront_size32 1
		.amdhsa_uses_dynamic_stack 0
		.amdhsa_enable_private_segment 0
		.amdhsa_system_sgpr_workgroup_id_x 1
		.amdhsa_system_sgpr_workgroup_id_y 0
		.amdhsa_system_sgpr_workgroup_id_z 0
		.amdhsa_system_sgpr_workgroup_info 0
		.amdhsa_system_vgpr_workitem_id 0
		.amdhsa_next_free_vgpr 1
		.amdhsa_next_free_sgpr 1
		.amdhsa_reserve_vcc 0
		.amdhsa_float_round_mode_32 0
		.amdhsa_float_round_mode_16_64 0
		.amdhsa_float_denorm_mode_32 3
		.amdhsa_float_denorm_mode_16_64 3
		.amdhsa_fp16_overflow 0
		.amdhsa_workgroup_processor_mode 1
		.amdhsa_memory_ordered 1
		.amdhsa_forward_progress 1
		.amdhsa_inst_pref_size 0
		.amdhsa_round_robin_scheduling 0
		.amdhsa_exception_fp_ieee_invalid_op 0
		.amdhsa_exception_fp_denorm_src 0
		.amdhsa_exception_fp_ieee_div_zero 0
		.amdhsa_exception_fp_ieee_overflow 0
		.amdhsa_exception_fp_ieee_underflow 0
		.amdhsa_exception_fp_ieee_inexact 0
		.amdhsa_exception_int_div_zero 0
	.end_amdhsa_kernel
	.section	.text._ZN7rocprim17ROCPRIM_400000_NS6detail17trampoline_kernelINS0_14default_configENS1_25transform_config_selectorIN3c107complexIfEELb1EEEZNS1_14transform_implILb1ES3_S8_PS7_SA_NS0_8identityIS7_EEEE10hipError_tT2_T3_mT4_P12ihipStream_tbEUlT_E_NS1_11comp_targetILNS1_3genE4ELNS1_11target_archE910ELNS1_3gpuE8ELNS1_3repE0EEENS1_30default_config_static_selectorELNS0_4arch9wavefront6targetE0EEEvT1_,"axG",@progbits,_ZN7rocprim17ROCPRIM_400000_NS6detail17trampoline_kernelINS0_14default_configENS1_25transform_config_selectorIN3c107complexIfEELb1EEEZNS1_14transform_implILb1ES3_S8_PS7_SA_NS0_8identityIS7_EEEE10hipError_tT2_T3_mT4_P12ihipStream_tbEUlT_E_NS1_11comp_targetILNS1_3genE4ELNS1_11target_archE910ELNS1_3gpuE8ELNS1_3repE0EEENS1_30default_config_static_selectorELNS0_4arch9wavefront6targetE0EEEvT1_,comdat
.Lfunc_end276:
	.size	_ZN7rocprim17ROCPRIM_400000_NS6detail17trampoline_kernelINS0_14default_configENS1_25transform_config_selectorIN3c107complexIfEELb1EEEZNS1_14transform_implILb1ES3_S8_PS7_SA_NS0_8identityIS7_EEEE10hipError_tT2_T3_mT4_P12ihipStream_tbEUlT_E_NS1_11comp_targetILNS1_3genE4ELNS1_11target_archE910ELNS1_3gpuE8ELNS1_3repE0EEENS1_30default_config_static_selectorELNS0_4arch9wavefront6targetE0EEEvT1_, .Lfunc_end276-_ZN7rocprim17ROCPRIM_400000_NS6detail17trampoline_kernelINS0_14default_configENS1_25transform_config_selectorIN3c107complexIfEELb1EEEZNS1_14transform_implILb1ES3_S8_PS7_SA_NS0_8identityIS7_EEEE10hipError_tT2_T3_mT4_P12ihipStream_tbEUlT_E_NS1_11comp_targetILNS1_3genE4ELNS1_11target_archE910ELNS1_3gpuE8ELNS1_3repE0EEENS1_30default_config_static_selectorELNS0_4arch9wavefront6targetE0EEEvT1_
                                        ; -- End function
	.set _ZN7rocprim17ROCPRIM_400000_NS6detail17trampoline_kernelINS0_14default_configENS1_25transform_config_selectorIN3c107complexIfEELb1EEEZNS1_14transform_implILb1ES3_S8_PS7_SA_NS0_8identityIS7_EEEE10hipError_tT2_T3_mT4_P12ihipStream_tbEUlT_E_NS1_11comp_targetILNS1_3genE4ELNS1_11target_archE910ELNS1_3gpuE8ELNS1_3repE0EEENS1_30default_config_static_selectorELNS0_4arch9wavefront6targetE0EEEvT1_.num_vgpr, 0
	.set _ZN7rocprim17ROCPRIM_400000_NS6detail17trampoline_kernelINS0_14default_configENS1_25transform_config_selectorIN3c107complexIfEELb1EEEZNS1_14transform_implILb1ES3_S8_PS7_SA_NS0_8identityIS7_EEEE10hipError_tT2_T3_mT4_P12ihipStream_tbEUlT_E_NS1_11comp_targetILNS1_3genE4ELNS1_11target_archE910ELNS1_3gpuE8ELNS1_3repE0EEENS1_30default_config_static_selectorELNS0_4arch9wavefront6targetE0EEEvT1_.num_agpr, 0
	.set _ZN7rocprim17ROCPRIM_400000_NS6detail17trampoline_kernelINS0_14default_configENS1_25transform_config_selectorIN3c107complexIfEELb1EEEZNS1_14transform_implILb1ES3_S8_PS7_SA_NS0_8identityIS7_EEEE10hipError_tT2_T3_mT4_P12ihipStream_tbEUlT_E_NS1_11comp_targetILNS1_3genE4ELNS1_11target_archE910ELNS1_3gpuE8ELNS1_3repE0EEENS1_30default_config_static_selectorELNS0_4arch9wavefront6targetE0EEEvT1_.numbered_sgpr, 0
	.set _ZN7rocprim17ROCPRIM_400000_NS6detail17trampoline_kernelINS0_14default_configENS1_25transform_config_selectorIN3c107complexIfEELb1EEEZNS1_14transform_implILb1ES3_S8_PS7_SA_NS0_8identityIS7_EEEE10hipError_tT2_T3_mT4_P12ihipStream_tbEUlT_E_NS1_11comp_targetILNS1_3genE4ELNS1_11target_archE910ELNS1_3gpuE8ELNS1_3repE0EEENS1_30default_config_static_selectorELNS0_4arch9wavefront6targetE0EEEvT1_.num_named_barrier, 0
	.set _ZN7rocprim17ROCPRIM_400000_NS6detail17trampoline_kernelINS0_14default_configENS1_25transform_config_selectorIN3c107complexIfEELb1EEEZNS1_14transform_implILb1ES3_S8_PS7_SA_NS0_8identityIS7_EEEE10hipError_tT2_T3_mT4_P12ihipStream_tbEUlT_E_NS1_11comp_targetILNS1_3genE4ELNS1_11target_archE910ELNS1_3gpuE8ELNS1_3repE0EEENS1_30default_config_static_selectorELNS0_4arch9wavefront6targetE0EEEvT1_.private_seg_size, 0
	.set _ZN7rocprim17ROCPRIM_400000_NS6detail17trampoline_kernelINS0_14default_configENS1_25transform_config_selectorIN3c107complexIfEELb1EEEZNS1_14transform_implILb1ES3_S8_PS7_SA_NS0_8identityIS7_EEEE10hipError_tT2_T3_mT4_P12ihipStream_tbEUlT_E_NS1_11comp_targetILNS1_3genE4ELNS1_11target_archE910ELNS1_3gpuE8ELNS1_3repE0EEENS1_30default_config_static_selectorELNS0_4arch9wavefront6targetE0EEEvT1_.uses_vcc, 0
	.set _ZN7rocprim17ROCPRIM_400000_NS6detail17trampoline_kernelINS0_14default_configENS1_25transform_config_selectorIN3c107complexIfEELb1EEEZNS1_14transform_implILb1ES3_S8_PS7_SA_NS0_8identityIS7_EEEE10hipError_tT2_T3_mT4_P12ihipStream_tbEUlT_E_NS1_11comp_targetILNS1_3genE4ELNS1_11target_archE910ELNS1_3gpuE8ELNS1_3repE0EEENS1_30default_config_static_selectorELNS0_4arch9wavefront6targetE0EEEvT1_.uses_flat_scratch, 0
	.set _ZN7rocprim17ROCPRIM_400000_NS6detail17trampoline_kernelINS0_14default_configENS1_25transform_config_selectorIN3c107complexIfEELb1EEEZNS1_14transform_implILb1ES3_S8_PS7_SA_NS0_8identityIS7_EEEE10hipError_tT2_T3_mT4_P12ihipStream_tbEUlT_E_NS1_11comp_targetILNS1_3genE4ELNS1_11target_archE910ELNS1_3gpuE8ELNS1_3repE0EEENS1_30default_config_static_selectorELNS0_4arch9wavefront6targetE0EEEvT1_.has_dyn_sized_stack, 0
	.set _ZN7rocprim17ROCPRIM_400000_NS6detail17trampoline_kernelINS0_14default_configENS1_25transform_config_selectorIN3c107complexIfEELb1EEEZNS1_14transform_implILb1ES3_S8_PS7_SA_NS0_8identityIS7_EEEE10hipError_tT2_T3_mT4_P12ihipStream_tbEUlT_E_NS1_11comp_targetILNS1_3genE4ELNS1_11target_archE910ELNS1_3gpuE8ELNS1_3repE0EEENS1_30default_config_static_selectorELNS0_4arch9wavefront6targetE0EEEvT1_.has_recursion, 0
	.set _ZN7rocprim17ROCPRIM_400000_NS6detail17trampoline_kernelINS0_14default_configENS1_25transform_config_selectorIN3c107complexIfEELb1EEEZNS1_14transform_implILb1ES3_S8_PS7_SA_NS0_8identityIS7_EEEE10hipError_tT2_T3_mT4_P12ihipStream_tbEUlT_E_NS1_11comp_targetILNS1_3genE4ELNS1_11target_archE910ELNS1_3gpuE8ELNS1_3repE0EEENS1_30default_config_static_selectorELNS0_4arch9wavefront6targetE0EEEvT1_.has_indirect_call, 0
	.section	.AMDGPU.csdata,"",@progbits
; Kernel info:
; codeLenInByte = 0
; TotalNumSgprs: 0
; NumVgprs: 0
; ScratchSize: 0
; MemoryBound: 0
; FloatMode: 240
; IeeeMode: 1
; LDSByteSize: 0 bytes/workgroup (compile time only)
; SGPRBlocks: 0
; VGPRBlocks: 0
; NumSGPRsForWavesPerEU: 1
; NumVGPRsForWavesPerEU: 1
; Occupancy: 16
; WaveLimiterHint : 0
; COMPUTE_PGM_RSRC2:SCRATCH_EN: 0
; COMPUTE_PGM_RSRC2:USER_SGPR: 2
; COMPUTE_PGM_RSRC2:TRAP_HANDLER: 0
; COMPUTE_PGM_RSRC2:TGID_X_EN: 1
; COMPUTE_PGM_RSRC2:TGID_Y_EN: 0
; COMPUTE_PGM_RSRC2:TGID_Z_EN: 0
; COMPUTE_PGM_RSRC2:TIDIG_COMP_CNT: 0
	.section	.text._ZN7rocprim17ROCPRIM_400000_NS6detail17trampoline_kernelINS0_14default_configENS1_25transform_config_selectorIN3c107complexIfEELb1EEEZNS1_14transform_implILb1ES3_S8_PS7_SA_NS0_8identityIS7_EEEE10hipError_tT2_T3_mT4_P12ihipStream_tbEUlT_E_NS1_11comp_targetILNS1_3genE3ELNS1_11target_archE908ELNS1_3gpuE7ELNS1_3repE0EEENS1_30default_config_static_selectorELNS0_4arch9wavefront6targetE0EEEvT1_,"axG",@progbits,_ZN7rocprim17ROCPRIM_400000_NS6detail17trampoline_kernelINS0_14default_configENS1_25transform_config_selectorIN3c107complexIfEELb1EEEZNS1_14transform_implILb1ES3_S8_PS7_SA_NS0_8identityIS7_EEEE10hipError_tT2_T3_mT4_P12ihipStream_tbEUlT_E_NS1_11comp_targetILNS1_3genE3ELNS1_11target_archE908ELNS1_3gpuE7ELNS1_3repE0EEENS1_30default_config_static_selectorELNS0_4arch9wavefront6targetE0EEEvT1_,comdat
	.protected	_ZN7rocprim17ROCPRIM_400000_NS6detail17trampoline_kernelINS0_14default_configENS1_25transform_config_selectorIN3c107complexIfEELb1EEEZNS1_14transform_implILb1ES3_S8_PS7_SA_NS0_8identityIS7_EEEE10hipError_tT2_T3_mT4_P12ihipStream_tbEUlT_E_NS1_11comp_targetILNS1_3genE3ELNS1_11target_archE908ELNS1_3gpuE7ELNS1_3repE0EEENS1_30default_config_static_selectorELNS0_4arch9wavefront6targetE0EEEvT1_ ; -- Begin function _ZN7rocprim17ROCPRIM_400000_NS6detail17trampoline_kernelINS0_14default_configENS1_25transform_config_selectorIN3c107complexIfEELb1EEEZNS1_14transform_implILb1ES3_S8_PS7_SA_NS0_8identityIS7_EEEE10hipError_tT2_T3_mT4_P12ihipStream_tbEUlT_E_NS1_11comp_targetILNS1_3genE3ELNS1_11target_archE908ELNS1_3gpuE7ELNS1_3repE0EEENS1_30default_config_static_selectorELNS0_4arch9wavefront6targetE0EEEvT1_
	.globl	_ZN7rocprim17ROCPRIM_400000_NS6detail17trampoline_kernelINS0_14default_configENS1_25transform_config_selectorIN3c107complexIfEELb1EEEZNS1_14transform_implILb1ES3_S8_PS7_SA_NS0_8identityIS7_EEEE10hipError_tT2_T3_mT4_P12ihipStream_tbEUlT_E_NS1_11comp_targetILNS1_3genE3ELNS1_11target_archE908ELNS1_3gpuE7ELNS1_3repE0EEENS1_30default_config_static_selectorELNS0_4arch9wavefront6targetE0EEEvT1_
	.p2align	8
	.type	_ZN7rocprim17ROCPRIM_400000_NS6detail17trampoline_kernelINS0_14default_configENS1_25transform_config_selectorIN3c107complexIfEELb1EEEZNS1_14transform_implILb1ES3_S8_PS7_SA_NS0_8identityIS7_EEEE10hipError_tT2_T3_mT4_P12ihipStream_tbEUlT_E_NS1_11comp_targetILNS1_3genE3ELNS1_11target_archE908ELNS1_3gpuE7ELNS1_3repE0EEENS1_30default_config_static_selectorELNS0_4arch9wavefront6targetE0EEEvT1_,@function
_ZN7rocprim17ROCPRIM_400000_NS6detail17trampoline_kernelINS0_14default_configENS1_25transform_config_selectorIN3c107complexIfEELb1EEEZNS1_14transform_implILb1ES3_S8_PS7_SA_NS0_8identityIS7_EEEE10hipError_tT2_T3_mT4_P12ihipStream_tbEUlT_E_NS1_11comp_targetILNS1_3genE3ELNS1_11target_archE908ELNS1_3gpuE7ELNS1_3repE0EEENS1_30default_config_static_selectorELNS0_4arch9wavefront6targetE0EEEvT1_: ; @_ZN7rocprim17ROCPRIM_400000_NS6detail17trampoline_kernelINS0_14default_configENS1_25transform_config_selectorIN3c107complexIfEELb1EEEZNS1_14transform_implILb1ES3_S8_PS7_SA_NS0_8identityIS7_EEEE10hipError_tT2_T3_mT4_P12ihipStream_tbEUlT_E_NS1_11comp_targetILNS1_3genE3ELNS1_11target_archE908ELNS1_3gpuE7ELNS1_3repE0EEENS1_30default_config_static_selectorELNS0_4arch9wavefront6targetE0EEEvT1_
; %bb.0:
	.section	.rodata,"a",@progbits
	.p2align	6, 0x0
	.amdhsa_kernel _ZN7rocprim17ROCPRIM_400000_NS6detail17trampoline_kernelINS0_14default_configENS1_25transform_config_selectorIN3c107complexIfEELb1EEEZNS1_14transform_implILb1ES3_S8_PS7_SA_NS0_8identityIS7_EEEE10hipError_tT2_T3_mT4_P12ihipStream_tbEUlT_E_NS1_11comp_targetILNS1_3genE3ELNS1_11target_archE908ELNS1_3gpuE7ELNS1_3repE0EEENS1_30default_config_static_selectorELNS0_4arch9wavefront6targetE0EEEvT1_
		.amdhsa_group_segment_fixed_size 0
		.amdhsa_private_segment_fixed_size 0
		.amdhsa_kernarg_size 40
		.amdhsa_user_sgpr_count 2
		.amdhsa_user_sgpr_dispatch_ptr 0
		.amdhsa_user_sgpr_queue_ptr 0
		.amdhsa_user_sgpr_kernarg_segment_ptr 1
		.amdhsa_user_sgpr_dispatch_id 0
		.amdhsa_user_sgpr_private_segment_size 0
		.amdhsa_wavefront_size32 1
		.amdhsa_uses_dynamic_stack 0
		.amdhsa_enable_private_segment 0
		.amdhsa_system_sgpr_workgroup_id_x 1
		.amdhsa_system_sgpr_workgroup_id_y 0
		.amdhsa_system_sgpr_workgroup_id_z 0
		.amdhsa_system_sgpr_workgroup_info 0
		.amdhsa_system_vgpr_workitem_id 0
		.amdhsa_next_free_vgpr 1
		.amdhsa_next_free_sgpr 1
		.amdhsa_reserve_vcc 0
		.amdhsa_float_round_mode_32 0
		.amdhsa_float_round_mode_16_64 0
		.amdhsa_float_denorm_mode_32 3
		.amdhsa_float_denorm_mode_16_64 3
		.amdhsa_fp16_overflow 0
		.amdhsa_workgroup_processor_mode 1
		.amdhsa_memory_ordered 1
		.amdhsa_forward_progress 1
		.amdhsa_inst_pref_size 0
		.amdhsa_round_robin_scheduling 0
		.amdhsa_exception_fp_ieee_invalid_op 0
		.amdhsa_exception_fp_denorm_src 0
		.amdhsa_exception_fp_ieee_div_zero 0
		.amdhsa_exception_fp_ieee_overflow 0
		.amdhsa_exception_fp_ieee_underflow 0
		.amdhsa_exception_fp_ieee_inexact 0
		.amdhsa_exception_int_div_zero 0
	.end_amdhsa_kernel
	.section	.text._ZN7rocprim17ROCPRIM_400000_NS6detail17trampoline_kernelINS0_14default_configENS1_25transform_config_selectorIN3c107complexIfEELb1EEEZNS1_14transform_implILb1ES3_S8_PS7_SA_NS0_8identityIS7_EEEE10hipError_tT2_T3_mT4_P12ihipStream_tbEUlT_E_NS1_11comp_targetILNS1_3genE3ELNS1_11target_archE908ELNS1_3gpuE7ELNS1_3repE0EEENS1_30default_config_static_selectorELNS0_4arch9wavefront6targetE0EEEvT1_,"axG",@progbits,_ZN7rocprim17ROCPRIM_400000_NS6detail17trampoline_kernelINS0_14default_configENS1_25transform_config_selectorIN3c107complexIfEELb1EEEZNS1_14transform_implILb1ES3_S8_PS7_SA_NS0_8identityIS7_EEEE10hipError_tT2_T3_mT4_P12ihipStream_tbEUlT_E_NS1_11comp_targetILNS1_3genE3ELNS1_11target_archE908ELNS1_3gpuE7ELNS1_3repE0EEENS1_30default_config_static_selectorELNS0_4arch9wavefront6targetE0EEEvT1_,comdat
.Lfunc_end277:
	.size	_ZN7rocprim17ROCPRIM_400000_NS6detail17trampoline_kernelINS0_14default_configENS1_25transform_config_selectorIN3c107complexIfEELb1EEEZNS1_14transform_implILb1ES3_S8_PS7_SA_NS0_8identityIS7_EEEE10hipError_tT2_T3_mT4_P12ihipStream_tbEUlT_E_NS1_11comp_targetILNS1_3genE3ELNS1_11target_archE908ELNS1_3gpuE7ELNS1_3repE0EEENS1_30default_config_static_selectorELNS0_4arch9wavefront6targetE0EEEvT1_, .Lfunc_end277-_ZN7rocprim17ROCPRIM_400000_NS6detail17trampoline_kernelINS0_14default_configENS1_25transform_config_selectorIN3c107complexIfEELb1EEEZNS1_14transform_implILb1ES3_S8_PS7_SA_NS0_8identityIS7_EEEE10hipError_tT2_T3_mT4_P12ihipStream_tbEUlT_E_NS1_11comp_targetILNS1_3genE3ELNS1_11target_archE908ELNS1_3gpuE7ELNS1_3repE0EEENS1_30default_config_static_selectorELNS0_4arch9wavefront6targetE0EEEvT1_
                                        ; -- End function
	.set _ZN7rocprim17ROCPRIM_400000_NS6detail17trampoline_kernelINS0_14default_configENS1_25transform_config_selectorIN3c107complexIfEELb1EEEZNS1_14transform_implILb1ES3_S8_PS7_SA_NS0_8identityIS7_EEEE10hipError_tT2_T3_mT4_P12ihipStream_tbEUlT_E_NS1_11comp_targetILNS1_3genE3ELNS1_11target_archE908ELNS1_3gpuE7ELNS1_3repE0EEENS1_30default_config_static_selectorELNS0_4arch9wavefront6targetE0EEEvT1_.num_vgpr, 0
	.set _ZN7rocprim17ROCPRIM_400000_NS6detail17trampoline_kernelINS0_14default_configENS1_25transform_config_selectorIN3c107complexIfEELb1EEEZNS1_14transform_implILb1ES3_S8_PS7_SA_NS0_8identityIS7_EEEE10hipError_tT2_T3_mT4_P12ihipStream_tbEUlT_E_NS1_11comp_targetILNS1_3genE3ELNS1_11target_archE908ELNS1_3gpuE7ELNS1_3repE0EEENS1_30default_config_static_selectorELNS0_4arch9wavefront6targetE0EEEvT1_.num_agpr, 0
	.set _ZN7rocprim17ROCPRIM_400000_NS6detail17trampoline_kernelINS0_14default_configENS1_25transform_config_selectorIN3c107complexIfEELb1EEEZNS1_14transform_implILb1ES3_S8_PS7_SA_NS0_8identityIS7_EEEE10hipError_tT2_T3_mT4_P12ihipStream_tbEUlT_E_NS1_11comp_targetILNS1_3genE3ELNS1_11target_archE908ELNS1_3gpuE7ELNS1_3repE0EEENS1_30default_config_static_selectorELNS0_4arch9wavefront6targetE0EEEvT1_.numbered_sgpr, 0
	.set _ZN7rocprim17ROCPRIM_400000_NS6detail17trampoline_kernelINS0_14default_configENS1_25transform_config_selectorIN3c107complexIfEELb1EEEZNS1_14transform_implILb1ES3_S8_PS7_SA_NS0_8identityIS7_EEEE10hipError_tT2_T3_mT4_P12ihipStream_tbEUlT_E_NS1_11comp_targetILNS1_3genE3ELNS1_11target_archE908ELNS1_3gpuE7ELNS1_3repE0EEENS1_30default_config_static_selectorELNS0_4arch9wavefront6targetE0EEEvT1_.num_named_barrier, 0
	.set _ZN7rocprim17ROCPRIM_400000_NS6detail17trampoline_kernelINS0_14default_configENS1_25transform_config_selectorIN3c107complexIfEELb1EEEZNS1_14transform_implILb1ES3_S8_PS7_SA_NS0_8identityIS7_EEEE10hipError_tT2_T3_mT4_P12ihipStream_tbEUlT_E_NS1_11comp_targetILNS1_3genE3ELNS1_11target_archE908ELNS1_3gpuE7ELNS1_3repE0EEENS1_30default_config_static_selectorELNS0_4arch9wavefront6targetE0EEEvT1_.private_seg_size, 0
	.set _ZN7rocprim17ROCPRIM_400000_NS6detail17trampoline_kernelINS0_14default_configENS1_25transform_config_selectorIN3c107complexIfEELb1EEEZNS1_14transform_implILb1ES3_S8_PS7_SA_NS0_8identityIS7_EEEE10hipError_tT2_T3_mT4_P12ihipStream_tbEUlT_E_NS1_11comp_targetILNS1_3genE3ELNS1_11target_archE908ELNS1_3gpuE7ELNS1_3repE0EEENS1_30default_config_static_selectorELNS0_4arch9wavefront6targetE0EEEvT1_.uses_vcc, 0
	.set _ZN7rocprim17ROCPRIM_400000_NS6detail17trampoline_kernelINS0_14default_configENS1_25transform_config_selectorIN3c107complexIfEELb1EEEZNS1_14transform_implILb1ES3_S8_PS7_SA_NS0_8identityIS7_EEEE10hipError_tT2_T3_mT4_P12ihipStream_tbEUlT_E_NS1_11comp_targetILNS1_3genE3ELNS1_11target_archE908ELNS1_3gpuE7ELNS1_3repE0EEENS1_30default_config_static_selectorELNS0_4arch9wavefront6targetE0EEEvT1_.uses_flat_scratch, 0
	.set _ZN7rocprim17ROCPRIM_400000_NS6detail17trampoline_kernelINS0_14default_configENS1_25transform_config_selectorIN3c107complexIfEELb1EEEZNS1_14transform_implILb1ES3_S8_PS7_SA_NS0_8identityIS7_EEEE10hipError_tT2_T3_mT4_P12ihipStream_tbEUlT_E_NS1_11comp_targetILNS1_3genE3ELNS1_11target_archE908ELNS1_3gpuE7ELNS1_3repE0EEENS1_30default_config_static_selectorELNS0_4arch9wavefront6targetE0EEEvT1_.has_dyn_sized_stack, 0
	.set _ZN7rocprim17ROCPRIM_400000_NS6detail17trampoline_kernelINS0_14default_configENS1_25transform_config_selectorIN3c107complexIfEELb1EEEZNS1_14transform_implILb1ES3_S8_PS7_SA_NS0_8identityIS7_EEEE10hipError_tT2_T3_mT4_P12ihipStream_tbEUlT_E_NS1_11comp_targetILNS1_3genE3ELNS1_11target_archE908ELNS1_3gpuE7ELNS1_3repE0EEENS1_30default_config_static_selectorELNS0_4arch9wavefront6targetE0EEEvT1_.has_recursion, 0
	.set _ZN7rocprim17ROCPRIM_400000_NS6detail17trampoline_kernelINS0_14default_configENS1_25transform_config_selectorIN3c107complexIfEELb1EEEZNS1_14transform_implILb1ES3_S8_PS7_SA_NS0_8identityIS7_EEEE10hipError_tT2_T3_mT4_P12ihipStream_tbEUlT_E_NS1_11comp_targetILNS1_3genE3ELNS1_11target_archE908ELNS1_3gpuE7ELNS1_3repE0EEENS1_30default_config_static_selectorELNS0_4arch9wavefront6targetE0EEEvT1_.has_indirect_call, 0
	.section	.AMDGPU.csdata,"",@progbits
; Kernel info:
; codeLenInByte = 0
; TotalNumSgprs: 0
; NumVgprs: 0
; ScratchSize: 0
; MemoryBound: 0
; FloatMode: 240
; IeeeMode: 1
; LDSByteSize: 0 bytes/workgroup (compile time only)
; SGPRBlocks: 0
; VGPRBlocks: 0
; NumSGPRsForWavesPerEU: 1
; NumVGPRsForWavesPerEU: 1
; Occupancy: 16
; WaveLimiterHint : 0
; COMPUTE_PGM_RSRC2:SCRATCH_EN: 0
; COMPUTE_PGM_RSRC2:USER_SGPR: 2
; COMPUTE_PGM_RSRC2:TRAP_HANDLER: 0
; COMPUTE_PGM_RSRC2:TGID_X_EN: 1
; COMPUTE_PGM_RSRC2:TGID_Y_EN: 0
; COMPUTE_PGM_RSRC2:TGID_Z_EN: 0
; COMPUTE_PGM_RSRC2:TIDIG_COMP_CNT: 0
	.section	.text._ZN7rocprim17ROCPRIM_400000_NS6detail17trampoline_kernelINS0_14default_configENS1_25transform_config_selectorIN3c107complexIfEELb1EEEZNS1_14transform_implILb1ES3_S8_PS7_SA_NS0_8identityIS7_EEEE10hipError_tT2_T3_mT4_P12ihipStream_tbEUlT_E_NS1_11comp_targetILNS1_3genE2ELNS1_11target_archE906ELNS1_3gpuE6ELNS1_3repE0EEENS1_30default_config_static_selectorELNS0_4arch9wavefront6targetE0EEEvT1_,"axG",@progbits,_ZN7rocprim17ROCPRIM_400000_NS6detail17trampoline_kernelINS0_14default_configENS1_25transform_config_selectorIN3c107complexIfEELb1EEEZNS1_14transform_implILb1ES3_S8_PS7_SA_NS0_8identityIS7_EEEE10hipError_tT2_T3_mT4_P12ihipStream_tbEUlT_E_NS1_11comp_targetILNS1_3genE2ELNS1_11target_archE906ELNS1_3gpuE6ELNS1_3repE0EEENS1_30default_config_static_selectorELNS0_4arch9wavefront6targetE0EEEvT1_,comdat
	.protected	_ZN7rocprim17ROCPRIM_400000_NS6detail17trampoline_kernelINS0_14default_configENS1_25transform_config_selectorIN3c107complexIfEELb1EEEZNS1_14transform_implILb1ES3_S8_PS7_SA_NS0_8identityIS7_EEEE10hipError_tT2_T3_mT4_P12ihipStream_tbEUlT_E_NS1_11comp_targetILNS1_3genE2ELNS1_11target_archE906ELNS1_3gpuE6ELNS1_3repE0EEENS1_30default_config_static_selectorELNS0_4arch9wavefront6targetE0EEEvT1_ ; -- Begin function _ZN7rocprim17ROCPRIM_400000_NS6detail17trampoline_kernelINS0_14default_configENS1_25transform_config_selectorIN3c107complexIfEELb1EEEZNS1_14transform_implILb1ES3_S8_PS7_SA_NS0_8identityIS7_EEEE10hipError_tT2_T3_mT4_P12ihipStream_tbEUlT_E_NS1_11comp_targetILNS1_3genE2ELNS1_11target_archE906ELNS1_3gpuE6ELNS1_3repE0EEENS1_30default_config_static_selectorELNS0_4arch9wavefront6targetE0EEEvT1_
	.globl	_ZN7rocprim17ROCPRIM_400000_NS6detail17trampoline_kernelINS0_14default_configENS1_25transform_config_selectorIN3c107complexIfEELb1EEEZNS1_14transform_implILb1ES3_S8_PS7_SA_NS0_8identityIS7_EEEE10hipError_tT2_T3_mT4_P12ihipStream_tbEUlT_E_NS1_11comp_targetILNS1_3genE2ELNS1_11target_archE906ELNS1_3gpuE6ELNS1_3repE0EEENS1_30default_config_static_selectorELNS0_4arch9wavefront6targetE0EEEvT1_
	.p2align	8
	.type	_ZN7rocprim17ROCPRIM_400000_NS6detail17trampoline_kernelINS0_14default_configENS1_25transform_config_selectorIN3c107complexIfEELb1EEEZNS1_14transform_implILb1ES3_S8_PS7_SA_NS0_8identityIS7_EEEE10hipError_tT2_T3_mT4_P12ihipStream_tbEUlT_E_NS1_11comp_targetILNS1_3genE2ELNS1_11target_archE906ELNS1_3gpuE6ELNS1_3repE0EEENS1_30default_config_static_selectorELNS0_4arch9wavefront6targetE0EEEvT1_,@function
_ZN7rocprim17ROCPRIM_400000_NS6detail17trampoline_kernelINS0_14default_configENS1_25transform_config_selectorIN3c107complexIfEELb1EEEZNS1_14transform_implILb1ES3_S8_PS7_SA_NS0_8identityIS7_EEEE10hipError_tT2_T3_mT4_P12ihipStream_tbEUlT_E_NS1_11comp_targetILNS1_3genE2ELNS1_11target_archE906ELNS1_3gpuE6ELNS1_3repE0EEENS1_30default_config_static_selectorELNS0_4arch9wavefront6targetE0EEEvT1_: ; @_ZN7rocprim17ROCPRIM_400000_NS6detail17trampoline_kernelINS0_14default_configENS1_25transform_config_selectorIN3c107complexIfEELb1EEEZNS1_14transform_implILb1ES3_S8_PS7_SA_NS0_8identityIS7_EEEE10hipError_tT2_T3_mT4_P12ihipStream_tbEUlT_E_NS1_11comp_targetILNS1_3genE2ELNS1_11target_archE906ELNS1_3gpuE6ELNS1_3repE0EEENS1_30default_config_static_selectorELNS0_4arch9wavefront6targetE0EEEvT1_
; %bb.0:
	.section	.rodata,"a",@progbits
	.p2align	6, 0x0
	.amdhsa_kernel _ZN7rocprim17ROCPRIM_400000_NS6detail17trampoline_kernelINS0_14default_configENS1_25transform_config_selectorIN3c107complexIfEELb1EEEZNS1_14transform_implILb1ES3_S8_PS7_SA_NS0_8identityIS7_EEEE10hipError_tT2_T3_mT4_P12ihipStream_tbEUlT_E_NS1_11comp_targetILNS1_3genE2ELNS1_11target_archE906ELNS1_3gpuE6ELNS1_3repE0EEENS1_30default_config_static_selectorELNS0_4arch9wavefront6targetE0EEEvT1_
		.amdhsa_group_segment_fixed_size 0
		.amdhsa_private_segment_fixed_size 0
		.amdhsa_kernarg_size 40
		.amdhsa_user_sgpr_count 2
		.amdhsa_user_sgpr_dispatch_ptr 0
		.amdhsa_user_sgpr_queue_ptr 0
		.amdhsa_user_sgpr_kernarg_segment_ptr 1
		.amdhsa_user_sgpr_dispatch_id 0
		.amdhsa_user_sgpr_private_segment_size 0
		.amdhsa_wavefront_size32 1
		.amdhsa_uses_dynamic_stack 0
		.amdhsa_enable_private_segment 0
		.amdhsa_system_sgpr_workgroup_id_x 1
		.amdhsa_system_sgpr_workgroup_id_y 0
		.amdhsa_system_sgpr_workgroup_id_z 0
		.amdhsa_system_sgpr_workgroup_info 0
		.amdhsa_system_vgpr_workitem_id 0
		.amdhsa_next_free_vgpr 1
		.amdhsa_next_free_sgpr 1
		.amdhsa_reserve_vcc 0
		.amdhsa_float_round_mode_32 0
		.amdhsa_float_round_mode_16_64 0
		.amdhsa_float_denorm_mode_32 3
		.amdhsa_float_denorm_mode_16_64 3
		.amdhsa_fp16_overflow 0
		.amdhsa_workgroup_processor_mode 1
		.amdhsa_memory_ordered 1
		.amdhsa_forward_progress 1
		.amdhsa_inst_pref_size 0
		.amdhsa_round_robin_scheduling 0
		.amdhsa_exception_fp_ieee_invalid_op 0
		.amdhsa_exception_fp_denorm_src 0
		.amdhsa_exception_fp_ieee_div_zero 0
		.amdhsa_exception_fp_ieee_overflow 0
		.amdhsa_exception_fp_ieee_underflow 0
		.amdhsa_exception_fp_ieee_inexact 0
		.amdhsa_exception_int_div_zero 0
	.end_amdhsa_kernel
	.section	.text._ZN7rocprim17ROCPRIM_400000_NS6detail17trampoline_kernelINS0_14default_configENS1_25transform_config_selectorIN3c107complexIfEELb1EEEZNS1_14transform_implILb1ES3_S8_PS7_SA_NS0_8identityIS7_EEEE10hipError_tT2_T3_mT4_P12ihipStream_tbEUlT_E_NS1_11comp_targetILNS1_3genE2ELNS1_11target_archE906ELNS1_3gpuE6ELNS1_3repE0EEENS1_30default_config_static_selectorELNS0_4arch9wavefront6targetE0EEEvT1_,"axG",@progbits,_ZN7rocprim17ROCPRIM_400000_NS6detail17trampoline_kernelINS0_14default_configENS1_25transform_config_selectorIN3c107complexIfEELb1EEEZNS1_14transform_implILb1ES3_S8_PS7_SA_NS0_8identityIS7_EEEE10hipError_tT2_T3_mT4_P12ihipStream_tbEUlT_E_NS1_11comp_targetILNS1_3genE2ELNS1_11target_archE906ELNS1_3gpuE6ELNS1_3repE0EEENS1_30default_config_static_selectorELNS0_4arch9wavefront6targetE0EEEvT1_,comdat
.Lfunc_end278:
	.size	_ZN7rocprim17ROCPRIM_400000_NS6detail17trampoline_kernelINS0_14default_configENS1_25transform_config_selectorIN3c107complexIfEELb1EEEZNS1_14transform_implILb1ES3_S8_PS7_SA_NS0_8identityIS7_EEEE10hipError_tT2_T3_mT4_P12ihipStream_tbEUlT_E_NS1_11comp_targetILNS1_3genE2ELNS1_11target_archE906ELNS1_3gpuE6ELNS1_3repE0EEENS1_30default_config_static_selectorELNS0_4arch9wavefront6targetE0EEEvT1_, .Lfunc_end278-_ZN7rocprim17ROCPRIM_400000_NS6detail17trampoline_kernelINS0_14default_configENS1_25transform_config_selectorIN3c107complexIfEELb1EEEZNS1_14transform_implILb1ES3_S8_PS7_SA_NS0_8identityIS7_EEEE10hipError_tT2_T3_mT4_P12ihipStream_tbEUlT_E_NS1_11comp_targetILNS1_3genE2ELNS1_11target_archE906ELNS1_3gpuE6ELNS1_3repE0EEENS1_30default_config_static_selectorELNS0_4arch9wavefront6targetE0EEEvT1_
                                        ; -- End function
	.set _ZN7rocprim17ROCPRIM_400000_NS6detail17trampoline_kernelINS0_14default_configENS1_25transform_config_selectorIN3c107complexIfEELb1EEEZNS1_14transform_implILb1ES3_S8_PS7_SA_NS0_8identityIS7_EEEE10hipError_tT2_T3_mT4_P12ihipStream_tbEUlT_E_NS1_11comp_targetILNS1_3genE2ELNS1_11target_archE906ELNS1_3gpuE6ELNS1_3repE0EEENS1_30default_config_static_selectorELNS0_4arch9wavefront6targetE0EEEvT1_.num_vgpr, 0
	.set _ZN7rocprim17ROCPRIM_400000_NS6detail17trampoline_kernelINS0_14default_configENS1_25transform_config_selectorIN3c107complexIfEELb1EEEZNS1_14transform_implILb1ES3_S8_PS7_SA_NS0_8identityIS7_EEEE10hipError_tT2_T3_mT4_P12ihipStream_tbEUlT_E_NS1_11comp_targetILNS1_3genE2ELNS1_11target_archE906ELNS1_3gpuE6ELNS1_3repE0EEENS1_30default_config_static_selectorELNS0_4arch9wavefront6targetE0EEEvT1_.num_agpr, 0
	.set _ZN7rocprim17ROCPRIM_400000_NS6detail17trampoline_kernelINS0_14default_configENS1_25transform_config_selectorIN3c107complexIfEELb1EEEZNS1_14transform_implILb1ES3_S8_PS7_SA_NS0_8identityIS7_EEEE10hipError_tT2_T3_mT4_P12ihipStream_tbEUlT_E_NS1_11comp_targetILNS1_3genE2ELNS1_11target_archE906ELNS1_3gpuE6ELNS1_3repE0EEENS1_30default_config_static_selectorELNS0_4arch9wavefront6targetE0EEEvT1_.numbered_sgpr, 0
	.set _ZN7rocprim17ROCPRIM_400000_NS6detail17trampoline_kernelINS0_14default_configENS1_25transform_config_selectorIN3c107complexIfEELb1EEEZNS1_14transform_implILb1ES3_S8_PS7_SA_NS0_8identityIS7_EEEE10hipError_tT2_T3_mT4_P12ihipStream_tbEUlT_E_NS1_11comp_targetILNS1_3genE2ELNS1_11target_archE906ELNS1_3gpuE6ELNS1_3repE0EEENS1_30default_config_static_selectorELNS0_4arch9wavefront6targetE0EEEvT1_.num_named_barrier, 0
	.set _ZN7rocprim17ROCPRIM_400000_NS6detail17trampoline_kernelINS0_14default_configENS1_25transform_config_selectorIN3c107complexIfEELb1EEEZNS1_14transform_implILb1ES3_S8_PS7_SA_NS0_8identityIS7_EEEE10hipError_tT2_T3_mT4_P12ihipStream_tbEUlT_E_NS1_11comp_targetILNS1_3genE2ELNS1_11target_archE906ELNS1_3gpuE6ELNS1_3repE0EEENS1_30default_config_static_selectorELNS0_4arch9wavefront6targetE0EEEvT1_.private_seg_size, 0
	.set _ZN7rocprim17ROCPRIM_400000_NS6detail17trampoline_kernelINS0_14default_configENS1_25transform_config_selectorIN3c107complexIfEELb1EEEZNS1_14transform_implILb1ES3_S8_PS7_SA_NS0_8identityIS7_EEEE10hipError_tT2_T3_mT4_P12ihipStream_tbEUlT_E_NS1_11comp_targetILNS1_3genE2ELNS1_11target_archE906ELNS1_3gpuE6ELNS1_3repE0EEENS1_30default_config_static_selectorELNS0_4arch9wavefront6targetE0EEEvT1_.uses_vcc, 0
	.set _ZN7rocprim17ROCPRIM_400000_NS6detail17trampoline_kernelINS0_14default_configENS1_25transform_config_selectorIN3c107complexIfEELb1EEEZNS1_14transform_implILb1ES3_S8_PS7_SA_NS0_8identityIS7_EEEE10hipError_tT2_T3_mT4_P12ihipStream_tbEUlT_E_NS1_11comp_targetILNS1_3genE2ELNS1_11target_archE906ELNS1_3gpuE6ELNS1_3repE0EEENS1_30default_config_static_selectorELNS0_4arch9wavefront6targetE0EEEvT1_.uses_flat_scratch, 0
	.set _ZN7rocprim17ROCPRIM_400000_NS6detail17trampoline_kernelINS0_14default_configENS1_25transform_config_selectorIN3c107complexIfEELb1EEEZNS1_14transform_implILb1ES3_S8_PS7_SA_NS0_8identityIS7_EEEE10hipError_tT2_T3_mT4_P12ihipStream_tbEUlT_E_NS1_11comp_targetILNS1_3genE2ELNS1_11target_archE906ELNS1_3gpuE6ELNS1_3repE0EEENS1_30default_config_static_selectorELNS0_4arch9wavefront6targetE0EEEvT1_.has_dyn_sized_stack, 0
	.set _ZN7rocprim17ROCPRIM_400000_NS6detail17trampoline_kernelINS0_14default_configENS1_25transform_config_selectorIN3c107complexIfEELb1EEEZNS1_14transform_implILb1ES3_S8_PS7_SA_NS0_8identityIS7_EEEE10hipError_tT2_T3_mT4_P12ihipStream_tbEUlT_E_NS1_11comp_targetILNS1_3genE2ELNS1_11target_archE906ELNS1_3gpuE6ELNS1_3repE0EEENS1_30default_config_static_selectorELNS0_4arch9wavefront6targetE0EEEvT1_.has_recursion, 0
	.set _ZN7rocprim17ROCPRIM_400000_NS6detail17trampoline_kernelINS0_14default_configENS1_25transform_config_selectorIN3c107complexIfEELb1EEEZNS1_14transform_implILb1ES3_S8_PS7_SA_NS0_8identityIS7_EEEE10hipError_tT2_T3_mT4_P12ihipStream_tbEUlT_E_NS1_11comp_targetILNS1_3genE2ELNS1_11target_archE906ELNS1_3gpuE6ELNS1_3repE0EEENS1_30default_config_static_selectorELNS0_4arch9wavefront6targetE0EEEvT1_.has_indirect_call, 0
	.section	.AMDGPU.csdata,"",@progbits
; Kernel info:
; codeLenInByte = 0
; TotalNumSgprs: 0
; NumVgprs: 0
; ScratchSize: 0
; MemoryBound: 0
; FloatMode: 240
; IeeeMode: 1
; LDSByteSize: 0 bytes/workgroup (compile time only)
; SGPRBlocks: 0
; VGPRBlocks: 0
; NumSGPRsForWavesPerEU: 1
; NumVGPRsForWavesPerEU: 1
; Occupancy: 16
; WaveLimiterHint : 0
; COMPUTE_PGM_RSRC2:SCRATCH_EN: 0
; COMPUTE_PGM_RSRC2:USER_SGPR: 2
; COMPUTE_PGM_RSRC2:TRAP_HANDLER: 0
; COMPUTE_PGM_RSRC2:TGID_X_EN: 1
; COMPUTE_PGM_RSRC2:TGID_Y_EN: 0
; COMPUTE_PGM_RSRC2:TGID_Z_EN: 0
; COMPUTE_PGM_RSRC2:TIDIG_COMP_CNT: 0
	.section	.text._ZN7rocprim17ROCPRIM_400000_NS6detail17trampoline_kernelINS0_14default_configENS1_25transform_config_selectorIN3c107complexIfEELb1EEEZNS1_14transform_implILb1ES3_S8_PS7_SA_NS0_8identityIS7_EEEE10hipError_tT2_T3_mT4_P12ihipStream_tbEUlT_E_NS1_11comp_targetILNS1_3genE9ELNS1_11target_archE1100ELNS1_3gpuE3ELNS1_3repE0EEENS1_30default_config_static_selectorELNS0_4arch9wavefront6targetE0EEEvT1_,"axG",@progbits,_ZN7rocprim17ROCPRIM_400000_NS6detail17trampoline_kernelINS0_14default_configENS1_25transform_config_selectorIN3c107complexIfEELb1EEEZNS1_14transform_implILb1ES3_S8_PS7_SA_NS0_8identityIS7_EEEE10hipError_tT2_T3_mT4_P12ihipStream_tbEUlT_E_NS1_11comp_targetILNS1_3genE9ELNS1_11target_archE1100ELNS1_3gpuE3ELNS1_3repE0EEENS1_30default_config_static_selectorELNS0_4arch9wavefront6targetE0EEEvT1_,comdat
	.protected	_ZN7rocprim17ROCPRIM_400000_NS6detail17trampoline_kernelINS0_14default_configENS1_25transform_config_selectorIN3c107complexIfEELb1EEEZNS1_14transform_implILb1ES3_S8_PS7_SA_NS0_8identityIS7_EEEE10hipError_tT2_T3_mT4_P12ihipStream_tbEUlT_E_NS1_11comp_targetILNS1_3genE9ELNS1_11target_archE1100ELNS1_3gpuE3ELNS1_3repE0EEENS1_30default_config_static_selectorELNS0_4arch9wavefront6targetE0EEEvT1_ ; -- Begin function _ZN7rocprim17ROCPRIM_400000_NS6detail17trampoline_kernelINS0_14default_configENS1_25transform_config_selectorIN3c107complexIfEELb1EEEZNS1_14transform_implILb1ES3_S8_PS7_SA_NS0_8identityIS7_EEEE10hipError_tT2_T3_mT4_P12ihipStream_tbEUlT_E_NS1_11comp_targetILNS1_3genE9ELNS1_11target_archE1100ELNS1_3gpuE3ELNS1_3repE0EEENS1_30default_config_static_selectorELNS0_4arch9wavefront6targetE0EEEvT1_
	.globl	_ZN7rocprim17ROCPRIM_400000_NS6detail17trampoline_kernelINS0_14default_configENS1_25transform_config_selectorIN3c107complexIfEELb1EEEZNS1_14transform_implILb1ES3_S8_PS7_SA_NS0_8identityIS7_EEEE10hipError_tT2_T3_mT4_P12ihipStream_tbEUlT_E_NS1_11comp_targetILNS1_3genE9ELNS1_11target_archE1100ELNS1_3gpuE3ELNS1_3repE0EEENS1_30default_config_static_selectorELNS0_4arch9wavefront6targetE0EEEvT1_
	.p2align	8
	.type	_ZN7rocprim17ROCPRIM_400000_NS6detail17trampoline_kernelINS0_14default_configENS1_25transform_config_selectorIN3c107complexIfEELb1EEEZNS1_14transform_implILb1ES3_S8_PS7_SA_NS0_8identityIS7_EEEE10hipError_tT2_T3_mT4_P12ihipStream_tbEUlT_E_NS1_11comp_targetILNS1_3genE9ELNS1_11target_archE1100ELNS1_3gpuE3ELNS1_3repE0EEENS1_30default_config_static_selectorELNS0_4arch9wavefront6targetE0EEEvT1_,@function
_ZN7rocprim17ROCPRIM_400000_NS6detail17trampoline_kernelINS0_14default_configENS1_25transform_config_selectorIN3c107complexIfEELb1EEEZNS1_14transform_implILb1ES3_S8_PS7_SA_NS0_8identityIS7_EEEE10hipError_tT2_T3_mT4_P12ihipStream_tbEUlT_E_NS1_11comp_targetILNS1_3genE9ELNS1_11target_archE1100ELNS1_3gpuE3ELNS1_3repE0EEENS1_30default_config_static_selectorELNS0_4arch9wavefront6targetE0EEEvT1_: ; @_ZN7rocprim17ROCPRIM_400000_NS6detail17trampoline_kernelINS0_14default_configENS1_25transform_config_selectorIN3c107complexIfEELb1EEEZNS1_14transform_implILb1ES3_S8_PS7_SA_NS0_8identityIS7_EEEE10hipError_tT2_T3_mT4_P12ihipStream_tbEUlT_E_NS1_11comp_targetILNS1_3genE9ELNS1_11target_archE1100ELNS1_3gpuE3ELNS1_3repE0EEENS1_30default_config_static_selectorELNS0_4arch9wavefront6targetE0EEEvT1_
; %bb.0:
	.section	.rodata,"a",@progbits
	.p2align	6, 0x0
	.amdhsa_kernel _ZN7rocprim17ROCPRIM_400000_NS6detail17trampoline_kernelINS0_14default_configENS1_25transform_config_selectorIN3c107complexIfEELb1EEEZNS1_14transform_implILb1ES3_S8_PS7_SA_NS0_8identityIS7_EEEE10hipError_tT2_T3_mT4_P12ihipStream_tbEUlT_E_NS1_11comp_targetILNS1_3genE9ELNS1_11target_archE1100ELNS1_3gpuE3ELNS1_3repE0EEENS1_30default_config_static_selectorELNS0_4arch9wavefront6targetE0EEEvT1_
		.amdhsa_group_segment_fixed_size 0
		.amdhsa_private_segment_fixed_size 0
		.amdhsa_kernarg_size 40
		.amdhsa_user_sgpr_count 2
		.amdhsa_user_sgpr_dispatch_ptr 0
		.amdhsa_user_sgpr_queue_ptr 0
		.amdhsa_user_sgpr_kernarg_segment_ptr 1
		.amdhsa_user_sgpr_dispatch_id 0
		.amdhsa_user_sgpr_private_segment_size 0
		.amdhsa_wavefront_size32 1
		.amdhsa_uses_dynamic_stack 0
		.amdhsa_enable_private_segment 0
		.amdhsa_system_sgpr_workgroup_id_x 1
		.amdhsa_system_sgpr_workgroup_id_y 0
		.amdhsa_system_sgpr_workgroup_id_z 0
		.amdhsa_system_sgpr_workgroup_info 0
		.amdhsa_system_vgpr_workitem_id 0
		.amdhsa_next_free_vgpr 1
		.amdhsa_next_free_sgpr 1
		.amdhsa_reserve_vcc 0
		.amdhsa_float_round_mode_32 0
		.amdhsa_float_round_mode_16_64 0
		.amdhsa_float_denorm_mode_32 3
		.amdhsa_float_denorm_mode_16_64 3
		.amdhsa_fp16_overflow 0
		.amdhsa_workgroup_processor_mode 1
		.amdhsa_memory_ordered 1
		.amdhsa_forward_progress 1
		.amdhsa_inst_pref_size 0
		.amdhsa_round_robin_scheduling 0
		.amdhsa_exception_fp_ieee_invalid_op 0
		.amdhsa_exception_fp_denorm_src 0
		.amdhsa_exception_fp_ieee_div_zero 0
		.amdhsa_exception_fp_ieee_overflow 0
		.amdhsa_exception_fp_ieee_underflow 0
		.amdhsa_exception_fp_ieee_inexact 0
		.amdhsa_exception_int_div_zero 0
	.end_amdhsa_kernel
	.section	.text._ZN7rocprim17ROCPRIM_400000_NS6detail17trampoline_kernelINS0_14default_configENS1_25transform_config_selectorIN3c107complexIfEELb1EEEZNS1_14transform_implILb1ES3_S8_PS7_SA_NS0_8identityIS7_EEEE10hipError_tT2_T3_mT4_P12ihipStream_tbEUlT_E_NS1_11comp_targetILNS1_3genE9ELNS1_11target_archE1100ELNS1_3gpuE3ELNS1_3repE0EEENS1_30default_config_static_selectorELNS0_4arch9wavefront6targetE0EEEvT1_,"axG",@progbits,_ZN7rocprim17ROCPRIM_400000_NS6detail17trampoline_kernelINS0_14default_configENS1_25transform_config_selectorIN3c107complexIfEELb1EEEZNS1_14transform_implILb1ES3_S8_PS7_SA_NS0_8identityIS7_EEEE10hipError_tT2_T3_mT4_P12ihipStream_tbEUlT_E_NS1_11comp_targetILNS1_3genE9ELNS1_11target_archE1100ELNS1_3gpuE3ELNS1_3repE0EEENS1_30default_config_static_selectorELNS0_4arch9wavefront6targetE0EEEvT1_,comdat
.Lfunc_end279:
	.size	_ZN7rocprim17ROCPRIM_400000_NS6detail17trampoline_kernelINS0_14default_configENS1_25transform_config_selectorIN3c107complexIfEELb1EEEZNS1_14transform_implILb1ES3_S8_PS7_SA_NS0_8identityIS7_EEEE10hipError_tT2_T3_mT4_P12ihipStream_tbEUlT_E_NS1_11comp_targetILNS1_3genE9ELNS1_11target_archE1100ELNS1_3gpuE3ELNS1_3repE0EEENS1_30default_config_static_selectorELNS0_4arch9wavefront6targetE0EEEvT1_, .Lfunc_end279-_ZN7rocprim17ROCPRIM_400000_NS6detail17trampoline_kernelINS0_14default_configENS1_25transform_config_selectorIN3c107complexIfEELb1EEEZNS1_14transform_implILb1ES3_S8_PS7_SA_NS0_8identityIS7_EEEE10hipError_tT2_T3_mT4_P12ihipStream_tbEUlT_E_NS1_11comp_targetILNS1_3genE9ELNS1_11target_archE1100ELNS1_3gpuE3ELNS1_3repE0EEENS1_30default_config_static_selectorELNS0_4arch9wavefront6targetE0EEEvT1_
                                        ; -- End function
	.set _ZN7rocprim17ROCPRIM_400000_NS6detail17trampoline_kernelINS0_14default_configENS1_25transform_config_selectorIN3c107complexIfEELb1EEEZNS1_14transform_implILb1ES3_S8_PS7_SA_NS0_8identityIS7_EEEE10hipError_tT2_T3_mT4_P12ihipStream_tbEUlT_E_NS1_11comp_targetILNS1_3genE9ELNS1_11target_archE1100ELNS1_3gpuE3ELNS1_3repE0EEENS1_30default_config_static_selectorELNS0_4arch9wavefront6targetE0EEEvT1_.num_vgpr, 0
	.set _ZN7rocprim17ROCPRIM_400000_NS6detail17trampoline_kernelINS0_14default_configENS1_25transform_config_selectorIN3c107complexIfEELb1EEEZNS1_14transform_implILb1ES3_S8_PS7_SA_NS0_8identityIS7_EEEE10hipError_tT2_T3_mT4_P12ihipStream_tbEUlT_E_NS1_11comp_targetILNS1_3genE9ELNS1_11target_archE1100ELNS1_3gpuE3ELNS1_3repE0EEENS1_30default_config_static_selectorELNS0_4arch9wavefront6targetE0EEEvT1_.num_agpr, 0
	.set _ZN7rocprim17ROCPRIM_400000_NS6detail17trampoline_kernelINS0_14default_configENS1_25transform_config_selectorIN3c107complexIfEELb1EEEZNS1_14transform_implILb1ES3_S8_PS7_SA_NS0_8identityIS7_EEEE10hipError_tT2_T3_mT4_P12ihipStream_tbEUlT_E_NS1_11comp_targetILNS1_3genE9ELNS1_11target_archE1100ELNS1_3gpuE3ELNS1_3repE0EEENS1_30default_config_static_selectorELNS0_4arch9wavefront6targetE0EEEvT1_.numbered_sgpr, 0
	.set _ZN7rocprim17ROCPRIM_400000_NS6detail17trampoline_kernelINS0_14default_configENS1_25transform_config_selectorIN3c107complexIfEELb1EEEZNS1_14transform_implILb1ES3_S8_PS7_SA_NS0_8identityIS7_EEEE10hipError_tT2_T3_mT4_P12ihipStream_tbEUlT_E_NS1_11comp_targetILNS1_3genE9ELNS1_11target_archE1100ELNS1_3gpuE3ELNS1_3repE0EEENS1_30default_config_static_selectorELNS0_4arch9wavefront6targetE0EEEvT1_.num_named_barrier, 0
	.set _ZN7rocprim17ROCPRIM_400000_NS6detail17trampoline_kernelINS0_14default_configENS1_25transform_config_selectorIN3c107complexIfEELb1EEEZNS1_14transform_implILb1ES3_S8_PS7_SA_NS0_8identityIS7_EEEE10hipError_tT2_T3_mT4_P12ihipStream_tbEUlT_E_NS1_11comp_targetILNS1_3genE9ELNS1_11target_archE1100ELNS1_3gpuE3ELNS1_3repE0EEENS1_30default_config_static_selectorELNS0_4arch9wavefront6targetE0EEEvT1_.private_seg_size, 0
	.set _ZN7rocprim17ROCPRIM_400000_NS6detail17trampoline_kernelINS0_14default_configENS1_25transform_config_selectorIN3c107complexIfEELb1EEEZNS1_14transform_implILb1ES3_S8_PS7_SA_NS0_8identityIS7_EEEE10hipError_tT2_T3_mT4_P12ihipStream_tbEUlT_E_NS1_11comp_targetILNS1_3genE9ELNS1_11target_archE1100ELNS1_3gpuE3ELNS1_3repE0EEENS1_30default_config_static_selectorELNS0_4arch9wavefront6targetE0EEEvT1_.uses_vcc, 0
	.set _ZN7rocprim17ROCPRIM_400000_NS6detail17trampoline_kernelINS0_14default_configENS1_25transform_config_selectorIN3c107complexIfEELb1EEEZNS1_14transform_implILb1ES3_S8_PS7_SA_NS0_8identityIS7_EEEE10hipError_tT2_T3_mT4_P12ihipStream_tbEUlT_E_NS1_11comp_targetILNS1_3genE9ELNS1_11target_archE1100ELNS1_3gpuE3ELNS1_3repE0EEENS1_30default_config_static_selectorELNS0_4arch9wavefront6targetE0EEEvT1_.uses_flat_scratch, 0
	.set _ZN7rocprim17ROCPRIM_400000_NS6detail17trampoline_kernelINS0_14default_configENS1_25transform_config_selectorIN3c107complexIfEELb1EEEZNS1_14transform_implILb1ES3_S8_PS7_SA_NS0_8identityIS7_EEEE10hipError_tT2_T3_mT4_P12ihipStream_tbEUlT_E_NS1_11comp_targetILNS1_3genE9ELNS1_11target_archE1100ELNS1_3gpuE3ELNS1_3repE0EEENS1_30default_config_static_selectorELNS0_4arch9wavefront6targetE0EEEvT1_.has_dyn_sized_stack, 0
	.set _ZN7rocprim17ROCPRIM_400000_NS6detail17trampoline_kernelINS0_14default_configENS1_25transform_config_selectorIN3c107complexIfEELb1EEEZNS1_14transform_implILb1ES3_S8_PS7_SA_NS0_8identityIS7_EEEE10hipError_tT2_T3_mT4_P12ihipStream_tbEUlT_E_NS1_11comp_targetILNS1_3genE9ELNS1_11target_archE1100ELNS1_3gpuE3ELNS1_3repE0EEENS1_30default_config_static_selectorELNS0_4arch9wavefront6targetE0EEEvT1_.has_recursion, 0
	.set _ZN7rocprim17ROCPRIM_400000_NS6detail17trampoline_kernelINS0_14default_configENS1_25transform_config_selectorIN3c107complexIfEELb1EEEZNS1_14transform_implILb1ES3_S8_PS7_SA_NS0_8identityIS7_EEEE10hipError_tT2_T3_mT4_P12ihipStream_tbEUlT_E_NS1_11comp_targetILNS1_3genE9ELNS1_11target_archE1100ELNS1_3gpuE3ELNS1_3repE0EEENS1_30default_config_static_selectorELNS0_4arch9wavefront6targetE0EEEvT1_.has_indirect_call, 0
	.section	.AMDGPU.csdata,"",@progbits
; Kernel info:
; codeLenInByte = 0
; TotalNumSgprs: 0
; NumVgprs: 0
; ScratchSize: 0
; MemoryBound: 0
; FloatMode: 240
; IeeeMode: 1
; LDSByteSize: 0 bytes/workgroup (compile time only)
; SGPRBlocks: 0
; VGPRBlocks: 0
; NumSGPRsForWavesPerEU: 1
; NumVGPRsForWavesPerEU: 1
; Occupancy: 16
; WaveLimiterHint : 0
; COMPUTE_PGM_RSRC2:SCRATCH_EN: 0
; COMPUTE_PGM_RSRC2:USER_SGPR: 2
; COMPUTE_PGM_RSRC2:TRAP_HANDLER: 0
; COMPUTE_PGM_RSRC2:TGID_X_EN: 1
; COMPUTE_PGM_RSRC2:TGID_Y_EN: 0
; COMPUTE_PGM_RSRC2:TGID_Z_EN: 0
; COMPUTE_PGM_RSRC2:TIDIG_COMP_CNT: 0
	.section	.text._ZN7rocprim17ROCPRIM_400000_NS6detail17trampoline_kernelINS0_14default_configENS1_25transform_config_selectorIN3c107complexIfEELb1EEEZNS1_14transform_implILb1ES3_S8_PS7_SA_NS0_8identityIS7_EEEE10hipError_tT2_T3_mT4_P12ihipStream_tbEUlT_E_NS1_11comp_targetILNS1_3genE8ELNS1_11target_archE1030ELNS1_3gpuE2ELNS1_3repE0EEENS1_30default_config_static_selectorELNS0_4arch9wavefront6targetE0EEEvT1_,"axG",@progbits,_ZN7rocprim17ROCPRIM_400000_NS6detail17trampoline_kernelINS0_14default_configENS1_25transform_config_selectorIN3c107complexIfEELb1EEEZNS1_14transform_implILb1ES3_S8_PS7_SA_NS0_8identityIS7_EEEE10hipError_tT2_T3_mT4_P12ihipStream_tbEUlT_E_NS1_11comp_targetILNS1_3genE8ELNS1_11target_archE1030ELNS1_3gpuE2ELNS1_3repE0EEENS1_30default_config_static_selectorELNS0_4arch9wavefront6targetE0EEEvT1_,comdat
	.protected	_ZN7rocprim17ROCPRIM_400000_NS6detail17trampoline_kernelINS0_14default_configENS1_25transform_config_selectorIN3c107complexIfEELb1EEEZNS1_14transform_implILb1ES3_S8_PS7_SA_NS0_8identityIS7_EEEE10hipError_tT2_T3_mT4_P12ihipStream_tbEUlT_E_NS1_11comp_targetILNS1_3genE8ELNS1_11target_archE1030ELNS1_3gpuE2ELNS1_3repE0EEENS1_30default_config_static_selectorELNS0_4arch9wavefront6targetE0EEEvT1_ ; -- Begin function _ZN7rocprim17ROCPRIM_400000_NS6detail17trampoline_kernelINS0_14default_configENS1_25transform_config_selectorIN3c107complexIfEELb1EEEZNS1_14transform_implILb1ES3_S8_PS7_SA_NS0_8identityIS7_EEEE10hipError_tT2_T3_mT4_P12ihipStream_tbEUlT_E_NS1_11comp_targetILNS1_3genE8ELNS1_11target_archE1030ELNS1_3gpuE2ELNS1_3repE0EEENS1_30default_config_static_selectorELNS0_4arch9wavefront6targetE0EEEvT1_
	.globl	_ZN7rocprim17ROCPRIM_400000_NS6detail17trampoline_kernelINS0_14default_configENS1_25transform_config_selectorIN3c107complexIfEELb1EEEZNS1_14transform_implILb1ES3_S8_PS7_SA_NS0_8identityIS7_EEEE10hipError_tT2_T3_mT4_P12ihipStream_tbEUlT_E_NS1_11comp_targetILNS1_3genE8ELNS1_11target_archE1030ELNS1_3gpuE2ELNS1_3repE0EEENS1_30default_config_static_selectorELNS0_4arch9wavefront6targetE0EEEvT1_
	.p2align	8
	.type	_ZN7rocprim17ROCPRIM_400000_NS6detail17trampoline_kernelINS0_14default_configENS1_25transform_config_selectorIN3c107complexIfEELb1EEEZNS1_14transform_implILb1ES3_S8_PS7_SA_NS0_8identityIS7_EEEE10hipError_tT2_T3_mT4_P12ihipStream_tbEUlT_E_NS1_11comp_targetILNS1_3genE8ELNS1_11target_archE1030ELNS1_3gpuE2ELNS1_3repE0EEENS1_30default_config_static_selectorELNS0_4arch9wavefront6targetE0EEEvT1_,@function
_ZN7rocprim17ROCPRIM_400000_NS6detail17trampoline_kernelINS0_14default_configENS1_25transform_config_selectorIN3c107complexIfEELb1EEEZNS1_14transform_implILb1ES3_S8_PS7_SA_NS0_8identityIS7_EEEE10hipError_tT2_T3_mT4_P12ihipStream_tbEUlT_E_NS1_11comp_targetILNS1_3genE8ELNS1_11target_archE1030ELNS1_3gpuE2ELNS1_3repE0EEENS1_30default_config_static_selectorELNS0_4arch9wavefront6targetE0EEEvT1_: ; @_ZN7rocprim17ROCPRIM_400000_NS6detail17trampoline_kernelINS0_14default_configENS1_25transform_config_selectorIN3c107complexIfEELb1EEEZNS1_14transform_implILb1ES3_S8_PS7_SA_NS0_8identityIS7_EEEE10hipError_tT2_T3_mT4_P12ihipStream_tbEUlT_E_NS1_11comp_targetILNS1_3genE8ELNS1_11target_archE1030ELNS1_3gpuE2ELNS1_3repE0EEENS1_30default_config_static_selectorELNS0_4arch9wavefront6targetE0EEEvT1_
; %bb.0:
	.section	.rodata,"a",@progbits
	.p2align	6, 0x0
	.amdhsa_kernel _ZN7rocprim17ROCPRIM_400000_NS6detail17trampoline_kernelINS0_14default_configENS1_25transform_config_selectorIN3c107complexIfEELb1EEEZNS1_14transform_implILb1ES3_S8_PS7_SA_NS0_8identityIS7_EEEE10hipError_tT2_T3_mT4_P12ihipStream_tbEUlT_E_NS1_11comp_targetILNS1_3genE8ELNS1_11target_archE1030ELNS1_3gpuE2ELNS1_3repE0EEENS1_30default_config_static_selectorELNS0_4arch9wavefront6targetE0EEEvT1_
		.amdhsa_group_segment_fixed_size 0
		.amdhsa_private_segment_fixed_size 0
		.amdhsa_kernarg_size 40
		.amdhsa_user_sgpr_count 2
		.amdhsa_user_sgpr_dispatch_ptr 0
		.amdhsa_user_sgpr_queue_ptr 0
		.amdhsa_user_sgpr_kernarg_segment_ptr 1
		.amdhsa_user_sgpr_dispatch_id 0
		.amdhsa_user_sgpr_private_segment_size 0
		.amdhsa_wavefront_size32 1
		.amdhsa_uses_dynamic_stack 0
		.amdhsa_enable_private_segment 0
		.amdhsa_system_sgpr_workgroup_id_x 1
		.amdhsa_system_sgpr_workgroup_id_y 0
		.amdhsa_system_sgpr_workgroup_id_z 0
		.amdhsa_system_sgpr_workgroup_info 0
		.amdhsa_system_vgpr_workitem_id 0
		.amdhsa_next_free_vgpr 1
		.amdhsa_next_free_sgpr 1
		.amdhsa_reserve_vcc 0
		.amdhsa_float_round_mode_32 0
		.amdhsa_float_round_mode_16_64 0
		.amdhsa_float_denorm_mode_32 3
		.amdhsa_float_denorm_mode_16_64 3
		.amdhsa_fp16_overflow 0
		.amdhsa_workgroup_processor_mode 1
		.amdhsa_memory_ordered 1
		.amdhsa_forward_progress 1
		.amdhsa_inst_pref_size 0
		.amdhsa_round_robin_scheduling 0
		.amdhsa_exception_fp_ieee_invalid_op 0
		.amdhsa_exception_fp_denorm_src 0
		.amdhsa_exception_fp_ieee_div_zero 0
		.amdhsa_exception_fp_ieee_overflow 0
		.amdhsa_exception_fp_ieee_underflow 0
		.amdhsa_exception_fp_ieee_inexact 0
		.amdhsa_exception_int_div_zero 0
	.end_amdhsa_kernel
	.section	.text._ZN7rocprim17ROCPRIM_400000_NS6detail17trampoline_kernelINS0_14default_configENS1_25transform_config_selectorIN3c107complexIfEELb1EEEZNS1_14transform_implILb1ES3_S8_PS7_SA_NS0_8identityIS7_EEEE10hipError_tT2_T3_mT4_P12ihipStream_tbEUlT_E_NS1_11comp_targetILNS1_3genE8ELNS1_11target_archE1030ELNS1_3gpuE2ELNS1_3repE0EEENS1_30default_config_static_selectorELNS0_4arch9wavefront6targetE0EEEvT1_,"axG",@progbits,_ZN7rocprim17ROCPRIM_400000_NS6detail17trampoline_kernelINS0_14default_configENS1_25transform_config_selectorIN3c107complexIfEELb1EEEZNS1_14transform_implILb1ES3_S8_PS7_SA_NS0_8identityIS7_EEEE10hipError_tT2_T3_mT4_P12ihipStream_tbEUlT_E_NS1_11comp_targetILNS1_3genE8ELNS1_11target_archE1030ELNS1_3gpuE2ELNS1_3repE0EEENS1_30default_config_static_selectorELNS0_4arch9wavefront6targetE0EEEvT1_,comdat
.Lfunc_end280:
	.size	_ZN7rocprim17ROCPRIM_400000_NS6detail17trampoline_kernelINS0_14default_configENS1_25transform_config_selectorIN3c107complexIfEELb1EEEZNS1_14transform_implILb1ES3_S8_PS7_SA_NS0_8identityIS7_EEEE10hipError_tT2_T3_mT4_P12ihipStream_tbEUlT_E_NS1_11comp_targetILNS1_3genE8ELNS1_11target_archE1030ELNS1_3gpuE2ELNS1_3repE0EEENS1_30default_config_static_selectorELNS0_4arch9wavefront6targetE0EEEvT1_, .Lfunc_end280-_ZN7rocprim17ROCPRIM_400000_NS6detail17trampoline_kernelINS0_14default_configENS1_25transform_config_selectorIN3c107complexIfEELb1EEEZNS1_14transform_implILb1ES3_S8_PS7_SA_NS0_8identityIS7_EEEE10hipError_tT2_T3_mT4_P12ihipStream_tbEUlT_E_NS1_11comp_targetILNS1_3genE8ELNS1_11target_archE1030ELNS1_3gpuE2ELNS1_3repE0EEENS1_30default_config_static_selectorELNS0_4arch9wavefront6targetE0EEEvT1_
                                        ; -- End function
	.set _ZN7rocprim17ROCPRIM_400000_NS6detail17trampoline_kernelINS0_14default_configENS1_25transform_config_selectorIN3c107complexIfEELb1EEEZNS1_14transform_implILb1ES3_S8_PS7_SA_NS0_8identityIS7_EEEE10hipError_tT2_T3_mT4_P12ihipStream_tbEUlT_E_NS1_11comp_targetILNS1_3genE8ELNS1_11target_archE1030ELNS1_3gpuE2ELNS1_3repE0EEENS1_30default_config_static_selectorELNS0_4arch9wavefront6targetE0EEEvT1_.num_vgpr, 0
	.set _ZN7rocprim17ROCPRIM_400000_NS6detail17trampoline_kernelINS0_14default_configENS1_25transform_config_selectorIN3c107complexIfEELb1EEEZNS1_14transform_implILb1ES3_S8_PS7_SA_NS0_8identityIS7_EEEE10hipError_tT2_T3_mT4_P12ihipStream_tbEUlT_E_NS1_11comp_targetILNS1_3genE8ELNS1_11target_archE1030ELNS1_3gpuE2ELNS1_3repE0EEENS1_30default_config_static_selectorELNS0_4arch9wavefront6targetE0EEEvT1_.num_agpr, 0
	.set _ZN7rocprim17ROCPRIM_400000_NS6detail17trampoline_kernelINS0_14default_configENS1_25transform_config_selectorIN3c107complexIfEELb1EEEZNS1_14transform_implILb1ES3_S8_PS7_SA_NS0_8identityIS7_EEEE10hipError_tT2_T3_mT4_P12ihipStream_tbEUlT_E_NS1_11comp_targetILNS1_3genE8ELNS1_11target_archE1030ELNS1_3gpuE2ELNS1_3repE0EEENS1_30default_config_static_selectorELNS0_4arch9wavefront6targetE0EEEvT1_.numbered_sgpr, 0
	.set _ZN7rocprim17ROCPRIM_400000_NS6detail17trampoline_kernelINS0_14default_configENS1_25transform_config_selectorIN3c107complexIfEELb1EEEZNS1_14transform_implILb1ES3_S8_PS7_SA_NS0_8identityIS7_EEEE10hipError_tT2_T3_mT4_P12ihipStream_tbEUlT_E_NS1_11comp_targetILNS1_3genE8ELNS1_11target_archE1030ELNS1_3gpuE2ELNS1_3repE0EEENS1_30default_config_static_selectorELNS0_4arch9wavefront6targetE0EEEvT1_.num_named_barrier, 0
	.set _ZN7rocprim17ROCPRIM_400000_NS6detail17trampoline_kernelINS0_14default_configENS1_25transform_config_selectorIN3c107complexIfEELb1EEEZNS1_14transform_implILb1ES3_S8_PS7_SA_NS0_8identityIS7_EEEE10hipError_tT2_T3_mT4_P12ihipStream_tbEUlT_E_NS1_11comp_targetILNS1_3genE8ELNS1_11target_archE1030ELNS1_3gpuE2ELNS1_3repE0EEENS1_30default_config_static_selectorELNS0_4arch9wavefront6targetE0EEEvT1_.private_seg_size, 0
	.set _ZN7rocprim17ROCPRIM_400000_NS6detail17trampoline_kernelINS0_14default_configENS1_25transform_config_selectorIN3c107complexIfEELb1EEEZNS1_14transform_implILb1ES3_S8_PS7_SA_NS0_8identityIS7_EEEE10hipError_tT2_T3_mT4_P12ihipStream_tbEUlT_E_NS1_11comp_targetILNS1_3genE8ELNS1_11target_archE1030ELNS1_3gpuE2ELNS1_3repE0EEENS1_30default_config_static_selectorELNS0_4arch9wavefront6targetE0EEEvT1_.uses_vcc, 0
	.set _ZN7rocprim17ROCPRIM_400000_NS6detail17trampoline_kernelINS0_14default_configENS1_25transform_config_selectorIN3c107complexIfEELb1EEEZNS1_14transform_implILb1ES3_S8_PS7_SA_NS0_8identityIS7_EEEE10hipError_tT2_T3_mT4_P12ihipStream_tbEUlT_E_NS1_11comp_targetILNS1_3genE8ELNS1_11target_archE1030ELNS1_3gpuE2ELNS1_3repE0EEENS1_30default_config_static_selectorELNS0_4arch9wavefront6targetE0EEEvT1_.uses_flat_scratch, 0
	.set _ZN7rocprim17ROCPRIM_400000_NS6detail17trampoline_kernelINS0_14default_configENS1_25transform_config_selectorIN3c107complexIfEELb1EEEZNS1_14transform_implILb1ES3_S8_PS7_SA_NS0_8identityIS7_EEEE10hipError_tT2_T3_mT4_P12ihipStream_tbEUlT_E_NS1_11comp_targetILNS1_3genE8ELNS1_11target_archE1030ELNS1_3gpuE2ELNS1_3repE0EEENS1_30default_config_static_selectorELNS0_4arch9wavefront6targetE0EEEvT1_.has_dyn_sized_stack, 0
	.set _ZN7rocprim17ROCPRIM_400000_NS6detail17trampoline_kernelINS0_14default_configENS1_25transform_config_selectorIN3c107complexIfEELb1EEEZNS1_14transform_implILb1ES3_S8_PS7_SA_NS0_8identityIS7_EEEE10hipError_tT2_T3_mT4_P12ihipStream_tbEUlT_E_NS1_11comp_targetILNS1_3genE8ELNS1_11target_archE1030ELNS1_3gpuE2ELNS1_3repE0EEENS1_30default_config_static_selectorELNS0_4arch9wavefront6targetE0EEEvT1_.has_recursion, 0
	.set _ZN7rocprim17ROCPRIM_400000_NS6detail17trampoline_kernelINS0_14default_configENS1_25transform_config_selectorIN3c107complexIfEELb1EEEZNS1_14transform_implILb1ES3_S8_PS7_SA_NS0_8identityIS7_EEEE10hipError_tT2_T3_mT4_P12ihipStream_tbEUlT_E_NS1_11comp_targetILNS1_3genE8ELNS1_11target_archE1030ELNS1_3gpuE2ELNS1_3repE0EEENS1_30default_config_static_selectorELNS0_4arch9wavefront6targetE0EEEvT1_.has_indirect_call, 0
	.section	.AMDGPU.csdata,"",@progbits
; Kernel info:
; codeLenInByte = 0
; TotalNumSgprs: 0
; NumVgprs: 0
; ScratchSize: 0
; MemoryBound: 0
; FloatMode: 240
; IeeeMode: 1
; LDSByteSize: 0 bytes/workgroup (compile time only)
; SGPRBlocks: 0
; VGPRBlocks: 0
; NumSGPRsForWavesPerEU: 1
; NumVGPRsForWavesPerEU: 1
; Occupancy: 16
; WaveLimiterHint : 0
; COMPUTE_PGM_RSRC2:SCRATCH_EN: 0
; COMPUTE_PGM_RSRC2:USER_SGPR: 2
; COMPUTE_PGM_RSRC2:TRAP_HANDLER: 0
; COMPUTE_PGM_RSRC2:TGID_X_EN: 1
; COMPUTE_PGM_RSRC2:TGID_Y_EN: 0
; COMPUTE_PGM_RSRC2:TGID_Z_EN: 0
; COMPUTE_PGM_RSRC2:TIDIG_COMP_CNT: 0
	.section	.text._ZN7rocprim17ROCPRIM_400000_NS6detail17trampoline_kernelINS0_14default_configENS1_20scan_config_selectorIN3c107complexIfEEEEZZNS1_9scan_implILNS1_25lookback_scan_determinismE0ELb0ELb0ES3_PKS7_PS7_S7_ZZZN2at6native31launch_logcumsumexp_cuda_kernelERKNSE_10TensorBaseESI_lENKUlvE_clEvENKUlvE2_clEvEUlS7_S7_E_S7_EEDaPvRmT3_T4_T5_mT6_P12ihipStream_tbENKUlT_T0_E_clISt17integral_constantIbLb0EESZ_EEDaSU_SV_EUlSU_E0_NS1_11comp_targetILNS1_3genE0ELNS1_11target_archE4294967295ELNS1_3gpuE0ELNS1_3repE0EEENS1_30default_config_static_selectorELNS0_4arch9wavefront6targetE0EEEvT1_,"axG",@progbits,_ZN7rocprim17ROCPRIM_400000_NS6detail17trampoline_kernelINS0_14default_configENS1_20scan_config_selectorIN3c107complexIfEEEEZZNS1_9scan_implILNS1_25lookback_scan_determinismE0ELb0ELb0ES3_PKS7_PS7_S7_ZZZN2at6native31launch_logcumsumexp_cuda_kernelERKNSE_10TensorBaseESI_lENKUlvE_clEvENKUlvE2_clEvEUlS7_S7_E_S7_EEDaPvRmT3_T4_T5_mT6_P12ihipStream_tbENKUlT_T0_E_clISt17integral_constantIbLb0EESZ_EEDaSU_SV_EUlSU_E0_NS1_11comp_targetILNS1_3genE0ELNS1_11target_archE4294967295ELNS1_3gpuE0ELNS1_3repE0EEENS1_30default_config_static_selectorELNS0_4arch9wavefront6targetE0EEEvT1_,comdat
	.globl	_ZN7rocprim17ROCPRIM_400000_NS6detail17trampoline_kernelINS0_14default_configENS1_20scan_config_selectorIN3c107complexIfEEEEZZNS1_9scan_implILNS1_25lookback_scan_determinismE0ELb0ELb0ES3_PKS7_PS7_S7_ZZZN2at6native31launch_logcumsumexp_cuda_kernelERKNSE_10TensorBaseESI_lENKUlvE_clEvENKUlvE2_clEvEUlS7_S7_E_S7_EEDaPvRmT3_T4_T5_mT6_P12ihipStream_tbENKUlT_T0_E_clISt17integral_constantIbLb0EESZ_EEDaSU_SV_EUlSU_E0_NS1_11comp_targetILNS1_3genE0ELNS1_11target_archE4294967295ELNS1_3gpuE0ELNS1_3repE0EEENS1_30default_config_static_selectorELNS0_4arch9wavefront6targetE0EEEvT1_ ; -- Begin function _ZN7rocprim17ROCPRIM_400000_NS6detail17trampoline_kernelINS0_14default_configENS1_20scan_config_selectorIN3c107complexIfEEEEZZNS1_9scan_implILNS1_25lookback_scan_determinismE0ELb0ELb0ES3_PKS7_PS7_S7_ZZZN2at6native31launch_logcumsumexp_cuda_kernelERKNSE_10TensorBaseESI_lENKUlvE_clEvENKUlvE2_clEvEUlS7_S7_E_S7_EEDaPvRmT3_T4_T5_mT6_P12ihipStream_tbENKUlT_T0_E_clISt17integral_constantIbLb0EESZ_EEDaSU_SV_EUlSU_E0_NS1_11comp_targetILNS1_3genE0ELNS1_11target_archE4294967295ELNS1_3gpuE0ELNS1_3repE0EEENS1_30default_config_static_selectorELNS0_4arch9wavefront6targetE0EEEvT1_
	.p2align	8
	.type	_ZN7rocprim17ROCPRIM_400000_NS6detail17trampoline_kernelINS0_14default_configENS1_20scan_config_selectorIN3c107complexIfEEEEZZNS1_9scan_implILNS1_25lookback_scan_determinismE0ELb0ELb0ES3_PKS7_PS7_S7_ZZZN2at6native31launch_logcumsumexp_cuda_kernelERKNSE_10TensorBaseESI_lENKUlvE_clEvENKUlvE2_clEvEUlS7_S7_E_S7_EEDaPvRmT3_T4_T5_mT6_P12ihipStream_tbENKUlT_T0_E_clISt17integral_constantIbLb0EESZ_EEDaSU_SV_EUlSU_E0_NS1_11comp_targetILNS1_3genE0ELNS1_11target_archE4294967295ELNS1_3gpuE0ELNS1_3repE0EEENS1_30default_config_static_selectorELNS0_4arch9wavefront6targetE0EEEvT1_,@function
_ZN7rocprim17ROCPRIM_400000_NS6detail17trampoline_kernelINS0_14default_configENS1_20scan_config_selectorIN3c107complexIfEEEEZZNS1_9scan_implILNS1_25lookback_scan_determinismE0ELb0ELb0ES3_PKS7_PS7_S7_ZZZN2at6native31launch_logcumsumexp_cuda_kernelERKNSE_10TensorBaseESI_lENKUlvE_clEvENKUlvE2_clEvEUlS7_S7_E_S7_EEDaPvRmT3_T4_T5_mT6_P12ihipStream_tbENKUlT_T0_E_clISt17integral_constantIbLb0EESZ_EEDaSU_SV_EUlSU_E0_NS1_11comp_targetILNS1_3genE0ELNS1_11target_archE4294967295ELNS1_3gpuE0ELNS1_3repE0EEENS1_30default_config_static_selectorELNS0_4arch9wavefront6targetE0EEEvT1_: ; @_ZN7rocprim17ROCPRIM_400000_NS6detail17trampoline_kernelINS0_14default_configENS1_20scan_config_selectorIN3c107complexIfEEEEZZNS1_9scan_implILNS1_25lookback_scan_determinismE0ELb0ELb0ES3_PKS7_PS7_S7_ZZZN2at6native31launch_logcumsumexp_cuda_kernelERKNSE_10TensorBaseESI_lENKUlvE_clEvENKUlvE2_clEvEUlS7_S7_E_S7_EEDaPvRmT3_T4_T5_mT6_P12ihipStream_tbENKUlT_T0_E_clISt17integral_constantIbLb0EESZ_EEDaSU_SV_EUlSU_E0_NS1_11comp_targetILNS1_3genE0ELNS1_11target_archE4294967295ELNS1_3gpuE0ELNS1_3repE0EEENS1_30default_config_static_selectorELNS0_4arch9wavefront6targetE0EEEvT1_
; %bb.0:
	.section	.rodata,"a",@progbits
	.p2align	6, 0x0
	.amdhsa_kernel _ZN7rocprim17ROCPRIM_400000_NS6detail17trampoline_kernelINS0_14default_configENS1_20scan_config_selectorIN3c107complexIfEEEEZZNS1_9scan_implILNS1_25lookback_scan_determinismE0ELb0ELb0ES3_PKS7_PS7_S7_ZZZN2at6native31launch_logcumsumexp_cuda_kernelERKNSE_10TensorBaseESI_lENKUlvE_clEvENKUlvE2_clEvEUlS7_S7_E_S7_EEDaPvRmT3_T4_T5_mT6_P12ihipStream_tbENKUlT_T0_E_clISt17integral_constantIbLb0EESZ_EEDaSU_SV_EUlSU_E0_NS1_11comp_targetILNS1_3genE0ELNS1_11target_archE4294967295ELNS1_3gpuE0ELNS1_3repE0EEENS1_30default_config_static_selectorELNS0_4arch9wavefront6targetE0EEEvT1_
		.amdhsa_group_segment_fixed_size 0
		.amdhsa_private_segment_fixed_size 0
		.amdhsa_kernarg_size 40
		.amdhsa_user_sgpr_count 2
		.amdhsa_user_sgpr_dispatch_ptr 0
		.amdhsa_user_sgpr_queue_ptr 0
		.amdhsa_user_sgpr_kernarg_segment_ptr 1
		.amdhsa_user_sgpr_dispatch_id 0
		.amdhsa_user_sgpr_private_segment_size 0
		.amdhsa_wavefront_size32 1
		.amdhsa_uses_dynamic_stack 0
		.amdhsa_enable_private_segment 0
		.amdhsa_system_sgpr_workgroup_id_x 1
		.amdhsa_system_sgpr_workgroup_id_y 0
		.amdhsa_system_sgpr_workgroup_id_z 0
		.amdhsa_system_sgpr_workgroup_info 0
		.amdhsa_system_vgpr_workitem_id 0
		.amdhsa_next_free_vgpr 1
		.amdhsa_next_free_sgpr 1
		.amdhsa_reserve_vcc 0
		.amdhsa_float_round_mode_32 0
		.amdhsa_float_round_mode_16_64 0
		.amdhsa_float_denorm_mode_32 3
		.amdhsa_float_denorm_mode_16_64 3
		.amdhsa_fp16_overflow 0
		.amdhsa_workgroup_processor_mode 1
		.amdhsa_memory_ordered 1
		.amdhsa_forward_progress 1
		.amdhsa_inst_pref_size 0
		.amdhsa_round_robin_scheduling 0
		.amdhsa_exception_fp_ieee_invalid_op 0
		.amdhsa_exception_fp_denorm_src 0
		.amdhsa_exception_fp_ieee_div_zero 0
		.amdhsa_exception_fp_ieee_overflow 0
		.amdhsa_exception_fp_ieee_underflow 0
		.amdhsa_exception_fp_ieee_inexact 0
		.amdhsa_exception_int_div_zero 0
	.end_amdhsa_kernel
	.section	.text._ZN7rocprim17ROCPRIM_400000_NS6detail17trampoline_kernelINS0_14default_configENS1_20scan_config_selectorIN3c107complexIfEEEEZZNS1_9scan_implILNS1_25lookback_scan_determinismE0ELb0ELb0ES3_PKS7_PS7_S7_ZZZN2at6native31launch_logcumsumexp_cuda_kernelERKNSE_10TensorBaseESI_lENKUlvE_clEvENKUlvE2_clEvEUlS7_S7_E_S7_EEDaPvRmT3_T4_T5_mT6_P12ihipStream_tbENKUlT_T0_E_clISt17integral_constantIbLb0EESZ_EEDaSU_SV_EUlSU_E0_NS1_11comp_targetILNS1_3genE0ELNS1_11target_archE4294967295ELNS1_3gpuE0ELNS1_3repE0EEENS1_30default_config_static_selectorELNS0_4arch9wavefront6targetE0EEEvT1_,"axG",@progbits,_ZN7rocprim17ROCPRIM_400000_NS6detail17trampoline_kernelINS0_14default_configENS1_20scan_config_selectorIN3c107complexIfEEEEZZNS1_9scan_implILNS1_25lookback_scan_determinismE0ELb0ELb0ES3_PKS7_PS7_S7_ZZZN2at6native31launch_logcumsumexp_cuda_kernelERKNSE_10TensorBaseESI_lENKUlvE_clEvENKUlvE2_clEvEUlS7_S7_E_S7_EEDaPvRmT3_T4_T5_mT6_P12ihipStream_tbENKUlT_T0_E_clISt17integral_constantIbLb0EESZ_EEDaSU_SV_EUlSU_E0_NS1_11comp_targetILNS1_3genE0ELNS1_11target_archE4294967295ELNS1_3gpuE0ELNS1_3repE0EEENS1_30default_config_static_selectorELNS0_4arch9wavefront6targetE0EEEvT1_,comdat
.Lfunc_end281:
	.size	_ZN7rocprim17ROCPRIM_400000_NS6detail17trampoline_kernelINS0_14default_configENS1_20scan_config_selectorIN3c107complexIfEEEEZZNS1_9scan_implILNS1_25lookback_scan_determinismE0ELb0ELb0ES3_PKS7_PS7_S7_ZZZN2at6native31launch_logcumsumexp_cuda_kernelERKNSE_10TensorBaseESI_lENKUlvE_clEvENKUlvE2_clEvEUlS7_S7_E_S7_EEDaPvRmT3_T4_T5_mT6_P12ihipStream_tbENKUlT_T0_E_clISt17integral_constantIbLb0EESZ_EEDaSU_SV_EUlSU_E0_NS1_11comp_targetILNS1_3genE0ELNS1_11target_archE4294967295ELNS1_3gpuE0ELNS1_3repE0EEENS1_30default_config_static_selectorELNS0_4arch9wavefront6targetE0EEEvT1_, .Lfunc_end281-_ZN7rocprim17ROCPRIM_400000_NS6detail17trampoline_kernelINS0_14default_configENS1_20scan_config_selectorIN3c107complexIfEEEEZZNS1_9scan_implILNS1_25lookback_scan_determinismE0ELb0ELb0ES3_PKS7_PS7_S7_ZZZN2at6native31launch_logcumsumexp_cuda_kernelERKNSE_10TensorBaseESI_lENKUlvE_clEvENKUlvE2_clEvEUlS7_S7_E_S7_EEDaPvRmT3_T4_T5_mT6_P12ihipStream_tbENKUlT_T0_E_clISt17integral_constantIbLb0EESZ_EEDaSU_SV_EUlSU_E0_NS1_11comp_targetILNS1_3genE0ELNS1_11target_archE4294967295ELNS1_3gpuE0ELNS1_3repE0EEENS1_30default_config_static_selectorELNS0_4arch9wavefront6targetE0EEEvT1_
                                        ; -- End function
	.set _ZN7rocprim17ROCPRIM_400000_NS6detail17trampoline_kernelINS0_14default_configENS1_20scan_config_selectorIN3c107complexIfEEEEZZNS1_9scan_implILNS1_25lookback_scan_determinismE0ELb0ELb0ES3_PKS7_PS7_S7_ZZZN2at6native31launch_logcumsumexp_cuda_kernelERKNSE_10TensorBaseESI_lENKUlvE_clEvENKUlvE2_clEvEUlS7_S7_E_S7_EEDaPvRmT3_T4_T5_mT6_P12ihipStream_tbENKUlT_T0_E_clISt17integral_constantIbLb0EESZ_EEDaSU_SV_EUlSU_E0_NS1_11comp_targetILNS1_3genE0ELNS1_11target_archE4294967295ELNS1_3gpuE0ELNS1_3repE0EEENS1_30default_config_static_selectorELNS0_4arch9wavefront6targetE0EEEvT1_.num_vgpr, 0
	.set _ZN7rocprim17ROCPRIM_400000_NS6detail17trampoline_kernelINS0_14default_configENS1_20scan_config_selectorIN3c107complexIfEEEEZZNS1_9scan_implILNS1_25lookback_scan_determinismE0ELb0ELb0ES3_PKS7_PS7_S7_ZZZN2at6native31launch_logcumsumexp_cuda_kernelERKNSE_10TensorBaseESI_lENKUlvE_clEvENKUlvE2_clEvEUlS7_S7_E_S7_EEDaPvRmT3_T4_T5_mT6_P12ihipStream_tbENKUlT_T0_E_clISt17integral_constantIbLb0EESZ_EEDaSU_SV_EUlSU_E0_NS1_11comp_targetILNS1_3genE0ELNS1_11target_archE4294967295ELNS1_3gpuE0ELNS1_3repE0EEENS1_30default_config_static_selectorELNS0_4arch9wavefront6targetE0EEEvT1_.num_agpr, 0
	.set _ZN7rocprim17ROCPRIM_400000_NS6detail17trampoline_kernelINS0_14default_configENS1_20scan_config_selectorIN3c107complexIfEEEEZZNS1_9scan_implILNS1_25lookback_scan_determinismE0ELb0ELb0ES3_PKS7_PS7_S7_ZZZN2at6native31launch_logcumsumexp_cuda_kernelERKNSE_10TensorBaseESI_lENKUlvE_clEvENKUlvE2_clEvEUlS7_S7_E_S7_EEDaPvRmT3_T4_T5_mT6_P12ihipStream_tbENKUlT_T0_E_clISt17integral_constantIbLb0EESZ_EEDaSU_SV_EUlSU_E0_NS1_11comp_targetILNS1_3genE0ELNS1_11target_archE4294967295ELNS1_3gpuE0ELNS1_3repE0EEENS1_30default_config_static_selectorELNS0_4arch9wavefront6targetE0EEEvT1_.numbered_sgpr, 0
	.set _ZN7rocprim17ROCPRIM_400000_NS6detail17trampoline_kernelINS0_14default_configENS1_20scan_config_selectorIN3c107complexIfEEEEZZNS1_9scan_implILNS1_25lookback_scan_determinismE0ELb0ELb0ES3_PKS7_PS7_S7_ZZZN2at6native31launch_logcumsumexp_cuda_kernelERKNSE_10TensorBaseESI_lENKUlvE_clEvENKUlvE2_clEvEUlS7_S7_E_S7_EEDaPvRmT3_T4_T5_mT6_P12ihipStream_tbENKUlT_T0_E_clISt17integral_constantIbLb0EESZ_EEDaSU_SV_EUlSU_E0_NS1_11comp_targetILNS1_3genE0ELNS1_11target_archE4294967295ELNS1_3gpuE0ELNS1_3repE0EEENS1_30default_config_static_selectorELNS0_4arch9wavefront6targetE0EEEvT1_.num_named_barrier, 0
	.set _ZN7rocprim17ROCPRIM_400000_NS6detail17trampoline_kernelINS0_14default_configENS1_20scan_config_selectorIN3c107complexIfEEEEZZNS1_9scan_implILNS1_25lookback_scan_determinismE0ELb0ELb0ES3_PKS7_PS7_S7_ZZZN2at6native31launch_logcumsumexp_cuda_kernelERKNSE_10TensorBaseESI_lENKUlvE_clEvENKUlvE2_clEvEUlS7_S7_E_S7_EEDaPvRmT3_T4_T5_mT6_P12ihipStream_tbENKUlT_T0_E_clISt17integral_constantIbLb0EESZ_EEDaSU_SV_EUlSU_E0_NS1_11comp_targetILNS1_3genE0ELNS1_11target_archE4294967295ELNS1_3gpuE0ELNS1_3repE0EEENS1_30default_config_static_selectorELNS0_4arch9wavefront6targetE0EEEvT1_.private_seg_size, 0
	.set _ZN7rocprim17ROCPRIM_400000_NS6detail17trampoline_kernelINS0_14default_configENS1_20scan_config_selectorIN3c107complexIfEEEEZZNS1_9scan_implILNS1_25lookback_scan_determinismE0ELb0ELb0ES3_PKS7_PS7_S7_ZZZN2at6native31launch_logcumsumexp_cuda_kernelERKNSE_10TensorBaseESI_lENKUlvE_clEvENKUlvE2_clEvEUlS7_S7_E_S7_EEDaPvRmT3_T4_T5_mT6_P12ihipStream_tbENKUlT_T0_E_clISt17integral_constantIbLb0EESZ_EEDaSU_SV_EUlSU_E0_NS1_11comp_targetILNS1_3genE0ELNS1_11target_archE4294967295ELNS1_3gpuE0ELNS1_3repE0EEENS1_30default_config_static_selectorELNS0_4arch9wavefront6targetE0EEEvT1_.uses_vcc, 0
	.set _ZN7rocprim17ROCPRIM_400000_NS6detail17trampoline_kernelINS0_14default_configENS1_20scan_config_selectorIN3c107complexIfEEEEZZNS1_9scan_implILNS1_25lookback_scan_determinismE0ELb0ELb0ES3_PKS7_PS7_S7_ZZZN2at6native31launch_logcumsumexp_cuda_kernelERKNSE_10TensorBaseESI_lENKUlvE_clEvENKUlvE2_clEvEUlS7_S7_E_S7_EEDaPvRmT3_T4_T5_mT6_P12ihipStream_tbENKUlT_T0_E_clISt17integral_constantIbLb0EESZ_EEDaSU_SV_EUlSU_E0_NS1_11comp_targetILNS1_3genE0ELNS1_11target_archE4294967295ELNS1_3gpuE0ELNS1_3repE0EEENS1_30default_config_static_selectorELNS0_4arch9wavefront6targetE0EEEvT1_.uses_flat_scratch, 0
	.set _ZN7rocprim17ROCPRIM_400000_NS6detail17trampoline_kernelINS0_14default_configENS1_20scan_config_selectorIN3c107complexIfEEEEZZNS1_9scan_implILNS1_25lookback_scan_determinismE0ELb0ELb0ES3_PKS7_PS7_S7_ZZZN2at6native31launch_logcumsumexp_cuda_kernelERKNSE_10TensorBaseESI_lENKUlvE_clEvENKUlvE2_clEvEUlS7_S7_E_S7_EEDaPvRmT3_T4_T5_mT6_P12ihipStream_tbENKUlT_T0_E_clISt17integral_constantIbLb0EESZ_EEDaSU_SV_EUlSU_E0_NS1_11comp_targetILNS1_3genE0ELNS1_11target_archE4294967295ELNS1_3gpuE0ELNS1_3repE0EEENS1_30default_config_static_selectorELNS0_4arch9wavefront6targetE0EEEvT1_.has_dyn_sized_stack, 0
	.set _ZN7rocprim17ROCPRIM_400000_NS6detail17trampoline_kernelINS0_14default_configENS1_20scan_config_selectorIN3c107complexIfEEEEZZNS1_9scan_implILNS1_25lookback_scan_determinismE0ELb0ELb0ES3_PKS7_PS7_S7_ZZZN2at6native31launch_logcumsumexp_cuda_kernelERKNSE_10TensorBaseESI_lENKUlvE_clEvENKUlvE2_clEvEUlS7_S7_E_S7_EEDaPvRmT3_T4_T5_mT6_P12ihipStream_tbENKUlT_T0_E_clISt17integral_constantIbLb0EESZ_EEDaSU_SV_EUlSU_E0_NS1_11comp_targetILNS1_3genE0ELNS1_11target_archE4294967295ELNS1_3gpuE0ELNS1_3repE0EEENS1_30default_config_static_selectorELNS0_4arch9wavefront6targetE0EEEvT1_.has_recursion, 0
	.set _ZN7rocprim17ROCPRIM_400000_NS6detail17trampoline_kernelINS0_14default_configENS1_20scan_config_selectorIN3c107complexIfEEEEZZNS1_9scan_implILNS1_25lookback_scan_determinismE0ELb0ELb0ES3_PKS7_PS7_S7_ZZZN2at6native31launch_logcumsumexp_cuda_kernelERKNSE_10TensorBaseESI_lENKUlvE_clEvENKUlvE2_clEvEUlS7_S7_E_S7_EEDaPvRmT3_T4_T5_mT6_P12ihipStream_tbENKUlT_T0_E_clISt17integral_constantIbLb0EESZ_EEDaSU_SV_EUlSU_E0_NS1_11comp_targetILNS1_3genE0ELNS1_11target_archE4294967295ELNS1_3gpuE0ELNS1_3repE0EEENS1_30default_config_static_selectorELNS0_4arch9wavefront6targetE0EEEvT1_.has_indirect_call, 0
	.section	.AMDGPU.csdata,"",@progbits
; Kernel info:
; codeLenInByte = 0
; TotalNumSgprs: 0
; NumVgprs: 0
; ScratchSize: 0
; MemoryBound: 0
; FloatMode: 240
; IeeeMode: 1
; LDSByteSize: 0 bytes/workgroup (compile time only)
; SGPRBlocks: 0
; VGPRBlocks: 0
; NumSGPRsForWavesPerEU: 1
; NumVGPRsForWavesPerEU: 1
; Occupancy: 16
; WaveLimiterHint : 0
; COMPUTE_PGM_RSRC2:SCRATCH_EN: 0
; COMPUTE_PGM_RSRC2:USER_SGPR: 2
; COMPUTE_PGM_RSRC2:TRAP_HANDLER: 0
; COMPUTE_PGM_RSRC2:TGID_X_EN: 1
; COMPUTE_PGM_RSRC2:TGID_Y_EN: 0
; COMPUTE_PGM_RSRC2:TGID_Z_EN: 0
; COMPUTE_PGM_RSRC2:TIDIG_COMP_CNT: 0
	.section	.text._ZN7rocprim17ROCPRIM_400000_NS6detail17trampoline_kernelINS0_14default_configENS1_20scan_config_selectorIN3c107complexIfEEEEZZNS1_9scan_implILNS1_25lookback_scan_determinismE0ELb0ELb0ES3_PKS7_PS7_S7_ZZZN2at6native31launch_logcumsumexp_cuda_kernelERKNSE_10TensorBaseESI_lENKUlvE_clEvENKUlvE2_clEvEUlS7_S7_E_S7_EEDaPvRmT3_T4_T5_mT6_P12ihipStream_tbENKUlT_T0_E_clISt17integral_constantIbLb0EESZ_EEDaSU_SV_EUlSU_E0_NS1_11comp_targetILNS1_3genE5ELNS1_11target_archE942ELNS1_3gpuE9ELNS1_3repE0EEENS1_30default_config_static_selectorELNS0_4arch9wavefront6targetE0EEEvT1_,"axG",@progbits,_ZN7rocprim17ROCPRIM_400000_NS6detail17trampoline_kernelINS0_14default_configENS1_20scan_config_selectorIN3c107complexIfEEEEZZNS1_9scan_implILNS1_25lookback_scan_determinismE0ELb0ELb0ES3_PKS7_PS7_S7_ZZZN2at6native31launch_logcumsumexp_cuda_kernelERKNSE_10TensorBaseESI_lENKUlvE_clEvENKUlvE2_clEvEUlS7_S7_E_S7_EEDaPvRmT3_T4_T5_mT6_P12ihipStream_tbENKUlT_T0_E_clISt17integral_constantIbLb0EESZ_EEDaSU_SV_EUlSU_E0_NS1_11comp_targetILNS1_3genE5ELNS1_11target_archE942ELNS1_3gpuE9ELNS1_3repE0EEENS1_30default_config_static_selectorELNS0_4arch9wavefront6targetE0EEEvT1_,comdat
	.globl	_ZN7rocprim17ROCPRIM_400000_NS6detail17trampoline_kernelINS0_14default_configENS1_20scan_config_selectorIN3c107complexIfEEEEZZNS1_9scan_implILNS1_25lookback_scan_determinismE0ELb0ELb0ES3_PKS7_PS7_S7_ZZZN2at6native31launch_logcumsumexp_cuda_kernelERKNSE_10TensorBaseESI_lENKUlvE_clEvENKUlvE2_clEvEUlS7_S7_E_S7_EEDaPvRmT3_T4_T5_mT6_P12ihipStream_tbENKUlT_T0_E_clISt17integral_constantIbLb0EESZ_EEDaSU_SV_EUlSU_E0_NS1_11comp_targetILNS1_3genE5ELNS1_11target_archE942ELNS1_3gpuE9ELNS1_3repE0EEENS1_30default_config_static_selectorELNS0_4arch9wavefront6targetE0EEEvT1_ ; -- Begin function _ZN7rocprim17ROCPRIM_400000_NS6detail17trampoline_kernelINS0_14default_configENS1_20scan_config_selectorIN3c107complexIfEEEEZZNS1_9scan_implILNS1_25lookback_scan_determinismE0ELb0ELb0ES3_PKS7_PS7_S7_ZZZN2at6native31launch_logcumsumexp_cuda_kernelERKNSE_10TensorBaseESI_lENKUlvE_clEvENKUlvE2_clEvEUlS7_S7_E_S7_EEDaPvRmT3_T4_T5_mT6_P12ihipStream_tbENKUlT_T0_E_clISt17integral_constantIbLb0EESZ_EEDaSU_SV_EUlSU_E0_NS1_11comp_targetILNS1_3genE5ELNS1_11target_archE942ELNS1_3gpuE9ELNS1_3repE0EEENS1_30default_config_static_selectorELNS0_4arch9wavefront6targetE0EEEvT1_
	.p2align	8
	.type	_ZN7rocprim17ROCPRIM_400000_NS6detail17trampoline_kernelINS0_14default_configENS1_20scan_config_selectorIN3c107complexIfEEEEZZNS1_9scan_implILNS1_25lookback_scan_determinismE0ELb0ELb0ES3_PKS7_PS7_S7_ZZZN2at6native31launch_logcumsumexp_cuda_kernelERKNSE_10TensorBaseESI_lENKUlvE_clEvENKUlvE2_clEvEUlS7_S7_E_S7_EEDaPvRmT3_T4_T5_mT6_P12ihipStream_tbENKUlT_T0_E_clISt17integral_constantIbLb0EESZ_EEDaSU_SV_EUlSU_E0_NS1_11comp_targetILNS1_3genE5ELNS1_11target_archE942ELNS1_3gpuE9ELNS1_3repE0EEENS1_30default_config_static_selectorELNS0_4arch9wavefront6targetE0EEEvT1_,@function
_ZN7rocprim17ROCPRIM_400000_NS6detail17trampoline_kernelINS0_14default_configENS1_20scan_config_selectorIN3c107complexIfEEEEZZNS1_9scan_implILNS1_25lookback_scan_determinismE0ELb0ELb0ES3_PKS7_PS7_S7_ZZZN2at6native31launch_logcumsumexp_cuda_kernelERKNSE_10TensorBaseESI_lENKUlvE_clEvENKUlvE2_clEvEUlS7_S7_E_S7_EEDaPvRmT3_T4_T5_mT6_P12ihipStream_tbENKUlT_T0_E_clISt17integral_constantIbLb0EESZ_EEDaSU_SV_EUlSU_E0_NS1_11comp_targetILNS1_3genE5ELNS1_11target_archE942ELNS1_3gpuE9ELNS1_3repE0EEENS1_30default_config_static_selectorELNS0_4arch9wavefront6targetE0EEEvT1_: ; @_ZN7rocprim17ROCPRIM_400000_NS6detail17trampoline_kernelINS0_14default_configENS1_20scan_config_selectorIN3c107complexIfEEEEZZNS1_9scan_implILNS1_25lookback_scan_determinismE0ELb0ELb0ES3_PKS7_PS7_S7_ZZZN2at6native31launch_logcumsumexp_cuda_kernelERKNSE_10TensorBaseESI_lENKUlvE_clEvENKUlvE2_clEvEUlS7_S7_E_S7_EEDaPvRmT3_T4_T5_mT6_P12ihipStream_tbENKUlT_T0_E_clISt17integral_constantIbLb0EESZ_EEDaSU_SV_EUlSU_E0_NS1_11comp_targetILNS1_3genE5ELNS1_11target_archE942ELNS1_3gpuE9ELNS1_3repE0EEENS1_30default_config_static_selectorELNS0_4arch9wavefront6targetE0EEEvT1_
; %bb.0:
	.section	.rodata,"a",@progbits
	.p2align	6, 0x0
	.amdhsa_kernel _ZN7rocprim17ROCPRIM_400000_NS6detail17trampoline_kernelINS0_14default_configENS1_20scan_config_selectorIN3c107complexIfEEEEZZNS1_9scan_implILNS1_25lookback_scan_determinismE0ELb0ELb0ES3_PKS7_PS7_S7_ZZZN2at6native31launch_logcumsumexp_cuda_kernelERKNSE_10TensorBaseESI_lENKUlvE_clEvENKUlvE2_clEvEUlS7_S7_E_S7_EEDaPvRmT3_T4_T5_mT6_P12ihipStream_tbENKUlT_T0_E_clISt17integral_constantIbLb0EESZ_EEDaSU_SV_EUlSU_E0_NS1_11comp_targetILNS1_3genE5ELNS1_11target_archE942ELNS1_3gpuE9ELNS1_3repE0EEENS1_30default_config_static_selectorELNS0_4arch9wavefront6targetE0EEEvT1_
		.amdhsa_group_segment_fixed_size 0
		.amdhsa_private_segment_fixed_size 0
		.amdhsa_kernarg_size 40
		.amdhsa_user_sgpr_count 2
		.amdhsa_user_sgpr_dispatch_ptr 0
		.amdhsa_user_sgpr_queue_ptr 0
		.amdhsa_user_sgpr_kernarg_segment_ptr 1
		.amdhsa_user_sgpr_dispatch_id 0
		.amdhsa_user_sgpr_private_segment_size 0
		.amdhsa_wavefront_size32 1
		.amdhsa_uses_dynamic_stack 0
		.amdhsa_enable_private_segment 0
		.amdhsa_system_sgpr_workgroup_id_x 1
		.amdhsa_system_sgpr_workgroup_id_y 0
		.amdhsa_system_sgpr_workgroup_id_z 0
		.amdhsa_system_sgpr_workgroup_info 0
		.amdhsa_system_vgpr_workitem_id 0
		.amdhsa_next_free_vgpr 1
		.amdhsa_next_free_sgpr 1
		.amdhsa_reserve_vcc 0
		.amdhsa_float_round_mode_32 0
		.amdhsa_float_round_mode_16_64 0
		.amdhsa_float_denorm_mode_32 3
		.amdhsa_float_denorm_mode_16_64 3
		.amdhsa_fp16_overflow 0
		.amdhsa_workgroup_processor_mode 1
		.amdhsa_memory_ordered 1
		.amdhsa_forward_progress 1
		.amdhsa_inst_pref_size 0
		.amdhsa_round_robin_scheduling 0
		.amdhsa_exception_fp_ieee_invalid_op 0
		.amdhsa_exception_fp_denorm_src 0
		.amdhsa_exception_fp_ieee_div_zero 0
		.amdhsa_exception_fp_ieee_overflow 0
		.amdhsa_exception_fp_ieee_underflow 0
		.amdhsa_exception_fp_ieee_inexact 0
		.amdhsa_exception_int_div_zero 0
	.end_amdhsa_kernel
	.section	.text._ZN7rocprim17ROCPRIM_400000_NS6detail17trampoline_kernelINS0_14default_configENS1_20scan_config_selectorIN3c107complexIfEEEEZZNS1_9scan_implILNS1_25lookback_scan_determinismE0ELb0ELb0ES3_PKS7_PS7_S7_ZZZN2at6native31launch_logcumsumexp_cuda_kernelERKNSE_10TensorBaseESI_lENKUlvE_clEvENKUlvE2_clEvEUlS7_S7_E_S7_EEDaPvRmT3_T4_T5_mT6_P12ihipStream_tbENKUlT_T0_E_clISt17integral_constantIbLb0EESZ_EEDaSU_SV_EUlSU_E0_NS1_11comp_targetILNS1_3genE5ELNS1_11target_archE942ELNS1_3gpuE9ELNS1_3repE0EEENS1_30default_config_static_selectorELNS0_4arch9wavefront6targetE0EEEvT1_,"axG",@progbits,_ZN7rocprim17ROCPRIM_400000_NS6detail17trampoline_kernelINS0_14default_configENS1_20scan_config_selectorIN3c107complexIfEEEEZZNS1_9scan_implILNS1_25lookback_scan_determinismE0ELb0ELb0ES3_PKS7_PS7_S7_ZZZN2at6native31launch_logcumsumexp_cuda_kernelERKNSE_10TensorBaseESI_lENKUlvE_clEvENKUlvE2_clEvEUlS7_S7_E_S7_EEDaPvRmT3_T4_T5_mT6_P12ihipStream_tbENKUlT_T0_E_clISt17integral_constantIbLb0EESZ_EEDaSU_SV_EUlSU_E0_NS1_11comp_targetILNS1_3genE5ELNS1_11target_archE942ELNS1_3gpuE9ELNS1_3repE0EEENS1_30default_config_static_selectorELNS0_4arch9wavefront6targetE0EEEvT1_,comdat
.Lfunc_end282:
	.size	_ZN7rocprim17ROCPRIM_400000_NS6detail17trampoline_kernelINS0_14default_configENS1_20scan_config_selectorIN3c107complexIfEEEEZZNS1_9scan_implILNS1_25lookback_scan_determinismE0ELb0ELb0ES3_PKS7_PS7_S7_ZZZN2at6native31launch_logcumsumexp_cuda_kernelERKNSE_10TensorBaseESI_lENKUlvE_clEvENKUlvE2_clEvEUlS7_S7_E_S7_EEDaPvRmT3_T4_T5_mT6_P12ihipStream_tbENKUlT_T0_E_clISt17integral_constantIbLb0EESZ_EEDaSU_SV_EUlSU_E0_NS1_11comp_targetILNS1_3genE5ELNS1_11target_archE942ELNS1_3gpuE9ELNS1_3repE0EEENS1_30default_config_static_selectorELNS0_4arch9wavefront6targetE0EEEvT1_, .Lfunc_end282-_ZN7rocprim17ROCPRIM_400000_NS6detail17trampoline_kernelINS0_14default_configENS1_20scan_config_selectorIN3c107complexIfEEEEZZNS1_9scan_implILNS1_25lookback_scan_determinismE0ELb0ELb0ES3_PKS7_PS7_S7_ZZZN2at6native31launch_logcumsumexp_cuda_kernelERKNSE_10TensorBaseESI_lENKUlvE_clEvENKUlvE2_clEvEUlS7_S7_E_S7_EEDaPvRmT3_T4_T5_mT6_P12ihipStream_tbENKUlT_T0_E_clISt17integral_constantIbLb0EESZ_EEDaSU_SV_EUlSU_E0_NS1_11comp_targetILNS1_3genE5ELNS1_11target_archE942ELNS1_3gpuE9ELNS1_3repE0EEENS1_30default_config_static_selectorELNS0_4arch9wavefront6targetE0EEEvT1_
                                        ; -- End function
	.set _ZN7rocprim17ROCPRIM_400000_NS6detail17trampoline_kernelINS0_14default_configENS1_20scan_config_selectorIN3c107complexIfEEEEZZNS1_9scan_implILNS1_25lookback_scan_determinismE0ELb0ELb0ES3_PKS7_PS7_S7_ZZZN2at6native31launch_logcumsumexp_cuda_kernelERKNSE_10TensorBaseESI_lENKUlvE_clEvENKUlvE2_clEvEUlS7_S7_E_S7_EEDaPvRmT3_T4_T5_mT6_P12ihipStream_tbENKUlT_T0_E_clISt17integral_constantIbLb0EESZ_EEDaSU_SV_EUlSU_E0_NS1_11comp_targetILNS1_3genE5ELNS1_11target_archE942ELNS1_3gpuE9ELNS1_3repE0EEENS1_30default_config_static_selectorELNS0_4arch9wavefront6targetE0EEEvT1_.num_vgpr, 0
	.set _ZN7rocprim17ROCPRIM_400000_NS6detail17trampoline_kernelINS0_14default_configENS1_20scan_config_selectorIN3c107complexIfEEEEZZNS1_9scan_implILNS1_25lookback_scan_determinismE0ELb0ELb0ES3_PKS7_PS7_S7_ZZZN2at6native31launch_logcumsumexp_cuda_kernelERKNSE_10TensorBaseESI_lENKUlvE_clEvENKUlvE2_clEvEUlS7_S7_E_S7_EEDaPvRmT3_T4_T5_mT6_P12ihipStream_tbENKUlT_T0_E_clISt17integral_constantIbLb0EESZ_EEDaSU_SV_EUlSU_E0_NS1_11comp_targetILNS1_3genE5ELNS1_11target_archE942ELNS1_3gpuE9ELNS1_3repE0EEENS1_30default_config_static_selectorELNS0_4arch9wavefront6targetE0EEEvT1_.num_agpr, 0
	.set _ZN7rocprim17ROCPRIM_400000_NS6detail17trampoline_kernelINS0_14default_configENS1_20scan_config_selectorIN3c107complexIfEEEEZZNS1_9scan_implILNS1_25lookback_scan_determinismE0ELb0ELb0ES3_PKS7_PS7_S7_ZZZN2at6native31launch_logcumsumexp_cuda_kernelERKNSE_10TensorBaseESI_lENKUlvE_clEvENKUlvE2_clEvEUlS7_S7_E_S7_EEDaPvRmT3_T4_T5_mT6_P12ihipStream_tbENKUlT_T0_E_clISt17integral_constantIbLb0EESZ_EEDaSU_SV_EUlSU_E0_NS1_11comp_targetILNS1_3genE5ELNS1_11target_archE942ELNS1_3gpuE9ELNS1_3repE0EEENS1_30default_config_static_selectorELNS0_4arch9wavefront6targetE0EEEvT1_.numbered_sgpr, 0
	.set _ZN7rocprim17ROCPRIM_400000_NS6detail17trampoline_kernelINS0_14default_configENS1_20scan_config_selectorIN3c107complexIfEEEEZZNS1_9scan_implILNS1_25lookback_scan_determinismE0ELb0ELb0ES3_PKS7_PS7_S7_ZZZN2at6native31launch_logcumsumexp_cuda_kernelERKNSE_10TensorBaseESI_lENKUlvE_clEvENKUlvE2_clEvEUlS7_S7_E_S7_EEDaPvRmT3_T4_T5_mT6_P12ihipStream_tbENKUlT_T0_E_clISt17integral_constantIbLb0EESZ_EEDaSU_SV_EUlSU_E0_NS1_11comp_targetILNS1_3genE5ELNS1_11target_archE942ELNS1_3gpuE9ELNS1_3repE0EEENS1_30default_config_static_selectorELNS0_4arch9wavefront6targetE0EEEvT1_.num_named_barrier, 0
	.set _ZN7rocprim17ROCPRIM_400000_NS6detail17trampoline_kernelINS0_14default_configENS1_20scan_config_selectorIN3c107complexIfEEEEZZNS1_9scan_implILNS1_25lookback_scan_determinismE0ELb0ELb0ES3_PKS7_PS7_S7_ZZZN2at6native31launch_logcumsumexp_cuda_kernelERKNSE_10TensorBaseESI_lENKUlvE_clEvENKUlvE2_clEvEUlS7_S7_E_S7_EEDaPvRmT3_T4_T5_mT6_P12ihipStream_tbENKUlT_T0_E_clISt17integral_constantIbLb0EESZ_EEDaSU_SV_EUlSU_E0_NS1_11comp_targetILNS1_3genE5ELNS1_11target_archE942ELNS1_3gpuE9ELNS1_3repE0EEENS1_30default_config_static_selectorELNS0_4arch9wavefront6targetE0EEEvT1_.private_seg_size, 0
	.set _ZN7rocprim17ROCPRIM_400000_NS6detail17trampoline_kernelINS0_14default_configENS1_20scan_config_selectorIN3c107complexIfEEEEZZNS1_9scan_implILNS1_25lookback_scan_determinismE0ELb0ELb0ES3_PKS7_PS7_S7_ZZZN2at6native31launch_logcumsumexp_cuda_kernelERKNSE_10TensorBaseESI_lENKUlvE_clEvENKUlvE2_clEvEUlS7_S7_E_S7_EEDaPvRmT3_T4_T5_mT6_P12ihipStream_tbENKUlT_T0_E_clISt17integral_constantIbLb0EESZ_EEDaSU_SV_EUlSU_E0_NS1_11comp_targetILNS1_3genE5ELNS1_11target_archE942ELNS1_3gpuE9ELNS1_3repE0EEENS1_30default_config_static_selectorELNS0_4arch9wavefront6targetE0EEEvT1_.uses_vcc, 0
	.set _ZN7rocprim17ROCPRIM_400000_NS6detail17trampoline_kernelINS0_14default_configENS1_20scan_config_selectorIN3c107complexIfEEEEZZNS1_9scan_implILNS1_25lookback_scan_determinismE0ELb0ELb0ES3_PKS7_PS7_S7_ZZZN2at6native31launch_logcumsumexp_cuda_kernelERKNSE_10TensorBaseESI_lENKUlvE_clEvENKUlvE2_clEvEUlS7_S7_E_S7_EEDaPvRmT3_T4_T5_mT6_P12ihipStream_tbENKUlT_T0_E_clISt17integral_constantIbLb0EESZ_EEDaSU_SV_EUlSU_E0_NS1_11comp_targetILNS1_3genE5ELNS1_11target_archE942ELNS1_3gpuE9ELNS1_3repE0EEENS1_30default_config_static_selectorELNS0_4arch9wavefront6targetE0EEEvT1_.uses_flat_scratch, 0
	.set _ZN7rocprim17ROCPRIM_400000_NS6detail17trampoline_kernelINS0_14default_configENS1_20scan_config_selectorIN3c107complexIfEEEEZZNS1_9scan_implILNS1_25lookback_scan_determinismE0ELb0ELb0ES3_PKS7_PS7_S7_ZZZN2at6native31launch_logcumsumexp_cuda_kernelERKNSE_10TensorBaseESI_lENKUlvE_clEvENKUlvE2_clEvEUlS7_S7_E_S7_EEDaPvRmT3_T4_T5_mT6_P12ihipStream_tbENKUlT_T0_E_clISt17integral_constantIbLb0EESZ_EEDaSU_SV_EUlSU_E0_NS1_11comp_targetILNS1_3genE5ELNS1_11target_archE942ELNS1_3gpuE9ELNS1_3repE0EEENS1_30default_config_static_selectorELNS0_4arch9wavefront6targetE0EEEvT1_.has_dyn_sized_stack, 0
	.set _ZN7rocprim17ROCPRIM_400000_NS6detail17trampoline_kernelINS0_14default_configENS1_20scan_config_selectorIN3c107complexIfEEEEZZNS1_9scan_implILNS1_25lookback_scan_determinismE0ELb0ELb0ES3_PKS7_PS7_S7_ZZZN2at6native31launch_logcumsumexp_cuda_kernelERKNSE_10TensorBaseESI_lENKUlvE_clEvENKUlvE2_clEvEUlS7_S7_E_S7_EEDaPvRmT3_T4_T5_mT6_P12ihipStream_tbENKUlT_T0_E_clISt17integral_constantIbLb0EESZ_EEDaSU_SV_EUlSU_E0_NS1_11comp_targetILNS1_3genE5ELNS1_11target_archE942ELNS1_3gpuE9ELNS1_3repE0EEENS1_30default_config_static_selectorELNS0_4arch9wavefront6targetE0EEEvT1_.has_recursion, 0
	.set _ZN7rocprim17ROCPRIM_400000_NS6detail17trampoline_kernelINS0_14default_configENS1_20scan_config_selectorIN3c107complexIfEEEEZZNS1_9scan_implILNS1_25lookback_scan_determinismE0ELb0ELb0ES3_PKS7_PS7_S7_ZZZN2at6native31launch_logcumsumexp_cuda_kernelERKNSE_10TensorBaseESI_lENKUlvE_clEvENKUlvE2_clEvEUlS7_S7_E_S7_EEDaPvRmT3_T4_T5_mT6_P12ihipStream_tbENKUlT_T0_E_clISt17integral_constantIbLb0EESZ_EEDaSU_SV_EUlSU_E0_NS1_11comp_targetILNS1_3genE5ELNS1_11target_archE942ELNS1_3gpuE9ELNS1_3repE0EEENS1_30default_config_static_selectorELNS0_4arch9wavefront6targetE0EEEvT1_.has_indirect_call, 0
	.section	.AMDGPU.csdata,"",@progbits
; Kernel info:
; codeLenInByte = 0
; TotalNumSgprs: 0
; NumVgprs: 0
; ScratchSize: 0
; MemoryBound: 0
; FloatMode: 240
; IeeeMode: 1
; LDSByteSize: 0 bytes/workgroup (compile time only)
; SGPRBlocks: 0
; VGPRBlocks: 0
; NumSGPRsForWavesPerEU: 1
; NumVGPRsForWavesPerEU: 1
; Occupancy: 16
; WaveLimiterHint : 0
; COMPUTE_PGM_RSRC2:SCRATCH_EN: 0
; COMPUTE_PGM_RSRC2:USER_SGPR: 2
; COMPUTE_PGM_RSRC2:TRAP_HANDLER: 0
; COMPUTE_PGM_RSRC2:TGID_X_EN: 1
; COMPUTE_PGM_RSRC2:TGID_Y_EN: 0
; COMPUTE_PGM_RSRC2:TGID_Z_EN: 0
; COMPUTE_PGM_RSRC2:TIDIG_COMP_CNT: 0
	.section	.text._ZN7rocprim17ROCPRIM_400000_NS6detail17trampoline_kernelINS0_14default_configENS1_20scan_config_selectorIN3c107complexIfEEEEZZNS1_9scan_implILNS1_25lookback_scan_determinismE0ELb0ELb0ES3_PKS7_PS7_S7_ZZZN2at6native31launch_logcumsumexp_cuda_kernelERKNSE_10TensorBaseESI_lENKUlvE_clEvENKUlvE2_clEvEUlS7_S7_E_S7_EEDaPvRmT3_T4_T5_mT6_P12ihipStream_tbENKUlT_T0_E_clISt17integral_constantIbLb0EESZ_EEDaSU_SV_EUlSU_E0_NS1_11comp_targetILNS1_3genE4ELNS1_11target_archE910ELNS1_3gpuE8ELNS1_3repE0EEENS1_30default_config_static_selectorELNS0_4arch9wavefront6targetE0EEEvT1_,"axG",@progbits,_ZN7rocprim17ROCPRIM_400000_NS6detail17trampoline_kernelINS0_14default_configENS1_20scan_config_selectorIN3c107complexIfEEEEZZNS1_9scan_implILNS1_25lookback_scan_determinismE0ELb0ELb0ES3_PKS7_PS7_S7_ZZZN2at6native31launch_logcumsumexp_cuda_kernelERKNSE_10TensorBaseESI_lENKUlvE_clEvENKUlvE2_clEvEUlS7_S7_E_S7_EEDaPvRmT3_T4_T5_mT6_P12ihipStream_tbENKUlT_T0_E_clISt17integral_constantIbLb0EESZ_EEDaSU_SV_EUlSU_E0_NS1_11comp_targetILNS1_3genE4ELNS1_11target_archE910ELNS1_3gpuE8ELNS1_3repE0EEENS1_30default_config_static_selectorELNS0_4arch9wavefront6targetE0EEEvT1_,comdat
	.globl	_ZN7rocprim17ROCPRIM_400000_NS6detail17trampoline_kernelINS0_14default_configENS1_20scan_config_selectorIN3c107complexIfEEEEZZNS1_9scan_implILNS1_25lookback_scan_determinismE0ELb0ELb0ES3_PKS7_PS7_S7_ZZZN2at6native31launch_logcumsumexp_cuda_kernelERKNSE_10TensorBaseESI_lENKUlvE_clEvENKUlvE2_clEvEUlS7_S7_E_S7_EEDaPvRmT3_T4_T5_mT6_P12ihipStream_tbENKUlT_T0_E_clISt17integral_constantIbLb0EESZ_EEDaSU_SV_EUlSU_E0_NS1_11comp_targetILNS1_3genE4ELNS1_11target_archE910ELNS1_3gpuE8ELNS1_3repE0EEENS1_30default_config_static_selectorELNS0_4arch9wavefront6targetE0EEEvT1_ ; -- Begin function _ZN7rocprim17ROCPRIM_400000_NS6detail17trampoline_kernelINS0_14default_configENS1_20scan_config_selectorIN3c107complexIfEEEEZZNS1_9scan_implILNS1_25lookback_scan_determinismE0ELb0ELb0ES3_PKS7_PS7_S7_ZZZN2at6native31launch_logcumsumexp_cuda_kernelERKNSE_10TensorBaseESI_lENKUlvE_clEvENKUlvE2_clEvEUlS7_S7_E_S7_EEDaPvRmT3_T4_T5_mT6_P12ihipStream_tbENKUlT_T0_E_clISt17integral_constantIbLb0EESZ_EEDaSU_SV_EUlSU_E0_NS1_11comp_targetILNS1_3genE4ELNS1_11target_archE910ELNS1_3gpuE8ELNS1_3repE0EEENS1_30default_config_static_selectorELNS0_4arch9wavefront6targetE0EEEvT1_
	.p2align	8
	.type	_ZN7rocprim17ROCPRIM_400000_NS6detail17trampoline_kernelINS0_14default_configENS1_20scan_config_selectorIN3c107complexIfEEEEZZNS1_9scan_implILNS1_25lookback_scan_determinismE0ELb0ELb0ES3_PKS7_PS7_S7_ZZZN2at6native31launch_logcumsumexp_cuda_kernelERKNSE_10TensorBaseESI_lENKUlvE_clEvENKUlvE2_clEvEUlS7_S7_E_S7_EEDaPvRmT3_T4_T5_mT6_P12ihipStream_tbENKUlT_T0_E_clISt17integral_constantIbLb0EESZ_EEDaSU_SV_EUlSU_E0_NS1_11comp_targetILNS1_3genE4ELNS1_11target_archE910ELNS1_3gpuE8ELNS1_3repE0EEENS1_30default_config_static_selectorELNS0_4arch9wavefront6targetE0EEEvT1_,@function
_ZN7rocprim17ROCPRIM_400000_NS6detail17trampoline_kernelINS0_14default_configENS1_20scan_config_selectorIN3c107complexIfEEEEZZNS1_9scan_implILNS1_25lookback_scan_determinismE0ELb0ELb0ES3_PKS7_PS7_S7_ZZZN2at6native31launch_logcumsumexp_cuda_kernelERKNSE_10TensorBaseESI_lENKUlvE_clEvENKUlvE2_clEvEUlS7_S7_E_S7_EEDaPvRmT3_T4_T5_mT6_P12ihipStream_tbENKUlT_T0_E_clISt17integral_constantIbLb0EESZ_EEDaSU_SV_EUlSU_E0_NS1_11comp_targetILNS1_3genE4ELNS1_11target_archE910ELNS1_3gpuE8ELNS1_3repE0EEENS1_30default_config_static_selectorELNS0_4arch9wavefront6targetE0EEEvT1_: ; @_ZN7rocprim17ROCPRIM_400000_NS6detail17trampoline_kernelINS0_14default_configENS1_20scan_config_selectorIN3c107complexIfEEEEZZNS1_9scan_implILNS1_25lookback_scan_determinismE0ELb0ELb0ES3_PKS7_PS7_S7_ZZZN2at6native31launch_logcumsumexp_cuda_kernelERKNSE_10TensorBaseESI_lENKUlvE_clEvENKUlvE2_clEvEUlS7_S7_E_S7_EEDaPvRmT3_T4_T5_mT6_P12ihipStream_tbENKUlT_T0_E_clISt17integral_constantIbLb0EESZ_EEDaSU_SV_EUlSU_E0_NS1_11comp_targetILNS1_3genE4ELNS1_11target_archE910ELNS1_3gpuE8ELNS1_3repE0EEENS1_30default_config_static_selectorELNS0_4arch9wavefront6targetE0EEEvT1_
; %bb.0:
	.section	.rodata,"a",@progbits
	.p2align	6, 0x0
	.amdhsa_kernel _ZN7rocprim17ROCPRIM_400000_NS6detail17trampoline_kernelINS0_14default_configENS1_20scan_config_selectorIN3c107complexIfEEEEZZNS1_9scan_implILNS1_25lookback_scan_determinismE0ELb0ELb0ES3_PKS7_PS7_S7_ZZZN2at6native31launch_logcumsumexp_cuda_kernelERKNSE_10TensorBaseESI_lENKUlvE_clEvENKUlvE2_clEvEUlS7_S7_E_S7_EEDaPvRmT3_T4_T5_mT6_P12ihipStream_tbENKUlT_T0_E_clISt17integral_constantIbLb0EESZ_EEDaSU_SV_EUlSU_E0_NS1_11comp_targetILNS1_3genE4ELNS1_11target_archE910ELNS1_3gpuE8ELNS1_3repE0EEENS1_30default_config_static_selectorELNS0_4arch9wavefront6targetE0EEEvT1_
		.amdhsa_group_segment_fixed_size 0
		.amdhsa_private_segment_fixed_size 0
		.amdhsa_kernarg_size 40
		.amdhsa_user_sgpr_count 2
		.amdhsa_user_sgpr_dispatch_ptr 0
		.amdhsa_user_sgpr_queue_ptr 0
		.amdhsa_user_sgpr_kernarg_segment_ptr 1
		.amdhsa_user_sgpr_dispatch_id 0
		.amdhsa_user_sgpr_private_segment_size 0
		.amdhsa_wavefront_size32 1
		.amdhsa_uses_dynamic_stack 0
		.amdhsa_enable_private_segment 0
		.amdhsa_system_sgpr_workgroup_id_x 1
		.amdhsa_system_sgpr_workgroup_id_y 0
		.amdhsa_system_sgpr_workgroup_id_z 0
		.amdhsa_system_sgpr_workgroup_info 0
		.amdhsa_system_vgpr_workitem_id 0
		.amdhsa_next_free_vgpr 1
		.amdhsa_next_free_sgpr 1
		.amdhsa_reserve_vcc 0
		.amdhsa_float_round_mode_32 0
		.amdhsa_float_round_mode_16_64 0
		.amdhsa_float_denorm_mode_32 3
		.amdhsa_float_denorm_mode_16_64 3
		.amdhsa_fp16_overflow 0
		.amdhsa_workgroup_processor_mode 1
		.amdhsa_memory_ordered 1
		.amdhsa_forward_progress 1
		.amdhsa_inst_pref_size 0
		.amdhsa_round_robin_scheduling 0
		.amdhsa_exception_fp_ieee_invalid_op 0
		.amdhsa_exception_fp_denorm_src 0
		.amdhsa_exception_fp_ieee_div_zero 0
		.amdhsa_exception_fp_ieee_overflow 0
		.amdhsa_exception_fp_ieee_underflow 0
		.amdhsa_exception_fp_ieee_inexact 0
		.amdhsa_exception_int_div_zero 0
	.end_amdhsa_kernel
	.section	.text._ZN7rocprim17ROCPRIM_400000_NS6detail17trampoline_kernelINS0_14default_configENS1_20scan_config_selectorIN3c107complexIfEEEEZZNS1_9scan_implILNS1_25lookback_scan_determinismE0ELb0ELb0ES3_PKS7_PS7_S7_ZZZN2at6native31launch_logcumsumexp_cuda_kernelERKNSE_10TensorBaseESI_lENKUlvE_clEvENKUlvE2_clEvEUlS7_S7_E_S7_EEDaPvRmT3_T4_T5_mT6_P12ihipStream_tbENKUlT_T0_E_clISt17integral_constantIbLb0EESZ_EEDaSU_SV_EUlSU_E0_NS1_11comp_targetILNS1_3genE4ELNS1_11target_archE910ELNS1_3gpuE8ELNS1_3repE0EEENS1_30default_config_static_selectorELNS0_4arch9wavefront6targetE0EEEvT1_,"axG",@progbits,_ZN7rocprim17ROCPRIM_400000_NS6detail17trampoline_kernelINS0_14default_configENS1_20scan_config_selectorIN3c107complexIfEEEEZZNS1_9scan_implILNS1_25lookback_scan_determinismE0ELb0ELb0ES3_PKS7_PS7_S7_ZZZN2at6native31launch_logcumsumexp_cuda_kernelERKNSE_10TensorBaseESI_lENKUlvE_clEvENKUlvE2_clEvEUlS7_S7_E_S7_EEDaPvRmT3_T4_T5_mT6_P12ihipStream_tbENKUlT_T0_E_clISt17integral_constantIbLb0EESZ_EEDaSU_SV_EUlSU_E0_NS1_11comp_targetILNS1_3genE4ELNS1_11target_archE910ELNS1_3gpuE8ELNS1_3repE0EEENS1_30default_config_static_selectorELNS0_4arch9wavefront6targetE0EEEvT1_,comdat
.Lfunc_end283:
	.size	_ZN7rocprim17ROCPRIM_400000_NS6detail17trampoline_kernelINS0_14default_configENS1_20scan_config_selectorIN3c107complexIfEEEEZZNS1_9scan_implILNS1_25lookback_scan_determinismE0ELb0ELb0ES3_PKS7_PS7_S7_ZZZN2at6native31launch_logcumsumexp_cuda_kernelERKNSE_10TensorBaseESI_lENKUlvE_clEvENKUlvE2_clEvEUlS7_S7_E_S7_EEDaPvRmT3_T4_T5_mT6_P12ihipStream_tbENKUlT_T0_E_clISt17integral_constantIbLb0EESZ_EEDaSU_SV_EUlSU_E0_NS1_11comp_targetILNS1_3genE4ELNS1_11target_archE910ELNS1_3gpuE8ELNS1_3repE0EEENS1_30default_config_static_selectorELNS0_4arch9wavefront6targetE0EEEvT1_, .Lfunc_end283-_ZN7rocprim17ROCPRIM_400000_NS6detail17trampoline_kernelINS0_14default_configENS1_20scan_config_selectorIN3c107complexIfEEEEZZNS1_9scan_implILNS1_25lookback_scan_determinismE0ELb0ELb0ES3_PKS7_PS7_S7_ZZZN2at6native31launch_logcumsumexp_cuda_kernelERKNSE_10TensorBaseESI_lENKUlvE_clEvENKUlvE2_clEvEUlS7_S7_E_S7_EEDaPvRmT3_T4_T5_mT6_P12ihipStream_tbENKUlT_T0_E_clISt17integral_constantIbLb0EESZ_EEDaSU_SV_EUlSU_E0_NS1_11comp_targetILNS1_3genE4ELNS1_11target_archE910ELNS1_3gpuE8ELNS1_3repE0EEENS1_30default_config_static_selectorELNS0_4arch9wavefront6targetE0EEEvT1_
                                        ; -- End function
	.set _ZN7rocprim17ROCPRIM_400000_NS6detail17trampoline_kernelINS0_14default_configENS1_20scan_config_selectorIN3c107complexIfEEEEZZNS1_9scan_implILNS1_25lookback_scan_determinismE0ELb0ELb0ES3_PKS7_PS7_S7_ZZZN2at6native31launch_logcumsumexp_cuda_kernelERKNSE_10TensorBaseESI_lENKUlvE_clEvENKUlvE2_clEvEUlS7_S7_E_S7_EEDaPvRmT3_T4_T5_mT6_P12ihipStream_tbENKUlT_T0_E_clISt17integral_constantIbLb0EESZ_EEDaSU_SV_EUlSU_E0_NS1_11comp_targetILNS1_3genE4ELNS1_11target_archE910ELNS1_3gpuE8ELNS1_3repE0EEENS1_30default_config_static_selectorELNS0_4arch9wavefront6targetE0EEEvT1_.num_vgpr, 0
	.set _ZN7rocprim17ROCPRIM_400000_NS6detail17trampoline_kernelINS0_14default_configENS1_20scan_config_selectorIN3c107complexIfEEEEZZNS1_9scan_implILNS1_25lookback_scan_determinismE0ELb0ELb0ES3_PKS7_PS7_S7_ZZZN2at6native31launch_logcumsumexp_cuda_kernelERKNSE_10TensorBaseESI_lENKUlvE_clEvENKUlvE2_clEvEUlS7_S7_E_S7_EEDaPvRmT3_T4_T5_mT6_P12ihipStream_tbENKUlT_T0_E_clISt17integral_constantIbLb0EESZ_EEDaSU_SV_EUlSU_E0_NS1_11comp_targetILNS1_3genE4ELNS1_11target_archE910ELNS1_3gpuE8ELNS1_3repE0EEENS1_30default_config_static_selectorELNS0_4arch9wavefront6targetE0EEEvT1_.num_agpr, 0
	.set _ZN7rocprim17ROCPRIM_400000_NS6detail17trampoline_kernelINS0_14default_configENS1_20scan_config_selectorIN3c107complexIfEEEEZZNS1_9scan_implILNS1_25lookback_scan_determinismE0ELb0ELb0ES3_PKS7_PS7_S7_ZZZN2at6native31launch_logcumsumexp_cuda_kernelERKNSE_10TensorBaseESI_lENKUlvE_clEvENKUlvE2_clEvEUlS7_S7_E_S7_EEDaPvRmT3_T4_T5_mT6_P12ihipStream_tbENKUlT_T0_E_clISt17integral_constantIbLb0EESZ_EEDaSU_SV_EUlSU_E0_NS1_11comp_targetILNS1_3genE4ELNS1_11target_archE910ELNS1_3gpuE8ELNS1_3repE0EEENS1_30default_config_static_selectorELNS0_4arch9wavefront6targetE0EEEvT1_.numbered_sgpr, 0
	.set _ZN7rocprim17ROCPRIM_400000_NS6detail17trampoline_kernelINS0_14default_configENS1_20scan_config_selectorIN3c107complexIfEEEEZZNS1_9scan_implILNS1_25lookback_scan_determinismE0ELb0ELb0ES3_PKS7_PS7_S7_ZZZN2at6native31launch_logcumsumexp_cuda_kernelERKNSE_10TensorBaseESI_lENKUlvE_clEvENKUlvE2_clEvEUlS7_S7_E_S7_EEDaPvRmT3_T4_T5_mT6_P12ihipStream_tbENKUlT_T0_E_clISt17integral_constantIbLb0EESZ_EEDaSU_SV_EUlSU_E0_NS1_11comp_targetILNS1_3genE4ELNS1_11target_archE910ELNS1_3gpuE8ELNS1_3repE0EEENS1_30default_config_static_selectorELNS0_4arch9wavefront6targetE0EEEvT1_.num_named_barrier, 0
	.set _ZN7rocprim17ROCPRIM_400000_NS6detail17trampoline_kernelINS0_14default_configENS1_20scan_config_selectorIN3c107complexIfEEEEZZNS1_9scan_implILNS1_25lookback_scan_determinismE0ELb0ELb0ES3_PKS7_PS7_S7_ZZZN2at6native31launch_logcumsumexp_cuda_kernelERKNSE_10TensorBaseESI_lENKUlvE_clEvENKUlvE2_clEvEUlS7_S7_E_S7_EEDaPvRmT3_T4_T5_mT6_P12ihipStream_tbENKUlT_T0_E_clISt17integral_constantIbLb0EESZ_EEDaSU_SV_EUlSU_E0_NS1_11comp_targetILNS1_3genE4ELNS1_11target_archE910ELNS1_3gpuE8ELNS1_3repE0EEENS1_30default_config_static_selectorELNS0_4arch9wavefront6targetE0EEEvT1_.private_seg_size, 0
	.set _ZN7rocprim17ROCPRIM_400000_NS6detail17trampoline_kernelINS0_14default_configENS1_20scan_config_selectorIN3c107complexIfEEEEZZNS1_9scan_implILNS1_25lookback_scan_determinismE0ELb0ELb0ES3_PKS7_PS7_S7_ZZZN2at6native31launch_logcumsumexp_cuda_kernelERKNSE_10TensorBaseESI_lENKUlvE_clEvENKUlvE2_clEvEUlS7_S7_E_S7_EEDaPvRmT3_T4_T5_mT6_P12ihipStream_tbENKUlT_T0_E_clISt17integral_constantIbLb0EESZ_EEDaSU_SV_EUlSU_E0_NS1_11comp_targetILNS1_3genE4ELNS1_11target_archE910ELNS1_3gpuE8ELNS1_3repE0EEENS1_30default_config_static_selectorELNS0_4arch9wavefront6targetE0EEEvT1_.uses_vcc, 0
	.set _ZN7rocprim17ROCPRIM_400000_NS6detail17trampoline_kernelINS0_14default_configENS1_20scan_config_selectorIN3c107complexIfEEEEZZNS1_9scan_implILNS1_25lookback_scan_determinismE0ELb0ELb0ES3_PKS7_PS7_S7_ZZZN2at6native31launch_logcumsumexp_cuda_kernelERKNSE_10TensorBaseESI_lENKUlvE_clEvENKUlvE2_clEvEUlS7_S7_E_S7_EEDaPvRmT3_T4_T5_mT6_P12ihipStream_tbENKUlT_T0_E_clISt17integral_constantIbLb0EESZ_EEDaSU_SV_EUlSU_E0_NS1_11comp_targetILNS1_3genE4ELNS1_11target_archE910ELNS1_3gpuE8ELNS1_3repE0EEENS1_30default_config_static_selectorELNS0_4arch9wavefront6targetE0EEEvT1_.uses_flat_scratch, 0
	.set _ZN7rocprim17ROCPRIM_400000_NS6detail17trampoline_kernelINS0_14default_configENS1_20scan_config_selectorIN3c107complexIfEEEEZZNS1_9scan_implILNS1_25lookback_scan_determinismE0ELb0ELb0ES3_PKS7_PS7_S7_ZZZN2at6native31launch_logcumsumexp_cuda_kernelERKNSE_10TensorBaseESI_lENKUlvE_clEvENKUlvE2_clEvEUlS7_S7_E_S7_EEDaPvRmT3_T4_T5_mT6_P12ihipStream_tbENKUlT_T0_E_clISt17integral_constantIbLb0EESZ_EEDaSU_SV_EUlSU_E0_NS1_11comp_targetILNS1_3genE4ELNS1_11target_archE910ELNS1_3gpuE8ELNS1_3repE0EEENS1_30default_config_static_selectorELNS0_4arch9wavefront6targetE0EEEvT1_.has_dyn_sized_stack, 0
	.set _ZN7rocprim17ROCPRIM_400000_NS6detail17trampoline_kernelINS0_14default_configENS1_20scan_config_selectorIN3c107complexIfEEEEZZNS1_9scan_implILNS1_25lookback_scan_determinismE0ELb0ELb0ES3_PKS7_PS7_S7_ZZZN2at6native31launch_logcumsumexp_cuda_kernelERKNSE_10TensorBaseESI_lENKUlvE_clEvENKUlvE2_clEvEUlS7_S7_E_S7_EEDaPvRmT3_T4_T5_mT6_P12ihipStream_tbENKUlT_T0_E_clISt17integral_constantIbLb0EESZ_EEDaSU_SV_EUlSU_E0_NS1_11comp_targetILNS1_3genE4ELNS1_11target_archE910ELNS1_3gpuE8ELNS1_3repE0EEENS1_30default_config_static_selectorELNS0_4arch9wavefront6targetE0EEEvT1_.has_recursion, 0
	.set _ZN7rocprim17ROCPRIM_400000_NS6detail17trampoline_kernelINS0_14default_configENS1_20scan_config_selectorIN3c107complexIfEEEEZZNS1_9scan_implILNS1_25lookback_scan_determinismE0ELb0ELb0ES3_PKS7_PS7_S7_ZZZN2at6native31launch_logcumsumexp_cuda_kernelERKNSE_10TensorBaseESI_lENKUlvE_clEvENKUlvE2_clEvEUlS7_S7_E_S7_EEDaPvRmT3_T4_T5_mT6_P12ihipStream_tbENKUlT_T0_E_clISt17integral_constantIbLb0EESZ_EEDaSU_SV_EUlSU_E0_NS1_11comp_targetILNS1_3genE4ELNS1_11target_archE910ELNS1_3gpuE8ELNS1_3repE0EEENS1_30default_config_static_selectorELNS0_4arch9wavefront6targetE0EEEvT1_.has_indirect_call, 0
	.section	.AMDGPU.csdata,"",@progbits
; Kernel info:
; codeLenInByte = 0
; TotalNumSgprs: 0
; NumVgprs: 0
; ScratchSize: 0
; MemoryBound: 0
; FloatMode: 240
; IeeeMode: 1
; LDSByteSize: 0 bytes/workgroup (compile time only)
; SGPRBlocks: 0
; VGPRBlocks: 0
; NumSGPRsForWavesPerEU: 1
; NumVGPRsForWavesPerEU: 1
; Occupancy: 16
; WaveLimiterHint : 0
; COMPUTE_PGM_RSRC2:SCRATCH_EN: 0
; COMPUTE_PGM_RSRC2:USER_SGPR: 2
; COMPUTE_PGM_RSRC2:TRAP_HANDLER: 0
; COMPUTE_PGM_RSRC2:TGID_X_EN: 1
; COMPUTE_PGM_RSRC2:TGID_Y_EN: 0
; COMPUTE_PGM_RSRC2:TGID_Z_EN: 0
; COMPUTE_PGM_RSRC2:TIDIG_COMP_CNT: 0
	.section	.text._ZN7rocprim17ROCPRIM_400000_NS6detail17trampoline_kernelINS0_14default_configENS1_20scan_config_selectorIN3c107complexIfEEEEZZNS1_9scan_implILNS1_25lookback_scan_determinismE0ELb0ELb0ES3_PKS7_PS7_S7_ZZZN2at6native31launch_logcumsumexp_cuda_kernelERKNSE_10TensorBaseESI_lENKUlvE_clEvENKUlvE2_clEvEUlS7_S7_E_S7_EEDaPvRmT3_T4_T5_mT6_P12ihipStream_tbENKUlT_T0_E_clISt17integral_constantIbLb0EESZ_EEDaSU_SV_EUlSU_E0_NS1_11comp_targetILNS1_3genE3ELNS1_11target_archE908ELNS1_3gpuE7ELNS1_3repE0EEENS1_30default_config_static_selectorELNS0_4arch9wavefront6targetE0EEEvT1_,"axG",@progbits,_ZN7rocprim17ROCPRIM_400000_NS6detail17trampoline_kernelINS0_14default_configENS1_20scan_config_selectorIN3c107complexIfEEEEZZNS1_9scan_implILNS1_25lookback_scan_determinismE0ELb0ELb0ES3_PKS7_PS7_S7_ZZZN2at6native31launch_logcumsumexp_cuda_kernelERKNSE_10TensorBaseESI_lENKUlvE_clEvENKUlvE2_clEvEUlS7_S7_E_S7_EEDaPvRmT3_T4_T5_mT6_P12ihipStream_tbENKUlT_T0_E_clISt17integral_constantIbLb0EESZ_EEDaSU_SV_EUlSU_E0_NS1_11comp_targetILNS1_3genE3ELNS1_11target_archE908ELNS1_3gpuE7ELNS1_3repE0EEENS1_30default_config_static_selectorELNS0_4arch9wavefront6targetE0EEEvT1_,comdat
	.globl	_ZN7rocprim17ROCPRIM_400000_NS6detail17trampoline_kernelINS0_14default_configENS1_20scan_config_selectorIN3c107complexIfEEEEZZNS1_9scan_implILNS1_25lookback_scan_determinismE0ELb0ELb0ES3_PKS7_PS7_S7_ZZZN2at6native31launch_logcumsumexp_cuda_kernelERKNSE_10TensorBaseESI_lENKUlvE_clEvENKUlvE2_clEvEUlS7_S7_E_S7_EEDaPvRmT3_T4_T5_mT6_P12ihipStream_tbENKUlT_T0_E_clISt17integral_constantIbLb0EESZ_EEDaSU_SV_EUlSU_E0_NS1_11comp_targetILNS1_3genE3ELNS1_11target_archE908ELNS1_3gpuE7ELNS1_3repE0EEENS1_30default_config_static_selectorELNS0_4arch9wavefront6targetE0EEEvT1_ ; -- Begin function _ZN7rocprim17ROCPRIM_400000_NS6detail17trampoline_kernelINS0_14default_configENS1_20scan_config_selectorIN3c107complexIfEEEEZZNS1_9scan_implILNS1_25lookback_scan_determinismE0ELb0ELb0ES3_PKS7_PS7_S7_ZZZN2at6native31launch_logcumsumexp_cuda_kernelERKNSE_10TensorBaseESI_lENKUlvE_clEvENKUlvE2_clEvEUlS7_S7_E_S7_EEDaPvRmT3_T4_T5_mT6_P12ihipStream_tbENKUlT_T0_E_clISt17integral_constantIbLb0EESZ_EEDaSU_SV_EUlSU_E0_NS1_11comp_targetILNS1_3genE3ELNS1_11target_archE908ELNS1_3gpuE7ELNS1_3repE0EEENS1_30default_config_static_selectorELNS0_4arch9wavefront6targetE0EEEvT1_
	.p2align	8
	.type	_ZN7rocprim17ROCPRIM_400000_NS6detail17trampoline_kernelINS0_14default_configENS1_20scan_config_selectorIN3c107complexIfEEEEZZNS1_9scan_implILNS1_25lookback_scan_determinismE0ELb0ELb0ES3_PKS7_PS7_S7_ZZZN2at6native31launch_logcumsumexp_cuda_kernelERKNSE_10TensorBaseESI_lENKUlvE_clEvENKUlvE2_clEvEUlS7_S7_E_S7_EEDaPvRmT3_T4_T5_mT6_P12ihipStream_tbENKUlT_T0_E_clISt17integral_constantIbLb0EESZ_EEDaSU_SV_EUlSU_E0_NS1_11comp_targetILNS1_3genE3ELNS1_11target_archE908ELNS1_3gpuE7ELNS1_3repE0EEENS1_30default_config_static_selectorELNS0_4arch9wavefront6targetE0EEEvT1_,@function
_ZN7rocprim17ROCPRIM_400000_NS6detail17trampoline_kernelINS0_14default_configENS1_20scan_config_selectorIN3c107complexIfEEEEZZNS1_9scan_implILNS1_25lookback_scan_determinismE0ELb0ELb0ES3_PKS7_PS7_S7_ZZZN2at6native31launch_logcumsumexp_cuda_kernelERKNSE_10TensorBaseESI_lENKUlvE_clEvENKUlvE2_clEvEUlS7_S7_E_S7_EEDaPvRmT3_T4_T5_mT6_P12ihipStream_tbENKUlT_T0_E_clISt17integral_constantIbLb0EESZ_EEDaSU_SV_EUlSU_E0_NS1_11comp_targetILNS1_3genE3ELNS1_11target_archE908ELNS1_3gpuE7ELNS1_3repE0EEENS1_30default_config_static_selectorELNS0_4arch9wavefront6targetE0EEEvT1_: ; @_ZN7rocprim17ROCPRIM_400000_NS6detail17trampoline_kernelINS0_14default_configENS1_20scan_config_selectorIN3c107complexIfEEEEZZNS1_9scan_implILNS1_25lookback_scan_determinismE0ELb0ELb0ES3_PKS7_PS7_S7_ZZZN2at6native31launch_logcumsumexp_cuda_kernelERKNSE_10TensorBaseESI_lENKUlvE_clEvENKUlvE2_clEvEUlS7_S7_E_S7_EEDaPvRmT3_T4_T5_mT6_P12ihipStream_tbENKUlT_T0_E_clISt17integral_constantIbLb0EESZ_EEDaSU_SV_EUlSU_E0_NS1_11comp_targetILNS1_3genE3ELNS1_11target_archE908ELNS1_3gpuE7ELNS1_3repE0EEENS1_30default_config_static_selectorELNS0_4arch9wavefront6targetE0EEEvT1_
; %bb.0:
	.section	.rodata,"a",@progbits
	.p2align	6, 0x0
	.amdhsa_kernel _ZN7rocprim17ROCPRIM_400000_NS6detail17trampoline_kernelINS0_14default_configENS1_20scan_config_selectorIN3c107complexIfEEEEZZNS1_9scan_implILNS1_25lookback_scan_determinismE0ELb0ELb0ES3_PKS7_PS7_S7_ZZZN2at6native31launch_logcumsumexp_cuda_kernelERKNSE_10TensorBaseESI_lENKUlvE_clEvENKUlvE2_clEvEUlS7_S7_E_S7_EEDaPvRmT3_T4_T5_mT6_P12ihipStream_tbENKUlT_T0_E_clISt17integral_constantIbLb0EESZ_EEDaSU_SV_EUlSU_E0_NS1_11comp_targetILNS1_3genE3ELNS1_11target_archE908ELNS1_3gpuE7ELNS1_3repE0EEENS1_30default_config_static_selectorELNS0_4arch9wavefront6targetE0EEEvT1_
		.amdhsa_group_segment_fixed_size 0
		.amdhsa_private_segment_fixed_size 0
		.amdhsa_kernarg_size 40
		.amdhsa_user_sgpr_count 2
		.amdhsa_user_sgpr_dispatch_ptr 0
		.amdhsa_user_sgpr_queue_ptr 0
		.amdhsa_user_sgpr_kernarg_segment_ptr 1
		.amdhsa_user_sgpr_dispatch_id 0
		.amdhsa_user_sgpr_private_segment_size 0
		.amdhsa_wavefront_size32 1
		.amdhsa_uses_dynamic_stack 0
		.amdhsa_enable_private_segment 0
		.amdhsa_system_sgpr_workgroup_id_x 1
		.amdhsa_system_sgpr_workgroup_id_y 0
		.amdhsa_system_sgpr_workgroup_id_z 0
		.amdhsa_system_sgpr_workgroup_info 0
		.amdhsa_system_vgpr_workitem_id 0
		.amdhsa_next_free_vgpr 1
		.amdhsa_next_free_sgpr 1
		.amdhsa_reserve_vcc 0
		.amdhsa_float_round_mode_32 0
		.amdhsa_float_round_mode_16_64 0
		.amdhsa_float_denorm_mode_32 3
		.amdhsa_float_denorm_mode_16_64 3
		.amdhsa_fp16_overflow 0
		.amdhsa_workgroup_processor_mode 1
		.amdhsa_memory_ordered 1
		.amdhsa_forward_progress 1
		.amdhsa_inst_pref_size 0
		.amdhsa_round_robin_scheduling 0
		.amdhsa_exception_fp_ieee_invalid_op 0
		.amdhsa_exception_fp_denorm_src 0
		.amdhsa_exception_fp_ieee_div_zero 0
		.amdhsa_exception_fp_ieee_overflow 0
		.amdhsa_exception_fp_ieee_underflow 0
		.amdhsa_exception_fp_ieee_inexact 0
		.amdhsa_exception_int_div_zero 0
	.end_amdhsa_kernel
	.section	.text._ZN7rocprim17ROCPRIM_400000_NS6detail17trampoline_kernelINS0_14default_configENS1_20scan_config_selectorIN3c107complexIfEEEEZZNS1_9scan_implILNS1_25lookback_scan_determinismE0ELb0ELb0ES3_PKS7_PS7_S7_ZZZN2at6native31launch_logcumsumexp_cuda_kernelERKNSE_10TensorBaseESI_lENKUlvE_clEvENKUlvE2_clEvEUlS7_S7_E_S7_EEDaPvRmT3_T4_T5_mT6_P12ihipStream_tbENKUlT_T0_E_clISt17integral_constantIbLb0EESZ_EEDaSU_SV_EUlSU_E0_NS1_11comp_targetILNS1_3genE3ELNS1_11target_archE908ELNS1_3gpuE7ELNS1_3repE0EEENS1_30default_config_static_selectorELNS0_4arch9wavefront6targetE0EEEvT1_,"axG",@progbits,_ZN7rocprim17ROCPRIM_400000_NS6detail17trampoline_kernelINS0_14default_configENS1_20scan_config_selectorIN3c107complexIfEEEEZZNS1_9scan_implILNS1_25lookback_scan_determinismE0ELb0ELb0ES3_PKS7_PS7_S7_ZZZN2at6native31launch_logcumsumexp_cuda_kernelERKNSE_10TensorBaseESI_lENKUlvE_clEvENKUlvE2_clEvEUlS7_S7_E_S7_EEDaPvRmT3_T4_T5_mT6_P12ihipStream_tbENKUlT_T0_E_clISt17integral_constantIbLb0EESZ_EEDaSU_SV_EUlSU_E0_NS1_11comp_targetILNS1_3genE3ELNS1_11target_archE908ELNS1_3gpuE7ELNS1_3repE0EEENS1_30default_config_static_selectorELNS0_4arch9wavefront6targetE0EEEvT1_,comdat
.Lfunc_end284:
	.size	_ZN7rocprim17ROCPRIM_400000_NS6detail17trampoline_kernelINS0_14default_configENS1_20scan_config_selectorIN3c107complexIfEEEEZZNS1_9scan_implILNS1_25lookback_scan_determinismE0ELb0ELb0ES3_PKS7_PS7_S7_ZZZN2at6native31launch_logcumsumexp_cuda_kernelERKNSE_10TensorBaseESI_lENKUlvE_clEvENKUlvE2_clEvEUlS7_S7_E_S7_EEDaPvRmT3_T4_T5_mT6_P12ihipStream_tbENKUlT_T0_E_clISt17integral_constantIbLb0EESZ_EEDaSU_SV_EUlSU_E0_NS1_11comp_targetILNS1_3genE3ELNS1_11target_archE908ELNS1_3gpuE7ELNS1_3repE0EEENS1_30default_config_static_selectorELNS0_4arch9wavefront6targetE0EEEvT1_, .Lfunc_end284-_ZN7rocprim17ROCPRIM_400000_NS6detail17trampoline_kernelINS0_14default_configENS1_20scan_config_selectorIN3c107complexIfEEEEZZNS1_9scan_implILNS1_25lookback_scan_determinismE0ELb0ELb0ES3_PKS7_PS7_S7_ZZZN2at6native31launch_logcumsumexp_cuda_kernelERKNSE_10TensorBaseESI_lENKUlvE_clEvENKUlvE2_clEvEUlS7_S7_E_S7_EEDaPvRmT3_T4_T5_mT6_P12ihipStream_tbENKUlT_T0_E_clISt17integral_constantIbLb0EESZ_EEDaSU_SV_EUlSU_E0_NS1_11comp_targetILNS1_3genE3ELNS1_11target_archE908ELNS1_3gpuE7ELNS1_3repE0EEENS1_30default_config_static_selectorELNS0_4arch9wavefront6targetE0EEEvT1_
                                        ; -- End function
	.set _ZN7rocprim17ROCPRIM_400000_NS6detail17trampoline_kernelINS0_14default_configENS1_20scan_config_selectorIN3c107complexIfEEEEZZNS1_9scan_implILNS1_25lookback_scan_determinismE0ELb0ELb0ES3_PKS7_PS7_S7_ZZZN2at6native31launch_logcumsumexp_cuda_kernelERKNSE_10TensorBaseESI_lENKUlvE_clEvENKUlvE2_clEvEUlS7_S7_E_S7_EEDaPvRmT3_T4_T5_mT6_P12ihipStream_tbENKUlT_T0_E_clISt17integral_constantIbLb0EESZ_EEDaSU_SV_EUlSU_E0_NS1_11comp_targetILNS1_3genE3ELNS1_11target_archE908ELNS1_3gpuE7ELNS1_3repE0EEENS1_30default_config_static_selectorELNS0_4arch9wavefront6targetE0EEEvT1_.num_vgpr, 0
	.set _ZN7rocprim17ROCPRIM_400000_NS6detail17trampoline_kernelINS0_14default_configENS1_20scan_config_selectorIN3c107complexIfEEEEZZNS1_9scan_implILNS1_25lookback_scan_determinismE0ELb0ELb0ES3_PKS7_PS7_S7_ZZZN2at6native31launch_logcumsumexp_cuda_kernelERKNSE_10TensorBaseESI_lENKUlvE_clEvENKUlvE2_clEvEUlS7_S7_E_S7_EEDaPvRmT3_T4_T5_mT6_P12ihipStream_tbENKUlT_T0_E_clISt17integral_constantIbLb0EESZ_EEDaSU_SV_EUlSU_E0_NS1_11comp_targetILNS1_3genE3ELNS1_11target_archE908ELNS1_3gpuE7ELNS1_3repE0EEENS1_30default_config_static_selectorELNS0_4arch9wavefront6targetE0EEEvT1_.num_agpr, 0
	.set _ZN7rocprim17ROCPRIM_400000_NS6detail17trampoline_kernelINS0_14default_configENS1_20scan_config_selectorIN3c107complexIfEEEEZZNS1_9scan_implILNS1_25lookback_scan_determinismE0ELb0ELb0ES3_PKS7_PS7_S7_ZZZN2at6native31launch_logcumsumexp_cuda_kernelERKNSE_10TensorBaseESI_lENKUlvE_clEvENKUlvE2_clEvEUlS7_S7_E_S7_EEDaPvRmT3_T4_T5_mT6_P12ihipStream_tbENKUlT_T0_E_clISt17integral_constantIbLb0EESZ_EEDaSU_SV_EUlSU_E0_NS1_11comp_targetILNS1_3genE3ELNS1_11target_archE908ELNS1_3gpuE7ELNS1_3repE0EEENS1_30default_config_static_selectorELNS0_4arch9wavefront6targetE0EEEvT1_.numbered_sgpr, 0
	.set _ZN7rocprim17ROCPRIM_400000_NS6detail17trampoline_kernelINS0_14default_configENS1_20scan_config_selectorIN3c107complexIfEEEEZZNS1_9scan_implILNS1_25lookback_scan_determinismE0ELb0ELb0ES3_PKS7_PS7_S7_ZZZN2at6native31launch_logcumsumexp_cuda_kernelERKNSE_10TensorBaseESI_lENKUlvE_clEvENKUlvE2_clEvEUlS7_S7_E_S7_EEDaPvRmT3_T4_T5_mT6_P12ihipStream_tbENKUlT_T0_E_clISt17integral_constantIbLb0EESZ_EEDaSU_SV_EUlSU_E0_NS1_11comp_targetILNS1_3genE3ELNS1_11target_archE908ELNS1_3gpuE7ELNS1_3repE0EEENS1_30default_config_static_selectorELNS0_4arch9wavefront6targetE0EEEvT1_.num_named_barrier, 0
	.set _ZN7rocprim17ROCPRIM_400000_NS6detail17trampoline_kernelINS0_14default_configENS1_20scan_config_selectorIN3c107complexIfEEEEZZNS1_9scan_implILNS1_25lookback_scan_determinismE0ELb0ELb0ES3_PKS7_PS7_S7_ZZZN2at6native31launch_logcumsumexp_cuda_kernelERKNSE_10TensorBaseESI_lENKUlvE_clEvENKUlvE2_clEvEUlS7_S7_E_S7_EEDaPvRmT3_T4_T5_mT6_P12ihipStream_tbENKUlT_T0_E_clISt17integral_constantIbLb0EESZ_EEDaSU_SV_EUlSU_E0_NS1_11comp_targetILNS1_3genE3ELNS1_11target_archE908ELNS1_3gpuE7ELNS1_3repE0EEENS1_30default_config_static_selectorELNS0_4arch9wavefront6targetE0EEEvT1_.private_seg_size, 0
	.set _ZN7rocprim17ROCPRIM_400000_NS6detail17trampoline_kernelINS0_14default_configENS1_20scan_config_selectorIN3c107complexIfEEEEZZNS1_9scan_implILNS1_25lookback_scan_determinismE0ELb0ELb0ES3_PKS7_PS7_S7_ZZZN2at6native31launch_logcumsumexp_cuda_kernelERKNSE_10TensorBaseESI_lENKUlvE_clEvENKUlvE2_clEvEUlS7_S7_E_S7_EEDaPvRmT3_T4_T5_mT6_P12ihipStream_tbENKUlT_T0_E_clISt17integral_constantIbLb0EESZ_EEDaSU_SV_EUlSU_E0_NS1_11comp_targetILNS1_3genE3ELNS1_11target_archE908ELNS1_3gpuE7ELNS1_3repE0EEENS1_30default_config_static_selectorELNS0_4arch9wavefront6targetE0EEEvT1_.uses_vcc, 0
	.set _ZN7rocprim17ROCPRIM_400000_NS6detail17trampoline_kernelINS0_14default_configENS1_20scan_config_selectorIN3c107complexIfEEEEZZNS1_9scan_implILNS1_25lookback_scan_determinismE0ELb0ELb0ES3_PKS7_PS7_S7_ZZZN2at6native31launch_logcumsumexp_cuda_kernelERKNSE_10TensorBaseESI_lENKUlvE_clEvENKUlvE2_clEvEUlS7_S7_E_S7_EEDaPvRmT3_T4_T5_mT6_P12ihipStream_tbENKUlT_T0_E_clISt17integral_constantIbLb0EESZ_EEDaSU_SV_EUlSU_E0_NS1_11comp_targetILNS1_3genE3ELNS1_11target_archE908ELNS1_3gpuE7ELNS1_3repE0EEENS1_30default_config_static_selectorELNS0_4arch9wavefront6targetE0EEEvT1_.uses_flat_scratch, 0
	.set _ZN7rocprim17ROCPRIM_400000_NS6detail17trampoline_kernelINS0_14default_configENS1_20scan_config_selectorIN3c107complexIfEEEEZZNS1_9scan_implILNS1_25lookback_scan_determinismE0ELb0ELb0ES3_PKS7_PS7_S7_ZZZN2at6native31launch_logcumsumexp_cuda_kernelERKNSE_10TensorBaseESI_lENKUlvE_clEvENKUlvE2_clEvEUlS7_S7_E_S7_EEDaPvRmT3_T4_T5_mT6_P12ihipStream_tbENKUlT_T0_E_clISt17integral_constantIbLb0EESZ_EEDaSU_SV_EUlSU_E0_NS1_11comp_targetILNS1_3genE3ELNS1_11target_archE908ELNS1_3gpuE7ELNS1_3repE0EEENS1_30default_config_static_selectorELNS0_4arch9wavefront6targetE0EEEvT1_.has_dyn_sized_stack, 0
	.set _ZN7rocprim17ROCPRIM_400000_NS6detail17trampoline_kernelINS0_14default_configENS1_20scan_config_selectorIN3c107complexIfEEEEZZNS1_9scan_implILNS1_25lookback_scan_determinismE0ELb0ELb0ES3_PKS7_PS7_S7_ZZZN2at6native31launch_logcumsumexp_cuda_kernelERKNSE_10TensorBaseESI_lENKUlvE_clEvENKUlvE2_clEvEUlS7_S7_E_S7_EEDaPvRmT3_T4_T5_mT6_P12ihipStream_tbENKUlT_T0_E_clISt17integral_constantIbLb0EESZ_EEDaSU_SV_EUlSU_E0_NS1_11comp_targetILNS1_3genE3ELNS1_11target_archE908ELNS1_3gpuE7ELNS1_3repE0EEENS1_30default_config_static_selectorELNS0_4arch9wavefront6targetE0EEEvT1_.has_recursion, 0
	.set _ZN7rocprim17ROCPRIM_400000_NS6detail17trampoline_kernelINS0_14default_configENS1_20scan_config_selectorIN3c107complexIfEEEEZZNS1_9scan_implILNS1_25lookback_scan_determinismE0ELb0ELb0ES3_PKS7_PS7_S7_ZZZN2at6native31launch_logcumsumexp_cuda_kernelERKNSE_10TensorBaseESI_lENKUlvE_clEvENKUlvE2_clEvEUlS7_S7_E_S7_EEDaPvRmT3_T4_T5_mT6_P12ihipStream_tbENKUlT_T0_E_clISt17integral_constantIbLb0EESZ_EEDaSU_SV_EUlSU_E0_NS1_11comp_targetILNS1_3genE3ELNS1_11target_archE908ELNS1_3gpuE7ELNS1_3repE0EEENS1_30default_config_static_selectorELNS0_4arch9wavefront6targetE0EEEvT1_.has_indirect_call, 0
	.section	.AMDGPU.csdata,"",@progbits
; Kernel info:
; codeLenInByte = 0
; TotalNumSgprs: 0
; NumVgprs: 0
; ScratchSize: 0
; MemoryBound: 0
; FloatMode: 240
; IeeeMode: 1
; LDSByteSize: 0 bytes/workgroup (compile time only)
; SGPRBlocks: 0
; VGPRBlocks: 0
; NumSGPRsForWavesPerEU: 1
; NumVGPRsForWavesPerEU: 1
; Occupancy: 16
; WaveLimiterHint : 0
; COMPUTE_PGM_RSRC2:SCRATCH_EN: 0
; COMPUTE_PGM_RSRC2:USER_SGPR: 2
; COMPUTE_PGM_RSRC2:TRAP_HANDLER: 0
; COMPUTE_PGM_RSRC2:TGID_X_EN: 1
; COMPUTE_PGM_RSRC2:TGID_Y_EN: 0
; COMPUTE_PGM_RSRC2:TGID_Z_EN: 0
; COMPUTE_PGM_RSRC2:TIDIG_COMP_CNT: 0
	.section	.text._ZN7rocprim17ROCPRIM_400000_NS6detail17trampoline_kernelINS0_14default_configENS1_20scan_config_selectorIN3c107complexIfEEEEZZNS1_9scan_implILNS1_25lookback_scan_determinismE0ELb0ELb0ES3_PKS7_PS7_S7_ZZZN2at6native31launch_logcumsumexp_cuda_kernelERKNSE_10TensorBaseESI_lENKUlvE_clEvENKUlvE2_clEvEUlS7_S7_E_S7_EEDaPvRmT3_T4_T5_mT6_P12ihipStream_tbENKUlT_T0_E_clISt17integral_constantIbLb0EESZ_EEDaSU_SV_EUlSU_E0_NS1_11comp_targetILNS1_3genE2ELNS1_11target_archE906ELNS1_3gpuE6ELNS1_3repE0EEENS1_30default_config_static_selectorELNS0_4arch9wavefront6targetE0EEEvT1_,"axG",@progbits,_ZN7rocprim17ROCPRIM_400000_NS6detail17trampoline_kernelINS0_14default_configENS1_20scan_config_selectorIN3c107complexIfEEEEZZNS1_9scan_implILNS1_25lookback_scan_determinismE0ELb0ELb0ES3_PKS7_PS7_S7_ZZZN2at6native31launch_logcumsumexp_cuda_kernelERKNSE_10TensorBaseESI_lENKUlvE_clEvENKUlvE2_clEvEUlS7_S7_E_S7_EEDaPvRmT3_T4_T5_mT6_P12ihipStream_tbENKUlT_T0_E_clISt17integral_constantIbLb0EESZ_EEDaSU_SV_EUlSU_E0_NS1_11comp_targetILNS1_3genE2ELNS1_11target_archE906ELNS1_3gpuE6ELNS1_3repE0EEENS1_30default_config_static_selectorELNS0_4arch9wavefront6targetE0EEEvT1_,comdat
	.globl	_ZN7rocprim17ROCPRIM_400000_NS6detail17trampoline_kernelINS0_14default_configENS1_20scan_config_selectorIN3c107complexIfEEEEZZNS1_9scan_implILNS1_25lookback_scan_determinismE0ELb0ELb0ES3_PKS7_PS7_S7_ZZZN2at6native31launch_logcumsumexp_cuda_kernelERKNSE_10TensorBaseESI_lENKUlvE_clEvENKUlvE2_clEvEUlS7_S7_E_S7_EEDaPvRmT3_T4_T5_mT6_P12ihipStream_tbENKUlT_T0_E_clISt17integral_constantIbLb0EESZ_EEDaSU_SV_EUlSU_E0_NS1_11comp_targetILNS1_3genE2ELNS1_11target_archE906ELNS1_3gpuE6ELNS1_3repE0EEENS1_30default_config_static_selectorELNS0_4arch9wavefront6targetE0EEEvT1_ ; -- Begin function _ZN7rocprim17ROCPRIM_400000_NS6detail17trampoline_kernelINS0_14default_configENS1_20scan_config_selectorIN3c107complexIfEEEEZZNS1_9scan_implILNS1_25lookback_scan_determinismE0ELb0ELb0ES3_PKS7_PS7_S7_ZZZN2at6native31launch_logcumsumexp_cuda_kernelERKNSE_10TensorBaseESI_lENKUlvE_clEvENKUlvE2_clEvEUlS7_S7_E_S7_EEDaPvRmT3_T4_T5_mT6_P12ihipStream_tbENKUlT_T0_E_clISt17integral_constantIbLb0EESZ_EEDaSU_SV_EUlSU_E0_NS1_11comp_targetILNS1_3genE2ELNS1_11target_archE906ELNS1_3gpuE6ELNS1_3repE0EEENS1_30default_config_static_selectorELNS0_4arch9wavefront6targetE0EEEvT1_
	.p2align	8
	.type	_ZN7rocprim17ROCPRIM_400000_NS6detail17trampoline_kernelINS0_14default_configENS1_20scan_config_selectorIN3c107complexIfEEEEZZNS1_9scan_implILNS1_25lookback_scan_determinismE0ELb0ELb0ES3_PKS7_PS7_S7_ZZZN2at6native31launch_logcumsumexp_cuda_kernelERKNSE_10TensorBaseESI_lENKUlvE_clEvENKUlvE2_clEvEUlS7_S7_E_S7_EEDaPvRmT3_T4_T5_mT6_P12ihipStream_tbENKUlT_T0_E_clISt17integral_constantIbLb0EESZ_EEDaSU_SV_EUlSU_E0_NS1_11comp_targetILNS1_3genE2ELNS1_11target_archE906ELNS1_3gpuE6ELNS1_3repE0EEENS1_30default_config_static_selectorELNS0_4arch9wavefront6targetE0EEEvT1_,@function
_ZN7rocprim17ROCPRIM_400000_NS6detail17trampoline_kernelINS0_14default_configENS1_20scan_config_selectorIN3c107complexIfEEEEZZNS1_9scan_implILNS1_25lookback_scan_determinismE0ELb0ELb0ES3_PKS7_PS7_S7_ZZZN2at6native31launch_logcumsumexp_cuda_kernelERKNSE_10TensorBaseESI_lENKUlvE_clEvENKUlvE2_clEvEUlS7_S7_E_S7_EEDaPvRmT3_T4_T5_mT6_P12ihipStream_tbENKUlT_T0_E_clISt17integral_constantIbLb0EESZ_EEDaSU_SV_EUlSU_E0_NS1_11comp_targetILNS1_3genE2ELNS1_11target_archE906ELNS1_3gpuE6ELNS1_3repE0EEENS1_30default_config_static_selectorELNS0_4arch9wavefront6targetE0EEEvT1_: ; @_ZN7rocprim17ROCPRIM_400000_NS6detail17trampoline_kernelINS0_14default_configENS1_20scan_config_selectorIN3c107complexIfEEEEZZNS1_9scan_implILNS1_25lookback_scan_determinismE0ELb0ELb0ES3_PKS7_PS7_S7_ZZZN2at6native31launch_logcumsumexp_cuda_kernelERKNSE_10TensorBaseESI_lENKUlvE_clEvENKUlvE2_clEvEUlS7_S7_E_S7_EEDaPvRmT3_T4_T5_mT6_P12ihipStream_tbENKUlT_T0_E_clISt17integral_constantIbLb0EESZ_EEDaSU_SV_EUlSU_E0_NS1_11comp_targetILNS1_3genE2ELNS1_11target_archE906ELNS1_3gpuE6ELNS1_3repE0EEENS1_30default_config_static_selectorELNS0_4arch9wavefront6targetE0EEEvT1_
; %bb.0:
	.section	.rodata,"a",@progbits
	.p2align	6, 0x0
	.amdhsa_kernel _ZN7rocprim17ROCPRIM_400000_NS6detail17trampoline_kernelINS0_14default_configENS1_20scan_config_selectorIN3c107complexIfEEEEZZNS1_9scan_implILNS1_25lookback_scan_determinismE0ELb0ELb0ES3_PKS7_PS7_S7_ZZZN2at6native31launch_logcumsumexp_cuda_kernelERKNSE_10TensorBaseESI_lENKUlvE_clEvENKUlvE2_clEvEUlS7_S7_E_S7_EEDaPvRmT3_T4_T5_mT6_P12ihipStream_tbENKUlT_T0_E_clISt17integral_constantIbLb0EESZ_EEDaSU_SV_EUlSU_E0_NS1_11comp_targetILNS1_3genE2ELNS1_11target_archE906ELNS1_3gpuE6ELNS1_3repE0EEENS1_30default_config_static_selectorELNS0_4arch9wavefront6targetE0EEEvT1_
		.amdhsa_group_segment_fixed_size 0
		.amdhsa_private_segment_fixed_size 0
		.amdhsa_kernarg_size 40
		.amdhsa_user_sgpr_count 2
		.amdhsa_user_sgpr_dispatch_ptr 0
		.amdhsa_user_sgpr_queue_ptr 0
		.amdhsa_user_sgpr_kernarg_segment_ptr 1
		.amdhsa_user_sgpr_dispatch_id 0
		.amdhsa_user_sgpr_private_segment_size 0
		.amdhsa_wavefront_size32 1
		.amdhsa_uses_dynamic_stack 0
		.amdhsa_enable_private_segment 0
		.amdhsa_system_sgpr_workgroup_id_x 1
		.amdhsa_system_sgpr_workgroup_id_y 0
		.amdhsa_system_sgpr_workgroup_id_z 0
		.amdhsa_system_sgpr_workgroup_info 0
		.amdhsa_system_vgpr_workitem_id 0
		.amdhsa_next_free_vgpr 1
		.amdhsa_next_free_sgpr 1
		.amdhsa_reserve_vcc 0
		.amdhsa_float_round_mode_32 0
		.amdhsa_float_round_mode_16_64 0
		.amdhsa_float_denorm_mode_32 3
		.amdhsa_float_denorm_mode_16_64 3
		.amdhsa_fp16_overflow 0
		.amdhsa_workgroup_processor_mode 1
		.amdhsa_memory_ordered 1
		.amdhsa_forward_progress 1
		.amdhsa_inst_pref_size 0
		.amdhsa_round_robin_scheduling 0
		.amdhsa_exception_fp_ieee_invalid_op 0
		.amdhsa_exception_fp_denorm_src 0
		.amdhsa_exception_fp_ieee_div_zero 0
		.amdhsa_exception_fp_ieee_overflow 0
		.amdhsa_exception_fp_ieee_underflow 0
		.amdhsa_exception_fp_ieee_inexact 0
		.amdhsa_exception_int_div_zero 0
	.end_amdhsa_kernel
	.section	.text._ZN7rocprim17ROCPRIM_400000_NS6detail17trampoline_kernelINS0_14default_configENS1_20scan_config_selectorIN3c107complexIfEEEEZZNS1_9scan_implILNS1_25lookback_scan_determinismE0ELb0ELb0ES3_PKS7_PS7_S7_ZZZN2at6native31launch_logcumsumexp_cuda_kernelERKNSE_10TensorBaseESI_lENKUlvE_clEvENKUlvE2_clEvEUlS7_S7_E_S7_EEDaPvRmT3_T4_T5_mT6_P12ihipStream_tbENKUlT_T0_E_clISt17integral_constantIbLb0EESZ_EEDaSU_SV_EUlSU_E0_NS1_11comp_targetILNS1_3genE2ELNS1_11target_archE906ELNS1_3gpuE6ELNS1_3repE0EEENS1_30default_config_static_selectorELNS0_4arch9wavefront6targetE0EEEvT1_,"axG",@progbits,_ZN7rocprim17ROCPRIM_400000_NS6detail17trampoline_kernelINS0_14default_configENS1_20scan_config_selectorIN3c107complexIfEEEEZZNS1_9scan_implILNS1_25lookback_scan_determinismE0ELb0ELb0ES3_PKS7_PS7_S7_ZZZN2at6native31launch_logcumsumexp_cuda_kernelERKNSE_10TensorBaseESI_lENKUlvE_clEvENKUlvE2_clEvEUlS7_S7_E_S7_EEDaPvRmT3_T4_T5_mT6_P12ihipStream_tbENKUlT_T0_E_clISt17integral_constantIbLb0EESZ_EEDaSU_SV_EUlSU_E0_NS1_11comp_targetILNS1_3genE2ELNS1_11target_archE906ELNS1_3gpuE6ELNS1_3repE0EEENS1_30default_config_static_selectorELNS0_4arch9wavefront6targetE0EEEvT1_,comdat
.Lfunc_end285:
	.size	_ZN7rocprim17ROCPRIM_400000_NS6detail17trampoline_kernelINS0_14default_configENS1_20scan_config_selectorIN3c107complexIfEEEEZZNS1_9scan_implILNS1_25lookback_scan_determinismE0ELb0ELb0ES3_PKS7_PS7_S7_ZZZN2at6native31launch_logcumsumexp_cuda_kernelERKNSE_10TensorBaseESI_lENKUlvE_clEvENKUlvE2_clEvEUlS7_S7_E_S7_EEDaPvRmT3_T4_T5_mT6_P12ihipStream_tbENKUlT_T0_E_clISt17integral_constantIbLb0EESZ_EEDaSU_SV_EUlSU_E0_NS1_11comp_targetILNS1_3genE2ELNS1_11target_archE906ELNS1_3gpuE6ELNS1_3repE0EEENS1_30default_config_static_selectorELNS0_4arch9wavefront6targetE0EEEvT1_, .Lfunc_end285-_ZN7rocprim17ROCPRIM_400000_NS6detail17trampoline_kernelINS0_14default_configENS1_20scan_config_selectorIN3c107complexIfEEEEZZNS1_9scan_implILNS1_25lookback_scan_determinismE0ELb0ELb0ES3_PKS7_PS7_S7_ZZZN2at6native31launch_logcumsumexp_cuda_kernelERKNSE_10TensorBaseESI_lENKUlvE_clEvENKUlvE2_clEvEUlS7_S7_E_S7_EEDaPvRmT3_T4_T5_mT6_P12ihipStream_tbENKUlT_T0_E_clISt17integral_constantIbLb0EESZ_EEDaSU_SV_EUlSU_E0_NS1_11comp_targetILNS1_3genE2ELNS1_11target_archE906ELNS1_3gpuE6ELNS1_3repE0EEENS1_30default_config_static_selectorELNS0_4arch9wavefront6targetE0EEEvT1_
                                        ; -- End function
	.set _ZN7rocprim17ROCPRIM_400000_NS6detail17trampoline_kernelINS0_14default_configENS1_20scan_config_selectorIN3c107complexIfEEEEZZNS1_9scan_implILNS1_25lookback_scan_determinismE0ELb0ELb0ES3_PKS7_PS7_S7_ZZZN2at6native31launch_logcumsumexp_cuda_kernelERKNSE_10TensorBaseESI_lENKUlvE_clEvENKUlvE2_clEvEUlS7_S7_E_S7_EEDaPvRmT3_T4_T5_mT6_P12ihipStream_tbENKUlT_T0_E_clISt17integral_constantIbLb0EESZ_EEDaSU_SV_EUlSU_E0_NS1_11comp_targetILNS1_3genE2ELNS1_11target_archE906ELNS1_3gpuE6ELNS1_3repE0EEENS1_30default_config_static_selectorELNS0_4arch9wavefront6targetE0EEEvT1_.num_vgpr, 0
	.set _ZN7rocprim17ROCPRIM_400000_NS6detail17trampoline_kernelINS0_14default_configENS1_20scan_config_selectorIN3c107complexIfEEEEZZNS1_9scan_implILNS1_25lookback_scan_determinismE0ELb0ELb0ES3_PKS7_PS7_S7_ZZZN2at6native31launch_logcumsumexp_cuda_kernelERKNSE_10TensorBaseESI_lENKUlvE_clEvENKUlvE2_clEvEUlS7_S7_E_S7_EEDaPvRmT3_T4_T5_mT6_P12ihipStream_tbENKUlT_T0_E_clISt17integral_constantIbLb0EESZ_EEDaSU_SV_EUlSU_E0_NS1_11comp_targetILNS1_3genE2ELNS1_11target_archE906ELNS1_3gpuE6ELNS1_3repE0EEENS1_30default_config_static_selectorELNS0_4arch9wavefront6targetE0EEEvT1_.num_agpr, 0
	.set _ZN7rocprim17ROCPRIM_400000_NS6detail17trampoline_kernelINS0_14default_configENS1_20scan_config_selectorIN3c107complexIfEEEEZZNS1_9scan_implILNS1_25lookback_scan_determinismE0ELb0ELb0ES3_PKS7_PS7_S7_ZZZN2at6native31launch_logcumsumexp_cuda_kernelERKNSE_10TensorBaseESI_lENKUlvE_clEvENKUlvE2_clEvEUlS7_S7_E_S7_EEDaPvRmT3_T4_T5_mT6_P12ihipStream_tbENKUlT_T0_E_clISt17integral_constantIbLb0EESZ_EEDaSU_SV_EUlSU_E0_NS1_11comp_targetILNS1_3genE2ELNS1_11target_archE906ELNS1_3gpuE6ELNS1_3repE0EEENS1_30default_config_static_selectorELNS0_4arch9wavefront6targetE0EEEvT1_.numbered_sgpr, 0
	.set _ZN7rocprim17ROCPRIM_400000_NS6detail17trampoline_kernelINS0_14default_configENS1_20scan_config_selectorIN3c107complexIfEEEEZZNS1_9scan_implILNS1_25lookback_scan_determinismE0ELb0ELb0ES3_PKS7_PS7_S7_ZZZN2at6native31launch_logcumsumexp_cuda_kernelERKNSE_10TensorBaseESI_lENKUlvE_clEvENKUlvE2_clEvEUlS7_S7_E_S7_EEDaPvRmT3_T4_T5_mT6_P12ihipStream_tbENKUlT_T0_E_clISt17integral_constantIbLb0EESZ_EEDaSU_SV_EUlSU_E0_NS1_11comp_targetILNS1_3genE2ELNS1_11target_archE906ELNS1_3gpuE6ELNS1_3repE0EEENS1_30default_config_static_selectorELNS0_4arch9wavefront6targetE0EEEvT1_.num_named_barrier, 0
	.set _ZN7rocprim17ROCPRIM_400000_NS6detail17trampoline_kernelINS0_14default_configENS1_20scan_config_selectorIN3c107complexIfEEEEZZNS1_9scan_implILNS1_25lookback_scan_determinismE0ELb0ELb0ES3_PKS7_PS7_S7_ZZZN2at6native31launch_logcumsumexp_cuda_kernelERKNSE_10TensorBaseESI_lENKUlvE_clEvENKUlvE2_clEvEUlS7_S7_E_S7_EEDaPvRmT3_T4_T5_mT6_P12ihipStream_tbENKUlT_T0_E_clISt17integral_constantIbLb0EESZ_EEDaSU_SV_EUlSU_E0_NS1_11comp_targetILNS1_3genE2ELNS1_11target_archE906ELNS1_3gpuE6ELNS1_3repE0EEENS1_30default_config_static_selectorELNS0_4arch9wavefront6targetE0EEEvT1_.private_seg_size, 0
	.set _ZN7rocprim17ROCPRIM_400000_NS6detail17trampoline_kernelINS0_14default_configENS1_20scan_config_selectorIN3c107complexIfEEEEZZNS1_9scan_implILNS1_25lookback_scan_determinismE0ELb0ELb0ES3_PKS7_PS7_S7_ZZZN2at6native31launch_logcumsumexp_cuda_kernelERKNSE_10TensorBaseESI_lENKUlvE_clEvENKUlvE2_clEvEUlS7_S7_E_S7_EEDaPvRmT3_T4_T5_mT6_P12ihipStream_tbENKUlT_T0_E_clISt17integral_constantIbLb0EESZ_EEDaSU_SV_EUlSU_E0_NS1_11comp_targetILNS1_3genE2ELNS1_11target_archE906ELNS1_3gpuE6ELNS1_3repE0EEENS1_30default_config_static_selectorELNS0_4arch9wavefront6targetE0EEEvT1_.uses_vcc, 0
	.set _ZN7rocprim17ROCPRIM_400000_NS6detail17trampoline_kernelINS0_14default_configENS1_20scan_config_selectorIN3c107complexIfEEEEZZNS1_9scan_implILNS1_25lookback_scan_determinismE0ELb0ELb0ES3_PKS7_PS7_S7_ZZZN2at6native31launch_logcumsumexp_cuda_kernelERKNSE_10TensorBaseESI_lENKUlvE_clEvENKUlvE2_clEvEUlS7_S7_E_S7_EEDaPvRmT3_T4_T5_mT6_P12ihipStream_tbENKUlT_T0_E_clISt17integral_constantIbLb0EESZ_EEDaSU_SV_EUlSU_E0_NS1_11comp_targetILNS1_3genE2ELNS1_11target_archE906ELNS1_3gpuE6ELNS1_3repE0EEENS1_30default_config_static_selectorELNS0_4arch9wavefront6targetE0EEEvT1_.uses_flat_scratch, 0
	.set _ZN7rocprim17ROCPRIM_400000_NS6detail17trampoline_kernelINS0_14default_configENS1_20scan_config_selectorIN3c107complexIfEEEEZZNS1_9scan_implILNS1_25lookback_scan_determinismE0ELb0ELb0ES3_PKS7_PS7_S7_ZZZN2at6native31launch_logcumsumexp_cuda_kernelERKNSE_10TensorBaseESI_lENKUlvE_clEvENKUlvE2_clEvEUlS7_S7_E_S7_EEDaPvRmT3_T4_T5_mT6_P12ihipStream_tbENKUlT_T0_E_clISt17integral_constantIbLb0EESZ_EEDaSU_SV_EUlSU_E0_NS1_11comp_targetILNS1_3genE2ELNS1_11target_archE906ELNS1_3gpuE6ELNS1_3repE0EEENS1_30default_config_static_selectorELNS0_4arch9wavefront6targetE0EEEvT1_.has_dyn_sized_stack, 0
	.set _ZN7rocprim17ROCPRIM_400000_NS6detail17trampoline_kernelINS0_14default_configENS1_20scan_config_selectorIN3c107complexIfEEEEZZNS1_9scan_implILNS1_25lookback_scan_determinismE0ELb0ELb0ES3_PKS7_PS7_S7_ZZZN2at6native31launch_logcumsumexp_cuda_kernelERKNSE_10TensorBaseESI_lENKUlvE_clEvENKUlvE2_clEvEUlS7_S7_E_S7_EEDaPvRmT3_T4_T5_mT6_P12ihipStream_tbENKUlT_T0_E_clISt17integral_constantIbLb0EESZ_EEDaSU_SV_EUlSU_E0_NS1_11comp_targetILNS1_3genE2ELNS1_11target_archE906ELNS1_3gpuE6ELNS1_3repE0EEENS1_30default_config_static_selectorELNS0_4arch9wavefront6targetE0EEEvT1_.has_recursion, 0
	.set _ZN7rocprim17ROCPRIM_400000_NS6detail17trampoline_kernelINS0_14default_configENS1_20scan_config_selectorIN3c107complexIfEEEEZZNS1_9scan_implILNS1_25lookback_scan_determinismE0ELb0ELb0ES3_PKS7_PS7_S7_ZZZN2at6native31launch_logcumsumexp_cuda_kernelERKNSE_10TensorBaseESI_lENKUlvE_clEvENKUlvE2_clEvEUlS7_S7_E_S7_EEDaPvRmT3_T4_T5_mT6_P12ihipStream_tbENKUlT_T0_E_clISt17integral_constantIbLb0EESZ_EEDaSU_SV_EUlSU_E0_NS1_11comp_targetILNS1_3genE2ELNS1_11target_archE906ELNS1_3gpuE6ELNS1_3repE0EEENS1_30default_config_static_selectorELNS0_4arch9wavefront6targetE0EEEvT1_.has_indirect_call, 0
	.section	.AMDGPU.csdata,"",@progbits
; Kernel info:
; codeLenInByte = 0
; TotalNumSgprs: 0
; NumVgprs: 0
; ScratchSize: 0
; MemoryBound: 0
; FloatMode: 240
; IeeeMode: 1
; LDSByteSize: 0 bytes/workgroup (compile time only)
; SGPRBlocks: 0
; VGPRBlocks: 0
; NumSGPRsForWavesPerEU: 1
; NumVGPRsForWavesPerEU: 1
; Occupancy: 16
; WaveLimiterHint : 0
; COMPUTE_PGM_RSRC2:SCRATCH_EN: 0
; COMPUTE_PGM_RSRC2:USER_SGPR: 2
; COMPUTE_PGM_RSRC2:TRAP_HANDLER: 0
; COMPUTE_PGM_RSRC2:TGID_X_EN: 1
; COMPUTE_PGM_RSRC2:TGID_Y_EN: 0
; COMPUTE_PGM_RSRC2:TGID_Z_EN: 0
; COMPUTE_PGM_RSRC2:TIDIG_COMP_CNT: 0
	.section	.text._ZN7rocprim17ROCPRIM_400000_NS6detail17trampoline_kernelINS0_14default_configENS1_20scan_config_selectorIN3c107complexIfEEEEZZNS1_9scan_implILNS1_25lookback_scan_determinismE0ELb0ELb0ES3_PKS7_PS7_S7_ZZZN2at6native31launch_logcumsumexp_cuda_kernelERKNSE_10TensorBaseESI_lENKUlvE_clEvENKUlvE2_clEvEUlS7_S7_E_S7_EEDaPvRmT3_T4_T5_mT6_P12ihipStream_tbENKUlT_T0_E_clISt17integral_constantIbLb0EESZ_EEDaSU_SV_EUlSU_E0_NS1_11comp_targetILNS1_3genE10ELNS1_11target_archE1201ELNS1_3gpuE5ELNS1_3repE0EEENS1_30default_config_static_selectorELNS0_4arch9wavefront6targetE0EEEvT1_,"axG",@progbits,_ZN7rocprim17ROCPRIM_400000_NS6detail17trampoline_kernelINS0_14default_configENS1_20scan_config_selectorIN3c107complexIfEEEEZZNS1_9scan_implILNS1_25lookback_scan_determinismE0ELb0ELb0ES3_PKS7_PS7_S7_ZZZN2at6native31launch_logcumsumexp_cuda_kernelERKNSE_10TensorBaseESI_lENKUlvE_clEvENKUlvE2_clEvEUlS7_S7_E_S7_EEDaPvRmT3_T4_T5_mT6_P12ihipStream_tbENKUlT_T0_E_clISt17integral_constantIbLb0EESZ_EEDaSU_SV_EUlSU_E0_NS1_11comp_targetILNS1_3genE10ELNS1_11target_archE1201ELNS1_3gpuE5ELNS1_3repE0EEENS1_30default_config_static_selectorELNS0_4arch9wavefront6targetE0EEEvT1_,comdat
	.globl	_ZN7rocprim17ROCPRIM_400000_NS6detail17trampoline_kernelINS0_14default_configENS1_20scan_config_selectorIN3c107complexIfEEEEZZNS1_9scan_implILNS1_25lookback_scan_determinismE0ELb0ELb0ES3_PKS7_PS7_S7_ZZZN2at6native31launch_logcumsumexp_cuda_kernelERKNSE_10TensorBaseESI_lENKUlvE_clEvENKUlvE2_clEvEUlS7_S7_E_S7_EEDaPvRmT3_T4_T5_mT6_P12ihipStream_tbENKUlT_T0_E_clISt17integral_constantIbLb0EESZ_EEDaSU_SV_EUlSU_E0_NS1_11comp_targetILNS1_3genE10ELNS1_11target_archE1201ELNS1_3gpuE5ELNS1_3repE0EEENS1_30default_config_static_selectorELNS0_4arch9wavefront6targetE0EEEvT1_ ; -- Begin function _ZN7rocprim17ROCPRIM_400000_NS6detail17trampoline_kernelINS0_14default_configENS1_20scan_config_selectorIN3c107complexIfEEEEZZNS1_9scan_implILNS1_25lookback_scan_determinismE0ELb0ELb0ES3_PKS7_PS7_S7_ZZZN2at6native31launch_logcumsumexp_cuda_kernelERKNSE_10TensorBaseESI_lENKUlvE_clEvENKUlvE2_clEvEUlS7_S7_E_S7_EEDaPvRmT3_T4_T5_mT6_P12ihipStream_tbENKUlT_T0_E_clISt17integral_constantIbLb0EESZ_EEDaSU_SV_EUlSU_E0_NS1_11comp_targetILNS1_3genE10ELNS1_11target_archE1201ELNS1_3gpuE5ELNS1_3repE0EEENS1_30default_config_static_selectorELNS0_4arch9wavefront6targetE0EEEvT1_
	.p2align	8
	.type	_ZN7rocprim17ROCPRIM_400000_NS6detail17trampoline_kernelINS0_14default_configENS1_20scan_config_selectorIN3c107complexIfEEEEZZNS1_9scan_implILNS1_25lookback_scan_determinismE0ELb0ELb0ES3_PKS7_PS7_S7_ZZZN2at6native31launch_logcumsumexp_cuda_kernelERKNSE_10TensorBaseESI_lENKUlvE_clEvENKUlvE2_clEvEUlS7_S7_E_S7_EEDaPvRmT3_T4_T5_mT6_P12ihipStream_tbENKUlT_T0_E_clISt17integral_constantIbLb0EESZ_EEDaSU_SV_EUlSU_E0_NS1_11comp_targetILNS1_3genE10ELNS1_11target_archE1201ELNS1_3gpuE5ELNS1_3repE0EEENS1_30default_config_static_selectorELNS0_4arch9wavefront6targetE0EEEvT1_,@function
_ZN7rocprim17ROCPRIM_400000_NS6detail17trampoline_kernelINS0_14default_configENS1_20scan_config_selectorIN3c107complexIfEEEEZZNS1_9scan_implILNS1_25lookback_scan_determinismE0ELb0ELb0ES3_PKS7_PS7_S7_ZZZN2at6native31launch_logcumsumexp_cuda_kernelERKNSE_10TensorBaseESI_lENKUlvE_clEvENKUlvE2_clEvEUlS7_S7_E_S7_EEDaPvRmT3_T4_T5_mT6_P12ihipStream_tbENKUlT_T0_E_clISt17integral_constantIbLb0EESZ_EEDaSU_SV_EUlSU_E0_NS1_11comp_targetILNS1_3genE10ELNS1_11target_archE1201ELNS1_3gpuE5ELNS1_3repE0EEENS1_30default_config_static_selectorELNS0_4arch9wavefront6targetE0EEEvT1_: ; @_ZN7rocprim17ROCPRIM_400000_NS6detail17trampoline_kernelINS0_14default_configENS1_20scan_config_selectorIN3c107complexIfEEEEZZNS1_9scan_implILNS1_25lookback_scan_determinismE0ELb0ELb0ES3_PKS7_PS7_S7_ZZZN2at6native31launch_logcumsumexp_cuda_kernelERKNSE_10TensorBaseESI_lENKUlvE_clEvENKUlvE2_clEvEUlS7_S7_E_S7_EEDaPvRmT3_T4_T5_mT6_P12ihipStream_tbENKUlT_T0_E_clISt17integral_constantIbLb0EESZ_EEDaSU_SV_EUlSU_E0_NS1_11comp_targetILNS1_3genE10ELNS1_11target_archE1201ELNS1_3gpuE5ELNS1_3repE0EEENS1_30default_config_static_selectorELNS0_4arch9wavefront6targetE0EEEvT1_
; %bb.0:
	s_load_b128 s[4:7], s[0:1], 0x0
	s_mov_b32 s32, 0
	s_wait_kmcnt 0x0
	s_load_b64 s[2:3], s[4:5], 0x0
	s_wait_kmcnt 0x0
	v_dual_mov_b32 v84, v0 :: v_dual_mov_b32 v1, s3
	s_delay_alu instid0(VALU_DEP_1)
	v_cmp_gt_u32_e64 s7, s6, v84
	v_dual_mov_b32 v0, s2 :: v_dual_lshlrev_b32 v91, 3, v84
	s_and_saveexec_b32 s8, s7
	s_cbranch_execz .LBB286_2
; %bb.1:
	global_load_b64 v[0:1], v91, s[4:5]
.LBB286_2:
	s_or_b32 exec_lo, exec_lo, s8
	v_or_b32_e32 v32, 0x100, v84
	v_dual_mov_b32 v3, s3 :: v_dual_mov_b32 v2, s2
	s_delay_alu instid0(VALU_DEP_2)
	v_cmp_gt_u32_e64 s8, s6, v32
	s_and_saveexec_b32 s9, s8
	s_cbranch_execz .LBB286_4
; %bb.3:
	global_load_b64 v[2:3], v91, s[4:5] offset:2048
.LBB286_4:
	s_or_b32 exec_lo, exec_lo, s9
	v_or_b32_e32 v33, 0x200, v84
	v_dual_mov_b32 v5, s3 :: v_dual_mov_b32 v4, s2
	s_delay_alu instid0(VALU_DEP_2)
	v_cmp_gt_u32_e64 s9, s6, v33
	s_and_saveexec_b32 s10, s9
	s_cbranch_execz .LBB286_6
; %bb.5:
	global_load_b64 v[4:5], v91, s[4:5] offset:4096
.LBB286_6:
	s_or_b32 exec_lo, exec_lo, s10
	v_or_b32_e32 v34, 0x300, v84
	v_dual_mov_b32 v9, s3 :: v_dual_mov_b32 v8, s2
	s_delay_alu instid0(VALU_DEP_2)
	v_cmp_gt_u32_e64 s10, s6, v34
	s_and_saveexec_b32 s11, s10
	s_cbranch_execz .LBB286_8
; %bb.7:
	global_load_b64 v[8:9], v91, s[4:5] offset:6144
.LBB286_8:
	s_or_b32 exec_lo, exec_lo, s11
	v_or_b32_e32 v35, 0x400, v84
	v_dual_mov_b32 v7, s3 :: v_dual_mov_b32 v6, s2
	s_delay_alu instid0(VALU_DEP_2)
	v_cmp_gt_u32_e64 s11, s6, v35
	s_and_saveexec_b32 s12, s11
	s_cbranch_execz .LBB286_10
; %bb.9:
	global_load_b64 v[6:7], v91, s[4:5] offset:8192
.LBB286_10:
	s_or_b32 exec_lo, exec_lo, s12
	v_or_b32_e32 v36, 0x500, v84
	v_dual_mov_b32 v11, s3 :: v_dual_mov_b32 v10, s2
	s_delay_alu instid0(VALU_DEP_2)
	v_cmp_gt_u32_e64 s12, s6, v36
	s_and_saveexec_b32 s13, s12
	s_cbranch_execz .LBB286_12
; %bb.11:
	global_load_b64 v[10:11], v91, s[4:5] offset:10240
.LBB286_12:
	s_or_b32 exec_lo, exec_lo, s13
	v_or_b32_e32 v37, 0x600, v84
	v_dual_mov_b32 v13, s3 :: v_dual_mov_b32 v12, s2
	s_delay_alu instid0(VALU_DEP_2)
	v_cmp_gt_u32_e64 s13, s6, v37
	s_and_saveexec_b32 s14, s13
	s_cbranch_execz .LBB286_14
; %bb.13:
	global_load_b64 v[12:13], v91, s[4:5] offset:12288
.LBB286_14:
	s_or_b32 exec_lo, exec_lo, s14
	v_or_b32_e32 v38, 0x700, v84
	v_dual_mov_b32 v17, s3 :: v_dual_mov_b32 v16, s2
	s_delay_alu instid0(VALU_DEP_2)
	v_cmp_gt_u32_e64 s14, s6, v38
	s_and_saveexec_b32 s15, s14
	s_cbranch_execz .LBB286_16
; %bb.15:
	global_load_b64 v[16:17], v91, s[4:5] offset:14336
.LBB286_16:
	s_or_b32 exec_lo, exec_lo, s15
	v_or_b32_e32 v39, 0x800, v84
	v_dual_mov_b32 v15, s3 :: v_dual_mov_b32 v14, s2
	s_delay_alu instid0(VALU_DEP_2)
	v_cmp_gt_u32_e64 s15, s6, v39
	s_and_saveexec_b32 s16, s15
	s_cbranch_execz .LBB286_18
; %bb.17:
	global_load_b64 v[14:15], v91, s[4:5] offset:16384
.LBB286_18:
	s_or_b32 exec_lo, exec_lo, s16
	v_or_b32_e32 v40, 0x900, v84
	v_dual_mov_b32 v19, s3 :: v_dual_mov_b32 v18, s2
	s_delay_alu instid0(VALU_DEP_2)
	v_cmp_gt_u32_e64 s16, s6, v40
	s_and_saveexec_b32 s17, s16
	s_cbranch_execz .LBB286_20
; %bb.19:
	global_load_b64 v[18:19], v91, s[4:5] offset:18432
.LBB286_20:
	s_or_b32 exec_lo, exec_lo, s17
	v_or_b32_e32 v41, 0xa00, v84
	v_dual_mov_b32 v21, s3 :: v_dual_mov_b32 v20, s2
	s_delay_alu instid0(VALU_DEP_2)
	v_cmp_gt_u32_e64 s17, s6, v41
	s_and_saveexec_b32 s18, s17
	s_cbranch_execz .LBB286_22
; %bb.21:
	global_load_b64 v[20:21], v91, s[4:5] offset:20480
.LBB286_22:
	s_or_b32 exec_lo, exec_lo, s18
	v_or_b32_e32 v42, 0xb00, v84
	v_dual_mov_b32 v23, s3 :: v_dual_mov_b32 v22, s2
	s_delay_alu instid0(VALU_DEP_2)
	v_cmp_gt_u32_e64 s18, s6, v42
	s_and_saveexec_b32 s19, s18
	s_cbranch_execz .LBB286_24
; %bb.23:
	global_load_b64 v[22:23], v91, s[4:5] offset:22528
.LBB286_24:
	s_or_b32 exec_lo, exec_lo, s19
	v_or_b32_e32 v43, 0xc00, v84
	v_dual_mov_b32 v25, s3 :: v_dual_mov_b32 v24, s2
	s_delay_alu instid0(VALU_DEP_2)
	v_cmp_gt_u32_e64 s19, s6, v43
	s_and_saveexec_b32 s20, s19
	s_cbranch_execz .LBB286_26
; %bb.25:
	global_load_b64 v[24:25], v91, s[4:5] offset:24576
.LBB286_26:
	s_or_b32 exec_lo, exec_lo, s20
	v_or_b32_e32 v44, 0xd00, v84
	v_dual_mov_b32 v27, s3 :: v_dual_mov_b32 v26, s2
	s_delay_alu instid0(VALU_DEP_2)
	v_cmp_gt_u32_e64 s20, s6, v44
	s_and_saveexec_b32 s21, s20
	s_cbranch_execz .LBB286_28
; %bb.27:
	global_load_b64 v[26:27], v91, s[4:5] offset:26624
.LBB286_28:
	s_or_b32 exec_lo, exec_lo, s21
	v_or_b32_e32 v45, 0xe00, v84
	v_dual_mov_b32 v29, s3 :: v_dual_mov_b32 v28, s2
	s_delay_alu instid0(VALU_DEP_2)
	v_cmp_gt_u32_e64 s21, s6, v45
	s_and_saveexec_b32 s22, s21
	s_cbranch_execz .LBB286_30
; %bb.29:
	global_load_b64 v[28:29], v91, s[4:5] offset:28672
.LBB286_30:
	s_or_b32 exec_lo, exec_lo, s22
	v_or_b32_e32 v46, 0xf00, v84
	v_dual_mov_b32 v31, s3 :: v_dual_mov_b32 v30, s2
	s_delay_alu instid0(VALU_DEP_2)
	v_cmp_gt_u32_e64 s22, s6, v46
	s_and_saveexec_b32 s2, s22
	s_cbranch_execz .LBB286_32
; %bb.31:
	global_load_b64 v[30:31], v91, s[4:5] offset:30720
.LBB286_32:
	s_wait_alu 0xfffe
	s_or_b32 exec_lo, exec_lo, s2
	v_lshrrev_b32_e32 v47, 2, v84
	v_lshrrev_b32_e32 v33, 2, v33
	;; [unrolled: 1-line block ×5, first 2 shown]
	v_and_b32_e32 v47, 56, v47
	v_and_b32_e32 v33, 0xf8, v33
	;; [unrolled: 1-line block ×4, first 2 shown]
	s_load_b64 s[24:25], s[0:1], 0x20
	v_add_nc_u32_e32 v92, v47, v91
	v_add_nc_u32_e32 v94, v33, v91
	v_and_b32_e32 v33, 0x1f8, v35
	v_lshrrev_b32_e32 v35, 2, v38
	v_add_nc_u32_e32 v93, v32, v91
	v_add_nc_u32_e32 v95, v34, v91
	s_wait_loadcnt 0x0
	ds_store_b64 v92, v[0:1]
	ds_store_b64 v93, v[2:3] offset:2048
	ds_store_b64 v94, v[4:5] offset:4096
	;; [unrolled: 1-line block ×3, first 2 shown]
	v_and_b32_e32 v0, 0x1f8, v35
	v_lshrrev_b32_e32 v1, 2, v39
	v_lshrrev_b32_e32 v2, 2, v40
	;; [unrolled: 1-line block ×4, first 2 shown]
	v_add_nc_u32_e32 v99, v0, v91
	v_and_b32_e32 v0, 0x3f8, v1
	v_and_b32_e32 v1, 0x3f8, v2
	;; [unrolled: 1-line block ×4, first 2 shown]
	v_lshlrev_b32_e32 v4, 2, v84
	v_add_nc_u32_e32 v100, v0, v91
	v_add_nc_u32_e32 v101, v1, v91
	v_lshrrev_b32_e32 v0, 2, v43
	v_lshrrev_b32_e32 v1, 2, v44
	;; [unrolled: 1-line block ×4, first 2 shown]
	v_add_nc_u32_e32 v102, v2, v91
	v_and_b32_e32 v0, 0x3f8, v0
	v_and_b32_e32 v1, 0x3f8, v1
	v_lshrrev_b32_e32 v2, 2, v45
	v_add_nc_u32_e32 v103, v3, v91
	v_lshrrev_b32_e32 v3, 2, v46
	v_add_nc_u32_e32 v104, v0, v91
	v_add_nc_u32_e32 v105, v1, v91
	v_and_b32_e32 v0, 0x3f8, v4
	v_lshlrev_b32_e32 v1, 7, v84
	v_and_b32_e32 v32, 0x1f8, v32
	v_and_b32_e32 v34, 0x1f8, v36
	;; [unrolled: 1-line block ×4, first 2 shown]
	v_add_nc_u32_e32 v96, v33, v91
	v_add_nc_u32_e32 v108, v0, v1
	;; [unrolled: 1-line block ×6, first 2 shown]
	ds_store_b64 v96, v[6:7] offset:8192
	ds_store_b64 v97, v[10:11] offset:10240
	;; [unrolled: 1-line block ×12, first 2 shown]
	s_wait_dscnt 0x0
	s_barrier_signal -1
	s_barrier_wait -1
	global_inv scope:SCOPE_SE
	ds_load_2addr_b64 v[22:25], v108 offset1:1
	ds_load_2addr_b64 v[50:53], v108 offset0:2 offset1:3
	ds_load_2addr_b64 v[46:49], v108 offset0:4 offset1:5
	;; [unrolled: 1-line block ×7, first 2 shown]
	s_getpc_b64 s[26:27]
	s_sext_i32_i16 s27, s27
	s_add_co_u32 s26, s26, _ZZZZN2at6native31launch_logcumsumexp_cuda_kernelERKNS_10TensorBaseES3_lENKUlvE_clEvENKUlvE2_clEvENKUlN3c107complexIfEES8_E_clES8_S8_@rel32@lo+8
	s_add_co_ci_u32 s27, s27, _ZZZZN2at6native31launch_logcumsumexp_cuda_kernelERKNS_10TensorBaseES3_lENKUlvE_clEvENKUlvE2_clEvENKUlN3c107complexIfEES8_E_clES8_S8_@rel32@hi+16
	s_wait_loadcnt_dscnt 0x0
	s_barrier_signal -1
	s_barrier_wait -1
	global_inv scope:SCOPE_SE
	v_dual_mov_b32 v0, v22 :: v_dual_mov_b32 v1, v23
	v_dual_mov_b32 v2, v24 :: v_dual_mov_b32 v3, v25
	s_swappc_b64 s[30:31], s[26:27]
	v_dual_mov_b32 v2, v50 :: v_dual_mov_b32 v3, v51
	s_delay_alu instid0(VALU_DEP_3)
	v_dual_mov_b32 v85, v0 :: v_dual_mov_b32 v86, v1
	s_wait_alu 0xfffe
	s_swappc_b64 s[30:31], s[26:27]
	v_dual_mov_b32 v2, v52 :: v_dual_mov_b32 v3, v53
	v_dual_mov_b32 v54, v0 :: v_dual_mov_b32 v55, v1
	s_wait_alu 0xfffe
	s_swappc_b64 s[30:31], s[26:27]
	v_dual_mov_b32 v2, v46 :: v_dual_mov_b32 v3, v47
	;; [unrolled: 4-line block ×14, first 2 shown]
	s_mov_b32 s23, exec_lo
	ds_store_b64 v92, v[80:81]
	s_wait_storecnt_dscnt 0x0
	s_barrier_signal -1
	s_barrier_wait -1
	global_inv scope:SCOPE_SE
	v_cmpx_gt_u32_e32 32, v84
	s_cbranch_execz .LBB286_44
; %bb.33:
	v_lshlrev_b32_e32 v0, 1, v84
	v_lshlrev_b32_e32 v1, 6, v84
	s_delay_alu instid0(VALU_DEP_2) | instskip(NEXT) | instid1(VALU_DEP_1)
	v_and_b32_e32 v0, 0x1f8, v0
	v_add_nc_u32_e32 v109, v0, v1
	ds_load_b64 v[82:83], v109
	ds_load_2addr_b64 v[87:90], v109 offset0:1 offset1:2
	s_wait_dscnt 0x1
	v_dual_mov_b32 v0, v82 :: v_dual_mov_b32 v1, v83
	s_wait_dscnt 0x0
	v_dual_mov_b32 v2, v87 :: v_dual_mov_b32 v3, v88
	s_wait_alu 0xfffe
	s_swappc_b64 s[30:31], s[26:27]
	v_dual_mov_b32 v2, v89 :: v_dual_mov_b32 v3, v90
	s_wait_alu 0xfffe
	s_swappc_b64 s[30:31], s[26:27]
	ds_load_2addr_b64 v[87:90], v109 offset0:3 offset1:4
	s_wait_dscnt 0x0
	v_dual_mov_b32 v2, v87 :: v_dual_mov_b32 v3, v88
	s_wait_alu 0xfffe
	s_swappc_b64 s[30:31], s[26:27]
	v_dual_mov_b32 v2, v89 :: v_dual_mov_b32 v3, v90
	s_wait_alu 0xfffe
	s_swappc_b64 s[30:31], s[26:27]
	ds_load_2addr_b64 v[87:90], v109 offset0:5 offset1:6
	s_wait_dscnt 0x0
	v_dual_mov_b32 v2, v87 :: v_dual_mov_b32 v3, v88
	s_wait_alu 0xfffe
	s_swappc_b64 s[30:31], s[26:27]
	v_dual_mov_b32 v2, v89 :: v_dual_mov_b32 v3, v90
	s_wait_alu 0xfffe
	s_swappc_b64 s[30:31], s[26:27]
	ds_load_b64 v[2:3], v109 offset:56
	s_wait_alu 0xfffe
	s_swappc_b64 s[30:31], s[26:27]
	v_dual_mov_b32 v2, v0 :: v_dual_mov_b32 v3, v1
	v_mbcnt_lo_u32_b32 v87, -1, 0
	s_mov_b32 s26, exec_lo
	s_delay_alu instid0(VALU_DEP_2) | instskip(NEXT) | instid1(VALU_DEP_3)
	v_mov_b32_dpp v0, v2 row_shr:1 row_mask:0xf bank_mask:0xf
	v_mov_b32_dpp v1, v3 row_shr:1 row_mask:0xf bank_mask:0xf
	s_delay_alu instid0(VALU_DEP_3) | instskip(NEXT) | instid1(VALU_DEP_1)
	v_and_b32_e32 v88, 15, v87
	v_cmpx_ne_u32_e32 0, v88
	s_cbranch_execz .LBB286_35
; %bb.34:
	s_getpc_b64 s[0:1]
	s_wait_alu 0xfffe
	s_sext_i32_i16 s1, s1
	s_add_co_u32 s0, s0, _ZZZZN2at6native31launch_logcumsumexp_cuda_kernelERKNS_10TensorBaseES3_lENKUlvE_clEvENKUlvE2_clEvENKUlN3c107complexIfEES8_E_clES8_S8_@rel32@lo+12
	s_wait_alu 0xfffe
	s_add_co_ci_u32 s1, s1, _ZZZZN2at6native31launch_logcumsumexp_cuda_kernelERKNS_10TensorBaseES3_lENKUlvE_clEvENKUlvE2_clEvENKUlN3c107complexIfEES8_E_clES8_S8_@rel32@hi+24
	s_wait_alu 0xfffe
	s_swappc_b64 s[30:31], s[0:1]
	v_dual_mov_b32 v2, v0 :: v_dual_mov_b32 v3, v1
.LBB286_35:
	s_wait_alu 0xfffe
	s_or_b32 exec_lo, exec_lo, s26
	s_delay_alu instid0(VALU_DEP_1) | instskip(NEXT) | instid1(VALU_DEP_2)
	v_mov_b32_dpp v0, v2 row_shr:2 row_mask:0xf bank_mask:0xf
	v_mov_b32_dpp v1, v3 row_shr:2 row_mask:0xf bank_mask:0xf
	s_mov_b32 s26, exec_lo
	v_cmpx_lt_u32_e32 1, v88
	s_cbranch_execz .LBB286_37
; %bb.36:
	s_getpc_b64 s[0:1]
	s_wait_alu 0xfffe
	s_sext_i32_i16 s1, s1
	s_add_co_u32 s0, s0, _ZZZZN2at6native31launch_logcumsumexp_cuda_kernelERKNS_10TensorBaseES3_lENKUlvE_clEvENKUlvE2_clEvENKUlN3c107complexIfEES8_E_clES8_S8_@rel32@lo+12
	s_wait_alu 0xfffe
	s_add_co_ci_u32 s1, s1, _ZZZZN2at6native31launch_logcumsumexp_cuda_kernelERKNS_10TensorBaseES3_lENKUlvE_clEvENKUlvE2_clEvENKUlN3c107complexIfEES8_E_clES8_S8_@rel32@hi+24
	s_wait_alu 0xfffe
	s_swappc_b64 s[30:31], s[0:1]
	v_dual_mov_b32 v2, v0 :: v_dual_mov_b32 v3, v1
.LBB286_37:
	s_wait_alu 0xfffe
	s_or_b32 exec_lo, exec_lo, s26
	s_delay_alu instid0(VALU_DEP_1) | instskip(NEXT) | instid1(VALU_DEP_2)
	v_mov_b32_dpp v0, v2 row_shr:4 row_mask:0xf bank_mask:0xf
	v_mov_b32_dpp v1, v3 row_shr:4 row_mask:0xf bank_mask:0xf
	s_mov_b32 s26, exec_lo
	v_cmpx_lt_u32_e32 3, v88
	;; [unrolled: 19-line block ×3, first 2 shown]
	s_cbranch_execz .LBB286_41
; %bb.40:
	s_getpc_b64 s[0:1]
	s_wait_alu 0xfffe
	s_sext_i32_i16 s1, s1
	s_add_co_u32 s0, s0, _ZZZZN2at6native31launch_logcumsumexp_cuda_kernelERKNS_10TensorBaseES3_lENKUlvE_clEvENKUlvE2_clEvENKUlN3c107complexIfEES8_E_clES8_S8_@rel32@lo+12
	s_wait_alu 0xfffe
	s_add_co_ci_u32 s1, s1, _ZZZZN2at6native31launch_logcumsumexp_cuda_kernelERKNS_10TensorBaseES3_lENKUlvE_clEvENKUlvE2_clEvENKUlN3c107complexIfEES8_E_clES8_S8_@rel32@hi+24
	s_wait_alu 0xfffe
	s_swappc_b64 s[30:31], s[0:1]
	v_dual_mov_b32 v2, v0 :: v_dual_mov_b32 v3, v1
.LBB286_41:
	s_wait_alu 0xfffe
	s_or_b32 exec_lo, exec_lo, s26
	ds_swizzle_b32 v0, v2 offset:swizzle(BROADCAST,32,15)
	ds_swizzle_b32 v1, v3 offset:swizzle(BROADCAST,32,15)
	v_and_b32_e32 v4, 16, v87
	s_mov_b32 s26, exec_lo
	s_delay_alu instid0(VALU_DEP_1)
	v_cmpx_ne_u32_e32 0, v4
	s_cbranch_execz .LBB286_43
; %bb.42:
	s_getpc_b64 s[0:1]
	s_wait_alu 0xfffe
	s_sext_i32_i16 s1, s1
	s_add_co_u32 s0, s0, _ZZZZN2at6native31launch_logcumsumexp_cuda_kernelERKNS_10TensorBaseES3_lENKUlvE_clEvENKUlvE2_clEvENKUlN3c107complexIfEES8_E_clES8_S8_@rel32@lo+12
	s_wait_alu 0xfffe
	s_add_co_ci_u32 s1, s1, _ZZZZN2at6native31launch_logcumsumexp_cuda_kernelERKNS_10TensorBaseES3_lENKUlvE_clEvENKUlvE2_clEvENKUlN3c107complexIfEES8_E_clES8_S8_@rel32@hi+24
	s_wait_alu 0xfffe
	s_swappc_b64 s[30:31], s[0:1]
	v_dual_mov_b32 v2, v0 :: v_dual_mov_b32 v3, v1
.LBB286_43:
	s_wait_alu 0xfffe
	s_or_b32 exec_lo, exec_lo, s26
	s_wait_dscnt 0x1
	v_add_nc_u32_e32 v0, -1, v87
	s_getpc_b64 s[26:27]
	s_wait_alu 0xfffe
	s_sext_i32_i16 s27, s27
	s_add_co_u32 s26, s26, _ZZZZN2at6native31launch_logcumsumexp_cuda_kernelERKNS_10TensorBaseES3_lENKUlvE_clEvENKUlvE2_clEvENKUlN3c107complexIfEES8_E_clES8_S8_@rel32@lo+12
	s_wait_alu 0xfffe
	s_add_co_ci_u32 s27, s27, _ZZZZN2at6native31launch_logcumsumexp_cuda_kernelERKNS_10TensorBaseES3_lENKUlvE_clEvENKUlvE2_clEvENKUlN3c107complexIfEES8_E_clES8_S8_@rel32@hi+24
	v_cmp_gt_i32_e32 vcc_lo, 0, v0
	s_wait_alu 0xfffd
	v_cndmask_b32_e32 v0, v0, v87, vcc_lo
	s_wait_dscnt 0x0
	s_delay_alu instid0(VALU_DEP_1)
	v_lshlrev_b32_e32 v1, 2, v0
	ds_bpermute_b32 v0, v1, v2
	v_mov_b32_e32 v2, v82
	ds_bpermute_b32 v1, v1, v3
	v_mov_b32_e32 v3, v83
	s_wait_alu 0xfffe
	s_swappc_b64 s[30:31], s[26:27]
	v_cmp_eq_u32_e32 vcc_lo, 0, v84
	; wave barrier
	s_wait_alu 0xfffd
	v_dual_cndmask_b32 v0, v0, v80 :: v_dual_cndmask_b32 v1, v1, v81
	ds_store_b64 v109, v[0:1]
	; wave barrier
	ds_load_2addr_b64 v[87:90], v109 offset0:1 offset1:2
	s_wait_dscnt 0x0
	v_dual_mov_b32 v2, v87 :: v_dual_mov_b32 v3, v88
	s_wait_alu 0xfffe
	s_swappc_b64 s[30:31], s[26:27]
	v_dual_mov_b32 v2, v89 :: v_dual_mov_b32 v3, v90
	v_dual_mov_b32 v82, v0 :: v_dual_mov_b32 v83, v1
	s_wait_alu 0xfffe
	s_swappc_b64 s[30:31], s[26:27]
	ds_load_2addr_b64 v[87:90], v109 offset0:3 offset1:4
	ds_store_2addr_b64 v109, v[82:83], v[0:1] offset0:1 offset1:2
	s_wait_dscnt 0x1
	v_dual_mov_b32 v2, v87 :: v_dual_mov_b32 v3, v88
	s_wait_alu 0xfffe
	s_swappc_b64 s[30:31], s[26:27]
	v_dual_mov_b32 v2, v89 :: v_dual_mov_b32 v3, v90
	v_dual_mov_b32 v82, v0 :: v_dual_mov_b32 v83, v1
	s_wait_alu 0xfffe
	s_swappc_b64 s[30:31], s[26:27]
	ds_load_2addr_b64 v[87:90], v109 offset0:5 offset1:6
	ds_store_2addr_b64 v109, v[82:83], v[0:1] offset0:3 offset1:4
	s_wait_dscnt 0x1
	v_dual_mov_b32 v2, v87 :: v_dual_mov_b32 v3, v88
	s_wait_alu 0xfffe
	s_swappc_b64 s[30:31], s[26:27]
	v_dual_mov_b32 v2, v89 :: v_dual_mov_b32 v3, v90
	v_dual_mov_b32 v82, v0 :: v_dual_mov_b32 v83, v1
	s_wait_alu 0xfffe
	s_swappc_b64 s[30:31], s[26:27]
	ds_load_b64 v[2:3], v109 offset:56
	ds_store_2addr_b64 v109, v[82:83], v[0:1] offset0:5 offset1:6
	s_wait_alu 0xfffe
	s_swappc_b64 s[30:31], s[26:27]
	ds_store_b64 v109, v[0:1] offset:56
.LBB286_44:
	s_wait_alu 0xfffe
	s_or_b32 exec_lo, exec_lo, s23
	s_delay_alu instid0(SALU_CYCLE_1)
	s_mov_b32 s23, exec_lo
	s_wait_storecnt 0x0
	s_wait_loadcnt_dscnt 0x0
	s_barrier_signal -1
	s_barrier_wait -1
	global_inv scope:SCOPE_SE
	v_cmpx_ne_u32_e32 0, v84
	s_cbranch_execz .LBB286_46
; %bb.45:
	v_dual_mov_b32 v3, v23 :: v_dual_add_nc_u32 v0, -1, v84
	s_getpc_b64 s[26:27]
	s_wait_alu 0xfffe
	s_sext_i32_i16 s27, s27
	s_add_co_u32 s26, s26, _ZZZZN2at6native31launch_logcumsumexp_cuda_kernelERKNS_10TensorBaseES3_lENKUlvE_clEvENKUlvE2_clEvENKUlN3c107complexIfEES8_E_clES8_S8_@rel32@lo+12
	s_wait_alu 0xfffe
	s_add_co_ci_u32 s27, s27, _ZZZZN2at6native31launch_logcumsumexp_cuda_kernelERKNS_10TensorBaseES3_lENKUlvE_clEvENKUlvE2_clEvENKUlN3c107complexIfEES8_E_clES8_S8_@rel32@hi+24
	v_mov_b32_e32 v2, v22
	v_lshrrev_b32_e32 v1, 2, v0
	s_delay_alu instid0(VALU_DEP_1) | instskip(NEXT) | instid1(VALU_DEP_1)
	v_and_b32_e32 v1, 0x3ffffff8, v1
	v_lshl_add_u32 v0, v0, 3, v1
	ds_load_b64 v[0:1], v0
	s_wait_alu 0xfffe
	s_swappc_b64 s[30:31], s[26:27]
	v_dual_mov_b32 v2, v24 :: v_dual_mov_b32 v3, v25
	v_dual_mov_b32 v22, v0 :: v_dual_mov_b32 v23, v1
	;;#ASMSTART
	;;#ASMEND
	s_wait_alu 0xfffe
	s_swappc_b64 s[30:31], s[26:27]
	v_dual_mov_b32 v2, v50 :: v_dual_mov_b32 v3, v51
	v_dual_mov_b32 v85, v0 :: v_dual_mov_b32 v86, v1
	s_wait_alu 0xfffe
	s_swappc_b64 s[30:31], s[26:27]
	v_dual_mov_b32 v2, v52 :: v_dual_mov_b32 v3, v53
	v_dual_mov_b32 v54, v0 :: v_dual_mov_b32 v55, v1
	;; [unrolled: 4-line block ×14, first 2 shown]
	s_wait_alu 0xfffe
	s_swappc_b64 s[30:31], s[26:27]
	v_dual_mov_b32 v80, v0 :: v_dual_mov_b32 v81, v1
.LBB286_46:
	s_wait_alu 0xfffe
	s_or_b32 exec_lo, exec_lo, s23
	v_dual_mov_b32 v0, v85 :: v_dual_mov_b32 v1, v86
	s_wait_loadcnt 0x0
	s_wait_storecnt 0x0
	s_barrier_signal -1
	s_barrier_wait -1
	global_inv scope:SCOPE_SE
	ds_store_2addr_b64 v108, v[22:23], v[0:1] offset1:1
	ds_store_2addr_b64 v108, v[54:55], v[56:57] offset0:2 offset1:3
	ds_store_2addr_b64 v108, v[58:59], v[60:61] offset0:4 offset1:5
	;; [unrolled: 1-line block ×7, first 2 shown]
	s_wait_loadcnt_dscnt 0x0
	s_barrier_signal -1
	s_barrier_wait -1
	global_inv scope:SCOPE_SE
	ds_load_b64 v[30:31], v93 offset:2048
	ds_load_b64 v[28:29], v94 offset:4096
	;; [unrolled: 1-line block ×15, first 2 shown]
	v_add_co_u32 v2, s0, s24, v91
	s_wait_alu 0xf1ff
	v_add_co_ci_u32_e64 v3, null, s25, 0, s0
	s_and_saveexec_b32 s0, s7
	s_cbranch_execnz .LBB286_63
; %bb.47:
	s_wait_alu 0xfffe
	s_or_b32 exec_lo, exec_lo, s0
	s_and_saveexec_b32 s0, s8
	s_cbranch_execnz .LBB286_64
.LBB286_48:
	s_wait_alu 0xfffe
	s_or_b32 exec_lo, exec_lo, s0
	s_and_saveexec_b32 s0, s9
	s_cbranch_execnz .LBB286_65
.LBB286_49:
	s_wait_alu 0xfffe
	s_or_b32 exec_lo, exec_lo, s0
	s_and_saveexec_b32 s0, s10
	s_cbranch_execnz .LBB286_66
.LBB286_50:
	s_wait_alu 0xfffe
	s_or_b32 exec_lo, exec_lo, s0
	s_and_saveexec_b32 s0, s11
	s_cbranch_execnz .LBB286_67
.LBB286_51:
	s_wait_alu 0xfffe
	s_or_b32 exec_lo, exec_lo, s0
	s_and_saveexec_b32 s0, s12
	s_cbranch_execnz .LBB286_68
.LBB286_52:
	s_wait_alu 0xfffe
	s_or_b32 exec_lo, exec_lo, s0
	s_and_saveexec_b32 s0, s13
	s_cbranch_execnz .LBB286_69
.LBB286_53:
	s_wait_alu 0xfffe
	s_or_b32 exec_lo, exec_lo, s0
	s_and_saveexec_b32 s0, s14
	s_cbranch_execnz .LBB286_70
.LBB286_54:
	s_wait_alu 0xfffe
	s_or_b32 exec_lo, exec_lo, s0
	s_and_saveexec_b32 s0, s15
	s_cbranch_execnz .LBB286_71
.LBB286_55:
	s_wait_alu 0xfffe
	s_or_b32 exec_lo, exec_lo, s0
	s_and_saveexec_b32 s0, s16
	s_cbranch_execnz .LBB286_72
.LBB286_56:
	s_wait_alu 0xfffe
	s_or_b32 exec_lo, exec_lo, s0
	s_and_saveexec_b32 s0, s17
	s_cbranch_execnz .LBB286_73
.LBB286_57:
	s_wait_alu 0xfffe
	s_or_b32 exec_lo, exec_lo, s0
	s_and_saveexec_b32 s0, s18
	s_cbranch_execnz .LBB286_74
.LBB286_58:
	s_wait_alu 0xfffe
	s_or_b32 exec_lo, exec_lo, s0
	s_and_saveexec_b32 s0, s19
	s_cbranch_execnz .LBB286_75
.LBB286_59:
	s_wait_alu 0xfffe
	s_or_b32 exec_lo, exec_lo, s0
	s_and_saveexec_b32 s0, s20
	s_cbranch_execnz .LBB286_76
.LBB286_60:
	s_wait_alu 0xfffe
	s_or_b32 exec_lo, exec_lo, s0
	s_and_saveexec_b32 s0, s21
	s_cbranch_execnz .LBB286_77
.LBB286_61:
	s_wait_alu 0xfffe
	s_or_b32 exec_lo, exec_lo, s0
	s_and_saveexec_b32 s0, s22
	s_cbranch_execnz .LBB286_78
.LBB286_62:
	s_nop 0
	s_sendmsg sendmsg(MSG_DEALLOC_VGPRS)
	s_endpgm
.LBB286_63:
	ds_load_b64 v[32:33], v92
	s_wait_dscnt 0x0
	global_store_b64 v[2:3], v[32:33], off
	s_wait_alu 0xfffe
	s_or_b32 exec_lo, exec_lo, s0
	s_and_saveexec_b32 s0, s8
	s_cbranch_execz .LBB286_48
.LBB286_64:
	s_wait_dscnt 0xe
	global_store_b64 v[2:3], v[30:31], off offset:2048
	s_wait_alu 0xfffe
	s_or_b32 exec_lo, exec_lo, s0
	s_and_saveexec_b32 s0, s9
	s_cbranch_execz .LBB286_49
.LBB286_65:
	s_wait_dscnt 0xd
	global_store_b64 v[2:3], v[28:29], off offset:4096
	s_wait_alu 0xfffe
	s_or_b32 exec_lo, exec_lo, s0
	s_and_saveexec_b32 s0, s10
	s_cbranch_execz .LBB286_50
.LBB286_66:
	s_wait_dscnt 0xc
	global_store_b64 v[2:3], v[26:27], off offset:6144
	s_wait_alu 0xfffe
	s_or_b32 exec_lo, exec_lo, s0
	s_and_saveexec_b32 s0, s11
	s_cbranch_execz .LBB286_51
.LBB286_67:
	s_wait_dscnt 0xb
	global_store_b64 v[2:3], v[24:25], off offset:8192
	s_wait_alu 0xfffe
	s_or_b32 exec_lo, exec_lo, s0
	s_and_saveexec_b32 s0, s12
	s_cbranch_execz .LBB286_52
.LBB286_68:
	s_wait_dscnt 0xa
	global_store_b64 v[2:3], v[22:23], off offset:10240
	s_wait_alu 0xfffe
	s_or_b32 exec_lo, exec_lo, s0
	s_and_saveexec_b32 s0, s13
	s_cbranch_execz .LBB286_53
.LBB286_69:
	s_wait_dscnt 0x9
	global_store_b64 v[2:3], v[20:21], off offset:12288
	s_wait_alu 0xfffe
	s_or_b32 exec_lo, exec_lo, s0
	s_and_saveexec_b32 s0, s14
	s_cbranch_execz .LBB286_54
.LBB286_70:
	s_wait_dscnt 0x8
	global_store_b64 v[2:3], v[18:19], off offset:14336
	s_wait_alu 0xfffe
	s_or_b32 exec_lo, exec_lo, s0
	s_and_saveexec_b32 s0, s15
	s_cbranch_execz .LBB286_55
.LBB286_71:
	s_wait_dscnt 0x7
	global_store_b64 v[2:3], v[16:17], off offset:16384
	s_wait_alu 0xfffe
	s_or_b32 exec_lo, exec_lo, s0
	s_and_saveexec_b32 s0, s16
	s_cbranch_execz .LBB286_56
.LBB286_72:
	s_wait_dscnt 0x6
	global_store_b64 v[2:3], v[14:15], off offset:18432
	s_wait_alu 0xfffe
	s_or_b32 exec_lo, exec_lo, s0
	s_and_saveexec_b32 s0, s17
	s_cbranch_execz .LBB286_57
.LBB286_73:
	s_wait_dscnt 0x5
	global_store_b64 v[2:3], v[12:13], off offset:20480
	s_wait_alu 0xfffe
	s_or_b32 exec_lo, exec_lo, s0
	s_and_saveexec_b32 s0, s18
	s_cbranch_execz .LBB286_58
.LBB286_74:
	s_wait_dscnt 0x4
	global_store_b64 v[2:3], v[10:11], off offset:22528
	s_wait_alu 0xfffe
	s_or_b32 exec_lo, exec_lo, s0
	s_and_saveexec_b32 s0, s19
	s_cbranch_execz .LBB286_59
.LBB286_75:
	s_wait_dscnt 0x3
	global_store_b64 v[2:3], v[8:9], off offset:24576
	s_wait_alu 0xfffe
	s_or_b32 exec_lo, exec_lo, s0
	s_and_saveexec_b32 s0, s20
	s_cbranch_execz .LBB286_60
.LBB286_76:
	s_wait_dscnt 0x2
	global_store_b64 v[2:3], v[6:7], off offset:26624
	s_wait_alu 0xfffe
	s_or_b32 exec_lo, exec_lo, s0
	s_and_saveexec_b32 s0, s21
	s_cbranch_execz .LBB286_61
.LBB286_77:
	s_wait_dscnt 0x1
	global_store_b64 v[2:3], v[4:5], off offset:28672
	s_wait_alu 0xfffe
	s_or_b32 exec_lo, exec_lo, s0
	s_and_saveexec_b32 s0, s22
	s_cbranch_execz .LBB286_62
.LBB286_78:
	s_wait_dscnt 0x0
	global_store_b64 v[2:3], v[0:1], off offset:30720
	s_nop 0
	s_sendmsg sendmsg(MSG_DEALLOC_VGPRS)
	s_endpgm
	.section	.rodata,"a",@progbits
	.p2align	6, 0x0
	.amdhsa_kernel _ZN7rocprim17ROCPRIM_400000_NS6detail17trampoline_kernelINS0_14default_configENS1_20scan_config_selectorIN3c107complexIfEEEEZZNS1_9scan_implILNS1_25lookback_scan_determinismE0ELb0ELb0ES3_PKS7_PS7_S7_ZZZN2at6native31launch_logcumsumexp_cuda_kernelERKNSE_10TensorBaseESI_lENKUlvE_clEvENKUlvE2_clEvEUlS7_S7_E_S7_EEDaPvRmT3_T4_T5_mT6_P12ihipStream_tbENKUlT_T0_E_clISt17integral_constantIbLb0EESZ_EEDaSU_SV_EUlSU_E0_NS1_11comp_targetILNS1_3genE10ELNS1_11target_archE1201ELNS1_3gpuE5ELNS1_3repE0EEENS1_30default_config_static_selectorELNS0_4arch9wavefront6targetE0EEEvT1_
		.amdhsa_group_segment_fixed_size 33792
		.amdhsa_private_segment_fixed_size 0
		.amdhsa_kernarg_size 40
		.amdhsa_user_sgpr_count 2
		.amdhsa_user_sgpr_dispatch_ptr 0
		.amdhsa_user_sgpr_queue_ptr 0
		.amdhsa_user_sgpr_kernarg_segment_ptr 1
		.amdhsa_user_sgpr_dispatch_id 0
		.amdhsa_user_sgpr_private_segment_size 0
		.amdhsa_wavefront_size32 1
		.amdhsa_uses_dynamic_stack 0
		.amdhsa_enable_private_segment 0
		.amdhsa_system_sgpr_workgroup_id_x 1
		.amdhsa_system_sgpr_workgroup_id_y 0
		.amdhsa_system_sgpr_workgroup_id_z 0
		.amdhsa_system_sgpr_workgroup_info 0
		.amdhsa_system_vgpr_workitem_id 0
		.amdhsa_next_free_vgpr 217
		.amdhsa_next_free_sgpr 33
		.amdhsa_reserve_vcc 1
		.amdhsa_float_round_mode_32 0
		.amdhsa_float_round_mode_16_64 0
		.amdhsa_float_denorm_mode_32 3
		.amdhsa_float_denorm_mode_16_64 3
		.amdhsa_fp16_overflow 0
		.amdhsa_workgroup_processor_mode 1
		.amdhsa_memory_ordered 1
		.amdhsa_forward_progress 1
		.amdhsa_inst_pref_size 35
		.amdhsa_round_robin_scheduling 0
		.amdhsa_exception_fp_ieee_invalid_op 0
		.amdhsa_exception_fp_denorm_src 0
		.amdhsa_exception_fp_ieee_div_zero 0
		.amdhsa_exception_fp_ieee_overflow 0
		.amdhsa_exception_fp_ieee_underflow 0
		.amdhsa_exception_fp_ieee_inexact 0
		.amdhsa_exception_int_div_zero 0
	.end_amdhsa_kernel
	.section	.text._ZN7rocprim17ROCPRIM_400000_NS6detail17trampoline_kernelINS0_14default_configENS1_20scan_config_selectorIN3c107complexIfEEEEZZNS1_9scan_implILNS1_25lookback_scan_determinismE0ELb0ELb0ES3_PKS7_PS7_S7_ZZZN2at6native31launch_logcumsumexp_cuda_kernelERKNSE_10TensorBaseESI_lENKUlvE_clEvENKUlvE2_clEvEUlS7_S7_E_S7_EEDaPvRmT3_T4_T5_mT6_P12ihipStream_tbENKUlT_T0_E_clISt17integral_constantIbLb0EESZ_EEDaSU_SV_EUlSU_E0_NS1_11comp_targetILNS1_3genE10ELNS1_11target_archE1201ELNS1_3gpuE5ELNS1_3repE0EEENS1_30default_config_static_selectorELNS0_4arch9wavefront6targetE0EEEvT1_,"axG",@progbits,_ZN7rocprim17ROCPRIM_400000_NS6detail17trampoline_kernelINS0_14default_configENS1_20scan_config_selectorIN3c107complexIfEEEEZZNS1_9scan_implILNS1_25lookback_scan_determinismE0ELb0ELb0ES3_PKS7_PS7_S7_ZZZN2at6native31launch_logcumsumexp_cuda_kernelERKNSE_10TensorBaseESI_lENKUlvE_clEvENKUlvE2_clEvEUlS7_S7_E_S7_EEDaPvRmT3_T4_T5_mT6_P12ihipStream_tbENKUlT_T0_E_clISt17integral_constantIbLb0EESZ_EEDaSU_SV_EUlSU_E0_NS1_11comp_targetILNS1_3genE10ELNS1_11target_archE1201ELNS1_3gpuE5ELNS1_3repE0EEENS1_30default_config_static_selectorELNS0_4arch9wavefront6targetE0EEEvT1_,comdat
.Lfunc_end286:
	.size	_ZN7rocprim17ROCPRIM_400000_NS6detail17trampoline_kernelINS0_14default_configENS1_20scan_config_selectorIN3c107complexIfEEEEZZNS1_9scan_implILNS1_25lookback_scan_determinismE0ELb0ELb0ES3_PKS7_PS7_S7_ZZZN2at6native31launch_logcumsumexp_cuda_kernelERKNSE_10TensorBaseESI_lENKUlvE_clEvENKUlvE2_clEvEUlS7_S7_E_S7_EEDaPvRmT3_T4_T5_mT6_P12ihipStream_tbENKUlT_T0_E_clISt17integral_constantIbLb0EESZ_EEDaSU_SV_EUlSU_E0_NS1_11comp_targetILNS1_3genE10ELNS1_11target_archE1201ELNS1_3gpuE5ELNS1_3repE0EEENS1_30default_config_static_selectorELNS0_4arch9wavefront6targetE0EEEvT1_, .Lfunc_end286-_ZN7rocprim17ROCPRIM_400000_NS6detail17trampoline_kernelINS0_14default_configENS1_20scan_config_selectorIN3c107complexIfEEEEZZNS1_9scan_implILNS1_25lookback_scan_determinismE0ELb0ELb0ES3_PKS7_PS7_S7_ZZZN2at6native31launch_logcumsumexp_cuda_kernelERKNSE_10TensorBaseESI_lENKUlvE_clEvENKUlvE2_clEvEUlS7_S7_E_S7_EEDaPvRmT3_T4_T5_mT6_P12ihipStream_tbENKUlT_T0_E_clISt17integral_constantIbLb0EESZ_EEDaSU_SV_EUlSU_E0_NS1_11comp_targetILNS1_3genE10ELNS1_11target_archE1201ELNS1_3gpuE5ELNS1_3repE0EEENS1_30default_config_static_selectorELNS0_4arch9wavefront6targetE0EEEvT1_
                                        ; -- End function
	.set _ZN7rocprim17ROCPRIM_400000_NS6detail17trampoline_kernelINS0_14default_configENS1_20scan_config_selectorIN3c107complexIfEEEEZZNS1_9scan_implILNS1_25lookback_scan_determinismE0ELb0ELb0ES3_PKS7_PS7_S7_ZZZN2at6native31launch_logcumsumexp_cuda_kernelERKNSE_10TensorBaseESI_lENKUlvE_clEvENKUlvE2_clEvEUlS7_S7_E_S7_EEDaPvRmT3_T4_T5_mT6_P12ihipStream_tbENKUlT_T0_E_clISt17integral_constantIbLb0EESZ_EEDaSU_SV_EUlSU_E0_NS1_11comp_targetILNS1_3genE10ELNS1_11target_archE1201ELNS1_3gpuE5ELNS1_3repE0EEENS1_30default_config_static_selectorELNS0_4arch9wavefront6targetE0EEEvT1_.num_vgpr, max(110, .L_ZZZZN2at6native31launch_logcumsumexp_cuda_kernelERKNS_10TensorBaseES3_lENKUlvE_clEvENKUlvE2_clEvENKUlN3c107complexIfEES8_E_clES8_S8_.num_vgpr)
	.set _ZN7rocprim17ROCPRIM_400000_NS6detail17trampoline_kernelINS0_14default_configENS1_20scan_config_selectorIN3c107complexIfEEEEZZNS1_9scan_implILNS1_25lookback_scan_determinismE0ELb0ELb0ES3_PKS7_PS7_S7_ZZZN2at6native31launch_logcumsumexp_cuda_kernelERKNSE_10TensorBaseESI_lENKUlvE_clEvENKUlvE2_clEvEUlS7_S7_E_S7_EEDaPvRmT3_T4_T5_mT6_P12ihipStream_tbENKUlT_T0_E_clISt17integral_constantIbLb0EESZ_EEDaSU_SV_EUlSU_E0_NS1_11comp_targetILNS1_3genE10ELNS1_11target_archE1201ELNS1_3gpuE5ELNS1_3repE0EEENS1_30default_config_static_selectorELNS0_4arch9wavefront6targetE0EEEvT1_.num_agpr, max(0, .L_ZZZZN2at6native31launch_logcumsumexp_cuda_kernelERKNS_10TensorBaseES3_lENKUlvE_clEvENKUlvE2_clEvENKUlN3c107complexIfEES8_E_clES8_S8_.num_agpr)
	.set _ZN7rocprim17ROCPRIM_400000_NS6detail17trampoline_kernelINS0_14default_configENS1_20scan_config_selectorIN3c107complexIfEEEEZZNS1_9scan_implILNS1_25lookback_scan_determinismE0ELb0ELb0ES3_PKS7_PS7_S7_ZZZN2at6native31launch_logcumsumexp_cuda_kernelERKNSE_10TensorBaseESI_lENKUlvE_clEvENKUlvE2_clEvEUlS7_S7_E_S7_EEDaPvRmT3_T4_T5_mT6_P12ihipStream_tbENKUlT_T0_E_clISt17integral_constantIbLb0EESZ_EEDaSU_SV_EUlSU_E0_NS1_11comp_targetILNS1_3genE10ELNS1_11target_archE1201ELNS1_3gpuE5ELNS1_3repE0EEENS1_30default_config_static_selectorELNS0_4arch9wavefront6targetE0EEEvT1_.numbered_sgpr, max(33, .L_ZZZZN2at6native31launch_logcumsumexp_cuda_kernelERKNS_10TensorBaseES3_lENKUlvE_clEvENKUlvE2_clEvENKUlN3c107complexIfEES8_E_clES8_S8_.numbered_sgpr)
	.set _ZN7rocprim17ROCPRIM_400000_NS6detail17trampoline_kernelINS0_14default_configENS1_20scan_config_selectorIN3c107complexIfEEEEZZNS1_9scan_implILNS1_25lookback_scan_determinismE0ELb0ELb0ES3_PKS7_PS7_S7_ZZZN2at6native31launch_logcumsumexp_cuda_kernelERKNSE_10TensorBaseESI_lENKUlvE_clEvENKUlvE2_clEvEUlS7_S7_E_S7_EEDaPvRmT3_T4_T5_mT6_P12ihipStream_tbENKUlT_T0_E_clISt17integral_constantIbLb0EESZ_EEDaSU_SV_EUlSU_E0_NS1_11comp_targetILNS1_3genE10ELNS1_11target_archE1201ELNS1_3gpuE5ELNS1_3repE0EEENS1_30default_config_static_selectorELNS0_4arch9wavefront6targetE0EEEvT1_.num_named_barrier, max(0, .L_ZZZZN2at6native31launch_logcumsumexp_cuda_kernelERKNS_10TensorBaseES3_lENKUlvE_clEvENKUlvE2_clEvENKUlN3c107complexIfEES8_E_clES8_S8_.num_named_barrier)
	.set _ZN7rocprim17ROCPRIM_400000_NS6detail17trampoline_kernelINS0_14default_configENS1_20scan_config_selectorIN3c107complexIfEEEEZZNS1_9scan_implILNS1_25lookback_scan_determinismE0ELb0ELb0ES3_PKS7_PS7_S7_ZZZN2at6native31launch_logcumsumexp_cuda_kernelERKNSE_10TensorBaseESI_lENKUlvE_clEvENKUlvE2_clEvEUlS7_S7_E_S7_EEDaPvRmT3_T4_T5_mT6_P12ihipStream_tbENKUlT_T0_E_clISt17integral_constantIbLb0EESZ_EEDaSU_SV_EUlSU_E0_NS1_11comp_targetILNS1_3genE10ELNS1_11target_archE1201ELNS1_3gpuE5ELNS1_3repE0EEENS1_30default_config_static_selectorELNS0_4arch9wavefront6targetE0EEEvT1_.private_seg_size, 0+max(.L_ZZZZN2at6native31launch_logcumsumexp_cuda_kernelERKNS_10TensorBaseES3_lENKUlvE_clEvENKUlvE2_clEvENKUlN3c107complexIfEES8_E_clES8_S8_.private_seg_size)
	.set _ZN7rocprim17ROCPRIM_400000_NS6detail17trampoline_kernelINS0_14default_configENS1_20scan_config_selectorIN3c107complexIfEEEEZZNS1_9scan_implILNS1_25lookback_scan_determinismE0ELb0ELb0ES3_PKS7_PS7_S7_ZZZN2at6native31launch_logcumsumexp_cuda_kernelERKNSE_10TensorBaseESI_lENKUlvE_clEvENKUlvE2_clEvEUlS7_S7_E_S7_EEDaPvRmT3_T4_T5_mT6_P12ihipStream_tbENKUlT_T0_E_clISt17integral_constantIbLb0EESZ_EEDaSU_SV_EUlSU_E0_NS1_11comp_targetILNS1_3genE10ELNS1_11target_archE1201ELNS1_3gpuE5ELNS1_3repE0EEENS1_30default_config_static_selectorELNS0_4arch9wavefront6targetE0EEEvT1_.uses_vcc, or(1, .L_ZZZZN2at6native31launch_logcumsumexp_cuda_kernelERKNS_10TensorBaseES3_lENKUlvE_clEvENKUlvE2_clEvENKUlN3c107complexIfEES8_E_clES8_S8_.uses_vcc)
	.set _ZN7rocprim17ROCPRIM_400000_NS6detail17trampoline_kernelINS0_14default_configENS1_20scan_config_selectorIN3c107complexIfEEEEZZNS1_9scan_implILNS1_25lookback_scan_determinismE0ELb0ELb0ES3_PKS7_PS7_S7_ZZZN2at6native31launch_logcumsumexp_cuda_kernelERKNSE_10TensorBaseESI_lENKUlvE_clEvENKUlvE2_clEvEUlS7_S7_E_S7_EEDaPvRmT3_T4_T5_mT6_P12ihipStream_tbENKUlT_T0_E_clISt17integral_constantIbLb0EESZ_EEDaSU_SV_EUlSU_E0_NS1_11comp_targetILNS1_3genE10ELNS1_11target_archE1201ELNS1_3gpuE5ELNS1_3repE0EEENS1_30default_config_static_selectorELNS0_4arch9wavefront6targetE0EEEvT1_.uses_flat_scratch, or(0, .L_ZZZZN2at6native31launch_logcumsumexp_cuda_kernelERKNS_10TensorBaseES3_lENKUlvE_clEvENKUlvE2_clEvENKUlN3c107complexIfEES8_E_clES8_S8_.uses_flat_scratch)
	.set _ZN7rocprim17ROCPRIM_400000_NS6detail17trampoline_kernelINS0_14default_configENS1_20scan_config_selectorIN3c107complexIfEEEEZZNS1_9scan_implILNS1_25lookback_scan_determinismE0ELb0ELb0ES3_PKS7_PS7_S7_ZZZN2at6native31launch_logcumsumexp_cuda_kernelERKNSE_10TensorBaseESI_lENKUlvE_clEvENKUlvE2_clEvEUlS7_S7_E_S7_EEDaPvRmT3_T4_T5_mT6_P12ihipStream_tbENKUlT_T0_E_clISt17integral_constantIbLb0EESZ_EEDaSU_SV_EUlSU_E0_NS1_11comp_targetILNS1_3genE10ELNS1_11target_archE1201ELNS1_3gpuE5ELNS1_3repE0EEENS1_30default_config_static_selectorELNS0_4arch9wavefront6targetE0EEEvT1_.has_dyn_sized_stack, or(0, .L_ZZZZN2at6native31launch_logcumsumexp_cuda_kernelERKNS_10TensorBaseES3_lENKUlvE_clEvENKUlvE2_clEvENKUlN3c107complexIfEES8_E_clES8_S8_.has_dyn_sized_stack)
	.set _ZN7rocprim17ROCPRIM_400000_NS6detail17trampoline_kernelINS0_14default_configENS1_20scan_config_selectorIN3c107complexIfEEEEZZNS1_9scan_implILNS1_25lookback_scan_determinismE0ELb0ELb0ES3_PKS7_PS7_S7_ZZZN2at6native31launch_logcumsumexp_cuda_kernelERKNSE_10TensorBaseESI_lENKUlvE_clEvENKUlvE2_clEvEUlS7_S7_E_S7_EEDaPvRmT3_T4_T5_mT6_P12ihipStream_tbENKUlT_T0_E_clISt17integral_constantIbLb0EESZ_EEDaSU_SV_EUlSU_E0_NS1_11comp_targetILNS1_3genE10ELNS1_11target_archE1201ELNS1_3gpuE5ELNS1_3repE0EEENS1_30default_config_static_selectorELNS0_4arch9wavefront6targetE0EEEvT1_.has_recursion, or(0, .L_ZZZZN2at6native31launch_logcumsumexp_cuda_kernelERKNS_10TensorBaseES3_lENKUlvE_clEvENKUlvE2_clEvENKUlN3c107complexIfEES8_E_clES8_S8_.has_recursion)
	.set _ZN7rocprim17ROCPRIM_400000_NS6detail17trampoline_kernelINS0_14default_configENS1_20scan_config_selectorIN3c107complexIfEEEEZZNS1_9scan_implILNS1_25lookback_scan_determinismE0ELb0ELb0ES3_PKS7_PS7_S7_ZZZN2at6native31launch_logcumsumexp_cuda_kernelERKNSE_10TensorBaseESI_lENKUlvE_clEvENKUlvE2_clEvEUlS7_S7_E_S7_EEDaPvRmT3_T4_T5_mT6_P12ihipStream_tbENKUlT_T0_E_clISt17integral_constantIbLb0EESZ_EEDaSU_SV_EUlSU_E0_NS1_11comp_targetILNS1_3genE10ELNS1_11target_archE1201ELNS1_3gpuE5ELNS1_3repE0EEENS1_30default_config_static_selectorELNS0_4arch9wavefront6targetE0EEEvT1_.has_indirect_call, or(0, .L_ZZZZN2at6native31launch_logcumsumexp_cuda_kernelERKNS_10TensorBaseES3_lENKUlvE_clEvENKUlvE2_clEvENKUlN3c107complexIfEES8_E_clES8_S8_.has_indirect_call)
	.section	.AMDGPU.csdata,"",@progbits
; Kernel info:
; codeLenInByte = 4360
; TotalNumSgprs: 35
; NumVgprs: 110
; ScratchSize: 0
; MemoryBound: 0
; FloatMode: 240
; IeeeMode: 1
; LDSByteSize: 33792 bytes/workgroup (compile time only)
; SGPRBlocks: 0
; VGPRBlocks: 27
; NumSGPRsForWavesPerEU: 35
; NumVGPRsForWavesPerEU: 217
; Occupancy: 6
; WaveLimiterHint : 0
; COMPUTE_PGM_RSRC2:SCRATCH_EN: 0
; COMPUTE_PGM_RSRC2:USER_SGPR: 2
; COMPUTE_PGM_RSRC2:TRAP_HANDLER: 0
; COMPUTE_PGM_RSRC2:TGID_X_EN: 1
; COMPUTE_PGM_RSRC2:TGID_Y_EN: 0
; COMPUTE_PGM_RSRC2:TGID_Z_EN: 0
; COMPUTE_PGM_RSRC2:TIDIG_COMP_CNT: 0
	.section	.text._ZN7rocprim17ROCPRIM_400000_NS6detail17trampoline_kernelINS0_14default_configENS1_20scan_config_selectorIN3c107complexIfEEEEZZNS1_9scan_implILNS1_25lookback_scan_determinismE0ELb0ELb0ES3_PKS7_PS7_S7_ZZZN2at6native31launch_logcumsumexp_cuda_kernelERKNSE_10TensorBaseESI_lENKUlvE_clEvENKUlvE2_clEvEUlS7_S7_E_S7_EEDaPvRmT3_T4_T5_mT6_P12ihipStream_tbENKUlT_T0_E_clISt17integral_constantIbLb0EESZ_EEDaSU_SV_EUlSU_E0_NS1_11comp_targetILNS1_3genE10ELNS1_11target_archE1200ELNS1_3gpuE4ELNS1_3repE0EEENS1_30default_config_static_selectorELNS0_4arch9wavefront6targetE0EEEvT1_,"axG",@progbits,_ZN7rocprim17ROCPRIM_400000_NS6detail17trampoline_kernelINS0_14default_configENS1_20scan_config_selectorIN3c107complexIfEEEEZZNS1_9scan_implILNS1_25lookback_scan_determinismE0ELb0ELb0ES3_PKS7_PS7_S7_ZZZN2at6native31launch_logcumsumexp_cuda_kernelERKNSE_10TensorBaseESI_lENKUlvE_clEvENKUlvE2_clEvEUlS7_S7_E_S7_EEDaPvRmT3_T4_T5_mT6_P12ihipStream_tbENKUlT_T0_E_clISt17integral_constantIbLb0EESZ_EEDaSU_SV_EUlSU_E0_NS1_11comp_targetILNS1_3genE10ELNS1_11target_archE1200ELNS1_3gpuE4ELNS1_3repE0EEENS1_30default_config_static_selectorELNS0_4arch9wavefront6targetE0EEEvT1_,comdat
	.globl	_ZN7rocprim17ROCPRIM_400000_NS6detail17trampoline_kernelINS0_14default_configENS1_20scan_config_selectorIN3c107complexIfEEEEZZNS1_9scan_implILNS1_25lookback_scan_determinismE0ELb0ELb0ES3_PKS7_PS7_S7_ZZZN2at6native31launch_logcumsumexp_cuda_kernelERKNSE_10TensorBaseESI_lENKUlvE_clEvENKUlvE2_clEvEUlS7_S7_E_S7_EEDaPvRmT3_T4_T5_mT6_P12ihipStream_tbENKUlT_T0_E_clISt17integral_constantIbLb0EESZ_EEDaSU_SV_EUlSU_E0_NS1_11comp_targetILNS1_3genE10ELNS1_11target_archE1200ELNS1_3gpuE4ELNS1_3repE0EEENS1_30default_config_static_selectorELNS0_4arch9wavefront6targetE0EEEvT1_ ; -- Begin function _ZN7rocprim17ROCPRIM_400000_NS6detail17trampoline_kernelINS0_14default_configENS1_20scan_config_selectorIN3c107complexIfEEEEZZNS1_9scan_implILNS1_25lookback_scan_determinismE0ELb0ELb0ES3_PKS7_PS7_S7_ZZZN2at6native31launch_logcumsumexp_cuda_kernelERKNSE_10TensorBaseESI_lENKUlvE_clEvENKUlvE2_clEvEUlS7_S7_E_S7_EEDaPvRmT3_T4_T5_mT6_P12ihipStream_tbENKUlT_T0_E_clISt17integral_constantIbLb0EESZ_EEDaSU_SV_EUlSU_E0_NS1_11comp_targetILNS1_3genE10ELNS1_11target_archE1200ELNS1_3gpuE4ELNS1_3repE0EEENS1_30default_config_static_selectorELNS0_4arch9wavefront6targetE0EEEvT1_
	.p2align	8
	.type	_ZN7rocprim17ROCPRIM_400000_NS6detail17trampoline_kernelINS0_14default_configENS1_20scan_config_selectorIN3c107complexIfEEEEZZNS1_9scan_implILNS1_25lookback_scan_determinismE0ELb0ELb0ES3_PKS7_PS7_S7_ZZZN2at6native31launch_logcumsumexp_cuda_kernelERKNSE_10TensorBaseESI_lENKUlvE_clEvENKUlvE2_clEvEUlS7_S7_E_S7_EEDaPvRmT3_T4_T5_mT6_P12ihipStream_tbENKUlT_T0_E_clISt17integral_constantIbLb0EESZ_EEDaSU_SV_EUlSU_E0_NS1_11comp_targetILNS1_3genE10ELNS1_11target_archE1200ELNS1_3gpuE4ELNS1_3repE0EEENS1_30default_config_static_selectorELNS0_4arch9wavefront6targetE0EEEvT1_,@function
_ZN7rocprim17ROCPRIM_400000_NS6detail17trampoline_kernelINS0_14default_configENS1_20scan_config_selectorIN3c107complexIfEEEEZZNS1_9scan_implILNS1_25lookback_scan_determinismE0ELb0ELb0ES3_PKS7_PS7_S7_ZZZN2at6native31launch_logcumsumexp_cuda_kernelERKNSE_10TensorBaseESI_lENKUlvE_clEvENKUlvE2_clEvEUlS7_S7_E_S7_EEDaPvRmT3_T4_T5_mT6_P12ihipStream_tbENKUlT_T0_E_clISt17integral_constantIbLb0EESZ_EEDaSU_SV_EUlSU_E0_NS1_11comp_targetILNS1_3genE10ELNS1_11target_archE1200ELNS1_3gpuE4ELNS1_3repE0EEENS1_30default_config_static_selectorELNS0_4arch9wavefront6targetE0EEEvT1_: ; @_ZN7rocprim17ROCPRIM_400000_NS6detail17trampoline_kernelINS0_14default_configENS1_20scan_config_selectorIN3c107complexIfEEEEZZNS1_9scan_implILNS1_25lookback_scan_determinismE0ELb0ELb0ES3_PKS7_PS7_S7_ZZZN2at6native31launch_logcumsumexp_cuda_kernelERKNSE_10TensorBaseESI_lENKUlvE_clEvENKUlvE2_clEvEUlS7_S7_E_S7_EEDaPvRmT3_T4_T5_mT6_P12ihipStream_tbENKUlT_T0_E_clISt17integral_constantIbLb0EESZ_EEDaSU_SV_EUlSU_E0_NS1_11comp_targetILNS1_3genE10ELNS1_11target_archE1200ELNS1_3gpuE4ELNS1_3repE0EEENS1_30default_config_static_selectorELNS0_4arch9wavefront6targetE0EEEvT1_
; %bb.0:
	.section	.rodata,"a",@progbits
	.p2align	6, 0x0
	.amdhsa_kernel _ZN7rocprim17ROCPRIM_400000_NS6detail17trampoline_kernelINS0_14default_configENS1_20scan_config_selectorIN3c107complexIfEEEEZZNS1_9scan_implILNS1_25lookback_scan_determinismE0ELb0ELb0ES3_PKS7_PS7_S7_ZZZN2at6native31launch_logcumsumexp_cuda_kernelERKNSE_10TensorBaseESI_lENKUlvE_clEvENKUlvE2_clEvEUlS7_S7_E_S7_EEDaPvRmT3_T4_T5_mT6_P12ihipStream_tbENKUlT_T0_E_clISt17integral_constantIbLb0EESZ_EEDaSU_SV_EUlSU_E0_NS1_11comp_targetILNS1_3genE10ELNS1_11target_archE1200ELNS1_3gpuE4ELNS1_3repE0EEENS1_30default_config_static_selectorELNS0_4arch9wavefront6targetE0EEEvT1_
		.amdhsa_group_segment_fixed_size 0
		.amdhsa_private_segment_fixed_size 0
		.amdhsa_kernarg_size 40
		.amdhsa_user_sgpr_count 2
		.amdhsa_user_sgpr_dispatch_ptr 0
		.amdhsa_user_sgpr_queue_ptr 0
		.amdhsa_user_sgpr_kernarg_segment_ptr 1
		.amdhsa_user_sgpr_dispatch_id 0
		.amdhsa_user_sgpr_private_segment_size 0
		.amdhsa_wavefront_size32 1
		.amdhsa_uses_dynamic_stack 0
		.amdhsa_enable_private_segment 0
		.amdhsa_system_sgpr_workgroup_id_x 1
		.amdhsa_system_sgpr_workgroup_id_y 0
		.amdhsa_system_sgpr_workgroup_id_z 0
		.amdhsa_system_sgpr_workgroup_info 0
		.amdhsa_system_vgpr_workitem_id 0
		.amdhsa_next_free_vgpr 1
		.amdhsa_next_free_sgpr 1
		.amdhsa_reserve_vcc 0
		.amdhsa_float_round_mode_32 0
		.amdhsa_float_round_mode_16_64 0
		.amdhsa_float_denorm_mode_32 3
		.amdhsa_float_denorm_mode_16_64 3
		.amdhsa_fp16_overflow 0
		.amdhsa_workgroup_processor_mode 1
		.amdhsa_memory_ordered 1
		.amdhsa_forward_progress 1
		.amdhsa_inst_pref_size 0
		.amdhsa_round_robin_scheduling 0
		.amdhsa_exception_fp_ieee_invalid_op 0
		.amdhsa_exception_fp_denorm_src 0
		.amdhsa_exception_fp_ieee_div_zero 0
		.amdhsa_exception_fp_ieee_overflow 0
		.amdhsa_exception_fp_ieee_underflow 0
		.amdhsa_exception_fp_ieee_inexact 0
		.amdhsa_exception_int_div_zero 0
	.end_amdhsa_kernel
	.section	.text._ZN7rocprim17ROCPRIM_400000_NS6detail17trampoline_kernelINS0_14default_configENS1_20scan_config_selectorIN3c107complexIfEEEEZZNS1_9scan_implILNS1_25lookback_scan_determinismE0ELb0ELb0ES3_PKS7_PS7_S7_ZZZN2at6native31launch_logcumsumexp_cuda_kernelERKNSE_10TensorBaseESI_lENKUlvE_clEvENKUlvE2_clEvEUlS7_S7_E_S7_EEDaPvRmT3_T4_T5_mT6_P12ihipStream_tbENKUlT_T0_E_clISt17integral_constantIbLb0EESZ_EEDaSU_SV_EUlSU_E0_NS1_11comp_targetILNS1_3genE10ELNS1_11target_archE1200ELNS1_3gpuE4ELNS1_3repE0EEENS1_30default_config_static_selectorELNS0_4arch9wavefront6targetE0EEEvT1_,"axG",@progbits,_ZN7rocprim17ROCPRIM_400000_NS6detail17trampoline_kernelINS0_14default_configENS1_20scan_config_selectorIN3c107complexIfEEEEZZNS1_9scan_implILNS1_25lookback_scan_determinismE0ELb0ELb0ES3_PKS7_PS7_S7_ZZZN2at6native31launch_logcumsumexp_cuda_kernelERKNSE_10TensorBaseESI_lENKUlvE_clEvENKUlvE2_clEvEUlS7_S7_E_S7_EEDaPvRmT3_T4_T5_mT6_P12ihipStream_tbENKUlT_T0_E_clISt17integral_constantIbLb0EESZ_EEDaSU_SV_EUlSU_E0_NS1_11comp_targetILNS1_3genE10ELNS1_11target_archE1200ELNS1_3gpuE4ELNS1_3repE0EEENS1_30default_config_static_selectorELNS0_4arch9wavefront6targetE0EEEvT1_,comdat
.Lfunc_end287:
	.size	_ZN7rocprim17ROCPRIM_400000_NS6detail17trampoline_kernelINS0_14default_configENS1_20scan_config_selectorIN3c107complexIfEEEEZZNS1_9scan_implILNS1_25lookback_scan_determinismE0ELb0ELb0ES3_PKS7_PS7_S7_ZZZN2at6native31launch_logcumsumexp_cuda_kernelERKNSE_10TensorBaseESI_lENKUlvE_clEvENKUlvE2_clEvEUlS7_S7_E_S7_EEDaPvRmT3_T4_T5_mT6_P12ihipStream_tbENKUlT_T0_E_clISt17integral_constantIbLb0EESZ_EEDaSU_SV_EUlSU_E0_NS1_11comp_targetILNS1_3genE10ELNS1_11target_archE1200ELNS1_3gpuE4ELNS1_3repE0EEENS1_30default_config_static_selectorELNS0_4arch9wavefront6targetE0EEEvT1_, .Lfunc_end287-_ZN7rocprim17ROCPRIM_400000_NS6detail17trampoline_kernelINS0_14default_configENS1_20scan_config_selectorIN3c107complexIfEEEEZZNS1_9scan_implILNS1_25lookback_scan_determinismE0ELb0ELb0ES3_PKS7_PS7_S7_ZZZN2at6native31launch_logcumsumexp_cuda_kernelERKNSE_10TensorBaseESI_lENKUlvE_clEvENKUlvE2_clEvEUlS7_S7_E_S7_EEDaPvRmT3_T4_T5_mT6_P12ihipStream_tbENKUlT_T0_E_clISt17integral_constantIbLb0EESZ_EEDaSU_SV_EUlSU_E0_NS1_11comp_targetILNS1_3genE10ELNS1_11target_archE1200ELNS1_3gpuE4ELNS1_3repE0EEENS1_30default_config_static_selectorELNS0_4arch9wavefront6targetE0EEEvT1_
                                        ; -- End function
	.set _ZN7rocprim17ROCPRIM_400000_NS6detail17trampoline_kernelINS0_14default_configENS1_20scan_config_selectorIN3c107complexIfEEEEZZNS1_9scan_implILNS1_25lookback_scan_determinismE0ELb0ELb0ES3_PKS7_PS7_S7_ZZZN2at6native31launch_logcumsumexp_cuda_kernelERKNSE_10TensorBaseESI_lENKUlvE_clEvENKUlvE2_clEvEUlS7_S7_E_S7_EEDaPvRmT3_T4_T5_mT6_P12ihipStream_tbENKUlT_T0_E_clISt17integral_constantIbLb0EESZ_EEDaSU_SV_EUlSU_E0_NS1_11comp_targetILNS1_3genE10ELNS1_11target_archE1200ELNS1_3gpuE4ELNS1_3repE0EEENS1_30default_config_static_selectorELNS0_4arch9wavefront6targetE0EEEvT1_.num_vgpr, 0
	.set _ZN7rocprim17ROCPRIM_400000_NS6detail17trampoline_kernelINS0_14default_configENS1_20scan_config_selectorIN3c107complexIfEEEEZZNS1_9scan_implILNS1_25lookback_scan_determinismE0ELb0ELb0ES3_PKS7_PS7_S7_ZZZN2at6native31launch_logcumsumexp_cuda_kernelERKNSE_10TensorBaseESI_lENKUlvE_clEvENKUlvE2_clEvEUlS7_S7_E_S7_EEDaPvRmT3_T4_T5_mT6_P12ihipStream_tbENKUlT_T0_E_clISt17integral_constantIbLb0EESZ_EEDaSU_SV_EUlSU_E0_NS1_11comp_targetILNS1_3genE10ELNS1_11target_archE1200ELNS1_3gpuE4ELNS1_3repE0EEENS1_30default_config_static_selectorELNS0_4arch9wavefront6targetE0EEEvT1_.num_agpr, 0
	.set _ZN7rocprim17ROCPRIM_400000_NS6detail17trampoline_kernelINS0_14default_configENS1_20scan_config_selectorIN3c107complexIfEEEEZZNS1_9scan_implILNS1_25lookback_scan_determinismE0ELb0ELb0ES3_PKS7_PS7_S7_ZZZN2at6native31launch_logcumsumexp_cuda_kernelERKNSE_10TensorBaseESI_lENKUlvE_clEvENKUlvE2_clEvEUlS7_S7_E_S7_EEDaPvRmT3_T4_T5_mT6_P12ihipStream_tbENKUlT_T0_E_clISt17integral_constantIbLb0EESZ_EEDaSU_SV_EUlSU_E0_NS1_11comp_targetILNS1_3genE10ELNS1_11target_archE1200ELNS1_3gpuE4ELNS1_3repE0EEENS1_30default_config_static_selectorELNS0_4arch9wavefront6targetE0EEEvT1_.numbered_sgpr, 0
	.set _ZN7rocprim17ROCPRIM_400000_NS6detail17trampoline_kernelINS0_14default_configENS1_20scan_config_selectorIN3c107complexIfEEEEZZNS1_9scan_implILNS1_25lookback_scan_determinismE0ELb0ELb0ES3_PKS7_PS7_S7_ZZZN2at6native31launch_logcumsumexp_cuda_kernelERKNSE_10TensorBaseESI_lENKUlvE_clEvENKUlvE2_clEvEUlS7_S7_E_S7_EEDaPvRmT3_T4_T5_mT6_P12ihipStream_tbENKUlT_T0_E_clISt17integral_constantIbLb0EESZ_EEDaSU_SV_EUlSU_E0_NS1_11comp_targetILNS1_3genE10ELNS1_11target_archE1200ELNS1_3gpuE4ELNS1_3repE0EEENS1_30default_config_static_selectorELNS0_4arch9wavefront6targetE0EEEvT1_.num_named_barrier, 0
	.set _ZN7rocprim17ROCPRIM_400000_NS6detail17trampoline_kernelINS0_14default_configENS1_20scan_config_selectorIN3c107complexIfEEEEZZNS1_9scan_implILNS1_25lookback_scan_determinismE0ELb0ELb0ES3_PKS7_PS7_S7_ZZZN2at6native31launch_logcumsumexp_cuda_kernelERKNSE_10TensorBaseESI_lENKUlvE_clEvENKUlvE2_clEvEUlS7_S7_E_S7_EEDaPvRmT3_T4_T5_mT6_P12ihipStream_tbENKUlT_T0_E_clISt17integral_constantIbLb0EESZ_EEDaSU_SV_EUlSU_E0_NS1_11comp_targetILNS1_3genE10ELNS1_11target_archE1200ELNS1_3gpuE4ELNS1_3repE0EEENS1_30default_config_static_selectorELNS0_4arch9wavefront6targetE0EEEvT1_.private_seg_size, 0
	.set _ZN7rocprim17ROCPRIM_400000_NS6detail17trampoline_kernelINS0_14default_configENS1_20scan_config_selectorIN3c107complexIfEEEEZZNS1_9scan_implILNS1_25lookback_scan_determinismE0ELb0ELb0ES3_PKS7_PS7_S7_ZZZN2at6native31launch_logcumsumexp_cuda_kernelERKNSE_10TensorBaseESI_lENKUlvE_clEvENKUlvE2_clEvEUlS7_S7_E_S7_EEDaPvRmT3_T4_T5_mT6_P12ihipStream_tbENKUlT_T0_E_clISt17integral_constantIbLb0EESZ_EEDaSU_SV_EUlSU_E0_NS1_11comp_targetILNS1_3genE10ELNS1_11target_archE1200ELNS1_3gpuE4ELNS1_3repE0EEENS1_30default_config_static_selectorELNS0_4arch9wavefront6targetE0EEEvT1_.uses_vcc, 0
	.set _ZN7rocprim17ROCPRIM_400000_NS6detail17trampoline_kernelINS0_14default_configENS1_20scan_config_selectorIN3c107complexIfEEEEZZNS1_9scan_implILNS1_25lookback_scan_determinismE0ELb0ELb0ES3_PKS7_PS7_S7_ZZZN2at6native31launch_logcumsumexp_cuda_kernelERKNSE_10TensorBaseESI_lENKUlvE_clEvENKUlvE2_clEvEUlS7_S7_E_S7_EEDaPvRmT3_T4_T5_mT6_P12ihipStream_tbENKUlT_T0_E_clISt17integral_constantIbLb0EESZ_EEDaSU_SV_EUlSU_E0_NS1_11comp_targetILNS1_3genE10ELNS1_11target_archE1200ELNS1_3gpuE4ELNS1_3repE0EEENS1_30default_config_static_selectorELNS0_4arch9wavefront6targetE0EEEvT1_.uses_flat_scratch, 0
	.set _ZN7rocprim17ROCPRIM_400000_NS6detail17trampoline_kernelINS0_14default_configENS1_20scan_config_selectorIN3c107complexIfEEEEZZNS1_9scan_implILNS1_25lookback_scan_determinismE0ELb0ELb0ES3_PKS7_PS7_S7_ZZZN2at6native31launch_logcumsumexp_cuda_kernelERKNSE_10TensorBaseESI_lENKUlvE_clEvENKUlvE2_clEvEUlS7_S7_E_S7_EEDaPvRmT3_T4_T5_mT6_P12ihipStream_tbENKUlT_T0_E_clISt17integral_constantIbLb0EESZ_EEDaSU_SV_EUlSU_E0_NS1_11comp_targetILNS1_3genE10ELNS1_11target_archE1200ELNS1_3gpuE4ELNS1_3repE0EEENS1_30default_config_static_selectorELNS0_4arch9wavefront6targetE0EEEvT1_.has_dyn_sized_stack, 0
	.set _ZN7rocprim17ROCPRIM_400000_NS6detail17trampoline_kernelINS0_14default_configENS1_20scan_config_selectorIN3c107complexIfEEEEZZNS1_9scan_implILNS1_25lookback_scan_determinismE0ELb0ELb0ES3_PKS7_PS7_S7_ZZZN2at6native31launch_logcumsumexp_cuda_kernelERKNSE_10TensorBaseESI_lENKUlvE_clEvENKUlvE2_clEvEUlS7_S7_E_S7_EEDaPvRmT3_T4_T5_mT6_P12ihipStream_tbENKUlT_T0_E_clISt17integral_constantIbLb0EESZ_EEDaSU_SV_EUlSU_E0_NS1_11comp_targetILNS1_3genE10ELNS1_11target_archE1200ELNS1_3gpuE4ELNS1_3repE0EEENS1_30default_config_static_selectorELNS0_4arch9wavefront6targetE0EEEvT1_.has_recursion, 0
	.set _ZN7rocprim17ROCPRIM_400000_NS6detail17trampoline_kernelINS0_14default_configENS1_20scan_config_selectorIN3c107complexIfEEEEZZNS1_9scan_implILNS1_25lookback_scan_determinismE0ELb0ELb0ES3_PKS7_PS7_S7_ZZZN2at6native31launch_logcumsumexp_cuda_kernelERKNSE_10TensorBaseESI_lENKUlvE_clEvENKUlvE2_clEvEUlS7_S7_E_S7_EEDaPvRmT3_T4_T5_mT6_P12ihipStream_tbENKUlT_T0_E_clISt17integral_constantIbLb0EESZ_EEDaSU_SV_EUlSU_E0_NS1_11comp_targetILNS1_3genE10ELNS1_11target_archE1200ELNS1_3gpuE4ELNS1_3repE0EEENS1_30default_config_static_selectorELNS0_4arch9wavefront6targetE0EEEvT1_.has_indirect_call, 0
	.section	.AMDGPU.csdata,"",@progbits
; Kernel info:
; codeLenInByte = 0
; TotalNumSgprs: 0
; NumVgprs: 0
; ScratchSize: 0
; MemoryBound: 0
; FloatMode: 240
; IeeeMode: 1
; LDSByteSize: 0 bytes/workgroup (compile time only)
; SGPRBlocks: 0
; VGPRBlocks: 0
; NumSGPRsForWavesPerEU: 1
; NumVGPRsForWavesPerEU: 1
; Occupancy: 16
; WaveLimiterHint : 0
; COMPUTE_PGM_RSRC2:SCRATCH_EN: 0
; COMPUTE_PGM_RSRC2:USER_SGPR: 2
; COMPUTE_PGM_RSRC2:TRAP_HANDLER: 0
; COMPUTE_PGM_RSRC2:TGID_X_EN: 1
; COMPUTE_PGM_RSRC2:TGID_Y_EN: 0
; COMPUTE_PGM_RSRC2:TGID_Z_EN: 0
; COMPUTE_PGM_RSRC2:TIDIG_COMP_CNT: 0
	.section	.text._ZN7rocprim17ROCPRIM_400000_NS6detail17trampoline_kernelINS0_14default_configENS1_20scan_config_selectorIN3c107complexIfEEEEZZNS1_9scan_implILNS1_25lookback_scan_determinismE0ELb0ELb0ES3_PKS7_PS7_S7_ZZZN2at6native31launch_logcumsumexp_cuda_kernelERKNSE_10TensorBaseESI_lENKUlvE_clEvENKUlvE2_clEvEUlS7_S7_E_S7_EEDaPvRmT3_T4_T5_mT6_P12ihipStream_tbENKUlT_T0_E_clISt17integral_constantIbLb0EESZ_EEDaSU_SV_EUlSU_E0_NS1_11comp_targetILNS1_3genE9ELNS1_11target_archE1100ELNS1_3gpuE3ELNS1_3repE0EEENS1_30default_config_static_selectorELNS0_4arch9wavefront6targetE0EEEvT1_,"axG",@progbits,_ZN7rocprim17ROCPRIM_400000_NS6detail17trampoline_kernelINS0_14default_configENS1_20scan_config_selectorIN3c107complexIfEEEEZZNS1_9scan_implILNS1_25lookback_scan_determinismE0ELb0ELb0ES3_PKS7_PS7_S7_ZZZN2at6native31launch_logcumsumexp_cuda_kernelERKNSE_10TensorBaseESI_lENKUlvE_clEvENKUlvE2_clEvEUlS7_S7_E_S7_EEDaPvRmT3_T4_T5_mT6_P12ihipStream_tbENKUlT_T0_E_clISt17integral_constantIbLb0EESZ_EEDaSU_SV_EUlSU_E0_NS1_11comp_targetILNS1_3genE9ELNS1_11target_archE1100ELNS1_3gpuE3ELNS1_3repE0EEENS1_30default_config_static_selectorELNS0_4arch9wavefront6targetE0EEEvT1_,comdat
	.globl	_ZN7rocprim17ROCPRIM_400000_NS6detail17trampoline_kernelINS0_14default_configENS1_20scan_config_selectorIN3c107complexIfEEEEZZNS1_9scan_implILNS1_25lookback_scan_determinismE0ELb0ELb0ES3_PKS7_PS7_S7_ZZZN2at6native31launch_logcumsumexp_cuda_kernelERKNSE_10TensorBaseESI_lENKUlvE_clEvENKUlvE2_clEvEUlS7_S7_E_S7_EEDaPvRmT3_T4_T5_mT6_P12ihipStream_tbENKUlT_T0_E_clISt17integral_constantIbLb0EESZ_EEDaSU_SV_EUlSU_E0_NS1_11comp_targetILNS1_3genE9ELNS1_11target_archE1100ELNS1_3gpuE3ELNS1_3repE0EEENS1_30default_config_static_selectorELNS0_4arch9wavefront6targetE0EEEvT1_ ; -- Begin function _ZN7rocprim17ROCPRIM_400000_NS6detail17trampoline_kernelINS0_14default_configENS1_20scan_config_selectorIN3c107complexIfEEEEZZNS1_9scan_implILNS1_25lookback_scan_determinismE0ELb0ELb0ES3_PKS7_PS7_S7_ZZZN2at6native31launch_logcumsumexp_cuda_kernelERKNSE_10TensorBaseESI_lENKUlvE_clEvENKUlvE2_clEvEUlS7_S7_E_S7_EEDaPvRmT3_T4_T5_mT6_P12ihipStream_tbENKUlT_T0_E_clISt17integral_constantIbLb0EESZ_EEDaSU_SV_EUlSU_E0_NS1_11comp_targetILNS1_3genE9ELNS1_11target_archE1100ELNS1_3gpuE3ELNS1_3repE0EEENS1_30default_config_static_selectorELNS0_4arch9wavefront6targetE0EEEvT1_
	.p2align	8
	.type	_ZN7rocprim17ROCPRIM_400000_NS6detail17trampoline_kernelINS0_14default_configENS1_20scan_config_selectorIN3c107complexIfEEEEZZNS1_9scan_implILNS1_25lookback_scan_determinismE0ELb0ELb0ES3_PKS7_PS7_S7_ZZZN2at6native31launch_logcumsumexp_cuda_kernelERKNSE_10TensorBaseESI_lENKUlvE_clEvENKUlvE2_clEvEUlS7_S7_E_S7_EEDaPvRmT3_T4_T5_mT6_P12ihipStream_tbENKUlT_T0_E_clISt17integral_constantIbLb0EESZ_EEDaSU_SV_EUlSU_E0_NS1_11comp_targetILNS1_3genE9ELNS1_11target_archE1100ELNS1_3gpuE3ELNS1_3repE0EEENS1_30default_config_static_selectorELNS0_4arch9wavefront6targetE0EEEvT1_,@function
_ZN7rocprim17ROCPRIM_400000_NS6detail17trampoline_kernelINS0_14default_configENS1_20scan_config_selectorIN3c107complexIfEEEEZZNS1_9scan_implILNS1_25lookback_scan_determinismE0ELb0ELb0ES3_PKS7_PS7_S7_ZZZN2at6native31launch_logcumsumexp_cuda_kernelERKNSE_10TensorBaseESI_lENKUlvE_clEvENKUlvE2_clEvEUlS7_S7_E_S7_EEDaPvRmT3_T4_T5_mT6_P12ihipStream_tbENKUlT_T0_E_clISt17integral_constantIbLb0EESZ_EEDaSU_SV_EUlSU_E0_NS1_11comp_targetILNS1_3genE9ELNS1_11target_archE1100ELNS1_3gpuE3ELNS1_3repE0EEENS1_30default_config_static_selectorELNS0_4arch9wavefront6targetE0EEEvT1_: ; @_ZN7rocprim17ROCPRIM_400000_NS6detail17trampoline_kernelINS0_14default_configENS1_20scan_config_selectorIN3c107complexIfEEEEZZNS1_9scan_implILNS1_25lookback_scan_determinismE0ELb0ELb0ES3_PKS7_PS7_S7_ZZZN2at6native31launch_logcumsumexp_cuda_kernelERKNSE_10TensorBaseESI_lENKUlvE_clEvENKUlvE2_clEvEUlS7_S7_E_S7_EEDaPvRmT3_T4_T5_mT6_P12ihipStream_tbENKUlT_T0_E_clISt17integral_constantIbLb0EESZ_EEDaSU_SV_EUlSU_E0_NS1_11comp_targetILNS1_3genE9ELNS1_11target_archE1100ELNS1_3gpuE3ELNS1_3repE0EEENS1_30default_config_static_selectorELNS0_4arch9wavefront6targetE0EEEvT1_
; %bb.0:
	.section	.rodata,"a",@progbits
	.p2align	6, 0x0
	.amdhsa_kernel _ZN7rocprim17ROCPRIM_400000_NS6detail17trampoline_kernelINS0_14default_configENS1_20scan_config_selectorIN3c107complexIfEEEEZZNS1_9scan_implILNS1_25lookback_scan_determinismE0ELb0ELb0ES3_PKS7_PS7_S7_ZZZN2at6native31launch_logcumsumexp_cuda_kernelERKNSE_10TensorBaseESI_lENKUlvE_clEvENKUlvE2_clEvEUlS7_S7_E_S7_EEDaPvRmT3_T4_T5_mT6_P12ihipStream_tbENKUlT_T0_E_clISt17integral_constantIbLb0EESZ_EEDaSU_SV_EUlSU_E0_NS1_11comp_targetILNS1_3genE9ELNS1_11target_archE1100ELNS1_3gpuE3ELNS1_3repE0EEENS1_30default_config_static_selectorELNS0_4arch9wavefront6targetE0EEEvT1_
		.amdhsa_group_segment_fixed_size 0
		.amdhsa_private_segment_fixed_size 0
		.amdhsa_kernarg_size 40
		.amdhsa_user_sgpr_count 2
		.amdhsa_user_sgpr_dispatch_ptr 0
		.amdhsa_user_sgpr_queue_ptr 0
		.amdhsa_user_sgpr_kernarg_segment_ptr 1
		.amdhsa_user_sgpr_dispatch_id 0
		.amdhsa_user_sgpr_private_segment_size 0
		.amdhsa_wavefront_size32 1
		.amdhsa_uses_dynamic_stack 0
		.amdhsa_enable_private_segment 0
		.amdhsa_system_sgpr_workgroup_id_x 1
		.amdhsa_system_sgpr_workgroup_id_y 0
		.amdhsa_system_sgpr_workgroup_id_z 0
		.amdhsa_system_sgpr_workgroup_info 0
		.amdhsa_system_vgpr_workitem_id 0
		.amdhsa_next_free_vgpr 1
		.amdhsa_next_free_sgpr 1
		.amdhsa_reserve_vcc 0
		.amdhsa_float_round_mode_32 0
		.amdhsa_float_round_mode_16_64 0
		.amdhsa_float_denorm_mode_32 3
		.amdhsa_float_denorm_mode_16_64 3
		.amdhsa_fp16_overflow 0
		.amdhsa_workgroup_processor_mode 1
		.amdhsa_memory_ordered 1
		.amdhsa_forward_progress 1
		.amdhsa_inst_pref_size 0
		.amdhsa_round_robin_scheduling 0
		.amdhsa_exception_fp_ieee_invalid_op 0
		.amdhsa_exception_fp_denorm_src 0
		.amdhsa_exception_fp_ieee_div_zero 0
		.amdhsa_exception_fp_ieee_overflow 0
		.amdhsa_exception_fp_ieee_underflow 0
		.amdhsa_exception_fp_ieee_inexact 0
		.amdhsa_exception_int_div_zero 0
	.end_amdhsa_kernel
	.section	.text._ZN7rocprim17ROCPRIM_400000_NS6detail17trampoline_kernelINS0_14default_configENS1_20scan_config_selectorIN3c107complexIfEEEEZZNS1_9scan_implILNS1_25lookback_scan_determinismE0ELb0ELb0ES3_PKS7_PS7_S7_ZZZN2at6native31launch_logcumsumexp_cuda_kernelERKNSE_10TensorBaseESI_lENKUlvE_clEvENKUlvE2_clEvEUlS7_S7_E_S7_EEDaPvRmT3_T4_T5_mT6_P12ihipStream_tbENKUlT_T0_E_clISt17integral_constantIbLb0EESZ_EEDaSU_SV_EUlSU_E0_NS1_11comp_targetILNS1_3genE9ELNS1_11target_archE1100ELNS1_3gpuE3ELNS1_3repE0EEENS1_30default_config_static_selectorELNS0_4arch9wavefront6targetE0EEEvT1_,"axG",@progbits,_ZN7rocprim17ROCPRIM_400000_NS6detail17trampoline_kernelINS0_14default_configENS1_20scan_config_selectorIN3c107complexIfEEEEZZNS1_9scan_implILNS1_25lookback_scan_determinismE0ELb0ELb0ES3_PKS7_PS7_S7_ZZZN2at6native31launch_logcumsumexp_cuda_kernelERKNSE_10TensorBaseESI_lENKUlvE_clEvENKUlvE2_clEvEUlS7_S7_E_S7_EEDaPvRmT3_T4_T5_mT6_P12ihipStream_tbENKUlT_T0_E_clISt17integral_constantIbLb0EESZ_EEDaSU_SV_EUlSU_E0_NS1_11comp_targetILNS1_3genE9ELNS1_11target_archE1100ELNS1_3gpuE3ELNS1_3repE0EEENS1_30default_config_static_selectorELNS0_4arch9wavefront6targetE0EEEvT1_,comdat
.Lfunc_end288:
	.size	_ZN7rocprim17ROCPRIM_400000_NS6detail17trampoline_kernelINS0_14default_configENS1_20scan_config_selectorIN3c107complexIfEEEEZZNS1_9scan_implILNS1_25lookback_scan_determinismE0ELb0ELb0ES3_PKS7_PS7_S7_ZZZN2at6native31launch_logcumsumexp_cuda_kernelERKNSE_10TensorBaseESI_lENKUlvE_clEvENKUlvE2_clEvEUlS7_S7_E_S7_EEDaPvRmT3_T4_T5_mT6_P12ihipStream_tbENKUlT_T0_E_clISt17integral_constantIbLb0EESZ_EEDaSU_SV_EUlSU_E0_NS1_11comp_targetILNS1_3genE9ELNS1_11target_archE1100ELNS1_3gpuE3ELNS1_3repE0EEENS1_30default_config_static_selectorELNS0_4arch9wavefront6targetE0EEEvT1_, .Lfunc_end288-_ZN7rocprim17ROCPRIM_400000_NS6detail17trampoline_kernelINS0_14default_configENS1_20scan_config_selectorIN3c107complexIfEEEEZZNS1_9scan_implILNS1_25lookback_scan_determinismE0ELb0ELb0ES3_PKS7_PS7_S7_ZZZN2at6native31launch_logcumsumexp_cuda_kernelERKNSE_10TensorBaseESI_lENKUlvE_clEvENKUlvE2_clEvEUlS7_S7_E_S7_EEDaPvRmT3_T4_T5_mT6_P12ihipStream_tbENKUlT_T0_E_clISt17integral_constantIbLb0EESZ_EEDaSU_SV_EUlSU_E0_NS1_11comp_targetILNS1_3genE9ELNS1_11target_archE1100ELNS1_3gpuE3ELNS1_3repE0EEENS1_30default_config_static_selectorELNS0_4arch9wavefront6targetE0EEEvT1_
                                        ; -- End function
	.set _ZN7rocprim17ROCPRIM_400000_NS6detail17trampoline_kernelINS0_14default_configENS1_20scan_config_selectorIN3c107complexIfEEEEZZNS1_9scan_implILNS1_25lookback_scan_determinismE0ELb0ELb0ES3_PKS7_PS7_S7_ZZZN2at6native31launch_logcumsumexp_cuda_kernelERKNSE_10TensorBaseESI_lENKUlvE_clEvENKUlvE2_clEvEUlS7_S7_E_S7_EEDaPvRmT3_T4_T5_mT6_P12ihipStream_tbENKUlT_T0_E_clISt17integral_constantIbLb0EESZ_EEDaSU_SV_EUlSU_E0_NS1_11comp_targetILNS1_3genE9ELNS1_11target_archE1100ELNS1_3gpuE3ELNS1_3repE0EEENS1_30default_config_static_selectorELNS0_4arch9wavefront6targetE0EEEvT1_.num_vgpr, 0
	.set _ZN7rocprim17ROCPRIM_400000_NS6detail17trampoline_kernelINS0_14default_configENS1_20scan_config_selectorIN3c107complexIfEEEEZZNS1_9scan_implILNS1_25lookback_scan_determinismE0ELb0ELb0ES3_PKS7_PS7_S7_ZZZN2at6native31launch_logcumsumexp_cuda_kernelERKNSE_10TensorBaseESI_lENKUlvE_clEvENKUlvE2_clEvEUlS7_S7_E_S7_EEDaPvRmT3_T4_T5_mT6_P12ihipStream_tbENKUlT_T0_E_clISt17integral_constantIbLb0EESZ_EEDaSU_SV_EUlSU_E0_NS1_11comp_targetILNS1_3genE9ELNS1_11target_archE1100ELNS1_3gpuE3ELNS1_3repE0EEENS1_30default_config_static_selectorELNS0_4arch9wavefront6targetE0EEEvT1_.num_agpr, 0
	.set _ZN7rocprim17ROCPRIM_400000_NS6detail17trampoline_kernelINS0_14default_configENS1_20scan_config_selectorIN3c107complexIfEEEEZZNS1_9scan_implILNS1_25lookback_scan_determinismE0ELb0ELb0ES3_PKS7_PS7_S7_ZZZN2at6native31launch_logcumsumexp_cuda_kernelERKNSE_10TensorBaseESI_lENKUlvE_clEvENKUlvE2_clEvEUlS7_S7_E_S7_EEDaPvRmT3_T4_T5_mT6_P12ihipStream_tbENKUlT_T0_E_clISt17integral_constantIbLb0EESZ_EEDaSU_SV_EUlSU_E0_NS1_11comp_targetILNS1_3genE9ELNS1_11target_archE1100ELNS1_3gpuE3ELNS1_3repE0EEENS1_30default_config_static_selectorELNS0_4arch9wavefront6targetE0EEEvT1_.numbered_sgpr, 0
	.set _ZN7rocprim17ROCPRIM_400000_NS6detail17trampoline_kernelINS0_14default_configENS1_20scan_config_selectorIN3c107complexIfEEEEZZNS1_9scan_implILNS1_25lookback_scan_determinismE0ELb0ELb0ES3_PKS7_PS7_S7_ZZZN2at6native31launch_logcumsumexp_cuda_kernelERKNSE_10TensorBaseESI_lENKUlvE_clEvENKUlvE2_clEvEUlS7_S7_E_S7_EEDaPvRmT3_T4_T5_mT6_P12ihipStream_tbENKUlT_T0_E_clISt17integral_constantIbLb0EESZ_EEDaSU_SV_EUlSU_E0_NS1_11comp_targetILNS1_3genE9ELNS1_11target_archE1100ELNS1_3gpuE3ELNS1_3repE0EEENS1_30default_config_static_selectorELNS0_4arch9wavefront6targetE0EEEvT1_.num_named_barrier, 0
	.set _ZN7rocprim17ROCPRIM_400000_NS6detail17trampoline_kernelINS0_14default_configENS1_20scan_config_selectorIN3c107complexIfEEEEZZNS1_9scan_implILNS1_25lookback_scan_determinismE0ELb0ELb0ES3_PKS7_PS7_S7_ZZZN2at6native31launch_logcumsumexp_cuda_kernelERKNSE_10TensorBaseESI_lENKUlvE_clEvENKUlvE2_clEvEUlS7_S7_E_S7_EEDaPvRmT3_T4_T5_mT6_P12ihipStream_tbENKUlT_T0_E_clISt17integral_constantIbLb0EESZ_EEDaSU_SV_EUlSU_E0_NS1_11comp_targetILNS1_3genE9ELNS1_11target_archE1100ELNS1_3gpuE3ELNS1_3repE0EEENS1_30default_config_static_selectorELNS0_4arch9wavefront6targetE0EEEvT1_.private_seg_size, 0
	.set _ZN7rocprim17ROCPRIM_400000_NS6detail17trampoline_kernelINS0_14default_configENS1_20scan_config_selectorIN3c107complexIfEEEEZZNS1_9scan_implILNS1_25lookback_scan_determinismE0ELb0ELb0ES3_PKS7_PS7_S7_ZZZN2at6native31launch_logcumsumexp_cuda_kernelERKNSE_10TensorBaseESI_lENKUlvE_clEvENKUlvE2_clEvEUlS7_S7_E_S7_EEDaPvRmT3_T4_T5_mT6_P12ihipStream_tbENKUlT_T0_E_clISt17integral_constantIbLb0EESZ_EEDaSU_SV_EUlSU_E0_NS1_11comp_targetILNS1_3genE9ELNS1_11target_archE1100ELNS1_3gpuE3ELNS1_3repE0EEENS1_30default_config_static_selectorELNS0_4arch9wavefront6targetE0EEEvT1_.uses_vcc, 0
	.set _ZN7rocprim17ROCPRIM_400000_NS6detail17trampoline_kernelINS0_14default_configENS1_20scan_config_selectorIN3c107complexIfEEEEZZNS1_9scan_implILNS1_25lookback_scan_determinismE0ELb0ELb0ES3_PKS7_PS7_S7_ZZZN2at6native31launch_logcumsumexp_cuda_kernelERKNSE_10TensorBaseESI_lENKUlvE_clEvENKUlvE2_clEvEUlS7_S7_E_S7_EEDaPvRmT3_T4_T5_mT6_P12ihipStream_tbENKUlT_T0_E_clISt17integral_constantIbLb0EESZ_EEDaSU_SV_EUlSU_E0_NS1_11comp_targetILNS1_3genE9ELNS1_11target_archE1100ELNS1_3gpuE3ELNS1_3repE0EEENS1_30default_config_static_selectorELNS0_4arch9wavefront6targetE0EEEvT1_.uses_flat_scratch, 0
	.set _ZN7rocprim17ROCPRIM_400000_NS6detail17trampoline_kernelINS0_14default_configENS1_20scan_config_selectorIN3c107complexIfEEEEZZNS1_9scan_implILNS1_25lookback_scan_determinismE0ELb0ELb0ES3_PKS7_PS7_S7_ZZZN2at6native31launch_logcumsumexp_cuda_kernelERKNSE_10TensorBaseESI_lENKUlvE_clEvENKUlvE2_clEvEUlS7_S7_E_S7_EEDaPvRmT3_T4_T5_mT6_P12ihipStream_tbENKUlT_T0_E_clISt17integral_constantIbLb0EESZ_EEDaSU_SV_EUlSU_E0_NS1_11comp_targetILNS1_3genE9ELNS1_11target_archE1100ELNS1_3gpuE3ELNS1_3repE0EEENS1_30default_config_static_selectorELNS0_4arch9wavefront6targetE0EEEvT1_.has_dyn_sized_stack, 0
	.set _ZN7rocprim17ROCPRIM_400000_NS6detail17trampoline_kernelINS0_14default_configENS1_20scan_config_selectorIN3c107complexIfEEEEZZNS1_9scan_implILNS1_25lookback_scan_determinismE0ELb0ELb0ES3_PKS7_PS7_S7_ZZZN2at6native31launch_logcumsumexp_cuda_kernelERKNSE_10TensorBaseESI_lENKUlvE_clEvENKUlvE2_clEvEUlS7_S7_E_S7_EEDaPvRmT3_T4_T5_mT6_P12ihipStream_tbENKUlT_T0_E_clISt17integral_constantIbLb0EESZ_EEDaSU_SV_EUlSU_E0_NS1_11comp_targetILNS1_3genE9ELNS1_11target_archE1100ELNS1_3gpuE3ELNS1_3repE0EEENS1_30default_config_static_selectorELNS0_4arch9wavefront6targetE0EEEvT1_.has_recursion, 0
	.set _ZN7rocprim17ROCPRIM_400000_NS6detail17trampoline_kernelINS0_14default_configENS1_20scan_config_selectorIN3c107complexIfEEEEZZNS1_9scan_implILNS1_25lookback_scan_determinismE0ELb0ELb0ES3_PKS7_PS7_S7_ZZZN2at6native31launch_logcumsumexp_cuda_kernelERKNSE_10TensorBaseESI_lENKUlvE_clEvENKUlvE2_clEvEUlS7_S7_E_S7_EEDaPvRmT3_T4_T5_mT6_P12ihipStream_tbENKUlT_T0_E_clISt17integral_constantIbLb0EESZ_EEDaSU_SV_EUlSU_E0_NS1_11comp_targetILNS1_3genE9ELNS1_11target_archE1100ELNS1_3gpuE3ELNS1_3repE0EEENS1_30default_config_static_selectorELNS0_4arch9wavefront6targetE0EEEvT1_.has_indirect_call, 0
	.section	.AMDGPU.csdata,"",@progbits
; Kernel info:
; codeLenInByte = 0
; TotalNumSgprs: 0
; NumVgprs: 0
; ScratchSize: 0
; MemoryBound: 0
; FloatMode: 240
; IeeeMode: 1
; LDSByteSize: 0 bytes/workgroup (compile time only)
; SGPRBlocks: 0
; VGPRBlocks: 0
; NumSGPRsForWavesPerEU: 1
; NumVGPRsForWavesPerEU: 1
; Occupancy: 16
; WaveLimiterHint : 0
; COMPUTE_PGM_RSRC2:SCRATCH_EN: 0
; COMPUTE_PGM_RSRC2:USER_SGPR: 2
; COMPUTE_PGM_RSRC2:TRAP_HANDLER: 0
; COMPUTE_PGM_RSRC2:TGID_X_EN: 1
; COMPUTE_PGM_RSRC2:TGID_Y_EN: 0
; COMPUTE_PGM_RSRC2:TGID_Z_EN: 0
; COMPUTE_PGM_RSRC2:TIDIG_COMP_CNT: 0
	.section	.text._ZN7rocprim17ROCPRIM_400000_NS6detail17trampoline_kernelINS0_14default_configENS1_20scan_config_selectorIN3c107complexIfEEEEZZNS1_9scan_implILNS1_25lookback_scan_determinismE0ELb0ELb0ES3_PKS7_PS7_S7_ZZZN2at6native31launch_logcumsumexp_cuda_kernelERKNSE_10TensorBaseESI_lENKUlvE_clEvENKUlvE2_clEvEUlS7_S7_E_S7_EEDaPvRmT3_T4_T5_mT6_P12ihipStream_tbENKUlT_T0_E_clISt17integral_constantIbLb0EESZ_EEDaSU_SV_EUlSU_E0_NS1_11comp_targetILNS1_3genE8ELNS1_11target_archE1030ELNS1_3gpuE2ELNS1_3repE0EEENS1_30default_config_static_selectorELNS0_4arch9wavefront6targetE0EEEvT1_,"axG",@progbits,_ZN7rocprim17ROCPRIM_400000_NS6detail17trampoline_kernelINS0_14default_configENS1_20scan_config_selectorIN3c107complexIfEEEEZZNS1_9scan_implILNS1_25lookback_scan_determinismE0ELb0ELb0ES3_PKS7_PS7_S7_ZZZN2at6native31launch_logcumsumexp_cuda_kernelERKNSE_10TensorBaseESI_lENKUlvE_clEvENKUlvE2_clEvEUlS7_S7_E_S7_EEDaPvRmT3_T4_T5_mT6_P12ihipStream_tbENKUlT_T0_E_clISt17integral_constantIbLb0EESZ_EEDaSU_SV_EUlSU_E0_NS1_11comp_targetILNS1_3genE8ELNS1_11target_archE1030ELNS1_3gpuE2ELNS1_3repE0EEENS1_30default_config_static_selectorELNS0_4arch9wavefront6targetE0EEEvT1_,comdat
	.globl	_ZN7rocprim17ROCPRIM_400000_NS6detail17trampoline_kernelINS0_14default_configENS1_20scan_config_selectorIN3c107complexIfEEEEZZNS1_9scan_implILNS1_25lookback_scan_determinismE0ELb0ELb0ES3_PKS7_PS7_S7_ZZZN2at6native31launch_logcumsumexp_cuda_kernelERKNSE_10TensorBaseESI_lENKUlvE_clEvENKUlvE2_clEvEUlS7_S7_E_S7_EEDaPvRmT3_T4_T5_mT6_P12ihipStream_tbENKUlT_T0_E_clISt17integral_constantIbLb0EESZ_EEDaSU_SV_EUlSU_E0_NS1_11comp_targetILNS1_3genE8ELNS1_11target_archE1030ELNS1_3gpuE2ELNS1_3repE0EEENS1_30default_config_static_selectorELNS0_4arch9wavefront6targetE0EEEvT1_ ; -- Begin function _ZN7rocprim17ROCPRIM_400000_NS6detail17trampoline_kernelINS0_14default_configENS1_20scan_config_selectorIN3c107complexIfEEEEZZNS1_9scan_implILNS1_25lookback_scan_determinismE0ELb0ELb0ES3_PKS7_PS7_S7_ZZZN2at6native31launch_logcumsumexp_cuda_kernelERKNSE_10TensorBaseESI_lENKUlvE_clEvENKUlvE2_clEvEUlS7_S7_E_S7_EEDaPvRmT3_T4_T5_mT6_P12ihipStream_tbENKUlT_T0_E_clISt17integral_constantIbLb0EESZ_EEDaSU_SV_EUlSU_E0_NS1_11comp_targetILNS1_3genE8ELNS1_11target_archE1030ELNS1_3gpuE2ELNS1_3repE0EEENS1_30default_config_static_selectorELNS0_4arch9wavefront6targetE0EEEvT1_
	.p2align	8
	.type	_ZN7rocprim17ROCPRIM_400000_NS6detail17trampoline_kernelINS0_14default_configENS1_20scan_config_selectorIN3c107complexIfEEEEZZNS1_9scan_implILNS1_25lookback_scan_determinismE0ELb0ELb0ES3_PKS7_PS7_S7_ZZZN2at6native31launch_logcumsumexp_cuda_kernelERKNSE_10TensorBaseESI_lENKUlvE_clEvENKUlvE2_clEvEUlS7_S7_E_S7_EEDaPvRmT3_T4_T5_mT6_P12ihipStream_tbENKUlT_T0_E_clISt17integral_constantIbLb0EESZ_EEDaSU_SV_EUlSU_E0_NS1_11comp_targetILNS1_3genE8ELNS1_11target_archE1030ELNS1_3gpuE2ELNS1_3repE0EEENS1_30default_config_static_selectorELNS0_4arch9wavefront6targetE0EEEvT1_,@function
_ZN7rocprim17ROCPRIM_400000_NS6detail17trampoline_kernelINS0_14default_configENS1_20scan_config_selectorIN3c107complexIfEEEEZZNS1_9scan_implILNS1_25lookback_scan_determinismE0ELb0ELb0ES3_PKS7_PS7_S7_ZZZN2at6native31launch_logcumsumexp_cuda_kernelERKNSE_10TensorBaseESI_lENKUlvE_clEvENKUlvE2_clEvEUlS7_S7_E_S7_EEDaPvRmT3_T4_T5_mT6_P12ihipStream_tbENKUlT_T0_E_clISt17integral_constantIbLb0EESZ_EEDaSU_SV_EUlSU_E0_NS1_11comp_targetILNS1_3genE8ELNS1_11target_archE1030ELNS1_3gpuE2ELNS1_3repE0EEENS1_30default_config_static_selectorELNS0_4arch9wavefront6targetE0EEEvT1_: ; @_ZN7rocprim17ROCPRIM_400000_NS6detail17trampoline_kernelINS0_14default_configENS1_20scan_config_selectorIN3c107complexIfEEEEZZNS1_9scan_implILNS1_25lookback_scan_determinismE0ELb0ELb0ES3_PKS7_PS7_S7_ZZZN2at6native31launch_logcumsumexp_cuda_kernelERKNSE_10TensorBaseESI_lENKUlvE_clEvENKUlvE2_clEvEUlS7_S7_E_S7_EEDaPvRmT3_T4_T5_mT6_P12ihipStream_tbENKUlT_T0_E_clISt17integral_constantIbLb0EESZ_EEDaSU_SV_EUlSU_E0_NS1_11comp_targetILNS1_3genE8ELNS1_11target_archE1030ELNS1_3gpuE2ELNS1_3repE0EEENS1_30default_config_static_selectorELNS0_4arch9wavefront6targetE0EEEvT1_
; %bb.0:
	.section	.rodata,"a",@progbits
	.p2align	6, 0x0
	.amdhsa_kernel _ZN7rocprim17ROCPRIM_400000_NS6detail17trampoline_kernelINS0_14default_configENS1_20scan_config_selectorIN3c107complexIfEEEEZZNS1_9scan_implILNS1_25lookback_scan_determinismE0ELb0ELb0ES3_PKS7_PS7_S7_ZZZN2at6native31launch_logcumsumexp_cuda_kernelERKNSE_10TensorBaseESI_lENKUlvE_clEvENKUlvE2_clEvEUlS7_S7_E_S7_EEDaPvRmT3_T4_T5_mT6_P12ihipStream_tbENKUlT_T0_E_clISt17integral_constantIbLb0EESZ_EEDaSU_SV_EUlSU_E0_NS1_11comp_targetILNS1_3genE8ELNS1_11target_archE1030ELNS1_3gpuE2ELNS1_3repE0EEENS1_30default_config_static_selectorELNS0_4arch9wavefront6targetE0EEEvT1_
		.amdhsa_group_segment_fixed_size 0
		.amdhsa_private_segment_fixed_size 0
		.amdhsa_kernarg_size 40
		.amdhsa_user_sgpr_count 2
		.amdhsa_user_sgpr_dispatch_ptr 0
		.amdhsa_user_sgpr_queue_ptr 0
		.amdhsa_user_sgpr_kernarg_segment_ptr 1
		.amdhsa_user_sgpr_dispatch_id 0
		.amdhsa_user_sgpr_private_segment_size 0
		.amdhsa_wavefront_size32 1
		.amdhsa_uses_dynamic_stack 0
		.amdhsa_enable_private_segment 0
		.amdhsa_system_sgpr_workgroup_id_x 1
		.amdhsa_system_sgpr_workgroup_id_y 0
		.amdhsa_system_sgpr_workgroup_id_z 0
		.amdhsa_system_sgpr_workgroup_info 0
		.amdhsa_system_vgpr_workitem_id 0
		.amdhsa_next_free_vgpr 1
		.amdhsa_next_free_sgpr 1
		.amdhsa_reserve_vcc 0
		.amdhsa_float_round_mode_32 0
		.amdhsa_float_round_mode_16_64 0
		.amdhsa_float_denorm_mode_32 3
		.amdhsa_float_denorm_mode_16_64 3
		.amdhsa_fp16_overflow 0
		.amdhsa_workgroup_processor_mode 1
		.amdhsa_memory_ordered 1
		.amdhsa_forward_progress 1
		.amdhsa_inst_pref_size 0
		.amdhsa_round_robin_scheduling 0
		.amdhsa_exception_fp_ieee_invalid_op 0
		.amdhsa_exception_fp_denorm_src 0
		.amdhsa_exception_fp_ieee_div_zero 0
		.amdhsa_exception_fp_ieee_overflow 0
		.amdhsa_exception_fp_ieee_underflow 0
		.amdhsa_exception_fp_ieee_inexact 0
		.amdhsa_exception_int_div_zero 0
	.end_amdhsa_kernel
	.section	.text._ZN7rocprim17ROCPRIM_400000_NS6detail17trampoline_kernelINS0_14default_configENS1_20scan_config_selectorIN3c107complexIfEEEEZZNS1_9scan_implILNS1_25lookback_scan_determinismE0ELb0ELb0ES3_PKS7_PS7_S7_ZZZN2at6native31launch_logcumsumexp_cuda_kernelERKNSE_10TensorBaseESI_lENKUlvE_clEvENKUlvE2_clEvEUlS7_S7_E_S7_EEDaPvRmT3_T4_T5_mT6_P12ihipStream_tbENKUlT_T0_E_clISt17integral_constantIbLb0EESZ_EEDaSU_SV_EUlSU_E0_NS1_11comp_targetILNS1_3genE8ELNS1_11target_archE1030ELNS1_3gpuE2ELNS1_3repE0EEENS1_30default_config_static_selectorELNS0_4arch9wavefront6targetE0EEEvT1_,"axG",@progbits,_ZN7rocprim17ROCPRIM_400000_NS6detail17trampoline_kernelINS0_14default_configENS1_20scan_config_selectorIN3c107complexIfEEEEZZNS1_9scan_implILNS1_25lookback_scan_determinismE0ELb0ELb0ES3_PKS7_PS7_S7_ZZZN2at6native31launch_logcumsumexp_cuda_kernelERKNSE_10TensorBaseESI_lENKUlvE_clEvENKUlvE2_clEvEUlS7_S7_E_S7_EEDaPvRmT3_T4_T5_mT6_P12ihipStream_tbENKUlT_T0_E_clISt17integral_constantIbLb0EESZ_EEDaSU_SV_EUlSU_E0_NS1_11comp_targetILNS1_3genE8ELNS1_11target_archE1030ELNS1_3gpuE2ELNS1_3repE0EEENS1_30default_config_static_selectorELNS0_4arch9wavefront6targetE0EEEvT1_,comdat
.Lfunc_end289:
	.size	_ZN7rocprim17ROCPRIM_400000_NS6detail17trampoline_kernelINS0_14default_configENS1_20scan_config_selectorIN3c107complexIfEEEEZZNS1_9scan_implILNS1_25lookback_scan_determinismE0ELb0ELb0ES3_PKS7_PS7_S7_ZZZN2at6native31launch_logcumsumexp_cuda_kernelERKNSE_10TensorBaseESI_lENKUlvE_clEvENKUlvE2_clEvEUlS7_S7_E_S7_EEDaPvRmT3_T4_T5_mT6_P12ihipStream_tbENKUlT_T0_E_clISt17integral_constantIbLb0EESZ_EEDaSU_SV_EUlSU_E0_NS1_11comp_targetILNS1_3genE8ELNS1_11target_archE1030ELNS1_3gpuE2ELNS1_3repE0EEENS1_30default_config_static_selectorELNS0_4arch9wavefront6targetE0EEEvT1_, .Lfunc_end289-_ZN7rocprim17ROCPRIM_400000_NS6detail17trampoline_kernelINS0_14default_configENS1_20scan_config_selectorIN3c107complexIfEEEEZZNS1_9scan_implILNS1_25lookback_scan_determinismE0ELb0ELb0ES3_PKS7_PS7_S7_ZZZN2at6native31launch_logcumsumexp_cuda_kernelERKNSE_10TensorBaseESI_lENKUlvE_clEvENKUlvE2_clEvEUlS7_S7_E_S7_EEDaPvRmT3_T4_T5_mT6_P12ihipStream_tbENKUlT_T0_E_clISt17integral_constantIbLb0EESZ_EEDaSU_SV_EUlSU_E0_NS1_11comp_targetILNS1_3genE8ELNS1_11target_archE1030ELNS1_3gpuE2ELNS1_3repE0EEENS1_30default_config_static_selectorELNS0_4arch9wavefront6targetE0EEEvT1_
                                        ; -- End function
	.set _ZN7rocprim17ROCPRIM_400000_NS6detail17trampoline_kernelINS0_14default_configENS1_20scan_config_selectorIN3c107complexIfEEEEZZNS1_9scan_implILNS1_25lookback_scan_determinismE0ELb0ELb0ES3_PKS7_PS7_S7_ZZZN2at6native31launch_logcumsumexp_cuda_kernelERKNSE_10TensorBaseESI_lENKUlvE_clEvENKUlvE2_clEvEUlS7_S7_E_S7_EEDaPvRmT3_T4_T5_mT6_P12ihipStream_tbENKUlT_T0_E_clISt17integral_constantIbLb0EESZ_EEDaSU_SV_EUlSU_E0_NS1_11comp_targetILNS1_3genE8ELNS1_11target_archE1030ELNS1_3gpuE2ELNS1_3repE0EEENS1_30default_config_static_selectorELNS0_4arch9wavefront6targetE0EEEvT1_.num_vgpr, 0
	.set _ZN7rocprim17ROCPRIM_400000_NS6detail17trampoline_kernelINS0_14default_configENS1_20scan_config_selectorIN3c107complexIfEEEEZZNS1_9scan_implILNS1_25lookback_scan_determinismE0ELb0ELb0ES3_PKS7_PS7_S7_ZZZN2at6native31launch_logcumsumexp_cuda_kernelERKNSE_10TensorBaseESI_lENKUlvE_clEvENKUlvE2_clEvEUlS7_S7_E_S7_EEDaPvRmT3_T4_T5_mT6_P12ihipStream_tbENKUlT_T0_E_clISt17integral_constantIbLb0EESZ_EEDaSU_SV_EUlSU_E0_NS1_11comp_targetILNS1_3genE8ELNS1_11target_archE1030ELNS1_3gpuE2ELNS1_3repE0EEENS1_30default_config_static_selectorELNS0_4arch9wavefront6targetE0EEEvT1_.num_agpr, 0
	.set _ZN7rocprim17ROCPRIM_400000_NS6detail17trampoline_kernelINS0_14default_configENS1_20scan_config_selectorIN3c107complexIfEEEEZZNS1_9scan_implILNS1_25lookback_scan_determinismE0ELb0ELb0ES3_PKS7_PS7_S7_ZZZN2at6native31launch_logcumsumexp_cuda_kernelERKNSE_10TensorBaseESI_lENKUlvE_clEvENKUlvE2_clEvEUlS7_S7_E_S7_EEDaPvRmT3_T4_T5_mT6_P12ihipStream_tbENKUlT_T0_E_clISt17integral_constantIbLb0EESZ_EEDaSU_SV_EUlSU_E0_NS1_11comp_targetILNS1_3genE8ELNS1_11target_archE1030ELNS1_3gpuE2ELNS1_3repE0EEENS1_30default_config_static_selectorELNS0_4arch9wavefront6targetE0EEEvT1_.numbered_sgpr, 0
	.set _ZN7rocprim17ROCPRIM_400000_NS6detail17trampoline_kernelINS0_14default_configENS1_20scan_config_selectorIN3c107complexIfEEEEZZNS1_9scan_implILNS1_25lookback_scan_determinismE0ELb0ELb0ES3_PKS7_PS7_S7_ZZZN2at6native31launch_logcumsumexp_cuda_kernelERKNSE_10TensorBaseESI_lENKUlvE_clEvENKUlvE2_clEvEUlS7_S7_E_S7_EEDaPvRmT3_T4_T5_mT6_P12ihipStream_tbENKUlT_T0_E_clISt17integral_constantIbLb0EESZ_EEDaSU_SV_EUlSU_E0_NS1_11comp_targetILNS1_3genE8ELNS1_11target_archE1030ELNS1_3gpuE2ELNS1_3repE0EEENS1_30default_config_static_selectorELNS0_4arch9wavefront6targetE0EEEvT1_.num_named_barrier, 0
	.set _ZN7rocprim17ROCPRIM_400000_NS6detail17trampoline_kernelINS0_14default_configENS1_20scan_config_selectorIN3c107complexIfEEEEZZNS1_9scan_implILNS1_25lookback_scan_determinismE0ELb0ELb0ES3_PKS7_PS7_S7_ZZZN2at6native31launch_logcumsumexp_cuda_kernelERKNSE_10TensorBaseESI_lENKUlvE_clEvENKUlvE2_clEvEUlS7_S7_E_S7_EEDaPvRmT3_T4_T5_mT6_P12ihipStream_tbENKUlT_T0_E_clISt17integral_constantIbLb0EESZ_EEDaSU_SV_EUlSU_E0_NS1_11comp_targetILNS1_3genE8ELNS1_11target_archE1030ELNS1_3gpuE2ELNS1_3repE0EEENS1_30default_config_static_selectorELNS0_4arch9wavefront6targetE0EEEvT1_.private_seg_size, 0
	.set _ZN7rocprim17ROCPRIM_400000_NS6detail17trampoline_kernelINS0_14default_configENS1_20scan_config_selectorIN3c107complexIfEEEEZZNS1_9scan_implILNS1_25lookback_scan_determinismE0ELb0ELb0ES3_PKS7_PS7_S7_ZZZN2at6native31launch_logcumsumexp_cuda_kernelERKNSE_10TensorBaseESI_lENKUlvE_clEvENKUlvE2_clEvEUlS7_S7_E_S7_EEDaPvRmT3_T4_T5_mT6_P12ihipStream_tbENKUlT_T0_E_clISt17integral_constantIbLb0EESZ_EEDaSU_SV_EUlSU_E0_NS1_11comp_targetILNS1_3genE8ELNS1_11target_archE1030ELNS1_3gpuE2ELNS1_3repE0EEENS1_30default_config_static_selectorELNS0_4arch9wavefront6targetE0EEEvT1_.uses_vcc, 0
	.set _ZN7rocprim17ROCPRIM_400000_NS6detail17trampoline_kernelINS0_14default_configENS1_20scan_config_selectorIN3c107complexIfEEEEZZNS1_9scan_implILNS1_25lookback_scan_determinismE0ELb0ELb0ES3_PKS7_PS7_S7_ZZZN2at6native31launch_logcumsumexp_cuda_kernelERKNSE_10TensorBaseESI_lENKUlvE_clEvENKUlvE2_clEvEUlS7_S7_E_S7_EEDaPvRmT3_T4_T5_mT6_P12ihipStream_tbENKUlT_T0_E_clISt17integral_constantIbLb0EESZ_EEDaSU_SV_EUlSU_E0_NS1_11comp_targetILNS1_3genE8ELNS1_11target_archE1030ELNS1_3gpuE2ELNS1_3repE0EEENS1_30default_config_static_selectorELNS0_4arch9wavefront6targetE0EEEvT1_.uses_flat_scratch, 0
	.set _ZN7rocprim17ROCPRIM_400000_NS6detail17trampoline_kernelINS0_14default_configENS1_20scan_config_selectorIN3c107complexIfEEEEZZNS1_9scan_implILNS1_25lookback_scan_determinismE0ELb0ELb0ES3_PKS7_PS7_S7_ZZZN2at6native31launch_logcumsumexp_cuda_kernelERKNSE_10TensorBaseESI_lENKUlvE_clEvENKUlvE2_clEvEUlS7_S7_E_S7_EEDaPvRmT3_T4_T5_mT6_P12ihipStream_tbENKUlT_T0_E_clISt17integral_constantIbLb0EESZ_EEDaSU_SV_EUlSU_E0_NS1_11comp_targetILNS1_3genE8ELNS1_11target_archE1030ELNS1_3gpuE2ELNS1_3repE0EEENS1_30default_config_static_selectorELNS0_4arch9wavefront6targetE0EEEvT1_.has_dyn_sized_stack, 0
	.set _ZN7rocprim17ROCPRIM_400000_NS6detail17trampoline_kernelINS0_14default_configENS1_20scan_config_selectorIN3c107complexIfEEEEZZNS1_9scan_implILNS1_25lookback_scan_determinismE0ELb0ELb0ES3_PKS7_PS7_S7_ZZZN2at6native31launch_logcumsumexp_cuda_kernelERKNSE_10TensorBaseESI_lENKUlvE_clEvENKUlvE2_clEvEUlS7_S7_E_S7_EEDaPvRmT3_T4_T5_mT6_P12ihipStream_tbENKUlT_T0_E_clISt17integral_constantIbLb0EESZ_EEDaSU_SV_EUlSU_E0_NS1_11comp_targetILNS1_3genE8ELNS1_11target_archE1030ELNS1_3gpuE2ELNS1_3repE0EEENS1_30default_config_static_selectorELNS0_4arch9wavefront6targetE0EEEvT1_.has_recursion, 0
	.set _ZN7rocprim17ROCPRIM_400000_NS6detail17trampoline_kernelINS0_14default_configENS1_20scan_config_selectorIN3c107complexIfEEEEZZNS1_9scan_implILNS1_25lookback_scan_determinismE0ELb0ELb0ES3_PKS7_PS7_S7_ZZZN2at6native31launch_logcumsumexp_cuda_kernelERKNSE_10TensorBaseESI_lENKUlvE_clEvENKUlvE2_clEvEUlS7_S7_E_S7_EEDaPvRmT3_T4_T5_mT6_P12ihipStream_tbENKUlT_T0_E_clISt17integral_constantIbLb0EESZ_EEDaSU_SV_EUlSU_E0_NS1_11comp_targetILNS1_3genE8ELNS1_11target_archE1030ELNS1_3gpuE2ELNS1_3repE0EEENS1_30default_config_static_selectorELNS0_4arch9wavefront6targetE0EEEvT1_.has_indirect_call, 0
	.section	.AMDGPU.csdata,"",@progbits
; Kernel info:
; codeLenInByte = 0
; TotalNumSgprs: 0
; NumVgprs: 0
; ScratchSize: 0
; MemoryBound: 0
; FloatMode: 240
; IeeeMode: 1
; LDSByteSize: 0 bytes/workgroup (compile time only)
; SGPRBlocks: 0
; VGPRBlocks: 0
; NumSGPRsForWavesPerEU: 1
; NumVGPRsForWavesPerEU: 1
; Occupancy: 16
; WaveLimiterHint : 0
; COMPUTE_PGM_RSRC2:SCRATCH_EN: 0
; COMPUTE_PGM_RSRC2:USER_SGPR: 2
; COMPUTE_PGM_RSRC2:TRAP_HANDLER: 0
; COMPUTE_PGM_RSRC2:TGID_X_EN: 1
; COMPUTE_PGM_RSRC2:TGID_Y_EN: 0
; COMPUTE_PGM_RSRC2:TGID_Z_EN: 0
; COMPUTE_PGM_RSRC2:TIDIG_COMP_CNT: 0
	.section	.text._ZN7rocprim17ROCPRIM_400000_NS6detail31init_lookback_scan_state_kernelINS1_19lookback_scan_stateIN3c107complexIfEELb1ELb1EEENS1_16block_id_wrapperIjLb1EEEEEvT_jT0_jPNSA_10value_typeE,"axG",@progbits,_ZN7rocprim17ROCPRIM_400000_NS6detail31init_lookback_scan_state_kernelINS1_19lookback_scan_stateIN3c107complexIfEELb1ELb1EEENS1_16block_id_wrapperIjLb1EEEEEvT_jT0_jPNSA_10value_typeE,comdat
	.protected	_ZN7rocprim17ROCPRIM_400000_NS6detail31init_lookback_scan_state_kernelINS1_19lookback_scan_stateIN3c107complexIfEELb1ELb1EEENS1_16block_id_wrapperIjLb1EEEEEvT_jT0_jPNSA_10value_typeE ; -- Begin function _ZN7rocprim17ROCPRIM_400000_NS6detail31init_lookback_scan_state_kernelINS1_19lookback_scan_stateIN3c107complexIfEELb1ELb1EEENS1_16block_id_wrapperIjLb1EEEEEvT_jT0_jPNSA_10value_typeE
	.globl	_ZN7rocprim17ROCPRIM_400000_NS6detail31init_lookback_scan_state_kernelINS1_19lookback_scan_stateIN3c107complexIfEELb1ELb1EEENS1_16block_id_wrapperIjLb1EEEEEvT_jT0_jPNSA_10value_typeE
	.p2align	8
	.type	_ZN7rocprim17ROCPRIM_400000_NS6detail31init_lookback_scan_state_kernelINS1_19lookback_scan_stateIN3c107complexIfEELb1ELb1EEENS1_16block_id_wrapperIjLb1EEEEEvT_jT0_jPNSA_10value_typeE,@function
_ZN7rocprim17ROCPRIM_400000_NS6detail31init_lookback_scan_state_kernelINS1_19lookback_scan_stateIN3c107complexIfEELb1ELb1EEENS1_16block_id_wrapperIjLb1EEEEEvT_jT0_jPNSA_10value_typeE: ; @_ZN7rocprim17ROCPRIM_400000_NS6detail31init_lookback_scan_state_kernelINS1_19lookback_scan_stateIN3c107complexIfEELb1ELb1EEENS1_16block_id_wrapperIjLb1EEEEEvT_jT0_jPNSA_10value_typeE
; %bb.0:
	s_clause 0x2
	s_load_b32 s7, s[0:1], 0x34
	s_load_b64 s[2:3], s[0:1], 0x20
	s_load_b96 s[4:6], s[0:1], 0x0
	s_wait_kmcnt 0x0
	s_and_b32 s7, s7, 0xffff
	s_cmp_eq_u64 s[2:3], 0
	v_mad_co_u64_u32 v[0:1], null, ttmp9, s7, v[0:1]
	s_cbranch_scc1 .LBB290_10
; %bb.1:
	s_load_b32 s8, s[0:1], 0x18
	s_mov_b32 s9, 0
	s_wait_kmcnt 0x0
	s_cmp_lt_u32 s8, s6
	s_cselect_b32 s7, s8, 0
	s_wait_alu 0xfffe
	v_cmp_eq_u32_e32 vcc_lo, s7, v0
	s_and_saveexec_b32 s7, vcc_lo
	s_cbranch_execz .LBB290_9
; %bb.2:
	s_add_co_i32 s8, s8, 32
	s_mov_b32 s10, exec_lo
	s_lshl_b64 s[8:9], s[8:9], 4
	v_mov_b32_e32 v5, 0
	s_add_nc_u64 s[8:9], s[4:5], s[8:9]
	s_delay_alu instid0(SALU_CYCLE_1) | instskip(SKIP_2) | instid1(VALU_DEP_1)
	v_dual_mov_b32 v1, s8 :: v_dual_mov_b32 v2, s9
	;;#ASMSTART
	global_load_b128 v[1:4], v[1:2] off scope:SCOPE_DEV	
s_wait_loadcnt 0x0
	;;#ASMEND
	v_and_b32_e32 v4, 0xff, v3
	v_cmpx_eq_u64_e32 0, v[4:5]
	s_cbranch_execz .LBB290_8
; %bb.3:
	v_dual_mov_b32 v6, s8 :: v_dual_mov_b32 v7, s9
	s_mov_b32 s9, 1
	s_mov_b32 s8, 0
.LBB290_4:                              ; =>This Loop Header: Depth=1
                                        ;     Child Loop BB290_5 Depth 2
	s_wait_alu 0xfffe
	s_mov_b32 s11, s9
.LBB290_5:                              ;   Parent Loop BB290_4 Depth=1
                                        ; =>  This Inner Loop Header: Depth=2
	s_delay_alu instid0(SALU_CYCLE_1)
	s_add_co_i32 s11, s11, -1
	s_sleep 1
	s_cmp_eq_u32 s11, 0
	s_cbranch_scc0 .LBB290_5
; %bb.6:                                ;   in Loop: Header=BB290_4 Depth=1
	;;#ASMSTART
	global_load_b128 v[1:4], v[6:7] off scope:SCOPE_DEV	
s_wait_loadcnt 0x0
	;;#ASMEND
	v_and_b32_e32 v4, 0xff, v3
	s_cmp_lt_u32 s9, 32
	s_cselect_b32 s11, -1, 0
	s_delay_alu instid0(SALU_CYCLE_1) | instskip(NEXT) | instid1(VALU_DEP_1)
	s_cmp_lg_u32 s11, 0
	v_cmp_ne_u64_e32 vcc_lo, 0, v[4:5]
	s_add_co_ci_u32 s9, s9, 0
	s_or_b32 s8, vcc_lo, s8
	s_wait_alu 0xfffe
	s_and_not1_b32 exec_lo, exec_lo, s8
	s_cbranch_execnz .LBB290_4
; %bb.7:
	s_or_b32 exec_lo, exec_lo, s8
.LBB290_8:
	s_delay_alu instid0(SALU_CYCLE_1)
	s_or_b32 exec_lo, exec_lo, s10
	v_mov_b32_e32 v3, 0
	global_store_b64 v3, v[1:2], s[2:3]
.LBB290_9:
	s_wait_alu 0xfffe
	s_or_b32 exec_lo, exec_lo, s7
.LBB290_10:
	s_delay_alu instid0(SALU_CYCLE_1)
	s_mov_b32 s2, exec_lo
	v_cmpx_eq_u32_e32 0, v0
	s_cbranch_execz .LBB290_12
; %bb.11:
	s_load_b64 s[0:1], s[0:1], 0x10
	v_mov_b32_e32 v1, 0
	s_wait_kmcnt 0x0
	global_store_b32 v1, v1, s[0:1]
.LBB290_12:
	s_or_b32 exec_lo, exec_lo, s2
	s_delay_alu instid0(SALU_CYCLE_1)
	s_mov_b32 s0, exec_lo
	v_cmpx_gt_u32_e64 s6, v0
	s_cbranch_execz .LBB290_14
; %bb.13:
	v_dual_mov_b32 v2, 0 :: v_dual_add_nc_u32 v1, 32, v0
	s_delay_alu instid0(VALU_DEP_1) | instskip(SKIP_2) | instid1(VALU_DEP_3)
	v_lshlrev_b64_e32 v[4:5], 4, v[1:2]
	v_mov_b32_e32 v1, v2
	v_mov_b32_e32 v3, v2
	v_add_co_u32 v6, vcc_lo, s4, v4
	s_delay_alu instid0(VALU_DEP_1)
	v_add_co_ci_u32_e64 v7, null, s5, v5, vcc_lo
	v_mov_b32_e32 v4, v2
	global_store_b128 v[6:7], v[1:4], off
.LBB290_14:
	s_wait_alu 0xfffe
	s_or_b32 exec_lo, exec_lo, s0
	s_delay_alu instid0(SALU_CYCLE_1)
	s_mov_b32 s0, exec_lo
	v_cmpx_gt_u32_e32 32, v0
	s_cbranch_execz .LBB290_16
; %bb.15:
	v_dual_mov_b32 v1, 0 :: v_dual_mov_b32 v2, 0xff
	s_delay_alu instid0(VALU_DEP_1) | instskip(SKIP_1) | instid1(VALU_DEP_2)
	v_lshlrev_b64_e32 v[3:4], 4, v[0:1]
	v_mov_b32_e32 v0, v1
	v_add_co_u32 v5, vcc_lo, s4, v3
	s_wait_alu 0xfffd
	s_delay_alu instid0(VALU_DEP_3)
	v_add_co_ci_u32_e64 v6, null, s5, v4, vcc_lo
	v_mov_b32_e32 v3, v1
	global_store_b128 v[5:6], v[0:3], off
.LBB290_16:
	s_endpgm
	.section	.rodata,"a",@progbits
	.p2align	6, 0x0
	.amdhsa_kernel _ZN7rocprim17ROCPRIM_400000_NS6detail31init_lookback_scan_state_kernelINS1_19lookback_scan_stateIN3c107complexIfEELb1ELb1EEENS1_16block_id_wrapperIjLb1EEEEEvT_jT0_jPNSA_10value_typeE
		.amdhsa_group_segment_fixed_size 0
		.amdhsa_private_segment_fixed_size 0
		.amdhsa_kernarg_size 296
		.amdhsa_user_sgpr_count 2
		.amdhsa_user_sgpr_dispatch_ptr 0
		.amdhsa_user_sgpr_queue_ptr 0
		.amdhsa_user_sgpr_kernarg_segment_ptr 1
		.amdhsa_user_sgpr_dispatch_id 0
		.amdhsa_user_sgpr_private_segment_size 0
		.amdhsa_wavefront_size32 1
		.amdhsa_uses_dynamic_stack 0
		.amdhsa_enable_private_segment 0
		.amdhsa_system_sgpr_workgroup_id_x 1
		.amdhsa_system_sgpr_workgroup_id_y 0
		.amdhsa_system_sgpr_workgroup_id_z 0
		.amdhsa_system_sgpr_workgroup_info 0
		.amdhsa_system_vgpr_workitem_id 0
		.amdhsa_next_free_vgpr 8
		.amdhsa_next_free_sgpr 12
		.amdhsa_reserve_vcc 1
		.amdhsa_float_round_mode_32 0
		.amdhsa_float_round_mode_16_64 0
		.amdhsa_float_denorm_mode_32 3
		.amdhsa_float_denorm_mode_16_64 3
		.amdhsa_fp16_overflow 0
		.amdhsa_workgroup_processor_mode 1
		.amdhsa_memory_ordered 1
		.amdhsa_forward_progress 1
		.amdhsa_inst_pref_size 4
		.amdhsa_round_robin_scheduling 0
		.amdhsa_exception_fp_ieee_invalid_op 0
		.amdhsa_exception_fp_denorm_src 0
		.amdhsa_exception_fp_ieee_div_zero 0
		.amdhsa_exception_fp_ieee_overflow 0
		.amdhsa_exception_fp_ieee_underflow 0
		.amdhsa_exception_fp_ieee_inexact 0
		.amdhsa_exception_int_div_zero 0
	.end_amdhsa_kernel
	.section	.text._ZN7rocprim17ROCPRIM_400000_NS6detail31init_lookback_scan_state_kernelINS1_19lookback_scan_stateIN3c107complexIfEELb1ELb1EEENS1_16block_id_wrapperIjLb1EEEEEvT_jT0_jPNSA_10value_typeE,"axG",@progbits,_ZN7rocprim17ROCPRIM_400000_NS6detail31init_lookback_scan_state_kernelINS1_19lookback_scan_stateIN3c107complexIfEELb1ELb1EEENS1_16block_id_wrapperIjLb1EEEEEvT_jT0_jPNSA_10value_typeE,comdat
.Lfunc_end290:
	.size	_ZN7rocprim17ROCPRIM_400000_NS6detail31init_lookback_scan_state_kernelINS1_19lookback_scan_stateIN3c107complexIfEELb1ELb1EEENS1_16block_id_wrapperIjLb1EEEEEvT_jT0_jPNSA_10value_typeE, .Lfunc_end290-_ZN7rocprim17ROCPRIM_400000_NS6detail31init_lookback_scan_state_kernelINS1_19lookback_scan_stateIN3c107complexIfEELb1ELb1EEENS1_16block_id_wrapperIjLb1EEEEEvT_jT0_jPNSA_10value_typeE
                                        ; -- End function
	.set _ZN7rocprim17ROCPRIM_400000_NS6detail31init_lookback_scan_state_kernelINS1_19lookback_scan_stateIN3c107complexIfEELb1ELb1EEENS1_16block_id_wrapperIjLb1EEEEEvT_jT0_jPNSA_10value_typeE.num_vgpr, 8
	.set _ZN7rocprim17ROCPRIM_400000_NS6detail31init_lookback_scan_state_kernelINS1_19lookback_scan_stateIN3c107complexIfEELb1ELb1EEENS1_16block_id_wrapperIjLb1EEEEEvT_jT0_jPNSA_10value_typeE.num_agpr, 0
	.set _ZN7rocprim17ROCPRIM_400000_NS6detail31init_lookback_scan_state_kernelINS1_19lookback_scan_stateIN3c107complexIfEELb1ELb1EEENS1_16block_id_wrapperIjLb1EEEEEvT_jT0_jPNSA_10value_typeE.numbered_sgpr, 12
	.set _ZN7rocprim17ROCPRIM_400000_NS6detail31init_lookback_scan_state_kernelINS1_19lookback_scan_stateIN3c107complexIfEELb1ELb1EEENS1_16block_id_wrapperIjLb1EEEEEvT_jT0_jPNSA_10value_typeE.num_named_barrier, 0
	.set _ZN7rocprim17ROCPRIM_400000_NS6detail31init_lookback_scan_state_kernelINS1_19lookback_scan_stateIN3c107complexIfEELb1ELb1EEENS1_16block_id_wrapperIjLb1EEEEEvT_jT0_jPNSA_10value_typeE.private_seg_size, 0
	.set _ZN7rocprim17ROCPRIM_400000_NS6detail31init_lookback_scan_state_kernelINS1_19lookback_scan_stateIN3c107complexIfEELb1ELb1EEENS1_16block_id_wrapperIjLb1EEEEEvT_jT0_jPNSA_10value_typeE.uses_vcc, 1
	.set _ZN7rocprim17ROCPRIM_400000_NS6detail31init_lookback_scan_state_kernelINS1_19lookback_scan_stateIN3c107complexIfEELb1ELb1EEENS1_16block_id_wrapperIjLb1EEEEEvT_jT0_jPNSA_10value_typeE.uses_flat_scratch, 0
	.set _ZN7rocprim17ROCPRIM_400000_NS6detail31init_lookback_scan_state_kernelINS1_19lookback_scan_stateIN3c107complexIfEELb1ELb1EEENS1_16block_id_wrapperIjLb1EEEEEvT_jT0_jPNSA_10value_typeE.has_dyn_sized_stack, 0
	.set _ZN7rocprim17ROCPRIM_400000_NS6detail31init_lookback_scan_state_kernelINS1_19lookback_scan_stateIN3c107complexIfEELb1ELb1EEENS1_16block_id_wrapperIjLb1EEEEEvT_jT0_jPNSA_10value_typeE.has_recursion, 0
	.set _ZN7rocprim17ROCPRIM_400000_NS6detail31init_lookback_scan_state_kernelINS1_19lookback_scan_stateIN3c107complexIfEELb1ELb1EEENS1_16block_id_wrapperIjLb1EEEEEvT_jT0_jPNSA_10value_typeE.has_indirect_call, 0
	.section	.AMDGPU.csdata,"",@progbits
; Kernel info:
; codeLenInByte = 492
; TotalNumSgprs: 14
; NumVgprs: 8
; ScratchSize: 0
; MemoryBound: 0
; FloatMode: 240
; IeeeMode: 1
; LDSByteSize: 0 bytes/workgroup (compile time only)
; SGPRBlocks: 0
; VGPRBlocks: 0
; NumSGPRsForWavesPerEU: 14
; NumVGPRsForWavesPerEU: 8
; Occupancy: 16
; WaveLimiterHint : 0
; COMPUTE_PGM_RSRC2:SCRATCH_EN: 0
; COMPUTE_PGM_RSRC2:USER_SGPR: 2
; COMPUTE_PGM_RSRC2:TRAP_HANDLER: 0
; COMPUTE_PGM_RSRC2:TGID_X_EN: 1
; COMPUTE_PGM_RSRC2:TGID_Y_EN: 0
; COMPUTE_PGM_RSRC2:TGID_Z_EN: 0
; COMPUTE_PGM_RSRC2:TIDIG_COMP_CNT: 0
	.section	.text._ZN7rocprim17ROCPRIM_400000_NS6detail17trampoline_kernelINS0_14default_configENS1_20scan_config_selectorIN3c107complexIfEEEEZZNS1_9scan_implILNS1_25lookback_scan_determinismE0ELb0ELb0ES3_PKS7_PS7_S7_ZZZN2at6native31launch_logcumsumexp_cuda_kernelERKNSE_10TensorBaseESI_lENKUlvE_clEvENKUlvE2_clEvEUlS7_S7_E_S7_EEDaPvRmT3_T4_T5_mT6_P12ihipStream_tbENKUlT_T0_E_clISt17integral_constantIbLb1EESZ_EEDaSU_SV_EUlSU_E_NS1_11comp_targetILNS1_3genE0ELNS1_11target_archE4294967295ELNS1_3gpuE0ELNS1_3repE0EEENS1_30default_config_static_selectorELNS0_4arch9wavefront6targetE0EEEvT1_,"axG",@progbits,_ZN7rocprim17ROCPRIM_400000_NS6detail17trampoline_kernelINS0_14default_configENS1_20scan_config_selectorIN3c107complexIfEEEEZZNS1_9scan_implILNS1_25lookback_scan_determinismE0ELb0ELb0ES3_PKS7_PS7_S7_ZZZN2at6native31launch_logcumsumexp_cuda_kernelERKNSE_10TensorBaseESI_lENKUlvE_clEvENKUlvE2_clEvEUlS7_S7_E_S7_EEDaPvRmT3_T4_T5_mT6_P12ihipStream_tbENKUlT_T0_E_clISt17integral_constantIbLb1EESZ_EEDaSU_SV_EUlSU_E_NS1_11comp_targetILNS1_3genE0ELNS1_11target_archE4294967295ELNS1_3gpuE0ELNS1_3repE0EEENS1_30default_config_static_selectorELNS0_4arch9wavefront6targetE0EEEvT1_,comdat
	.globl	_ZN7rocprim17ROCPRIM_400000_NS6detail17trampoline_kernelINS0_14default_configENS1_20scan_config_selectorIN3c107complexIfEEEEZZNS1_9scan_implILNS1_25lookback_scan_determinismE0ELb0ELb0ES3_PKS7_PS7_S7_ZZZN2at6native31launch_logcumsumexp_cuda_kernelERKNSE_10TensorBaseESI_lENKUlvE_clEvENKUlvE2_clEvEUlS7_S7_E_S7_EEDaPvRmT3_T4_T5_mT6_P12ihipStream_tbENKUlT_T0_E_clISt17integral_constantIbLb1EESZ_EEDaSU_SV_EUlSU_E_NS1_11comp_targetILNS1_3genE0ELNS1_11target_archE4294967295ELNS1_3gpuE0ELNS1_3repE0EEENS1_30default_config_static_selectorELNS0_4arch9wavefront6targetE0EEEvT1_ ; -- Begin function _ZN7rocprim17ROCPRIM_400000_NS6detail17trampoline_kernelINS0_14default_configENS1_20scan_config_selectorIN3c107complexIfEEEEZZNS1_9scan_implILNS1_25lookback_scan_determinismE0ELb0ELb0ES3_PKS7_PS7_S7_ZZZN2at6native31launch_logcumsumexp_cuda_kernelERKNSE_10TensorBaseESI_lENKUlvE_clEvENKUlvE2_clEvEUlS7_S7_E_S7_EEDaPvRmT3_T4_T5_mT6_P12ihipStream_tbENKUlT_T0_E_clISt17integral_constantIbLb1EESZ_EEDaSU_SV_EUlSU_E_NS1_11comp_targetILNS1_3genE0ELNS1_11target_archE4294967295ELNS1_3gpuE0ELNS1_3repE0EEENS1_30default_config_static_selectorELNS0_4arch9wavefront6targetE0EEEvT1_
	.p2align	8
	.type	_ZN7rocprim17ROCPRIM_400000_NS6detail17trampoline_kernelINS0_14default_configENS1_20scan_config_selectorIN3c107complexIfEEEEZZNS1_9scan_implILNS1_25lookback_scan_determinismE0ELb0ELb0ES3_PKS7_PS7_S7_ZZZN2at6native31launch_logcumsumexp_cuda_kernelERKNSE_10TensorBaseESI_lENKUlvE_clEvENKUlvE2_clEvEUlS7_S7_E_S7_EEDaPvRmT3_T4_T5_mT6_P12ihipStream_tbENKUlT_T0_E_clISt17integral_constantIbLb1EESZ_EEDaSU_SV_EUlSU_E_NS1_11comp_targetILNS1_3genE0ELNS1_11target_archE4294967295ELNS1_3gpuE0ELNS1_3repE0EEENS1_30default_config_static_selectorELNS0_4arch9wavefront6targetE0EEEvT1_,@function
_ZN7rocprim17ROCPRIM_400000_NS6detail17trampoline_kernelINS0_14default_configENS1_20scan_config_selectorIN3c107complexIfEEEEZZNS1_9scan_implILNS1_25lookback_scan_determinismE0ELb0ELb0ES3_PKS7_PS7_S7_ZZZN2at6native31launch_logcumsumexp_cuda_kernelERKNSE_10TensorBaseESI_lENKUlvE_clEvENKUlvE2_clEvEUlS7_S7_E_S7_EEDaPvRmT3_T4_T5_mT6_P12ihipStream_tbENKUlT_T0_E_clISt17integral_constantIbLb1EESZ_EEDaSU_SV_EUlSU_E_NS1_11comp_targetILNS1_3genE0ELNS1_11target_archE4294967295ELNS1_3gpuE0ELNS1_3repE0EEENS1_30default_config_static_selectorELNS0_4arch9wavefront6targetE0EEEvT1_: ; @_ZN7rocprim17ROCPRIM_400000_NS6detail17trampoline_kernelINS0_14default_configENS1_20scan_config_selectorIN3c107complexIfEEEEZZNS1_9scan_implILNS1_25lookback_scan_determinismE0ELb0ELb0ES3_PKS7_PS7_S7_ZZZN2at6native31launch_logcumsumexp_cuda_kernelERKNSE_10TensorBaseESI_lENKUlvE_clEvENKUlvE2_clEvEUlS7_S7_E_S7_EEDaPvRmT3_T4_T5_mT6_P12ihipStream_tbENKUlT_T0_E_clISt17integral_constantIbLb1EESZ_EEDaSU_SV_EUlSU_E_NS1_11comp_targetILNS1_3genE0ELNS1_11target_archE4294967295ELNS1_3gpuE0ELNS1_3repE0EEENS1_30default_config_static_selectorELNS0_4arch9wavefront6targetE0EEEvT1_
; %bb.0:
	.section	.rodata,"a",@progbits
	.p2align	6, 0x0
	.amdhsa_kernel _ZN7rocprim17ROCPRIM_400000_NS6detail17trampoline_kernelINS0_14default_configENS1_20scan_config_selectorIN3c107complexIfEEEEZZNS1_9scan_implILNS1_25lookback_scan_determinismE0ELb0ELb0ES3_PKS7_PS7_S7_ZZZN2at6native31launch_logcumsumexp_cuda_kernelERKNSE_10TensorBaseESI_lENKUlvE_clEvENKUlvE2_clEvEUlS7_S7_E_S7_EEDaPvRmT3_T4_T5_mT6_P12ihipStream_tbENKUlT_T0_E_clISt17integral_constantIbLb1EESZ_EEDaSU_SV_EUlSU_E_NS1_11comp_targetILNS1_3genE0ELNS1_11target_archE4294967295ELNS1_3gpuE0ELNS1_3repE0EEENS1_30default_config_static_selectorELNS0_4arch9wavefront6targetE0EEEvT1_
		.amdhsa_group_segment_fixed_size 0
		.amdhsa_private_segment_fixed_size 0
		.amdhsa_kernarg_size 104
		.amdhsa_user_sgpr_count 2
		.amdhsa_user_sgpr_dispatch_ptr 0
		.amdhsa_user_sgpr_queue_ptr 0
		.amdhsa_user_sgpr_kernarg_segment_ptr 1
		.amdhsa_user_sgpr_dispatch_id 0
		.amdhsa_user_sgpr_private_segment_size 0
		.amdhsa_wavefront_size32 1
		.amdhsa_uses_dynamic_stack 0
		.amdhsa_enable_private_segment 0
		.amdhsa_system_sgpr_workgroup_id_x 1
		.amdhsa_system_sgpr_workgroup_id_y 0
		.amdhsa_system_sgpr_workgroup_id_z 0
		.amdhsa_system_sgpr_workgroup_info 0
		.amdhsa_system_vgpr_workitem_id 0
		.amdhsa_next_free_vgpr 1
		.amdhsa_next_free_sgpr 1
		.amdhsa_reserve_vcc 0
		.amdhsa_float_round_mode_32 0
		.amdhsa_float_round_mode_16_64 0
		.amdhsa_float_denorm_mode_32 3
		.amdhsa_float_denorm_mode_16_64 3
		.amdhsa_fp16_overflow 0
		.amdhsa_workgroup_processor_mode 1
		.amdhsa_memory_ordered 1
		.amdhsa_forward_progress 1
		.amdhsa_inst_pref_size 0
		.amdhsa_round_robin_scheduling 0
		.amdhsa_exception_fp_ieee_invalid_op 0
		.amdhsa_exception_fp_denorm_src 0
		.amdhsa_exception_fp_ieee_div_zero 0
		.amdhsa_exception_fp_ieee_overflow 0
		.amdhsa_exception_fp_ieee_underflow 0
		.amdhsa_exception_fp_ieee_inexact 0
		.amdhsa_exception_int_div_zero 0
	.end_amdhsa_kernel
	.section	.text._ZN7rocprim17ROCPRIM_400000_NS6detail17trampoline_kernelINS0_14default_configENS1_20scan_config_selectorIN3c107complexIfEEEEZZNS1_9scan_implILNS1_25lookback_scan_determinismE0ELb0ELb0ES3_PKS7_PS7_S7_ZZZN2at6native31launch_logcumsumexp_cuda_kernelERKNSE_10TensorBaseESI_lENKUlvE_clEvENKUlvE2_clEvEUlS7_S7_E_S7_EEDaPvRmT3_T4_T5_mT6_P12ihipStream_tbENKUlT_T0_E_clISt17integral_constantIbLb1EESZ_EEDaSU_SV_EUlSU_E_NS1_11comp_targetILNS1_3genE0ELNS1_11target_archE4294967295ELNS1_3gpuE0ELNS1_3repE0EEENS1_30default_config_static_selectorELNS0_4arch9wavefront6targetE0EEEvT1_,"axG",@progbits,_ZN7rocprim17ROCPRIM_400000_NS6detail17trampoline_kernelINS0_14default_configENS1_20scan_config_selectorIN3c107complexIfEEEEZZNS1_9scan_implILNS1_25lookback_scan_determinismE0ELb0ELb0ES3_PKS7_PS7_S7_ZZZN2at6native31launch_logcumsumexp_cuda_kernelERKNSE_10TensorBaseESI_lENKUlvE_clEvENKUlvE2_clEvEUlS7_S7_E_S7_EEDaPvRmT3_T4_T5_mT6_P12ihipStream_tbENKUlT_T0_E_clISt17integral_constantIbLb1EESZ_EEDaSU_SV_EUlSU_E_NS1_11comp_targetILNS1_3genE0ELNS1_11target_archE4294967295ELNS1_3gpuE0ELNS1_3repE0EEENS1_30default_config_static_selectorELNS0_4arch9wavefront6targetE0EEEvT1_,comdat
.Lfunc_end291:
	.size	_ZN7rocprim17ROCPRIM_400000_NS6detail17trampoline_kernelINS0_14default_configENS1_20scan_config_selectorIN3c107complexIfEEEEZZNS1_9scan_implILNS1_25lookback_scan_determinismE0ELb0ELb0ES3_PKS7_PS7_S7_ZZZN2at6native31launch_logcumsumexp_cuda_kernelERKNSE_10TensorBaseESI_lENKUlvE_clEvENKUlvE2_clEvEUlS7_S7_E_S7_EEDaPvRmT3_T4_T5_mT6_P12ihipStream_tbENKUlT_T0_E_clISt17integral_constantIbLb1EESZ_EEDaSU_SV_EUlSU_E_NS1_11comp_targetILNS1_3genE0ELNS1_11target_archE4294967295ELNS1_3gpuE0ELNS1_3repE0EEENS1_30default_config_static_selectorELNS0_4arch9wavefront6targetE0EEEvT1_, .Lfunc_end291-_ZN7rocprim17ROCPRIM_400000_NS6detail17trampoline_kernelINS0_14default_configENS1_20scan_config_selectorIN3c107complexIfEEEEZZNS1_9scan_implILNS1_25lookback_scan_determinismE0ELb0ELb0ES3_PKS7_PS7_S7_ZZZN2at6native31launch_logcumsumexp_cuda_kernelERKNSE_10TensorBaseESI_lENKUlvE_clEvENKUlvE2_clEvEUlS7_S7_E_S7_EEDaPvRmT3_T4_T5_mT6_P12ihipStream_tbENKUlT_T0_E_clISt17integral_constantIbLb1EESZ_EEDaSU_SV_EUlSU_E_NS1_11comp_targetILNS1_3genE0ELNS1_11target_archE4294967295ELNS1_3gpuE0ELNS1_3repE0EEENS1_30default_config_static_selectorELNS0_4arch9wavefront6targetE0EEEvT1_
                                        ; -- End function
	.set _ZN7rocprim17ROCPRIM_400000_NS6detail17trampoline_kernelINS0_14default_configENS1_20scan_config_selectorIN3c107complexIfEEEEZZNS1_9scan_implILNS1_25lookback_scan_determinismE0ELb0ELb0ES3_PKS7_PS7_S7_ZZZN2at6native31launch_logcumsumexp_cuda_kernelERKNSE_10TensorBaseESI_lENKUlvE_clEvENKUlvE2_clEvEUlS7_S7_E_S7_EEDaPvRmT3_T4_T5_mT6_P12ihipStream_tbENKUlT_T0_E_clISt17integral_constantIbLb1EESZ_EEDaSU_SV_EUlSU_E_NS1_11comp_targetILNS1_3genE0ELNS1_11target_archE4294967295ELNS1_3gpuE0ELNS1_3repE0EEENS1_30default_config_static_selectorELNS0_4arch9wavefront6targetE0EEEvT1_.num_vgpr, 0
	.set _ZN7rocprim17ROCPRIM_400000_NS6detail17trampoline_kernelINS0_14default_configENS1_20scan_config_selectorIN3c107complexIfEEEEZZNS1_9scan_implILNS1_25lookback_scan_determinismE0ELb0ELb0ES3_PKS7_PS7_S7_ZZZN2at6native31launch_logcumsumexp_cuda_kernelERKNSE_10TensorBaseESI_lENKUlvE_clEvENKUlvE2_clEvEUlS7_S7_E_S7_EEDaPvRmT3_T4_T5_mT6_P12ihipStream_tbENKUlT_T0_E_clISt17integral_constantIbLb1EESZ_EEDaSU_SV_EUlSU_E_NS1_11comp_targetILNS1_3genE0ELNS1_11target_archE4294967295ELNS1_3gpuE0ELNS1_3repE0EEENS1_30default_config_static_selectorELNS0_4arch9wavefront6targetE0EEEvT1_.num_agpr, 0
	.set _ZN7rocprim17ROCPRIM_400000_NS6detail17trampoline_kernelINS0_14default_configENS1_20scan_config_selectorIN3c107complexIfEEEEZZNS1_9scan_implILNS1_25lookback_scan_determinismE0ELb0ELb0ES3_PKS7_PS7_S7_ZZZN2at6native31launch_logcumsumexp_cuda_kernelERKNSE_10TensorBaseESI_lENKUlvE_clEvENKUlvE2_clEvEUlS7_S7_E_S7_EEDaPvRmT3_T4_T5_mT6_P12ihipStream_tbENKUlT_T0_E_clISt17integral_constantIbLb1EESZ_EEDaSU_SV_EUlSU_E_NS1_11comp_targetILNS1_3genE0ELNS1_11target_archE4294967295ELNS1_3gpuE0ELNS1_3repE0EEENS1_30default_config_static_selectorELNS0_4arch9wavefront6targetE0EEEvT1_.numbered_sgpr, 0
	.set _ZN7rocprim17ROCPRIM_400000_NS6detail17trampoline_kernelINS0_14default_configENS1_20scan_config_selectorIN3c107complexIfEEEEZZNS1_9scan_implILNS1_25lookback_scan_determinismE0ELb0ELb0ES3_PKS7_PS7_S7_ZZZN2at6native31launch_logcumsumexp_cuda_kernelERKNSE_10TensorBaseESI_lENKUlvE_clEvENKUlvE2_clEvEUlS7_S7_E_S7_EEDaPvRmT3_T4_T5_mT6_P12ihipStream_tbENKUlT_T0_E_clISt17integral_constantIbLb1EESZ_EEDaSU_SV_EUlSU_E_NS1_11comp_targetILNS1_3genE0ELNS1_11target_archE4294967295ELNS1_3gpuE0ELNS1_3repE0EEENS1_30default_config_static_selectorELNS0_4arch9wavefront6targetE0EEEvT1_.num_named_barrier, 0
	.set _ZN7rocprim17ROCPRIM_400000_NS6detail17trampoline_kernelINS0_14default_configENS1_20scan_config_selectorIN3c107complexIfEEEEZZNS1_9scan_implILNS1_25lookback_scan_determinismE0ELb0ELb0ES3_PKS7_PS7_S7_ZZZN2at6native31launch_logcumsumexp_cuda_kernelERKNSE_10TensorBaseESI_lENKUlvE_clEvENKUlvE2_clEvEUlS7_S7_E_S7_EEDaPvRmT3_T4_T5_mT6_P12ihipStream_tbENKUlT_T0_E_clISt17integral_constantIbLb1EESZ_EEDaSU_SV_EUlSU_E_NS1_11comp_targetILNS1_3genE0ELNS1_11target_archE4294967295ELNS1_3gpuE0ELNS1_3repE0EEENS1_30default_config_static_selectorELNS0_4arch9wavefront6targetE0EEEvT1_.private_seg_size, 0
	.set _ZN7rocprim17ROCPRIM_400000_NS6detail17trampoline_kernelINS0_14default_configENS1_20scan_config_selectorIN3c107complexIfEEEEZZNS1_9scan_implILNS1_25lookback_scan_determinismE0ELb0ELb0ES3_PKS7_PS7_S7_ZZZN2at6native31launch_logcumsumexp_cuda_kernelERKNSE_10TensorBaseESI_lENKUlvE_clEvENKUlvE2_clEvEUlS7_S7_E_S7_EEDaPvRmT3_T4_T5_mT6_P12ihipStream_tbENKUlT_T0_E_clISt17integral_constantIbLb1EESZ_EEDaSU_SV_EUlSU_E_NS1_11comp_targetILNS1_3genE0ELNS1_11target_archE4294967295ELNS1_3gpuE0ELNS1_3repE0EEENS1_30default_config_static_selectorELNS0_4arch9wavefront6targetE0EEEvT1_.uses_vcc, 0
	.set _ZN7rocprim17ROCPRIM_400000_NS6detail17trampoline_kernelINS0_14default_configENS1_20scan_config_selectorIN3c107complexIfEEEEZZNS1_9scan_implILNS1_25lookback_scan_determinismE0ELb0ELb0ES3_PKS7_PS7_S7_ZZZN2at6native31launch_logcumsumexp_cuda_kernelERKNSE_10TensorBaseESI_lENKUlvE_clEvENKUlvE2_clEvEUlS7_S7_E_S7_EEDaPvRmT3_T4_T5_mT6_P12ihipStream_tbENKUlT_T0_E_clISt17integral_constantIbLb1EESZ_EEDaSU_SV_EUlSU_E_NS1_11comp_targetILNS1_3genE0ELNS1_11target_archE4294967295ELNS1_3gpuE0ELNS1_3repE0EEENS1_30default_config_static_selectorELNS0_4arch9wavefront6targetE0EEEvT1_.uses_flat_scratch, 0
	.set _ZN7rocprim17ROCPRIM_400000_NS6detail17trampoline_kernelINS0_14default_configENS1_20scan_config_selectorIN3c107complexIfEEEEZZNS1_9scan_implILNS1_25lookback_scan_determinismE0ELb0ELb0ES3_PKS7_PS7_S7_ZZZN2at6native31launch_logcumsumexp_cuda_kernelERKNSE_10TensorBaseESI_lENKUlvE_clEvENKUlvE2_clEvEUlS7_S7_E_S7_EEDaPvRmT3_T4_T5_mT6_P12ihipStream_tbENKUlT_T0_E_clISt17integral_constantIbLb1EESZ_EEDaSU_SV_EUlSU_E_NS1_11comp_targetILNS1_3genE0ELNS1_11target_archE4294967295ELNS1_3gpuE0ELNS1_3repE0EEENS1_30default_config_static_selectorELNS0_4arch9wavefront6targetE0EEEvT1_.has_dyn_sized_stack, 0
	.set _ZN7rocprim17ROCPRIM_400000_NS6detail17trampoline_kernelINS0_14default_configENS1_20scan_config_selectorIN3c107complexIfEEEEZZNS1_9scan_implILNS1_25lookback_scan_determinismE0ELb0ELb0ES3_PKS7_PS7_S7_ZZZN2at6native31launch_logcumsumexp_cuda_kernelERKNSE_10TensorBaseESI_lENKUlvE_clEvENKUlvE2_clEvEUlS7_S7_E_S7_EEDaPvRmT3_T4_T5_mT6_P12ihipStream_tbENKUlT_T0_E_clISt17integral_constantIbLb1EESZ_EEDaSU_SV_EUlSU_E_NS1_11comp_targetILNS1_3genE0ELNS1_11target_archE4294967295ELNS1_3gpuE0ELNS1_3repE0EEENS1_30default_config_static_selectorELNS0_4arch9wavefront6targetE0EEEvT1_.has_recursion, 0
	.set _ZN7rocprim17ROCPRIM_400000_NS6detail17trampoline_kernelINS0_14default_configENS1_20scan_config_selectorIN3c107complexIfEEEEZZNS1_9scan_implILNS1_25lookback_scan_determinismE0ELb0ELb0ES3_PKS7_PS7_S7_ZZZN2at6native31launch_logcumsumexp_cuda_kernelERKNSE_10TensorBaseESI_lENKUlvE_clEvENKUlvE2_clEvEUlS7_S7_E_S7_EEDaPvRmT3_T4_T5_mT6_P12ihipStream_tbENKUlT_T0_E_clISt17integral_constantIbLb1EESZ_EEDaSU_SV_EUlSU_E_NS1_11comp_targetILNS1_3genE0ELNS1_11target_archE4294967295ELNS1_3gpuE0ELNS1_3repE0EEENS1_30default_config_static_selectorELNS0_4arch9wavefront6targetE0EEEvT1_.has_indirect_call, 0
	.section	.AMDGPU.csdata,"",@progbits
; Kernel info:
; codeLenInByte = 0
; TotalNumSgprs: 0
; NumVgprs: 0
; ScratchSize: 0
; MemoryBound: 0
; FloatMode: 240
; IeeeMode: 1
; LDSByteSize: 0 bytes/workgroup (compile time only)
; SGPRBlocks: 0
; VGPRBlocks: 0
; NumSGPRsForWavesPerEU: 1
; NumVGPRsForWavesPerEU: 1
; Occupancy: 16
; WaveLimiterHint : 0
; COMPUTE_PGM_RSRC2:SCRATCH_EN: 0
; COMPUTE_PGM_RSRC2:USER_SGPR: 2
; COMPUTE_PGM_RSRC2:TRAP_HANDLER: 0
; COMPUTE_PGM_RSRC2:TGID_X_EN: 1
; COMPUTE_PGM_RSRC2:TGID_Y_EN: 0
; COMPUTE_PGM_RSRC2:TGID_Z_EN: 0
; COMPUTE_PGM_RSRC2:TIDIG_COMP_CNT: 0
	.section	.text._ZN7rocprim17ROCPRIM_400000_NS6detail17trampoline_kernelINS0_14default_configENS1_20scan_config_selectorIN3c107complexIfEEEEZZNS1_9scan_implILNS1_25lookback_scan_determinismE0ELb0ELb0ES3_PKS7_PS7_S7_ZZZN2at6native31launch_logcumsumexp_cuda_kernelERKNSE_10TensorBaseESI_lENKUlvE_clEvENKUlvE2_clEvEUlS7_S7_E_S7_EEDaPvRmT3_T4_T5_mT6_P12ihipStream_tbENKUlT_T0_E_clISt17integral_constantIbLb1EESZ_EEDaSU_SV_EUlSU_E_NS1_11comp_targetILNS1_3genE5ELNS1_11target_archE942ELNS1_3gpuE9ELNS1_3repE0EEENS1_30default_config_static_selectorELNS0_4arch9wavefront6targetE0EEEvT1_,"axG",@progbits,_ZN7rocprim17ROCPRIM_400000_NS6detail17trampoline_kernelINS0_14default_configENS1_20scan_config_selectorIN3c107complexIfEEEEZZNS1_9scan_implILNS1_25lookback_scan_determinismE0ELb0ELb0ES3_PKS7_PS7_S7_ZZZN2at6native31launch_logcumsumexp_cuda_kernelERKNSE_10TensorBaseESI_lENKUlvE_clEvENKUlvE2_clEvEUlS7_S7_E_S7_EEDaPvRmT3_T4_T5_mT6_P12ihipStream_tbENKUlT_T0_E_clISt17integral_constantIbLb1EESZ_EEDaSU_SV_EUlSU_E_NS1_11comp_targetILNS1_3genE5ELNS1_11target_archE942ELNS1_3gpuE9ELNS1_3repE0EEENS1_30default_config_static_selectorELNS0_4arch9wavefront6targetE0EEEvT1_,comdat
	.globl	_ZN7rocprim17ROCPRIM_400000_NS6detail17trampoline_kernelINS0_14default_configENS1_20scan_config_selectorIN3c107complexIfEEEEZZNS1_9scan_implILNS1_25lookback_scan_determinismE0ELb0ELb0ES3_PKS7_PS7_S7_ZZZN2at6native31launch_logcumsumexp_cuda_kernelERKNSE_10TensorBaseESI_lENKUlvE_clEvENKUlvE2_clEvEUlS7_S7_E_S7_EEDaPvRmT3_T4_T5_mT6_P12ihipStream_tbENKUlT_T0_E_clISt17integral_constantIbLb1EESZ_EEDaSU_SV_EUlSU_E_NS1_11comp_targetILNS1_3genE5ELNS1_11target_archE942ELNS1_3gpuE9ELNS1_3repE0EEENS1_30default_config_static_selectorELNS0_4arch9wavefront6targetE0EEEvT1_ ; -- Begin function _ZN7rocprim17ROCPRIM_400000_NS6detail17trampoline_kernelINS0_14default_configENS1_20scan_config_selectorIN3c107complexIfEEEEZZNS1_9scan_implILNS1_25lookback_scan_determinismE0ELb0ELb0ES3_PKS7_PS7_S7_ZZZN2at6native31launch_logcumsumexp_cuda_kernelERKNSE_10TensorBaseESI_lENKUlvE_clEvENKUlvE2_clEvEUlS7_S7_E_S7_EEDaPvRmT3_T4_T5_mT6_P12ihipStream_tbENKUlT_T0_E_clISt17integral_constantIbLb1EESZ_EEDaSU_SV_EUlSU_E_NS1_11comp_targetILNS1_3genE5ELNS1_11target_archE942ELNS1_3gpuE9ELNS1_3repE0EEENS1_30default_config_static_selectorELNS0_4arch9wavefront6targetE0EEEvT1_
	.p2align	8
	.type	_ZN7rocprim17ROCPRIM_400000_NS6detail17trampoline_kernelINS0_14default_configENS1_20scan_config_selectorIN3c107complexIfEEEEZZNS1_9scan_implILNS1_25lookback_scan_determinismE0ELb0ELb0ES3_PKS7_PS7_S7_ZZZN2at6native31launch_logcumsumexp_cuda_kernelERKNSE_10TensorBaseESI_lENKUlvE_clEvENKUlvE2_clEvEUlS7_S7_E_S7_EEDaPvRmT3_T4_T5_mT6_P12ihipStream_tbENKUlT_T0_E_clISt17integral_constantIbLb1EESZ_EEDaSU_SV_EUlSU_E_NS1_11comp_targetILNS1_3genE5ELNS1_11target_archE942ELNS1_3gpuE9ELNS1_3repE0EEENS1_30default_config_static_selectorELNS0_4arch9wavefront6targetE0EEEvT1_,@function
_ZN7rocprim17ROCPRIM_400000_NS6detail17trampoline_kernelINS0_14default_configENS1_20scan_config_selectorIN3c107complexIfEEEEZZNS1_9scan_implILNS1_25lookback_scan_determinismE0ELb0ELb0ES3_PKS7_PS7_S7_ZZZN2at6native31launch_logcumsumexp_cuda_kernelERKNSE_10TensorBaseESI_lENKUlvE_clEvENKUlvE2_clEvEUlS7_S7_E_S7_EEDaPvRmT3_T4_T5_mT6_P12ihipStream_tbENKUlT_T0_E_clISt17integral_constantIbLb1EESZ_EEDaSU_SV_EUlSU_E_NS1_11comp_targetILNS1_3genE5ELNS1_11target_archE942ELNS1_3gpuE9ELNS1_3repE0EEENS1_30default_config_static_selectorELNS0_4arch9wavefront6targetE0EEEvT1_: ; @_ZN7rocprim17ROCPRIM_400000_NS6detail17trampoline_kernelINS0_14default_configENS1_20scan_config_selectorIN3c107complexIfEEEEZZNS1_9scan_implILNS1_25lookback_scan_determinismE0ELb0ELb0ES3_PKS7_PS7_S7_ZZZN2at6native31launch_logcumsumexp_cuda_kernelERKNSE_10TensorBaseESI_lENKUlvE_clEvENKUlvE2_clEvEUlS7_S7_E_S7_EEDaPvRmT3_T4_T5_mT6_P12ihipStream_tbENKUlT_T0_E_clISt17integral_constantIbLb1EESZ_EEDaSU_SV_EUlSU_E_NS1_11comp_targetILNS1_3genE5ELNS1_11target_archE942ELNS1_3gpuE9ELNS1_3repE0EEENS1_30default_config_static_selectorELNS0_4arch9wavefront6targetE0EEEvT1_
; %bb.0:
	.section	.rodata,"a",@progbits
	.p2align	6, 0x0
	.amdhsa_kernel _ZN7rocprim17ROCPRIM_400000_NS6detail17trampoline_kernelINS0_14default_configENS1_20scan_config_selectorIN3c107complexIfEEEEZZNS1_9scan_implILNS1_25lookback_scan_determinismE0ELb0ELb0ES3_PKS7_PS7_S7_ZZZN2at6native31launch_logcumsumexp_cuda_kernelERKNSE_10TensorBaseESI_lENKUlvE_clEvENKUlvE2_clEvEUlS7_S7_E_S7_EEDaPvRmT3_T4_T5_mT6_P12ihipStream_tbENKUlT_T0_E_clISt17integral_constantIbLb1EESZ_EEDaSU_SV_EUlSU_E_NS1_11comp_targetILNS1_3genE5ELNS1_11target_archE942ELNS1_3gpuE9ELNS1_3repE0EEENS1_30default_config_static_selectorELNS0_4arch9wavefront6targetE0EEEvT1_
		.amdhsa_group_segment_fixed_size 0
		.amdhsa_private_segment_fixed_size 0
		.amdhsa_kernarg_size 104
		.amdhsa_user_sgpr_count 2
		.amdhsa_user_sgpr_dispatch_ptr 0
		.amdhsa_user_sgpr_queue_ptr 0
		.amdhsa_user_sgpr_kernarg_segment_ptr 1
		.amdhsa_user_sgpr_dispatch_id 0
		.amdhsa_user_sgpr_private_segment_size 0
		.amdhsa_wavefront_size32 1
		.amdhsa_uses_dynamic_stack 0
		.amdhsa_enable_private_segment 0
		.amdhsa_system_sgpr_workgroup_id_x 1
		.amdhsa_system_sgpr_workgroup_id_y 0
		.amdhsa_system_sgpr_workgroup_id_z 0
		.amdhsa_system_sgpr_workgroup_info 0
		.amdhsa_system_vgpr_workitem_id 0
		.amdhsa_next_free_vgpr 1
		.amdhsa_next_free_sgpr 1
		.amdhsa_reserve_vcc 0
		.amdhsa_float_round_mode_32 0
		.amdhsa_float_round_mode_16_64 0
		.amdhsa_float_denorm_mode_32 3
		.amdhsa_float_denorm_mode_16_64 3
		.amdhsa_fp16_overflow 0
		.amdhsa_workgroup_processor_mode 1
		.amdhsa_memory_ordered 1
		.amdhsa_forward_progress 1
		.amdhsa_inst_pref_size 0
		.amdhsa_round_robin_scheduling 0
		.amdhsa_exception_fp_ieee_invalid_op 0
		.amdhsa_exception_fp_denorm_src 0
		.amdhsa_exception_fp_ieee_div_zero 0
		.amdhsa_exception_fp_ieee_overflow 0
		.amdhsa_exception_fp_ieee_underflow 0
		.amdhsa_exception_fp_ieee_inexact 0
		.amdhsa_exception_int_div_zero 0
	.end_amdhsa_kernel
	.section	.text._ZN7rocprim17ROCPRIM_400000_NS6detail17trampoline_kernelINS0_14default_configENS1_20scan_config_selectorIN3c107complexIfEEEEZZNS1_9scan_implILNS1_25lookback_scan_determinismE0ELb0ELb0ES3_PKS7_PS7_S7_ZZZN2at6native31launch_logcumsumexp_cuda_kernelERKNSE_10TensorBaseESI_lENKUlvE_clEvENKUlvE2_clEvEUlS7_S7_E_S7_EEDaPvRmT3_T4_T5_mT6_P12ihipStream_tbENKUlT_T0_E_clISt17integral_constantIbLb1EESZ_EEDaSU_SV_EUlSU_E_NS1_11comp_targetILNS1_3genE5ELNS1_11target_archE942ELNS1_3gpuE9ELNS1_3repE0EEENS1_30default_config_static_selectorELNS0_4arch9wavefront6targetE0EEEvT1_,"axG",@progbits,_ZN7rocprim17ROCPRIM_400000_NS6detail17trampoline_kernelINS0_14default_configENS1_20scan_config_selectorIN3c107complexIfEEEEZZNS1_9scan_implILNS1_25lookback_scan_determinismE0ELb0ELb0ES3_PKS7_PS7_S7_ZZZN2at6native31launch_logcumsumexp_cuda_kernelERKNSE_10TensorBaseESI_lENKUlvE_clEvENKUlvE2_clEvEUlS7_S7_E_S7_EEDaPvRmT3_T4_T5_mT6_P12ihipStream_tbENKUlT_T0_E_clISt17integral_constantIbLb1EESZ_EEDaSU_SV_EUlSU_E_NS1_11comp_targetILNS1_3genE5ELNS1_11target_archE942ELNS1_3gpuE9ELNS1_3repE0EEENS1_30default_config_static_selectorELNS0_4arch9wavefront6targetE0EEEvT1_,comdat
.Lfunc_end292:
	.size	_ZN7rocprim17ROCPRIM_400000_NS6detail17trampoline_kernelINS0_14default_configENS1_20scan_config_selectorIN3c107complexIfEEEEZZNS1_9scan_implILNS1_25lookback_scan_determinismE0ELb0ELb0ES3_PKS7_PS7_S7_ZZZN2at6native31launch_logcumsumexp_cuda_kernelERKNSE_10TensorBaseESI_lENKUlvE_clEvENKUlvE2_clEvEUlS7_S7_E_S7_EEDaPvRmT3_T4_T5_mT6_P12ihipStream_tbENKUlT_T0_E_clISt17integral_constantIbLb1EESZ_EEDaSU_SV_EUlSU_E_NS1_11comp_targetILNS1_3genE5ELNS1_11target_archE942ELNS1_3gpuE9ELNS1_3repE0EEENS1_30default_config_static_selectorELNS0_4arch9wavefront6targetE0EEEvT1_, .Lfunc_end292-_ZN7rocprim17ROCPRIM_400000_NS6detail17trampoline_kernelINS0_14default_configENS1_20scan_config_selectorIN3c107complexIfEEEEZZNS1_9scan_implILNS1_25lookback_scan_determinismE0ELb0ELb0ES3_PKS7_PS7_S7_ZZZN2at6native31launch_logcumsumexp_cuda_kernelERKNSE_10TensorBaseESI_lENKUlvE_clEvENKUlvE2_clEvEUlS7_S7_E_S7_EEDaPvRmT3_T4_T5_mT6_P12ihipStream_tbENKUlT_T0_E_clISt17integral_constantIbLb1EESZ_EEDaSU_SV_EUlSU_E_NS1_11comp_targetILNS1_3genE5ELNS1_11target_archE942ELNS1_3gpuE9ELNS1_3repE0EEENS1_30default_config_static_selectorELNS0_4arch9wavefront6targetE0EEEvT1_
                                        ; -- End function
	.set _ZN7rocprim17ROCPRIM_400000_NS6detail17trampoline_kernelINS0_14default_configENS1_20scan_config_selectorIN3c107complexIfEEEEZZNS1_9scan_implILNS1_25lookback_scan_determinismE0ELb0ELb0ES3_PKS7_PS7_S7_ZZZN2at6native31launch_logcumsumexp_cuda_kernelERKNSE_10TensorBaseESI_lENKUlvE_clEvENKUlvE2_clEvEUlS7_S7_E_S7_EEDaPvRmT3_T4_T5_mT6_P12ihipStream_tbENKUlT_T0_E_clISt17integral_constantIbLb1EESZ_EEDaSU_SV_EUlSU_E_NS1_11comp_targetILNS1_3genE5ELNS1_11target_archE942ELNS1_3gpuE9ELNS1_3repE0EEENS1_30default_config_static_selectorELNS0_4arch9wavefront6targetE0EEEvT1_.num_vgpr, 0
	.set _ZN7rocprim17ROCPRIM_400000_NS6detail17trampoline_kernelINS0_14default_configENS1_20scan_config_selectorIN3c107complexIfEEEEZZNS1_9scan_implILNS1_25lookback_scan_determinismE0ELb0ELb0ES3_PKS7_PS7_S7_ZZZN2at6native31launch_logcumsumexp_cuda_kernelERKNSE_10TensorBaseESI_lENKUlvE_clEvENKUlvE2_clEvEUlS7_S7_E_S7_EEDaPvRmT3_T4_T5_mT6_P12ihipStream_tbENKUlT_T0_E_clISt17integral_constantIbLb1EESZ_EEDaSU_SV_EUlSU_E_NS1_11comp_targetILNS1_3genE5ELNS1_11target_archE942ELNS1_3gpuE9ELNS1_3repE0EEENS1_30default_config_static_selectorELNS0_4arch9wavefront6targetE0EEEvT1_.num_agpr, 0
	.set _ZN7rocprim17ROCPRIM_400000_NS6detail17trampoline_kernelINS0_14default_configENS1_20scan_config_selectorIN3c107complexIfEEEEZZNS1_9scan_implILNS1_25lookback_scan_determinismE0ELb0ELb0ES3_PKS7_PS7_S7_ZZZN2at6native31launch_logcumsumexp_cuda_kernelERKNSE_10TensorBaseESI_lENKUlvE_clEvENKUlvE2_clEvEUlS7_S7_E_S7_EEDaPvRmT3_T4_T5_mT6_P12ihipStream_tbENKUlT_T0_E_clISt17integral_constantIbLb1EESZ_EEDaSU_SV_EUlSU_E_NS1_11comp_targetILNS1_3genE5ELNS1_11target_archE942ELNS1_3gpuE9ELNS1_3repE0EEENS1_30default_config_static_selectorELNS0_4arch9wavefront6targetE0EEEvT1_.numbered_sgpr, 0
	.set _ZN7rocprim17ROCPRIM_400000_NS6detail17trampoline_kernelINS0_14default_configENS1_20scan_config_selectorIN3c107complexIfEEEEZZNS1_9scan_implILNS1_25lookback_scan_determinismE0ELb0ELb0ES3_PKS7_PS7_S7_ZZZN2at6native31launch_logcumsumexp_cuda_kernelERKNSE_10TensorBaseESI_lENKUlvE_clEvENKUlvE2_clEvEUlS7_S7_E_S7_EEDaPvRmT3_T4_T5_mT6_P12ihipStream_tbENKUlT_T0_E_clISt17integral_constantIbLb1EESZ_EEDaSU_SV_EUlSU_E_NS1_11comp_targetILNS1_3genE5ELNS1_11target_archE942ELNS1_3gpuE9ELNS1_3repE0EEENS1_30default_config_static_selectorELNS0_4arch9wavefront6targetE0EEEvT1_.num_named_barrier, 0
	.set _ZN7rocprim17ROCPRIM_400000_NS6detail17trampoline_kernelINS0_14default_configENS1_20scan_config_selectorIN3c107complexIfEEEEZZNS1_9scan_implILNS1_25lookback_scan_determinismE0ELb0ELb0ES3_PKS7_PS7_S7_ZZZN2at6native31launch_logcumsumexp_cuda_kernelERKNSE_10TensorBaseESI_lENKUlvE_clEvENKUlvE2_clEvEUlS7_S7_E_S7_EEDaPvRmT3_T4_T5_mT6_P12ihipStream_tbENKUlT_T0_E_clISt17integral_constantIbLb1EESZ_EEDaSU_SV_EUlSU_E_NS1_11comp_targetILNS1_3genE5ELNS1_11target_archE942ELNS1_3gpuE9ELNS1_3repE0EEENS1_30default_config_static_selectorELNS0_4arch9wavefront6targetE0EEEvT1_.private_seg_size, 0
	.set _ZN7rocprim17ROCPRIM_400000_NS6detail17trampoline_kernelINS0_14default_configENS1_20scan_config_selectorIN3c107complexIfEEEEZZNS1_9scan_implILNS1_25lookback_scan_determinismE0ELb0ELb0ES3_PKS7_PS7_S7_ZZZN2at6native31launch_logcumsumexp_cuda_kernelERKNSE_10TensorBaseESI_lENKUlvE_clEvENKUlvE2_clEvEUlS7_S7_E_S7_EEDaPvRmT3_T4_T5_mT6_P12ihipStream_tbENKUlT_T0_E_clISt17integral_constantIbLb1EESZ_EEDaSU_SV_EUlSU_E_NS1_11comp_targetILNS1_3genE5ELNS1_11target_archE942ELNS1_3gpuE9ELNS1_3repE0EEENS1_30default_config_static_selectorELNS0_4arch9wavefront6targetE0EEEvT1_.uses_vcc, 0
	.set _ZN7rocprim17ROCPRIM_400000_NS6detail17trampoline_kernelINS0_14default_configENS1_20scan_config_selectorIN3c107complexIfEEEEZZNS1_9scan_implILNS1_25lookback_scan_determinismE0ELb0ELb0ES3_PKS7_PS7_S7_ZZZN2at6native31launch_logcumsumexp_cuda_kernelERKNSE_10TensorBaseESI_lENKUlvE_clEvENKUlvE2_clEvEUlS7_S7_E_S7_EEDaPvRmT3_T4_T5_mT6_P12ihipStream_tbENKUlT_T0_E_clISt17integral_constantIbLb1EESZ_EEDaSU_SV_EUlSU_E_NS1_11comp_targetILNS1_3genE5ELNS1_11target_archE942ELNS1_3gpuE9ELNS1_3repE0EEENS1_30default_config_static_selectorELNS0_4arch9wavefront6targetE0EEEvT1_.uses_flat_scratch, 0
	.set _ZN7rocprim17ROCPRIM_400000_NS6detail17trampoline_kernelINS0_14default_configENS1_20scan_config_selectorIN3c107complexIfEEEEZZNS1_9scan_implILNS1_25lookback_scan_determinismE0ELb0ELb0ES3_PKS7_PS7_S7_ZZZN2at6native31launch_logcumsumexp_cuda_kernelERKNSE_10TensorBaseESI_lENKUlvE_clEvENKUlvE2_clEvEUlS7_S7_E_S7_EEDaPvRmT3_T4_T5_mT6_P12ihipStream_tbENKUlT_T0_E_clISt17integral_constantIbLb1EESZ_EEDaSU_SV_EUlSU_E_NS1_11comp_targetILNS1_3genE5ELNS1_11target_archE942ELNS1_3gpuE9ELNS1_3repE0EEENS1_30default_config_static_selectorELNS0_4arch9wavefront6targetE0EEEvT1_.has_dyn_sized_stack, 0
	.set _ZN7rocprim17ROCPRIM_400000_NS6detail17trampoline_kernelINS0_14default_configENS1_20scan_config_selectorIN3c107complexIfEEEEZZNS1_9scan_implILNS1_25lookback_scan_determinismE0ELb0ELb0ES3_PKS7_PS7_S7_ZZZN2at6native31launch_logcumsumexp_cuda_kernelERKNSE_10TensorBaseESI_lENKUlvE_clEvENKUlvE2_clEvEUlS7_S7_E_S7_EEDaPvRmT3_T4_T5_mT6_P12ihipStream_tbENKUlT_T0_E_clISt17integral_constantIbLb1EESZ_EEDaSU_SV_EUlSU_E_NS1_11comp_targetILNS1_3genE5ELNS1_11target_archE942ELNS1_3gpuE9ELNS1_3repE0EEENS1_30default_config_static_selectorELNS0_4arch9wavefront6targetE0EEEvT1_.has_recursion, 0
	.set _ZN7rocprim17ROCPRIM_400000_NS6detail17trampoline_kernelINS0_14default_configENS1_20scan_config_selectorIN3c107complexIfEEEEZZNS1_9scan_implILNS1_25lookback_scan_determinismE0ELb0ELb0ES3_PKS7_PS7_S7_ZZZN2at6native31launch_logcumsumexp_cuda_kernelERKNSE_10TensorBaseESI_lENKUlvE_clEvENKUlvE2_clEvEUlS7_S7_E_S7_EEDaPvRmT3_T4_T5_mT6_P12ihipStream_tbENKUlT_T0_E_clISt17integral_constantIbLb1EESZ_EEDaSU_SV_EUlSU_E_NS1_11comp_targetILNS1_3genE5ELNS1_11target_archE942ELNS1_3gpuE9ELNS1_3repE0EEENS1_30default_config_static_selectorELNS0_4arch9wavefront6targetE0EEEvT1_.has_indirect_call, 0
	.section	.AMDGPU.csdata,"",@progbits
; Kernel info:
; codeLenInByte = 0
; TotalNumSgprs: 0
; NumVgprs: 0
; ScratchSize: 0
; MemoryBound: 0
; FloatMode: 240
; IeeeMode: 1
; LDSByteSize: 0 bytes/workgroup (compile time only)
; SGPRBlocks: 0
; VGPRBlocks: 0
; NumSGPRsForWavesPerEU: 1
; NumVGPRsForWavesPerEU: 1
; Occupancy: 16
; WaveLimiterHint : 0
; COMPUTE_PGM_RSRC2:SCRATCH_EN: 0
; COMPUTE_PGM_RSRC2:USER_SGPR: 2
; COMPUTE_PGM_RSRC2:TRAP_HANDLER: 0
; COMPUTE_PGM_RSRC2:TGID_X_EN: 1
; COMPUTE_PGM_RSRC2:TGID_Y_EN: 0
; COMPUTE_PGM_RSRC2:TGID_Z_EN: 0
; COMPUTE_PGM_RSRC2:TIDIG_COMP_CNT: 0
	.section	.text._ZN7rocprim17ROCPRIM_400000_NS6detail17trampoline_kernelINS0_14default_configENS1_20scan_config_selectorIN3c107complexIfEEEEZZNS1_9scan_implILNS1_25lookback_scan_determinismE0ELb0ELb0ES3_PKS7_PS7_S7_ZZZN2at6native31launch_logcumsumexp_cuda_kernelERKNSE_10TensorBaseESI_lENKUlvE_clEvENKUlvE2_clEvEUlS7_S7_E_S7_EEDaPvRmT3_T4_T5_mT6_P12ihipStream_tbENKUlT_T0_E_clISt17integral_constantIbLb1EESZ_EEDaSU_SV_EUlSU_E_NS1_11comp_targetILNS1_3genE4ELNS1_11target_archE910ELNS1_3gpuE8ELNS1_3repE0EEENS1_30default_config_static_selectorELNS0_4arch9wavefront6targetE0EEEvT1_,"axG",@progbits,_ZN7rocprim17ROCPRIM_400000_NS6detail17trampoline_kernelINS0_14default_configENS1_20scan_config_selectorIN3c107complexIfEEEEZZNS1_9scan_implILNS1_25lookback_scan_determinismE0ELb0ELb0ES3_PKS7_PS7_S7_ZZZN2at6native31launch_logcumsumexp_cuda_kernelERKNSE_10TensorBaseESI_lENKUlvE_clEvENKUlvE2_clEvEUlS7_S7_E_S7_EEDaPvRmT3_T4_T5_mT6_P12ihipStream_tbENKUlT_T0_E_clISt17integral_constantIbLb1EESZ_EEDaSU_SV_EUlSU_E_NS1_11comp_targetILNS1_3genE4ELNS1_11target_archE910ELNS1_3gpuE8ELNS1_3repE0EEENS1_30default_config_static_selectorELNS0_4arch9wavefront6targetE0EEEvT1_,comdat
	.globl	_ZN7rocprim17ROCPRIM_400000_NS6detail17trampoline_kernelINS0_14default_configENS1_20scan_config_selectorIN3c107complexIfEEEEZZNS1_9scan_implILNS1_25lookback_scan_determinismE0ELb0ELb0ES3_PKS7_PS7_S7_ZZZN2at6native31launch_logcumsumexp_cuda_kernelERKNSE_10TensorBaseESI_lENKUlvE_clEvENKUlvE2_clEvEUlS7_S7_E_S7_EEDaPvRmT3_T4_T5_mT6_P12ihipStream_tbENKUlT_T0_E_clISt17integral_constantIbLb1EESZ_EEDaSU_SV_EUlSU_E_NS1_11comp_targetILNS1_3genE4ELNS1_11target_archE910ELNS1_3gpuE8ELNS1_3repE0EEENS1_30default_config_static_selectorELNS0_4arch9wavefront6targetE0EEEvT1_ ; -- Begin function _ZN7rocprim17ROCPRIM_400000_NS6detail17trampoline_kernelINS0_14default_configENS1_20scan_config_selectorIN3c107complexIfEEEEZZNS1_9scan_implILNS1_25lookback_scan_determinismE0ELb0ELb0ES3_PKS7_PS7_S7_ZZZN2at6native31launch_logcumsumexp_cuda_kernelERKNSE_10TensorBaseESI_lENKUlvE_clEvENKUlvE2_clEvEUlS7_S7_E_S7_EEDaPvRmT3_T4_T5_mT6_P12ihipStream_tbENKUlT_T0_E_clISt17integral_constantIbLb1EESZ_EEDaSU_SV_EUlSU_E_NS1_11comp_targetILNS1_3genE4ELNS1_11target_archE910ELNS1_3gpuE8ELNS1_3repE0EEENS1_30default_config_static_selectorELNS0_4arch9wavefront6targetE0EEEvT1_
	.p2align	8
	.type	_ZN7rocprim17ROCPRIM_400000_NS6detail17trampoline_kernelINS0_14default_configENS1_20scan_config_selectorIN3c107complexIfEEEEZZNS1_9scan_implILNS1_25lookback_scan_determinismE0ELb0ELb0ES3_PKS7_PS7_S7_ZZZN2at6native31launch_logcumsumexp_cuda_kernelERKNSE_10TensorBaseESI_lENKUlvE_clEvENKUlvE2_clEvEUlS7_S7_E_S7_EEDaPvRmT3_T4_T5_mT6_P12ihipStream_tbENKUlT_T0_E_clISt17integral_constantIbLb1EESZ_EEDaSU_SV_EUlSU_E_NS1_11comp_targetILNS1_3genE4ELNS1_11target_archE910ELNS1_3gpuE8ELNS1_3repE0EEENS1_30default_config_static_selectorELNS0_4arch9wavefront6targetE0EEEvT1_,@function
_ZN7rocprim17ROCPRIM_400000_NS6detail17trampoline_kernelINS0_14default_configENS1_20scan_config_selectorIN3c107complexIfEEEEZZNS1_9scan_implILNS1_25lookback_scan_determinismE0ELb0ELb0ES3_PKS7_PS7_S7_ZZZN2at6native31launch_logcumsumexp_cuda_kernelERKNSE_10TensorBaseESI_lENKUlvE_clEvENKUlvE2_clEvEUlS7_S7_E_S7_EEDaPvRmT3_T4_T5_mT6_P12ihipStream_tbENKUlT_T0_E_clISt17integral_constantIbLb1EESZ_EEDaSU_SV_EUlSU_E_NS1_11comp_targetILNS1_3genE4ELNS1_11target_archE910ELNS1_3gpuE8ELNS1_3repE0EEENS1_30default_config_static_selectorELNS0_4arch9wavefront6targetE0EEEvT1_: ; @_ZN7rocprim17ROCPRIM_400000_NS6detail17trampoline_kernelINS0_14default_configENS1_20scan_config_selectorIN3c107complexIfEEEEZZNS1_9scan_implILNS1_25lookback_scan_determinismE0ELb0ELb0ES3_PKS7_PS7_S7_ZZZN2at6native31launch_logcumsumexp_cuda_kernelERKNSE_10TensorBaseESI_lENKUlvE_clEvENKUlvE2_clEvEUlS7_S7_E_S7_EEDaPvRmT3_T4_T5_mT6_P12ihipStream_tbENKUlT_T0_E_clISt17integral_constantIbLb1EESZ_EEDaSU_SV_EUlSU_E_NS1_11comp_targetILNS1_3genE4ELNS1_11target_archE910ELNS1_3gpuE8ELNS1_3repE0EEENS1_30default_config_static_selectorELNS0_4arch9wavefront6targetE0EEEvT1_
; %bb.0:
	.section	.rodata,"a",@progbits
	.p2align	6, 0x0
	.amdhsa_kernel _ZN7rocprim17ROCPRIM_400000_NS6detail17trampoline_kernelINS0_14default_configENS1_20scan_config_selectorIN3c107complexIfEEEEZZNS1_9scan_implILNS1_25lookback_scan_determinismE0ELb0ELb0ES3_PKS7_PS7_S7_ZZZN2at6native31launch_logcumsumexp_cuda_kernelERKNSE_10TensorBaseESI_lENKUlvE_clEvENKUlvE2_clEvEUlS7_S7_E_S7_EEDaPvRmT3_T4_T5_mT6_P12ihipStream_tbENKUlT_T0_E_clISt17integral_constantIbLb1EESZ_EEDaSU_SV_EUlSU_E_NS1_11comp_targetILNS1_3genE4ELNS1_11target_archE910ELNS1_3gpuE8ELNS1_3repE0EEENS1_30default_config_static_selectorELNS0_4arch9wavefront6targetE0EEEvT1_
		.amdhsa_group_segment_fixed_size 0
		.amdhsa_private_segment_fixed_size 0
		.amdhsa_kernarg_size 104
		.amdhsa_user_sgpr_count 2
		.amdhsa_user_sgpr_dispatch_ptr 0
		.amdhsa_user_sgpr_queue_ptr 0
		.amdhsa_user_sgpr_kernarg_segment_ptr 1
		.amdhsa_user_sgpr_dispatch_id 0
		.amdhsa_user_sgpr_private_segment_size 0
		.amdhsa_wavefront_size32 1
		.amdhsa_uses_dynamic_stack 0
		.amdhsa_enable_private_segment 0
		.amdhsa_system_sgpr_workgroup_id_x 1
		.amdhsa_system_sgpr_workgroup_id_y 0
		.amdhsa_system_sgpr_workgroup_id_z 0
		.amdhsa_system_sgpr_workgroup_info 0
		.amdhsa_system_vgpr_workitem_id 0
		.amdhsa_next_free_vgpr 1
		.amdhsa_next_free_sgpr 1
		.amdhsa_reserve_vcc 0
		.amdhsa_float_round_mode_32 0
		.amdhsa_float_round_mode_16_64 0
		.amdhsa_float_denorm_mode_32 3
		.amdhsa_float_denorm_mode_16_64 3
		.amdhsa_fp16_overflow 0
		.amdhsa_workgroup_processor_mode 1
		.amdhsa_memory_ordered 1
		.amdhsa_forward_progress 1
		.amdhsa_inst_pref_size 0
		.amdhsa_round_robin_scheduling 0
		.amdhsa_exception_fp_ieee_invalid_op 0
		.amdhsa_exception_fp_denorm_src 0
		.amdhsa_exception_fp_ieee_div_zero 0
		.amdhsa_exception_fp_ieee_overflow 0
		.amdhsa_exception_fp_ieee_underflow 0
		.amdhsa_exception_fp_ieee_inexact 0
		.amdhsa_exception_int_div_zero 0
	.end_amdhsa_kernel
	.section	.text._ZN7rocprim17ROCPRIM_400000_NS6detail17trampoline_kernelINS0_14default_configENS1_20scan_config_selectorIN3c107complexIfEEEEZZNS1_9scan_implILNS1_25lookback_scan_determinismE0ELb0ELb0ES3_PKS7_PS7_S7_ZZZN2at6native31launch_logcumsumexp_cuda_kernelERKNSE_10TensorBaseESI_lENKUlvE_clEvENKUlvE2_clEvEUlS7_S7_E_S7_EEDaPvRmT3_T4_T5_mT6_P12ihipStream_tbENKUlT_T0_E_clISt17integral_constantIbLb1EESZ_EEDaSU_SV_EUlSU_E_NS1_11comp_targetILNS1_3genE4ELNS1_11target_archE910ELNS1_3gpuE8ELNS1_3repE0EEENS1_30default_config_static_selectorELNS0_4arch9wavefront6targetE0EEEvT1_,"axG",@progbits,_ZN7rocprim17ROCPRIM_400000_NS6detail17trampoline_kernelINS0_14default_configENS1_20scan_config_selectorIN3c107complexIfEEEEZZNS1_9scan_implILNS1_25lookback_scan_determinismE0ELb0ELb0ES3_PKS7_PS7_S7_ZZZN2at6native31launch_logcumsumexp_cuda_kernelERKNSE_10TensorBaseESI_lENKUlvE_clEvENKUlvE2_clEvEUlS7_S7_E_S7_EEDaPvRmT3_T4_T5_mT6_P12ihipStream_tbENKUlT_T0_E_clISt17integral_constantIbLb1EESZ_EEDaSU_SV_EUlSU_E_NS1_11comp_targetILNS1_3genE4ELNS1_11target_archE910ELNS1_3gpuE8ELNS1_3repE0EEENS1_30default_config_static_selectorELNS0_4arch9wavefront6targetE0EEEvT1_,comdat
.Lfunc_end293:
	.size	_ZN7rocprim17ROCPRIM_400000_NS6detail17trampoline_kernelINS0_14default_configENS1_20scan_config_selectorIN3c107complexIfEEEEZZNS1_9scan_implILNS1_25lookback_scan_determinismE0ELb0ELb0ES3_PKS7_PS7_S7_ZZZN2at6native31launch_logcumsumexp_cuda_kernelERKNSE_10TensorBaseESI_lENKUlvE_clEvENKUlvE2_clEvEUlS7_S7_E_S7_EEDaPvRmT3_T4_T5_mT6_P12ihipStream_tbENKUlT_T0_E_clISt17integral_constantIbLb1EESZ_EEDaSU_SV_EUlSU_E_NS1_11comp_targetILNS1_3genE4ELNS1_11target_archE910ELNS1_3gpuE8ELNS1_3repE0EEENS1_30default_config_static_selectorELNS0_4arch9wavefront6targetE0EEEvT1_, .Lfunc_end293-_ZN7rocprim17ROCPRIM_400000_NS6detail17trampoline_kernelINS0_14default_configENS1_20scan_config_selectorIN3c107complexIfEEEEZZNS1_9scan_implILNS1_25lookback_scan_determinismE0ELb0ELb0ES3_PKS7_PS7_S7_ZZZN2at6native31launch_logcumsumexp_cuda_kernelERKNSE_10TensorBaseESI_lENKUlvE_clEvENKUlvE2_clEvEUlS7_S7_E_S7_EEDaPvRmT3_T4_T5_mT6_P12ihipStream_tbENKUlT_T0_E_clISt17integral_constantIbLb1EESZ_EEDaSU_SV_EUlSU_E_NS1_11comp_targetILNS1_3genE4ELNS1_11target_archE910ELNS1_3gpuE8ELNS1_3repE0EEENS1_30default_config_static_selectorELNS0_4arch9wavefront6targetE0EEEvT1_
                                        ; -- End function
	.set _ZN7rocprim17ROCPRIM_400000_NS6detail17trampoline_kernelINS0_14default_configENS1_20scan_config_selectorIN3c107complexIfEEEEZZNS1_9scan_implILNS1_25lookback_scan_determinismE0ELb0ELb0ES3_PKS7_PS7_S7_ZZZN2at6native31launch_logcumsumexp_cuda_kernelERKNSE_10TensorBaseESI_lENKUlvE_clEvENKUlvE2_clEvEUlS7_S7_E_S7_EEDaPvRmT3_T4_T5_mT6_P12ihipStream_tbENKUlT_T0_E_clISt17integral_constantIbLb1EESZ_EEDaSU_SV_EUlSU_E_NS1_11comp_targetILNS1_3genE4ELNS1_11target_archE910ELNS1_3gpuE8ELNS1_3repE0EEENS1_30default_config_static_selectorELNS0_4arch9wavefront6targetE0EEEvT1_.num_vgpr, 0
	.set _ZN7rocprim17ROCPRIM_400000_NS6detail17trampoline_kernelINS0_14default_configENS1_20scan_config_selectorIN3c107complexIfEEEEZZNS1_9scan_implILNS1_25lookback_scan_determinismE0ELb0ELb0ES3_PKS7_PS7_S7_ZZZN2at6native31launch_logcumsumexp_cuda_kernelERKNSE_10TensorBaseESI_lENKUlvE_clEvENKUlvE2_clEvEUlS7_S7_E_S7_EEDaPvRmT3_T4_T5_mT6_P12ihipStream_tbENKUlT_T0_E_clISt17integral_constantIbLb1EESZ_EEDaSU_SV_EUlSU_E_NS1_11comp_targetILNS1_3genE4ELNS1_11target_archE910ELNS1_3gpuE8ELNS1_3repE0EEENS1_30default_config_static_selectorELNS0_4arch9wavefront6targetE0EEEvT1_.num_agpr, 0
	.set _ZN7rocprim17ROCPRIM_400000_NS6detail17trampoline_kernelINS0_14default_configENS1_20scan_config_selectorIN3c107complexIfEEEEZZNS1_9scan_implILNS1_25lookback_scan_determinismE0ELb0ELb0ES3_PKS7_PS7_S7_ZZZN2at6native31launch_logcumsumexp_cuda_kernelERKNSE_10TensorBaseESI_lENKUlvE_clEvENKUlvE2_clEvEUlS7_S7_E_S7_EEDaPvRmT3_T4_T5_mT6_P12ihipStream_tbENKUlT_T0_E_clISt17integral_constantIbLb1EESZ_EEDaSU_SV_EUlSU_E_NS1_11comp_targetILNS1_3genE4ELNS1_11target_archE910ELNS1_3gpuE8ELNS1_3repE0EEENS1_30default_config_static_selectorELNS0_4arch9wavefront6targetE0EEEvT1_.numbered_sgpr, 0
	.set _ZN7rocprim17ROCPRIM_400000_NS6detail17trampoline_kernelINS0_14default_configENS1_20scan_config_selectorIN3c107complexIfEEEEZZNS1_9scan_implILNS1_25lookback_scan_determinismE0ELb0ELb0ES3_PKS7_PS7_S7_ZZZN2at6native31launch_logcumsumexp_cuda_kernelERKNSE_10TensorBaseESI_lENKUlvE_clEvENKUlvE2_clEvEUlS7_S7_E_S7_EEDaPvRmT3_T4_T5_mT6_P12ihipStream_tbENKUlT_T0_E_clISt17integral_constantIbLb1EESZ_EEDaSU_SV_EUlSU_E_NS1_11comp_targetILNS1_3genE4ELNS1_11target_archE910ELNS1_3gpuE8ELNS1_3repE0EEENS1_30default_config_static_selectorELNS0_4arch9wavefront6targetE0EEEvT1_.num_named_barrier, 0
	.set _ZN7rocprim17ROCPRIM_400000_NS6detail17trampoline_kernelINS0_14default_configENS1_20scan_config_selectorIN3c107complexIfEEEEZZNS1_9scan_implILNS1_25lookback_scan_determinismE0ELb0ELb0ES3_PKS7_PS7_S7_ZZZN2at6native31launch_logcumsumexp_cuda_kernelERKNSE_10TensorBaseESI_lENKUlvE_clEvENKUlvE2_clEvEUlS7_S7_E_S7_EEDaPvRmT3_T4_T5_mT6_P12ihipStream_tbENKUlT_T0_E_clISt17integral_constantIbLb1EESZ_EEDaSU_SV_EUlSU_E_NS1_11comp_targetILNS1_3genE4ELNS1_11target_archE910ELNS1_3gpuE8ELNS1_3repE0EEENS1_30default_config_static_selectorELNS0_4arch9wavefront6targetE0EEEvT1_.private_seg_size, 0
	.set _ZN7rocprim17ROCPRIM_400000_NS6detail17trampoline_kernelINS0_14default_configENS1_20scan_config_selectorIN3c107complexIfEEEEZZNS1_9scan_implILNS1_25lookback_scan_determinismE0ELb0ELb0ES3_PKS7_PS7_S7_ZZZN2at6native31launch_logcumsumexp_cuda_kernelERKNSE_10TensorBaseESI_lENKUlvE_clEvENKUlvE2_clEvEUlS7_S7_E_S7_EEDaPvRmT3_T4_T5_mT6_P12ihipStream_tbENKUlT_T0_E_clISt17integral_constantIbLb1EESZ_EEDaSU_SV_EUlSU_E_NS1_11comp_targetILNS1_3genE4ELNS1_11target_archE910ELNS1_3gpuE8ELNS1_3repE0EEENS1_30default_config_static_selectorELNS0_4arch9wavefront6targetE0EEEvT1_.uses_vcc, 0
	.set _ZN7rocprim17ROCPRIM_400000_NS6detail17trampoline_kernelINS0_14default_configENS1_20scan_config_selectorIN3c107complexIfEEEEZZNS1_9scan_implILNS1_25lookback_scan_determinismE0ELb0ELb0ES3_PKS7_PS7_S7_ZZZN2at6native31launch_logcumsumexp_cuda_kernelERKNSE_10TensorBaseESI_lENKUlvE_clEvENKUlvE2_clEvEUlS7_S7_E_S7_EEDaPvRmT3_T4_T5_mT6_P12ihipStream_tbENKUlT_T0_E_clISt17integral_constantIbLb1EESZ_EEDaSU_SV_EUlSU_E_NS1_11comp_targetILNS1_3genE4ELNS1_11target_archE910ELNS1_3gpuE8ELNS1_3repE0EEENS1_30default_config_static_selectorELNS0_4arch9wavefront6targetE0EEEvT1_.uses_flat_scratch, 0
	.set _ZN7rocprim17ROCPRIM_400000_NS6detail17trampoline_kernelINS0_14default_configENS1_20scan_config_selectorIN3c107complexIfEEEEZZNS1_9scan_implILNS1_25lookback_scan_determinismE0ELb0ELb0ES3_PKS7_PS7_S7_ZZZN2at6native31launch_logcumsumexp_cuda_kernelERKNSE_10TensorBaseESI_lENKUlvE_clEvENKUlvE2_clEvEUlS7_S7_E_S7_EEDaPvRmT3_T4_T5_mT6_P12ihipStream_tbENKUlT_T0_E_clISt17integral_constantIbLb1EESZ_EEDaSU_SV_EUlSU_E_NS1_11comp_targetILNS1_3genE4ELNS1_11target_archE910ELNS1_3gpuE8ELNS1_3repE0EEENS1_30default_config_static_selectorELNS0_4arch9wavefront6targetE0EEEvT1_.has_dyn_sized_stack, 0
	.set _ZN7rocprim17ROCPRIM_400000_NS6detail17trampoline_kernelINS0_14default_configENS1_20scan_config_selectorIN3c107complexIfEEEEZZNS1_9scan_implILNS1_25lookback_scan_determinismE0ELb0ELb0ES3_PKS7_PS7_S7_ZZZN2at6native31launch_logcumsumexp_cuda_kernelERKNSE_10TensorBaseESI_lENKUlvE_clEvENKUlvE2_clEvEUlS7_S7_E_S7_EEDaPvRmT3_T4_T5_mT6_P12ihipStream_tbENKUlT_T0_E_clISt17integral_constantIbLb1EESZ_EEDaSU_SV_EUlSU_E_NS1_11comp_targetILNS1_3genE4ELNS1_11target_archE910ELNS1_3gpuE8ELNS1_3repE0EEENS1_30default_config_static_selectorELNS0_4arch9wavefront6targetE0EEEvT1_.has_recursion, 0
	.set _ZN7rocprim17ROCPRIM_400000_NS6detail17trampoline_kernelINS0_14default_configENS1_20scan_config_selectorIN3c107complexIfEEEEZZNS1_9scan_implILNS1_25lookback_scan_determinismE0ELb0ELb0ES3_PKS7_PS7_S7_ZZZN2at6native31launch_logcumsumexp_cuda_kernelERKNSE_10TensorBaseESI_lENKUlvE_clEvENKUlvE2_clEvEUlS7_S7_E_S7_EEDaPvRmT3_T4_T5_mT6_P12ihipStream_tbENKUlT_T0_E_clISt17integral_constantIbLb1EESZ_EEDaSU_SV_EUlSU_E_NS1_11comp_targetILNS1_3genE4ELNS1_11target_archE910ELNS1_3gpuE8ELNS1_3repE0EEENS1_30default_config_static_selectorELNS0_4arch9wavefront6targetE0EEEvT1_.has_indirect_call, 0
	.section	.AMDGPU.csdata,"",@progbits
; Kernel info:
; codeLenInByte = 0
; TotalNumSgprs: 0
; NumVgprs: 0
; ScratchSize: 0
; MemoryBound: 0
; FloatMode: 240
; IeeeMode: 1
; LDSByteSize: 0 bytes/workgroup (compile time only)
; SGPRBlocks: 0
; VGPRBlocks: 0
; NumSGPRsForWavesPerEU: 1
; NumVGPRsForWavesPerEU: 1
; Occupancy: 16
; WaveLimiterHint : 0
; COMPUTE_PGM_RSRC2:SCRATCH_EN: 0
; COMPUTE_PGM_RSRC2:USER_SGPR: 2
; COMPUTE_PGM_RSRC2:TRAP_HANDLER: 0
; COMPUTE_PGM_RSRC2:TGID_X_EN: 1
; COMPUTE_PGM_RSRC2:TGID_Y_EN: 0
; COMPUTE_PGM_RSRC2:TGID_Z_EN: 0
; COMPUTE_PGM_RSRC2:TIDIG_COMP_CNT: 0
	.section	.text._ZN7rocprim17ROCPRIM_400000_NS6detail17trampoline_kernelINS0_14default_configENS1_20scan_config_selectorIN3c107complexIfEEEEZZNS1_9scan_implILNS1_25lookback_scan_determinismE0ELb0ELb0ES3_PKS7_PS7_S7_ZZZN2at6native31launch_logcumsumexp_cuda_kernelERKNSE_10TensorBaseESI_lENKUlvE_clEvENKUlvE2_clEvEUlS7_S7_E_S7_EEDaPvRmT3_T4_T5_mT6_P12ihipStream_tbENKUlT_T0_E_clISt17integral_constantIbLb1EESZ_EEDaSU_SV_EUlSU_E_NS1_11comp_targetILNS1_3genE3ELNS1_11target_archE908ELNS1_3gpuE7ELNS1_3repE0EEENS1_30default_config_static_selectorELNS0_4arch9wavefront6targetE0EEEvT1_,"axG",@progbits,_ZN7rocprim17ROCPRIM_400000_NS6detail17trampoline_kernelINS0_14default_configENS1_20scan_config_selectorIN3c107complexIfEEEEZZNS1_9scan_implILNS1_25lookback_scan_determinismE0ELb0ELb0ES3_PKS7_PS7_S7_ZZZN2at6native31launch_logcumsumexp_cuda_kernelERKNSE_10TensorBaseESI_lENKUlvE_clEvENKUlvE2_clEvEUlS7_S7_E_S7_EEDaPvRmT3_T4_T5_mT6_P12ihipStream_tbENKUlT_T0_E_clISt17integral_constantIbLb1EESZ_EEDaSU_SV_EUlSU_E_NS1_11comp_targetILNS1_3genE3ELNS1_11target_archE908ELNS1_3gpuE7ELNS1_3repE0EEENS1_30default_config_static_selectorELNS0_4arch9wavefront6targetE0EEEvT1_,comdat
	.globl	_ZN7rocprim17ROCPRIM_400000_NS6detail17trampoline_kernelINS0_14default_configENS1_20scan_config_selectorIN3c107complexIfEEEEZZNS1_9scan_implILNS1_25lookback_scan_determinismE0ELb0ELb0ES3_PKS7_PS7_S7_ZZZN2at6native31launch_logcumsumexp_cuda_kernelERKNSE_10TensorBaseESI_lENKUlvE_clEvENKUlvE2_clEvEUlS7_S7_E_S7_EEDaPvRmT3_T4_T5_mT6_P12ihipStream_tbENKUlT_T0_E_clISt17integral_constantIbLb1EESZ_EEDaSU_SV_EUlSU_E_NS1_11comp_targetILNS1_3genE3ELNS1_11target_archE908ELNS1_3gpuE7ELNS1_3repE0EEENS1_30default_config_static_selectorELNS0_4arch9wavefront6targetE0EEEvT1_ ; -- Begin function _ZN7rocprim17ROCPRIM_400000_NS6detail17trampoline_kernelINS0_14default_configENS1_20scan_config_selectorIN3c107complexIfEEEEZZNS1_9scan_implILNS1_25lookback_scan_determinismE0ELb0ELb0ES3_PKS7_PS7_S7_ZZZN2at6native31launch_logcumsumexp_cuda_kernelERKNSE_10TensorBaseESI_lENKUlvE_clEvENKUlvE2_clEvEUlS7_S7_E_S7_EEDaPvRmT3_T4_T5_mT6_P12ihipStream_tbENKUlT_T0_E_clISt17integral_constantIbLb1EESZ_EEDaSU_SV_EUlSU_E_NS1_11comp_targetILNS1_3genE3ELNS1_11target_archE908ELNS1_3gpuE7ELNS1_3repE0EEENS1_30default_config_static_selectorELNS0_4arch9wavefront6targetE0EEEvT1_
	.p2align	8
	.type	_ZN7rocprim17ROCPRIM_400000_NS6detail17trampoline_kernelINS0_14default_configENS1_20scan_config_selectorIN3c107complexIfEEEEZZNS1_9scan_implILNS1_25lookback_scan_determinismE0ELb0ELb0ES3_PKS7_PS7_S7_ZZZN2at6native31launch_logcumsumexp_cuda_kernelERKNSE_10TensorBaseESI_lENKUlvE_clEvENKUlvE2_clEvEUlS7_S7_E_S7_EEDaPvRmT3_T4_T5_mT6_P12ihipStream_tbENKUlT_T0_E_clISt17integral_constantIbLb1EESZ_EEDaSU_SV_EUlSU_E_NS1_11comp_targetILNS1_3genE3ELNS1_11target_archE908ELNS1_3gpuE7ELNS1_3repE0EEENS1_30default_config_static_selectorELNS0_4arch9wavefront6targetE0EEEvT1_,@function
_ZN7rocprim17ROCPRIM_400000_NS6detail17trampoline_kernelINS0_14default_configENS1_20scan_config_selectorIN3c107complexIfEEEEZZNS1_9scan_implILNS1_25lookback_scan_determinismE0ELb0ELb0ES3_PKS7_PS7_S7_ZZZN2at6native31launch_logcumsumexp_cuda_kernelERKNSE_10TensorBaseESI_lENKUlvE_clEvENKUlvE2_clEvEUlS7_S7_E_S7_EEDaPvRmT3_T4_T5_mT6_P12ihipStream_tbENKUlT_T0_E_clISt17integral_constantIbLb1EESZ_EEDaSU_SV_EUlSU_E_NS1_11comp_targetILNS1_3genE3ELNS1_11target_archE908ELNS1_3gpuE7ELNS1_3repE0EEENS1_30default_config_static_selectorELNS0_4arch9wavefront6targetE0EEEvT1_: ; @_ZN7rocprim17ROCPRIM_400000_NS6detail17trampoline_kernelINS0_14default_configENS1_20scan_config_selectorIN3c107complexIfEEEEZZNS1_9scan_implILNS1_25lookback_scan_determinismE0ELb0ELb0ES3_PKS7_PS7_S7_ZZZN2at6native31launch_logcumsumexp_cuda_kernelERKNSE_10TensorBaseESI_lENKUlvE_clEvENKUlvE2_clEvEUlS7_S7_E_S7_EEDaPvRmT3_T4_T5_mT6_P12ihipStream_tbENKUlT_T0_E_clISt17integral_constantIbLb1EESZ_EEDaSU_SV_EUlSU_E_NS1_11comp_targetILNS1_3genE3ELNS1_11target_archE908ELNS1_3gpuE7ELNS1_3repE0EEENS1_30default_config_static_selectorELNS0_4arch9wavefront6targetE0EEEvT1_
; %bb.0:
	.section	.rodata,"a",@progbits
	.p2align	6, 0x0
	.amdhsa_kernel _ZN7rocprim17ROCPRIM_400000_NS6detail17trampoline_kernelINS0_14default_configENS1_20scan_config_selectorIN3c107complexIfEEEEZZNS1_9scan_implILNS1_25lookback_scan_determinismE0ELb0ELb0ES3_PKS7_PS7_S7_ZZZN2at6native31launch_logcumsumexp_cuda_kernelERKNSE_10TensorBaseESI_lENKUlvE_clEvENKUlvE2_clEvEUlS7_S7_E_S7_EEDaPvRmT3_T4_T5_mT6_P12ihipStream_tbENKUlT_T0_E_clISt17integral_constantIbLb1EESZ_EEDaSU_SV_EUlSU_E_NS1_11comp_targetILNS1_3genE3ELNS1_11target_archE908ELNS1_3gpuE7ELNS1_3repE0EEENS1_30default_config_static_selectorELNS0_4arch9wavefront6targetE0EEEvT1_
		.amdhsa_group_segment_fixed_size 0
		.amdhsa_private_segment_fixed_size 0
		.amdhsa_kernarg_size 104
		.amdhsa_user_sgpr_count 2
		.amdhsa_user_sgpr_dispatch_ptr 0
		.amdhsa_user_sgpr_queue_ptr 0
		.amdhsa_user_sgpr_kernarg_segment_ptr 1
		.amdhsa_user_sgpr_dispatch_id 0
		.amdhsa_user_sgpr_private_segment_size 0
		.amdhsa_wavefront_size32 1
		.amdhsa_uses_dynamic_stack 0
		.amdhsa_enable_private_segment 0
		.amdhsa_system_sgpr_workgroup_id_x 1
		.amdhsa_system_sgpr_workgroup_id_y 0
		.amdhsa_system_sgpr_workgroup_id_z 0
		.amdhsa_system_sgpr_workgroup_info 0
		.amdhsa_system_vgpr_workitem_id 0
		.amdhsa_next_free_vgpr 1
		.amdhsa_next_free_sgpr 1
		.amdhsa_reserve_vcc 0
		.amdhsa_float_round_mode_32 0
		.amdhsa_float_round_mode_16_64 0
		.amdhsa_float_denorm_mode_32 3
		.amdhsa_float_denorm_mode_16_64 3
		.amdhsa_fp16_overflow 0
		.amdhsa_workgroup_processor_mode 1
		.amdhsa_memory_ordered 1
		.amdhsa_forward_progress 1
		.amdhsa_inst_pref_size 0
		.amdhsa_round_robin_scheduling 0
		.amdhsa_exception_fp_ieee_invalid_op 0
		.amdhsa_exception_fp_denorm_src 0
		.amdhsa_exception_fp_ieee_div_zero 0
		.amdhsa_exception_fp_ieee_overflow 0
		.amdhsa_exception_fp_ieee_underflow 0
		.amdhsa_exception_fp_ieee_inexact 0
		.amdhsa_exception_int_div_zero 0
	.end_amdhsa_kernel
	.section	.text._ZN7rocprim17ROCPRIM_400000_NS6detail17trampoline_kernelINS0_14default_configENS1_20scan_config_selectorIN3c107complexIfEEEEZZNS1_9scan_implILNS1_25lookback_scan_determinismE0ELb0ELb0ES3_PKS7_PS7_S7_ZZZN2at6native31launch_logcumsumexp_cuda_kernelERKNSE_10TensorBaseESI_lENKUlvE_clEvENKUlvE2_clEvEUlS7_S7_E_S7_EEDaPvRmT3_T4_T5_mT6_P12ihipStream_tbENKUlT_T0_E_clISt17integral_constantIbLb1EESZ_EEDaSU_SV_EUlSU_E_NS1_11comp_targetILNS1_3genE3ELNS1_11target_archE908ELNS1_3gpuE7ELNS1_3repE0EEENS1_30default_config_static_selectorELNS0_4arch9wavefront6targetE0EEEvT1_,"axG",@progbits,_ZN7rocprim17ROCPRIM_400000_NS6detail17trampoline_kernelINS0_14default_configENS1_20scan_config_selectorIN3c107complexIfEEEEZZNS1_9scan_implILNS1_25lookback_scan_determinismE0ELb0ELb0ES3_PKS7_PS7_S7_ZZZN2at6native31launch_logcumsumexp_cuda_kernelERKNSE_10TensorBaseESI_lENKUlvE_clEvENKUlvE2_clEvEUlS7_S7_E_S7_EEDaPvRmT3_T4_T5_mT6_P12ihipStream_tbENKUlT_T0_E_clISt17integral_constantIbLb1EESZ_EEDaSU_SV_EUlSU_E_NS1_11comp_targetILNS1_3genE3ELNS1_11target_archE908ELNS1_3gpuE7ELNS1_3repE0EEENS1_30default_config_static_selectorELNS0_4arch9wavefront6targetE0EEEvT1_,comdat
.Lfunc_end294:
	.size	_ZN7rocprim17ROCPRIM_400000_NS6detail17trampoline_kernelINS0_14default_configENS1_20scan_config_selectorIN3c107complexIfEEEEZZNS1_9scan_implILNS1_25lookback_scan_determinismE0ELb0ELb0ES3_PKS7_PS7_S7_ZZZN2at6native31launch_logcumsumexp_cuda_kernelERKNSE_10TensorBaseESI_lENKUlvE_clEvENKUlvE2_clEvEUlS7_S7_E_S7_EEDaPvRmT3_T4_T5_mT6_P12ihipStream_tbENKUlT_T0_E_clISt17integral_constantIbLb1EESZ_EEDaSU_SV_EUlSU_E_NS1_11comp_targetILNS1_3genE3ELNS1_11target_archE908ELNS1_3gpuE7ELNS1_3repE0EEENS1_30default_config_static_selectorELNS0_4arch9wavefront6targetE0EEEvT1_, .Lfunc_end294-_ZN7rocprim17ROCPRIM_400000_NS6detail17trampoline_kernelINS0_14default_configENS1_20scan_config_selectorIN3c107complexIfEEEEZZNS1_9scan_implILNS1_25lookback_scan_determinismE0ELb0ELb0ES3_PKS7_PS7_S7_ZZZN2at6native31launch_logcumsumexp_cuda_kernelERKNSE_10TensorBaseESI_lENKUlvE_clEvENKUlvE2_clEvEUlS7_S7_E_S7_EEDaPvRmT3_T4_T5_mT6_P12ihipStream_tbENKUlT_T0_E_clISt17integral_constantIbLb1EESZ_EEDaSU_SV_EUlSU_E_NS1_11comp_targetILNS1_3genE3ELNS1_11target_archE908ELNS1_3gpuE7ELNS1_3repE0EEENS1_30default_config_static_selectorELNS0_4arch9wavefront6targetE0EEEvT1_
                                        ; -- End function
	.set _ZN7rocprim17ROCPRIM_400000_NS6detail17trampoline_kernelINS0_14default_configENS1_20scan_config_selectorIN3c107complexIfEEEEZZNS1_9scan_implILNS1_25lookback_scan_determinismE0ELb0ELb0ES3_PKS7_PS7_S7_ZZZN2at6native31launch_logcumsumexp_cuda_kernelERKNSE_10TensorBaseESI_lENKUlvE_clEvENKUlvE2_clEvEUlS7_S7_E_S7_EEDaPvRmT3_T4_T5_mT6_P12ihipStream_tbENKUlT_T0_E_clISt17integral_constantIbLb1EESZ_EEDaSU_SV_EUlSU_E_NS1_11comp_targetILNS1_3genE3ELNS1_11target_archE908ELNS1_3gpuE7ELNS1_3repE0EEENS1_30default_config_static_selectorELNS0_4arch9wavefront6targetE0EEEvT1_.num_vgpr, 0
	.set _ZN7rocprim17ROCPRIM_400000_NS6detail17trampoline_kernelINS0_14default_configENS1_20scan_config_selectorIN3c107complexIfEEEEZZNS1_9scan_implILNS1_25lookback_scan_determinismE0ELb0ELb0ES3_PKS7_PS7_S7_ZZZN2at6native31launch_logcumsumexp_cuda_kernelERKNSE_10TensorBaseESI_lENKUlvE_clEvENKUlvE2_clEvEUlS7_S7_E_S7_EEDaPvRmT3_T4_T5_mT6_P12ihipStream_tbENKUlT_T0_E_clISt17integral_constantIbLb1EESZ_EEDaSU_SV_EUlSU_E_NS1_11comp_targetILNS1_3genE3ELNS1_11target_archE908ELNS1_3gpuE7ELNS1_3repE0EEENS1_30default_config_static_selectorELNS0_4arch9wavefront6targetE0EEEvT1_.num_agpr, 0
	.set _ZN7rocprim17ROCPRIM_400000_NS6detail17trampoline_kernelINS0_14default_configENS1_20scan_config_selectorIN3c107complexIfEEEEZZNS1_9scan_implILNS1_25lookback_scan_determinismE0ELb0ELb0ES3_PKS7_PS7_S7_ZZZN2at6native31launch_logcumsumexp_cuda_kernelERKNSE_10TensorBaseESI_lENKUlvE_clEvENKUlvE2_clEvEUlS7_S7_E_S7_EEDaPvRmT3_T4_T5_mT6_P12ihipStream_tbENKUlT_T0_E_clISt17integral_constantIbLb1EESZ_EEDaSU_SV_EUlSU_E_NS1_11comp_targetILNS1_3genE3ELNS1_11target_archE908ELNS1_3gpuE7ELNS1_3repE0EEENS1_30default_config_static_selectorELNS0_4arch9wavefront6targetE0EEEvT1_.numbered_sgpr, 0
	.set _ZN7rocprim17ROCPRIM_400000_NS6detail17trampoline_kernelINS0_14default_configENS1_20scan_config_selectorIN3c107complexIfEEEEZZNS1_9scan_implILNS1_25lookback_scan_determinismE0ELb0ELb0ES3_PKS7_PS7_S7_ZZZN2at6native31launch_logcumsumexp_cuda_kernelERKNSE_10TensorBaseESI_lENKUlvE_clEvENKUlvE2_clEvEUlS7_S7_E_S7_EEDaPvRmT3_T4_T5_mT6_P12ihipStream_tbENKUlT_T0_E_clISt17integral_constantIbLb1EESZ_EEDaSU_SV_EUlSU_E_NS1_11comp_targetILNS1_3genE3ELNS1_11target_archE908ELNS1_3gpuE7ELNS1_3repE0EEENS1_30default_config_static_selectorELNS0_4arch9wavefront6targetE0EEEvT1_.num_named_barrier, 0
	.set _ZN7rocprim17ROCPRIM_400000_NS6detail17trampoline_kernelINS0_14default_configENS1_20scan_config_selectorIN3c107complexIfEEEEZZNS1_9scan_implILNS1_25lookback_scan_determinismE0ELb0ELb0ES3_PKS7_PS7_S7_ZZZN2at6native31launch_logcumsumexp_cuda_kernelERKNSE_10TensorBaseESI_lENKUlvE_clEvENKUlvE2_clEvEUlS7_S7_E_S7_EEDaPvRmT3_T4_T5_mT6_P12ihipStream_tbENKUlT_T0_E_clISt17integral_constantIbLb1EESZ_EEDaSU_SV_EUlSU_E_NS1_11comp_targetILNS1_3genE3ELNS1_11target_archE908ELNS1_3gpuE7ELNS1_3repE0EEENS1_30default_config_static_selectorELNS0_4arch9wavefront6targetE0EEEvT1_.private_seg_size, 0
	.set _ZN7rocprim17ROCPRIM_400000_NS6detail17trampoline_kernelINS0_14default_configENS1_20scan_config_selectorIN3c107complexIfEEEEZZNS1_9scan_implILNS1_25lookback_scan_determinismE0ELb0ELb0ES3_PKS7_PS7_S7_ZZZN2at6native31launch_logcumsumexp_cuda_kernelERKNSE_10TensorBaseESI_lENKUlvE_clEvENKUlvE2_clEvEUlS7_S7_E_S7_EEDaPvRmT3_T4_T5_mT6_P12ihipStream_tbENKUlT_T0_E_clISt17integral_constantIbLb1EESZ_EEDaSU_SV_EUlSU_E_NS1_11comp_targetILNS1_3genE3ELNS1_11target_archE908ELNS1_3gpuE7ELNS1_3repE0EEENS1_30default_config_static_selectorELNS0_4arch9wavefront6targetE0EEEvT1_.uses_vcc, 0
	.set _ZN7rocprim17ROCPRIM_400000_NS6detail17trampoline_kernelINS0_14default_configENS1_20scan_config_selectorIN3c107complexIfEEEEZZNS1_9scan_implILNS1_25lookback_scan_determinismE0ELb0ELb0ES3_PKS7_PS7_S7_ZZZN2at6native31launch_logcumsumexp_cuda_kernelERKNSE_10TensorBaseESI_lENKUlvE_clEvENKUlvE2_clEvEUlS7_S7_E_S7_EEDaPvRmT3_T4_T5_mT6_P12ihipStream_tbENKUlT_T0_E_clISt17integral_constantIbLb1EESZ_EEDaSU_SV_EUlSU_E_NS1_11comp_targetILNS1_3genE3ELNS1_11target_archE908ELNS1_3gpuE7ELNS1_3repE0EEENS1_30default_config_static_selectorELNS0_4arch9wavefront6targetE0EEEvT1_.uses_flat_scratch, 0
	.set _ZN7rocprim17ROCPRIM_400000_NS6detail17trampoline_kernelINS0_14default_configENS1_20scan_config_selectorIN3c107complexIfEEEEZZNS1_9scan_implILNS1_25lookback_scan_determinismE0ELb0ELb0ES3_PKS7_PS7_S7_ZZZN2at6native31launch_logcumsumexp_cuda_kernelERKNSE_10TensorBaseESI_lENKUlvE_clEvENKUlvE2_clEvEUlS7_S7_E_S7_EEDaPvRmT3_T4_T5_mT6_P12ihipStream_tbENKUlT_T0_E_clISt17integral_constantIbLb1EESZ_EEDaSU_SV_EUlSU_E_NS1_11comp_targetILNS1_3genE3ELNS1_11target_archE908ELNS1_3gpuE7ELNS1_3repE0EEENS1_30default_config_static_selectorELNS0_4arch9wavefront6targetE0EEEvT1_.has_dyn_sized_stack, 0
	.set _ZN7rocprim17ROCPRIM_400000_NS6detail17trampoline_kernelINS0_14default_configENS1_20scan_config_selectorIN3c107complexIfEEEEZZNS1_9scan_implILNS1_25lookback_scan_determinismE0ELb0ELb0ES3_PKS7_PS7_S7_ZZZN2at6native31launch_logcumsumexp_cuda_kernelERKNSE_10TensorBaseESI_lENKUlvE_clEvENKUlvE2_clEvEUlS7_S7_E_S7_EEDaPvRmT3_T4_T5_mT6_P12ihipStream_tbENKUlT_T0_E_clISt17integral_constantIbLb1EESZ_EEDaSU_SV_EUlSU_E_NS1_11comp_targetILNS1_3genE3ELNS1_11target_archE908ELNS1_3gpuE7ELNS1_3repE0EEENS1_30default_config_static_selectorELNS0_4arch9wavefront6targetE0EEEvT1_.has_recursion, 0
	.set _ZN7rocprim17ROCPRIM_400000_NS6detail17trampoline_kernelINS0_14default_configENS1_20scan_config_selectorIN3c107complexIfEEEEZZNS1_9scan_implILNS1_25lookback_scan_determinismE0ELb0ELb0ES3_PKS7_PS7_S7_ZZZN2at6native31launch_logcumsumexp_cuda_kernelERKNSE_10TensorBaseESI_lENKUlvE_clEvENKUlvE2_clEvEUlS7_S7_E_S7_EEDaPvRmT3_T4_T5_mT6_P12ihipStream_tbENKUlT_T0_E_clISt17integral_constantIbLb1EESZ_EEDaSU_SV_EUlSU_E_NS1_11comp_targetILNS1_3genE3ELNS1_11target_archE908ELNS1_3gpuE7ELNS1_3repE0EEENS1_30default_config_static_selectorELNS0_4arch9wavefront6targetE0EEEvT1_.has_indirect_call, 0
	.section	.AMDGPU.csdata,"",@progbits
; Kernel info:
; codeLenInByte = 0
; TotalNumSgprs: 0
; NumVgprs: 0
; ScratchSize: 0
; MemoryBound: 0
; FloatMode: 240
; IeeeMode: 1
; LDSByteSize: 0 bytes/workgroup (compile time only)
; SGPRBlocks: 0
; VGPRBlocks: 0
; NumSGPRsForWavesPerEU: 1
; NumVGPRsForWavesPerEU: 1
; Occupancy: 16
; WaveLimiterHint : 0
; COMPUTE_PGM_RSRC2:SCRATCH_EN: 0
; COMPUTE_PGM_RSRC2:USER_SGPR: 2
; COMPUTE_PGM_RSRC2:TRAP_HANDLER: 0
; COMPUTE_PGM_RSRC2:TGID_X_EN: 1
; COMPUTE_PGM_RSRC2:TGID_Y_EN: 0
; COMPUTE_PGM_RSRC2:TGID_Z_EN: 0
; COMPUTE_PGM_RSRC2:TIDIG_COMP_CNT: 0
	.section	.text._ZN7rocprim17ROCPRIM_400000_NS6detail17trampoline_kernelINS0_14default_configENS1_20scan_config_selectorIN3c107complexIfEEEEZZNS1_9scan_implILNS1_25lookback_scan_determinismE0ELb0ELb0ES3_PKS7_PS7_S7_ZZZN2at6native31launch_logcumsumexp_cuda_kernelERKNSE_10TensorBaseESI_lENKUlvE_clEvENKUlvE2_clEvEUlS7_S7_E_S7_EEDaPvRmT3_T4_T5_mT6_P12ihipStream_tbENKUlT_T0_E_clISt17integral_constantIbLb1EESZ_EEDaSU_SV_EUlSU_E_NS1_11comp_targetILNS1_3genE2ELNS1_11target_archE906ELNS1_3gpuE6ELNS1_3repE0EEENS1_30default_config_static_selectorELNS0_4arch9wavefront6targetE0EEEvT1_,"axG",@progbits,_ZN7rocprim17ROCPRIM_400000_NS6detail17trampoline_kernelINS0_14default_configENS1_20scan_config_selectorIN3c107complexIfEEEEZZNS1_9scan_implILNS1_25lookback_scan_determinismE0ELb0ELb0ES3_PKS7_PS7_S7_ZZZN2at6native31launch_logcumsumexp_cuda_kernelERKNSE_10TensorBaseESI_lENKUlvE_clEvENKUlvE2_clEvEUlS7_S7_E_S7_EEDaPvRmT3_T4_T5_mT6_P12ihipStream_tbENKUlT_T0_E_clISt17integral_constantIbLb1EESZ_EEDaSU_SV_EUlSU_E_NS1_11comp_targetILNS1_3genE2ELNS1_11target_archE906ELNS1_3gpuE6ELNS1_3repE0EEENS1_30default_config_static_selectorELNS0_4arch9wavefront6targetE0EEEvT1_,comdat
	.globl	_ZN7rocprim17ROCPRIM_400000_NS6detail17trampoline_kernelINS0_14default_configENS1_20scan_config_selectorIN3c107complexIfEEEEZZNS1_9scan_implILNS1_25lookback_scan_determinismE0ELb0ELb0ES3_PKS7_PS7_S7_ZZZN2at6native31launch_logcumsumexp_cuda_kernelERKNSE_10TensorBaseESI_lENKUlvE_clEvENKUlvE2_clEvEUlS7_S7_E_S7_EEDaPvRmT3_T4_T5_mT6_P12ihipStream_tbENKUlT_T0_E_clISt17integral_constantIbLb1EESZ_EEDaSU_SV_EUlSU_E_NS1_11comp_targetILNS1_3genE2ELNS1_11target_archE906ELNS1_3gpuE6ELNS1_3repE0EEENS1_30default_config_static_selectorELNS0_4arch9wavefront6targetE0EEEvT1_ ; -- Begin function _ZN7rocprim17ROCPRIM_400000_NS6detail17trampoline_kernelINS0_14default_configENS1_20scan_config_selectorIN3c107complexIfEEEEZZNS1_9scan_implILNS1_25lookback_scan_determinismE0ELb0ELb0ES3_PKS7_PS7_S7_ZZZN2at6native31launch_logcumsumexp_cuda_kernelERKNSE_10TensorBaseESI_lENKUlvE_clEvENKUlvE2_clEvEUlS7_S7_E_S7_EEDaPvRmT3_T4_T5_mT6_P12ihipStream_tbENKUlT_T0_E_clISt17integral_constantIbLb1EESZ_EEDaSU_SV_EUlSU_E_NS1_11comp_targetILNS1_3genE2ELNS1_11target_archE906ELNS1_3gpuE6ELNS1_3repE0EEENS1_30default_config_static_selectorELNS0_4arch9wavefront6targetE0EEEvT1_
	.p2align	8
	.type	_ZN7rocprim17ROCPRIM_400000_NS6detail17trampoline_kernelINS0_14default_configENS1_20scan_config_selectorIN3c107complexIfEEEEZZNS1_9scan_implILNS1_25lookback_scan_determinismE0ELb0ELb0ES3_PKS7_PS7_S7_ZZZN2at6native31launch_logcumsumexp_cuda_kernelERKNSE_10TensorBaseESI_lENKUlvE_clEvENKUlvE2_clEvEUlS7_S7_E_S7_EEDaPvRmT3_T4_T5_mT6_P12ihipStream_tbENKUlT_T0_E_clISt17integral_constantIbLb1EESZ_EEDaSU_SV_EUlSU_E_NS1_11comp_targetILNS1_3genE2ELNS1_11target_archE906ELNS1_3gpuE6ELNS1_3repE0EEENS1_30default_config_static_selectorELNS0_4arch9wavefront6targetE0EEEvT1_,@function
_ZN7rocprim17ROCPRIM_400000_NS6detail17trampoline_kernelINS0_14default_configENS1_20scan_config_selectorIN3c107complexIfEEEEZZNS1_9scan_implILNS1_25lookback_scan_determinismE0ELb0ELb0ES3_PKS7_PS7_S7_ZZZN2at6native31launch_logcumsumexp_cuda_kernelERKNSE_10TensorBaseESI_lENKUlvE_clEvENKUlvE2_clEvEUlS7_S7_E_S7_EEDaPvRmT3_T4_T5_mT6_P12ihipStream_tbENKUlT_T0_E_clISt17integral_constantIbLb1EESZ_EEDaSU_SV_EUlSU_E_NS1_11comp_targetILNS1_3genE2ELNS1_11target_archE906ELNS1_3gpuE6ELNS1_3repE0EEENS1_30default_config_static_selectorELNS0_4arch9wavefront6targetE0EEEvT1_: ; @_ZN7rocprim17ROCPRIM_400000_NS6detail17trampoline_kernelINS0_14default_configENS1_20scan_config_selectorIN3c107complexIfEEEEZZNS1_9scan_implILNS1_25lookback_scan_determinismE0ELb0ELb0ES3_PKS7_PS7_S7_ZZZN2at6native31launch_logcumsumexp_cuda_kernelERKNSE_10TensorBaseESI_lENKUlvE_clEvENKUlvE2_clEvEUlS7_S7_E_S7_EEDaPvRmT3_T4_T5_mT6_P12ihipStream_tbENKUlT_T0_E_clISt17integral_constantIbLb1EESZ_EEDaSU_SV_EUlSU_E_NS1_11comp_targetILNS1_3genE2ELNS1_11target_archE906ELNS1_3gpuE6ELNS1_3repE0EEENS1_30default_config_static_selectorELNS0_4arch9wavefront6targetE0EEEvT1_
; %bb.0:
	.section	.rodata,"a",@progbits
	.p2align	6, 0x0
	.amdhsa_kernel _ZN7rocprim17ROCPRIM_400000_NS6detail17trampoline_kernelINS0_14default_configENS1_20scan_config_selectorIN3c107complexIfEEEEZZNS1_9scan_implILNS1_25lookback_scan_determinismE0ELb0ELb0ES3_PKS7_PS7_S7_ZZZN2at6native31launch_logcumsumexp_cuda_kernelERKNSE_10TensorBaseESI_lENKUlvE_clEvENKUlvE2_clEvEUlS7_S7_E_S7_EEDaPvRmT3_T4_T5_mT6_P12ihipStream_tbENKUlT_T0_E_clISt17integral_constantIbLb1EESZ_EEDaSU_SV_EUlSU_E_NS1_11comp_targetILNS1_3genE2ELNS1_11target_archE906ELNS1_3gpuE6ELNS1_3repE0EEENS1_30default_config_static_selectorELNS0_4arch9wavefront6targetE0EEEvT1_
		.amdhsa_group_segment_fixed_size 0
		.amdhsa_private_segment_fixed_size 0
		.amdhsa_kernarg_size 104
		.amdhsa_user_sgpr_count 2
		.amdhsa_user_sgpr_dispatch_ptr 0
		.amdhsa_user_sgpr_queue_ptr 0
		.amdhsa_user_sgpr_kernarg_segment_ptr 1
		.amdhsa_user_sgpr_dispatch_id 0
		.amdhsa_user_sgpr_private_segment_size 0
		.amdhsa_wavefront_size32 1
		.amdhsa_uses_dynamic_stack 0
		.amdhsa_enable_private_segment 0
		.amdhsa_system_sgpr_workgroup_id_x 1
		.amdhsa_system_sgpr_workgroup_id_y 0
		.amdhsa_system_sgpr_workgroup_id_z 0
		.amdhsa_system_sgpr_workgroup_info 0
		.amdhsa_system_vgpr_workitem_id 0
		.amdhsa_next_free_vgpr 1
		.amdhsa_next_free_sgpr 1
		.amdhsa_reserve_vcc 0
		.amdhsa_float_round_mode_32 0
		.amdhsa_float_round_mode_16_64 0
		.amdhsa_float_denorm_mode_32 3
		.amdhsa_float_denorm_mode_16_64 3
		.amdhsa_fp16_overflow 0
		.amdhsa_workgroup_processor_mode 1
		.amdhsa_memory_ordered 1
		.amdhsa_forward_progress 1
		.amdhsa_inst_pref_size 0
		.amdhsa_round_robin_scheduling 0
		.amdhsa_exception_fp_ieee_invalid_op 0
		.amdhsa_exception_fp_denorm_src 0
		.amdhsa_exception_fp_ieee_div_zero 0
		.amdhsa_exception_fp_ieee_overflow 0
		.amdhsa_exception_fp_ieee_underflow 0
		.amdhsa_exception_fp_ieee_inexact 0
		.amdhsa_exception_int_div_zero 0
	.end_amdhsa_kernel
	.section	.text._ZN7rocprim17ROCPRIM_400000_NS6detail17trampoline_kernelINS0_14default_configENS1_20scan_config_selectorIN3c107complexIfEEEEZZNS1_9scan_implILNS1_25lookback_scan_determinismE0ELb0ELb0ES3_PKS7_PS7_S7_ZZZN2at6native31launch_logcumsumexp_cuda_kernelERKNSE_10TensorBaseESI_lENKUlvE_clEvENKUlvE2_clEvEUlS7_S7_E_S7_EEDaPvRmT3_T4_T5_mT6_P12ihipStream_tbENKUlT_T0_E_clISt17integral_constantIbLb1EESZ_EEDaSU_SV_EUlSU_E_NS1_11comp_targetILNS1_3genE2ELNS1_11target_archE906ELNS1_3gpuE6ELNS1_3repE0EEENS1_30default_config_static_selectorELNS0_4arch9wavefront6targetE0EEEvT1_,"axG",@progbits,_ZN7rocprim17ROCPRIM_400000_NS6detail17trampoline_kernelINS0_14default_configENS1_20scan_config_selectorIN3c107complexIfEEEEZZNS1_9scan_implILNS1_25lookback_scan_determinismE0ELb0ELb0ES3_PKS7_PS7_S7_ZZZN2at6native31launch_logcumsumexp_cuda_kernelERKNSE_10TensorBaseESI_lENKUlvE_clEvENKUlvE2_clEvEUlS7_S7_E_S7_EEDaPvRmT3_T4_T5_mT6_P12ihipStream_tbENKUlT_T0_E_clISt17integral_constantIbLb1EESZ_EEDaSU_SV_EUlSU_E_NS1_11comp_targetILNS1_3genE2ELNS1_11target_archE906ELNS1_3gpuE6ELNS1_3repE0EEENS1_30default_config_static_selectorELNS0_4arch9wavefront6targetE0EEEvT1_,comdat
.Lfunc_end295:
	.size	_ZN7rocprim17ROCPRIM_400000_NS6detail17trampoline_kernelINS0_14default_configENS1_20scan_config_selectorIN3c107complexIfEEEEZZNS1_9scan_implILNS1_25lookback_scan_determinismE0ELb0ELb0ES3_PKS7_PS7_S7_ZZZN2at6native31launch_logcumsumexp_cuda_kernelERKNSE_10TensorBaseESI_lENKUlvE_clEvENKUlvE2_clEvEUlS7_S7_E_S7_EEDaPvRmT3_T4_T5_mT6_P12ihipStream_tbENKUlT_T0_E_clISt17integral_constantIbLb1EESZ_EEDaSU_SV_EUlSU_E_NS1_11comp_targetILNS1_3genE2ELNS1_11target_archE906ELNS1_3gpuE6ELNS1_3repE0EEENS1_30default_config_static_selectorELNS0_4arch9wavefront6targetE0EEEvT1_, .Lfunc_end295-_ZN7rocprim17ROCPRIM_400000_NS6detail17trampoline_kernelINS0_14default_configENS1_20scan_config_selectorIN3c107complexIfEEEEZZNS1_9scan_implILNS1_25lookback_scan_determinismE0ELb0ELb0ES3_PKS7_PS7_S7_ZZZN2at6native31launch_logcumsumexp_cuda_kernelERKNSE_10TensorBaseESI_lENKUlvE_clEvENKUlvE2_clEvEUlS7_S7_E_S7_EEDaPvRmT3_T4_T5_mT6_P12ihipStream_tbENKUlT_T0_E_clISt17integral_constantIbLb1EESZ_EEDaSU_SV_EUlSU_E_NS1_11comp_targetILNS1_3genE2ELNS1_11target_archE906ELNS1_3gpuE6ELNS1_3repE0EEENS1_30default_config_static_selectorELNS0_4arch9wavefront6targetE0EEEvT1_
                                        ; -- End function
	.set _ZN7rocprim17ROCPRIM_400000_NS6detail17trampoline_kernelINS0_14default_configENS1_20scan_config_selectorIN3c107complexIfEEEEZZNS1_9scan_implILNS1_25lookback_scan_determinismE0ELb0ELb0ES3_PKS7_PS7_S7_ZZZN2at6native31launch_logcumsumexp_cuda_kernelERKNSE_10TensorBaseESI_lENKUlvE_clEvENKUlvE2_clEvEUlS7_S7_E_S7_EEDaPvRmT3_T4_T5_mT6_P12ihipStream_tbENKUlT_T0_E_clISt17integral_constantIbLb1EESZ_EEDaSU_SV_EUlSU_E_NS1_11comp_targetILNS1_3genE2ELNS1_11target_archE906ELNS1_3gpuE6ELNS1_3repE0EEENS1_30default_config_static_selectorELNS0_4arch9wavefront6targetE0EEEvT1_.num_vgpr, 0
	.set _ZN7rocprim17ROCPRIM_400000_NS6detail17trampoline_kernelINS0_14default_configENS1_20scan_config_selectorIN3c107complexIfEEEEZZNS1_9scan_implILNS1_25lookback_scan_determinismE0ELb0ELb0ES3_PKS7_PS7_S7_ZZZN2at6native31launch_logcumsumexp_cuda_kernelERKNSE_10TensorBaseESI_lENKUlvE_clEvENKUlvE2_clEvEUlS7_S7_E_S7_EEDaPvRmT3_T4_T5_mT6_P12ihipStream_tbENKUlT_T0_E_clISt17integral_constantIbLb1EESZ_EEDaSU_SV_EUlSU_E_NS1_11comp_targetILNS1_3genE2ELNS1_11target_archE906ELNS1_3gpuE6ELNS1_3repE0EEENS1_30default_config_static_selectorELNS0_4arch9wavefront6targetE0EEEvT1_.num_agpr, 0
	.set _ZN7rocprim17ROCPRIM_400000_NS6detail17trampoline_kernelINS0_14default_configENS1_20scan_config_selectorIN3c107complexIfEEEEZZNS1_9scan_implILNS1_25lookback_scan_determinismE0ELb0ELb0ES3_PKS7_PS7_S7_ZZZN2at6native31launch_logcumsumexp_cuda_kernelERKNSE_10TensorBaseESI_lENKUlvE_clEvENKUlvE2_clEvEUlS7_S7_E_S7_EEDaPvRmT3_T4_T5_mT6_P12ihipStream_tbENKUlT_T0_E_clISt17integral_constantIbLb1EESZ_EEDaSU_SV_EUlSU_E_NS1_11comp_targetILNS1_3genE2ELNS1_11target_archE906ELNS1_3gpuE6ELNS1_3repE0EEENS1_30default_config_static_selectorELNS0_4arch9wavefront6targetE0EEEvT1_.numbered_sgpr, 0
	.set _ZN7rocprim17ROCPRIM_400000_NS6detail17trampoline_kernelINS0_14default_configENS1_20scan_config_selectorIN3c107complexIfEEEEZZNS1_9scan_implILNS1_25lookback_scan_determinismE0ELb0ELb0ES3_PKS7_PS7_S7_ZZZN2at6native31launch_logcumsumexp_cuda_kernelERKNSE_10TensorBaseESI_lENKUlvE_clEvENKUlvE2_clEvEUlS7_S7_E_S7_EEDaPvRmT3_T4_T5_mT6_P12ihipStream_tbENKUlT_T0_E_clISt17integral_constantIbLb1EESZ_EEDaSU_SV_EUlSU_E_NS1_11comp_targetILNS1_3genE2ELNS1_11target_archE906ELNS1_3gpuE6ELNS1_3repE0EEENS1_30default_config_static_selectorELNS0_4arch9wavefront6targetE0EEEvT1_.num_named_barrier, 0
	.set _ZN7rocprim17ROCPRIM_400000_NS6detail17trampoline_kernelINS0_14default_configENS1_20scan_config_selectorIN3c107complexIfEEEEZZNS1_9scan_implILNS1_25lookback_scan_determinismE0ELb0ELb0ES3_PKS7_PS7_S7_ZZZN2at6native31launch_logcumsumexp_cuda_kernelERKNSE_10TensorBaseESI_lENKUlvE_clEvENKUlvE2_clEvEUlS7_S7_E_S7_EEDaPvRmT3_T4_T5_mT6_P12ihipStream_tbENKUlT_T0_E_clISt17integral_constantIbLb1EESZ_EEDaSU_SV_EUlSU_E_NS1_11comp_targetILNS1_3genE2ELNS1_11target_archE906ELNS1_3gpuE6ELNS1_3repE0EEENS1_30default_config_static_selectorELNS0_4arch9wavefront6targetE0EEEvT1_.private_seg_size, 0
	.set _ZN7rocprim17ROCPRIM_400000_NS6detail17trampoline_kernelINS0_14default_configENS1_20scan_config_selectorIN3c107complexIfEEEEZZNS1_9scan_implILNS1_25lookback_scan_determinismE0ELb0ELb0ES3_PKS7_PS7_S7_ZZZN2at6native31launch_logcumsumexp_cuda_kernelERKNSE_10TensorBaseESI_lENKUlvE_clEvENKUlvE2_clEvEUlS7_S7_E_S7_EEDaPvRmT3_T4_T5_mT6_P12ihipStream_tbENKUlT_T0_E_clISt17integral_constantIbLb1EESZ_EEDaSU_SV_EUlSU_E_NS1_11comp_targetILNS1_3genE2ELNS1_11target_archE906ELNS1_3gpuE6ELNS1_3repE0EEENS1_30default_config_static_selectorELNS0_4arch9wavefront6targetE0EEEvT1_.uses_vcc, 0
	.set _ZN7rocprim17ROCPRIM_400000_NS6detail17trampoline_kernelINS0_14default_configENS1_20scan_config_selectorIN3c107complexIfEEEEZZNS1_9scan_implILNS1_25lookback_scan_determinismE0ELb0ELb0ES3_PKS7_PS7_S7_ZZZN2at6native31launch_logcumsumexp_cuda_kernelERKNSE_10TensorBaseESI_lENKUlvE_clEvENKUlvE2_clEvEUlS7_S7_E_S7_EEDaPvRmT3_T4_T5_mT6_P12ihipStream_tbENKUlT_T0_E_clISt17integral_constantIbLb1EESZ_EEDaSU_SV_EUlSU_E_NS1_11comp_targetILNS1_3genE2ELNS1_11target_archE906ELNS1_3gpuE6ELNS1_3repE0EEENS1_30default_config_static_selectorELNS0_4arch9wavefront6targetE0EEEvT1_.uses_flat_scratch, 0
	.set _ZN7rocprim17ROCPRIM_400000_NS6detail17trampoline_kernelINS0_14default_configENS1_20scan_config_selectorIN3c107complexIfEEEEZZNS1_9scan_implILNS1_25lookback_scan_determinismE0ELb0ELb0ES3_PKS7_PS7_S7_ZZZN2at6native31launch_logcumsumexp_cuda_kernelERKNSE_10TensorBaseESI_lENKUlvE_clEvENKUlvE2_clEvEUlS7_S7_E_S7_EEDaPvRmT3_T4_T5_mT6_P12ihipStream_tbENKUlT_T0_E_clISt17integral_constantIbLb1EESZ_EEDaSU_SV_EUlSU_E_NS1_11comp_targetILNS1_3genE2ELNS1_11target_archE906ELNS1_3gpuE6ELNS1_3repE0EEENS1_30default_config_static_selectorELNS0_4arch9wavefront6targetE0EEEvT1_.has_dyn_sized_stack, 0
	.set _ZN7rocprim17ROCPRIM_400000_NS6detail17trampoline_kernelINS0_14default_configENS1_20scan_config_selectorIN3c107complexIfEEEEZZNS1_9scan_implILNS1_25lookback_scan_determinismE0ELb0ELb0ES3_PKS7_PS7_S7_ZZZN2at6native31launch_logcumsumexp_cuda_kernelERKNSE_10TensorBaseESI_lENKUlvE_clEvENKUlvE2_clEvEUlS7_S7_E_S7_EEDaPvRmT3_T4_T5_mT6_P12ihipStream_tbENKUlT_T0_E_clISt17integral_constantIbLb1EESZ_EEDaSU_SV_EUlSU_E_NS1_11comp_targetILNS1_3genE2ELNS1_11target_archE906ELNS1_3gpuE6ELNS1_3repE0EEENS1_30default_config_static_selectorELNS0_4arch9wavefront6targetE0EEEvT1_.has_recursion, 0
	.set _ZN7rocprim17ROCPRIM_400000_NS6detail17trampoline_kernelINS0_14default_configENS1_20scan_config_selectorIN3c107complexIfEEEEZZNS1_9scan_implILNS1_25lookback_scan_determinismE0ELb0ELb0ES3_PKS7_PS7_S7_ZZZN2at6native31launch_logcumsumexp_cuda_kernelERKNSE_10TensorBaseESI_lENKUlvE_clEvENKUlvE2_clEvEUlS7_S7_E_S7_EEDaPvRmT3_T4_T5_mT6_P12ihipStream_tbENKUlT_T0_E_clISt17integral_constantIbLb1EESZ_EEDaSU_SV_EUlSU_E_NS1_11comp_targetILNS1_3genE2ELNS1_11target_archE906ELNS1_3gpuE6ELNS1_3repE0EEENS1_30default_config_static_selectorELNS0_4arch9wavefront6targetE0EEEvT1_.has_indirect_call, 0
	.section	.AMDGPU.csdata,"",@progbits
; Kernel info:
; codeLenInByte = 0
; TotalNumSgprs: 0
; NumVgprs: 0
; ScratchSize: 0
; MemoryBound: 0
; FloatMode: 240
; IeeeMode: 1
; LDSByteSize: 0 bytes/workgroup (compile time only)
; SGPRBlocks: 0
; VGPRBlocks: 0
; NumSGPRsForWavesPerEU: 1
; NumVGPRsForWavesPerEU: 1
; Occupancy: 16
; WaveLimiterHint : 0
; COMPUTE_PGM_RSRC2:SCRATCH_EN: 0
; COMPUTE_PGM_RSRC2:USER_SGPR: 2
; COMPUTE_PGM_RSRC2:TRAP_HANDLER: 0
; COMPUTE_PGM_RSRC2:TGID_X_EN: 1
; COMPUTE_PGM_RSRC2:TGID_Y_EN: 0
; COMPUTE_PGM_RSRC2:TGID_Z_EN: 0
; COMPUTE_PGM_RSRC2:TIDIG_COMP_CNT: 0
	.section	.text._ZN7rocprim17ROCPRIM_400000_NS6detail17trampoline_kernelINS0_14default_configENS1_20scan_config_selectorIN3c107complexIfEEEEZZNS1_9scan_implILNS1_25lookback_scan_determinismE0ELb0ELb0ES3_PKS7_PS7_S7_ZZZN2at6native31launch_logcumsumexp_cuda_kernelERKNSE_10TensorBaseESI_lENKUlvE_clEvENKUlvE2_clEvEUlS7_S7_E_S7_EEDaPvRmT3_T4_T5_mT6_P12ihipStream_tbENKUlT_T0_E_clISt17integral_constantIbLb1EESZ_EEDaSU_SV_EUlSU_E_NS1_11comp_targetILNS1_3genE10ELNS1_11target_archE1201ELNS1_3gpuE5ELNS1_3repE0EEENS1_30default_config_static_selectorELNS0_4arch9wavefront6targetE0EEEvT1_,"axG",@progbits,_ZN7rocprim17ROCPRIM_400000_NS6detail17trampoline_kernelINS0_14default_configENS1_20scan_config_selectorIN3c107complexIfEEEEZZNS1_9scan_implILNS1_25lookback_scan_determinismE0ELb0ELb0ES3_PKS7_PS7_S7_ZZZN2at6native31launch_logcumsumexp_cuda_kernelERKNSE_10TensorBaseESI_lENKUlvE_clEvENKUlvE2_clEvEUlS7_S7_E_S7_EEDaPvRmT3_T4_T5_mT6_P12ihipStream_tbENKUlT_T0_E_clISt17integral_constantIbLb1EESZ_EEDaSU_SV_EUlSU_E_NS1_11comp_targetILNS1_3genE10ELNS1_11target_archE1201ELNS1_3gpuE5ELNS1_3repE0EEENS1_30default_config_static_selectorELNS0_4arch9wavefront6targetE0EEEvT1_,comdat
	.globl	_ZN7rocprim17ROCPRIM_400000_NS6detail17trampoline_kernelINS0_14default_configENS1_20scan_config_selectorIN3c107complexIfEEEEZZNS1_9scan_implILNS1_25lookback_scan_determinismE0ELb0ELb0ES3_PKS7_PS7_S7_ZZZN2at6native31launch_logcumsumexp_cuda_kernelERKNSE_10TensorBaseESI_lENKUlvE_clEvENKUlvE2_clEvEUlS7_S7_E_S7_EEDaPvRmT3_T4_T5_mT6_P12ihipStream_tbENKUlT_T0_E_clISt17integral_constantIbLb1EESZ_EEDaSU_SV_EUlSU_E_NS1_11comp_targetILNS1_3genE10ELNS1_11target_archE1201ELNS1_3gpuE5ELNS1_3repE0EEENS1_30default_config_static_selectorELNS0_4arch9wavefront6targetE0EEEvT1_ ; -- Begin function _ZN7rocprim17ROCPRIM_400000_NS6detail17trampoline_kernelINS0_14default_configENS1_20scan_config_selectorIN3c107complexIfEEEEZZNS1_9scan_implILNS1_25lookback_scan_determinismE0ELb0ELb0ES3_PKS7_PS7_S7_ZZZN2at6native31launch_logcumsumexp_cuda_kernelERKNSE_10TensorBaseESI_lENKUlvE_clEvENKUlvE2_clEvEUlS7_S7_E_S7_EEDaPvRmT3_T4_T5_mT6_P12ihipStream_tbENKUlT_T0_E_clISt17integral_constantIbLb1EESZ_EEDaSU_SV_EUlSU_E_NS1_11comp_targetILNS1_3genE10ELNS1_11target_archE1201ELNS1_3gpuE5ELNS1_3repE0EEENS1_30default_config_static_selectorELNS0_4arch9wavefront6targetE0EEEvT1_
	.p2align	8
	.type	_ZN7rocprim17ROCPRIM_400000_NS6detail17trampoline_kernelINS0_14default_configENS1_20scan_config_selectorIN3c107complexIfEEEEZZNS1_9scan_implILNS1_25lookback_scan_determinismE0ELb0ELb0ES3_PKS7_PS7_S7_ZZZN2at6native31launch_logcumsumexp_cuda_kernelERKNSE_10TensorBaseESI_lENKUlvE_clEvENKUlvE2_clEvEUlS7_S7_E_S7_EEDaPvRmT3_T4_T5_mT6_P12ihipStream_tbENKUlT_T0_E_clISt17integral_constantIbLb1EESZ_EEDaSU_SV_EUlSU_E_NS1_11comp_targetILNS1_3genE10ELNS1_11target_archE1201ELNS1_3gpuE5ELNS1_3repE0EEENS1_30default_config_static_selectorELNS0_4arch9wavefront6targetE0EEEvT1_,@function
_ZN7rocprim17ROCPRIM_400000_NS6detail17trampoline_kernelINS0_14default_configENS1_20scan_config_selectorIN3c107complexIfEEEEZZNS1_9scan_implILNS1_25lookback_scan_determinismE0ELb0ELb0ES3_PKS7_PS7_S7_ZZZN2at6native31launch_logcumsumexp_cuda_kernelERKNSE_10TensorBaseESI_lENKUlvE_clEvENKUlvE2_clEvEUlS7_S7_E_S7_EEDaPvRmT3_T4_T5_mT6_P12ihipStream_tbENKUlT_T0_E_clISt17integral_constantIbLb1EESZ_EEDaSU_SV_EUlSU_E_NS1_11comp_targetILNS1_3genE10ELNS1_11target_archE1201ELNS1_3gpuE5ELNS1_3repE0EEENS1_30default_config_static_selectorELNS0_4arch9wavefront6targetE0EEEvT1_: ; @_ZN7rocprim17ROCPRIM_400000_NS6detail17trampoline_kernelINS0_14default_configENS1_20scan_config_selectorIN3c107complexIfEEEEZZNS1_9scan_implILNS1_25lookback_scan_determinismE0ELb0ELb0ES3_PKS7_PS7_S7_ZZZN2at6native31launch_logcumsumexp_cuda_kernelERKNSE_10TensorBaseESI_lENKUlvE_clEvENKUlvE2_clEvEUlS7_S7_E_S7_EEDaPvRmT3_T4_T5_mT6_P12ihipStream_tbENKUlT_T0_E_clISt17integral_constantIbLb1EESZ_EEDaSU_SV_EUlSU_E_NS1_11comp_targetILNS1_3genE10ELNS1_11target_archE1201ELNS1_3gpuE5ELNS1_3repE0EEENS1_30default_config_static_selectorELNS0_4arch9wavefront6targetE0EEEvT1_
; %bb.0:
	s_endpgm
	.section	.rodata,"a",@progbits
	.p2align	6, 0x0
	.amdhsa_kernel _ZN7rocprim17ROCPRIM_400000_NS6detail17trampoline_kernelINS0_14default_configENS1_20scan_config_selectorIN3c107complexIfEEEEZZNS1_9scan_implILNS1_25lookback_scan_determinismE0ELb0ELb0ES3_PKS7_PS7_S7_ZZZN2at6native31launch_logcumsumexp_cuda_kernelERKNSE_10TensorBaseESI_lENKUlvE_clEvENKUlvE2_clEvEUlS7_S7_E_S7_EEDaPvRmT3_T4_T5_mT6_P12ihipStream_tbENKUlT_T0_E_clISt17integral_constantIbLb1EESZ_EEDaSU_SV_EUlSU_E_NS1_11comp_targetILNS1_3genE10ELNS1_11target_archE1201ELNS1_3gpuE5ELNS1_3repE0EEENS1_30default_config_static_selectorELNS0_4arch9wavefront6targetE0EEEvT1_
		.amdhsa_group_segment_fixed_size 0
		.amdhsa_private_segment_fixed_size 0
		.amdhsa_kernarg_size 104
		.amdhsa_user_sgpr_count 2
		.amdhsa_user_sgpr_dispatch_ptr 0
		.amdhsa_user_sgpr_queue_ptr 0
		.amdhsa_user_sgpr_kernarg_segment_ptr 1
		.amdhsa_user_sgpr_dispatch_id 0
		.amdhsa_user_sgpr_private_segment_size 0
		.amdhsa_wavefront_size32 1
		.amdhsa_uses_dynamic_stack 0
		.amdhsa_enable_private_segment 0
		.amdhsa_system_sgpr_workgroup_id_x 1
		.amdhsa_system_sgpr_workgroup_id_y 0
		.amdhsa_system_sgpr_workgroup_id_z 0
		.amdhsa_system_sgpr_workgroup_info 0
		.amdhsa_system_vgpr_workitem_id 0
		.amdhsa_next_free_vgpr 1
		.amdhsa_next_free_sgpr 1
		.amdhsa_reserve_vcc 0
		.amdhsa_float_round_mode_32 0
		.amdhsa_float_round_mode_16_64 0
		.amdhsa_float_denorm_mode_32 3
		.amdhsa_float_denorm_mode_16_64 3
		.amdhsa_fp16_overflow 0
		.amdhsa_workgroup_processor_mode 1
		.amdhsa_memory_ordered 1
		.amdhsa_forward_progress 1
		.amdhsa_inst_pref_size 1
		.amdhsa_round_robin_scheduling 0
		.amdhsa_exception_fp_ieee_invalid_op 0
		.amdhsa_exception_fp_denorm_src 0
		.amdhsa_exception_fp_ieee_div_zero 0
		.amdhsa_exception_fp_ieee_overflow 0
		.amdhsa_exception_fp_ieee_underflow 0
		.amdhsa_exception_fp_ieee_inexact 0
		.amdhsa_exception_int_div_zero 0
	.end_amdhsa_kernel
	.section	.text._ZN7rocprim17ROCPRIM_400000_NS6detail17trampoline_kernelINS0_14default_configENS1_20scan_config_selectorIN3c107complexIfEEEEZZNS1_9scan_implILNS1_25lookback_scan_determinismE0ELb0ELb0ES3_PKS7_PS7_S7_ZZZN2at6native31launch_logcumsumexp_cuda_kernelERKNSE_10TensorBaseESI_lENKUlvE_clEvENKUlvE2_clEvEUlS7_S7_E_S7_EEDaPvRmT3_T4_T5_mT6_P12ihipStream_tbENKUlT_T0_E_clISt17integral_constantIbLb1EESZ_EEDaSU_SV_EUlSU_E_NS1_11comp_targetILNS1_3genE10ELNS1_11target_archE1201ELNS1_3gpuE5ELNS1_3repE0EEENS1_30default_config_static_selectorELNS0_4arch9wavefront6targetE0EEEvT1_,"axG",@progbits,_ZN7rocprim17ROCPRIM_400000_NS6detail17trampoline_kernelINS0_14default_configENS1_20scan_config_selectorIN3c107complexIfEEEEZZNS1_9scan_implILNS1_25lookback_scan_determinismE0ELb0ELb0ES3_PKS7_PS7_S7_ZZZN2at6native31launch_logcumsumexp_cuda_kernelERKNSE_10TensorBaseESI_lENKUlvE_clEvENKUlvE2_clEvEUlS7_S7_E_S7_EEDaPvRmT3_T4_T5_mT6_P12ihipStream_tbENKUlT_T0_E_clISt17integral_constantIbLb1EESZ_EEDaSU_SV_EUlSU_E_NS1_11comp_targetILNS1_3genE10ELNS1_11target_archE1201ELNS1_3gpuE5ELNS1_3repE0EEENS1_30default_config_static_selectorELNS0_4arch9wavefront6targetE0EEEvT1_,comdat
.Lfunc_end296:
	.size	_ZN7rocprim17ROCPRIM_400000_NS6detail17trampoline_kernelINS0_14default_configENS1_20scan_config_selectorIN3c107complexIfEEEEZZNS1_9scan_implILNS1_25lookback_scan_determinismE0ELb0ELb0ES3_PKS7_PS7_S7_ZZZN2at6native31launch_logcumsumexp_cuda_kernelERKNSE_10TensorBaseESI_lENKUlvE_clEvENKUlvE2_clEvEUlS7_S7_E_S7_EEDaPvRmT3_T4_T5_mT6_P12ihipStream_tbENKUlT_T0_E_clISt17integral_constantIbLb1EESZ_EEDaSU_SV_EUlSU_E_NS1_11comp_targetILNS1_3genE10ELNS1_11target_archE1201ELNS1_3gpuE5ELNS1_3repE0EEENS1_30default_config_static_selectorELNS0_4arch9wavefront6targetE0EEEvT1_, .Lfunc_end296-_ZN7rocprim17ROCPRIM_400000_NS6detail17trampoline_kernelINS0_14default_configENS1_20scan_config_selectorIN3c107complexIfEEEEZZNS1_9scan_implILNS1_25lookback_scan_determinismE0ELb0ELb0ES3_PKS7_PS7_S7_ZZZN2at6native31launch_logcumsumexp_cuda_kernelERKNSE_10TensorBaseESI_lENKUlvE_clEvENKUlvE2_clEvEUlS7_S7_E_S7_EEDaPvRmT3_T4_T5_mT6_P12ihipStream_tbENKUlT_T0_E_clISt17integral_constantIbLb1EESZ_EEDaSU_SV_EUlSU_E_NS1_11comp_targetILNS1_3genE10ELNS1_11target_archE1201ELNS1_3gpuE5ELNS1_3repE0EEENS1_30default_config_static_selectorELNS0_4arch9wavefront6targetE0EEEvT1_
                                        ; -- End function
	.set _ZN7rocprim17ROCPRIM_400000_NS6detail17trampoline_kernelINS0_14default_configENS1_20scan_config_selectorIN3c107complexIfEEEEZZNS1_9scan_implILNS1_25lookback_scan_determinismE0ELb0ELb0ES3_PKS7_PS7_S7_ZZZN2at6native31launch_logcumsumexp_cuda_kernelERKNSE_10TensorBaseESI_lENKUlvE_clEvENKUlvE2_clEvEUlS7_S7_E_S7_EEDaPvRmT3_T4_T5_mT6_P12ihipStream_tbENKUlT_T0_E_clISt17integral_constantIbLb1EESZ_EEDaSU_SV_EUlSU_E_NS1_11comp_targetILNS1_3genE10ELNS1_11target_archE1201ELNS1_3gpuE5ELNS1_3repE0EEENS1_30default_config_static_selectorELNS0_4arch9wavefront6targetE0EEEvT1_.num_vgpr, 0
	.set _ZN7rocprim17ROCPRIM_400000_NS6detail17trampoline_kernelINS0_14default_configENS1_20scan_config_selectorIN3c107complexIfEEEEZZNS1_9scan_implILNS1_25lookback_scan_determinismE0ELb0ELb0ES3_PKS7_PS7_S7_ZZZN2at6native31launch_logcumsumexp_cuda_kernelERKNSE_10TensorBaseESI_lENKUlvE_clEvENKUlvE2_clEvEUlS7_S7_E_S7_EEDaPvRmT3_T4_T5_mT6_P12ihipStream_tbENKUlT_T0_E_clISt17integral_constantIbLb1EESZ_EEDaSU_SV_EUlSU_E_NS1_11comp_targetILNS1_3genE10ELNS1_11target_archE1201ELNS1_3gpuE5ELNS1_3repE0EEENS1_30default_config_static_selectorELNS0_4arch9wavefront6targetE0EEEvT1_.num_agpr, 0
	.set _ZN7rocprim17ROCPRIM_400000_NS6detail17trampoline_kernelINS0_14default_configENS1_20scan_config_selectorIN3c107complexIfEEEEZZNS1_9scan_implILNS1_25lookback_scan_determinismE0ELb0ELb0ES3_PKS7_PS7_S7_ZZZN2at6native31launch_logcumsumexp_cuda_kernelERKNSE_10TensorBaseESI_lENKUlvE_clEvENKUlvE2_clEvEUlS7_S7_E_S7_EEDaPvRmT3_T4_T5_mT6_P12ihipStream_tbENKUlT_T0_E_clISt17integral_constantIbLb1EESZ_EEDaSU_SV_EUlSU_E_NS1_11comp_targetILNS1_3genE10ELNS1_11target_archE1201ELNS1_3gpuE5ELNS1_3repE0EEENS1_30default_config_static_selectorELNS0_4arch9wavefront6targetE0EEEvT1_.numbered_sgpr, 0
	.set _ZN7rocprim17ROCPRIM_400000_NS6detail17trampoline_kernelINS0_14default_configENS1_20scan_config_selectorIN3c107complexIfEEEEZZNS1_9scan_implILNS1_25lookback_scan_determinismE0ELb0ELb0ES3_PKS7_PS7_S7_ZZZN2at6native31launch_logcumsumexp_cuda_kernelERKNSE_10TensorBaseESI_lENKUlvE_clEvENKUlvE2_clEvEUlS7_S7_E_S7_EEDaPvRmT3_T4_T5_mT6_P12ihipStream_tbENKUlT_T0_E_clISt17integral_constantIbLb1EESZ_EEDaSU_SV_EUlSU_E_NS1_11comp_targetILNS1_3genE10ELNS1_11target_archE1201ELNS1_3gpuE5ELNS1_3repE0EEENS1_30default_config_static_selectorELNS0_4arch9wavefront6targetE0EEEvT1_.num_named_barrier, 0
	.set _ZN7rocprim17ROCPRIM_400000_NS6detail17trampoline_kernelINS0_14default_configENS1_20scan_config_selectorIN3c107complexIfEEEEZZNS1_9scan_implILNS1_25lookback_scan_determinismE0ELb0ELb0ES3_PKS7_PS7_S7_ZZZN2at6native31launch_logcumsumexp_cuda_kernelERKNSE_10TensorBaseESI_lENKUlvE_clEvENKUlvE2_clEvEUlS7_S7_E_S7_EEDaPvRmT3_T4_T5_mT6_P12ihipStream_tbENKUlT_T0_E_clISt17integral_constantIbLb1EESZ_EEDaSU_SV_EUlSU_E_NS1_11comp_targetILNS1_3genE10ELNS1_11target_archE1201ELNS1_3gpuE5ELNS1_3repE0EEENS1_30default_config_static_selectorELNS0_4arch9wavefront6targetE0EEEvT1_.private_seg_size, 0
	.set _ZN7rocprim17ROCPRIM_400000_NS6detail17trampoline_kernelINS0_14default_configENS1_20scan_config_selectorIN3c107complexIfEEEEZZNS1_9scan_implILNS1_25lookback_scan_determinismE0ELb0ELb0ES3_PKS7_PS7_S7_ZZZN2at6native31launch_logcumsumexp_cuda_kernelERKNSE_10TensorBaseESI_lENKUlvE_clEvENKUlvE2_clEvEUlS7_S7_E_S7_EEDaPvRmT3_T4_T5_mT6_P12ihipStream_tbENKUlT_T0_E_clISt17integral_constantIbLb1EESZ_EEDaSU_SV_EUlSU_E_NS1_11comp_targetILNS1_3genE10ELNS1_11target_archE1201ELNS1_3gpuE5ELNS1_3repE0EEENS1_30default_config_static_selectorELNS0_4arch9wavefront6targetE0EEEvT1_.uses_vcc, 0
	.set _ZN7rocprim17ROCPRIM_400000_NS6detail17trampoline_kernelINS0_14default_configENS1_20scan_config_selectorIN3c107complexIfEEEEZZNS1_9scan_implILNS1_25lookback_scan_determinismE0ELb0ELb0ES3_PKS7_PS7_S7_ZZZN2at6native31launch_logcumsumexp_cuda_kernelERKNSE_10TensorBaseESI_lENKUlvE_clEvENKUlvE2_clEvEUlS7_S7_E_S7_EEDaPvRmT3_T4_T5_mT6_P12ihipStream_tbENKUlT_T0_E_clISt17integral_constantIbLb1EESZ_EEDaSU_SV_EUlSU_E_NS1_11comp_targetILNS1_3genE10ELNS1_11target_archE1201ELNS1_3gpuE5ELNS1_3repE0EEENS1_30default_config_static_selectorELNS0_4arch9wavefront6targetE0EEEvT1_.uses_flat_scratch, 0
	.set _ZN7rocprim17ROCPRIM_400000_NS6detail17trampoline_kernelINS0_14default_configENS1_20scan_config_selectorIN3c107complexIfEEEEZZNS1_9scan_implILNS1_25lookback_scan_determinismE0ELb0ELb0ES3_PKS7_PS7_S7_ZZZN2at6native31launch_logcumsumexp_cuda_kernelERKNSE_10TensorBaseESI_lENKUlvE_clEvENKUlvE2_clEvEUlS7_S7_E_S7_EEDaPvRmT3_T4_T5_mT6_P12ihipStream_tbENKUlT_T0_E_clISt17integral_constantIbLb1EESZ_EEDaSU_SV_EUlSU_E_NS1_11comp_targetILNS1_3genE10ELNS1_11target_archE1201ELNS1_3gpuE5ELNS1_3repE0EEENS1_30default_config_static_selectorELNS0_4arch9wavefront6targetE0EEEvT1_.has_dyn_sized_stack, 0
	.set _ZN7rocprim17ROCPRIM_400000_NS6detail17trampoline_kernelINS0_14default_configENS1_20scan_config_selectorIN3c107complexIfEEEEZZNS1_9scan_implILNS1_25lookback_scan_determinismE0ELb0ELb0ES3_PKS7_PS7_S7_ZZZN2at6native31launch_logcumsumexp_cuda_kernelERKNSE_10TensorBaseESI_lENKUlvE_clEvENKUlvE2_clEvEUlS7_S7_E_S7_EEDaPvRmT3_T4_T5_mT6_P12ihipStream_tbENKUlT_T0_E_clISt17integral_constantIbLb1EESZ_EEDaSU_SV_EUlSU_E_NS1_11comp_targetILNS1_3genE10ELNS1_11target_archE1201ELNS1_3gpuE5ELNS1_3repE0EEENS1_30default_config_static_selectorELNS0_4arch9wavefront6targetE0EEEvT1_.has_recursion, 0
	.set _ZN7rocprim17ROCPRIM_400000_NS6detail17trampoline_kernelINS0_14default_configENS1_20scan_config_selectorIN3c107complexIfEEEEZZNS1_9scan_implILNS1_25lookback_scan_determinismE0ELb0ELb0ES3_PKS7_PS7_S7_ZZZN2at6native31launch_logcumsumexp_cuda_kernelERKNSE_10TensorBaseESI_lENKUlvE_clEvENKUlvE2_clEvEUlS7_S7_E_S7_EEDaPvRmT3_T4_T5_mT6_P12ihipStream_tbENKUlT_T0_E_clISt17integral_constantIbLb1EESZ_EEDaSU_SV_EUlSU_E_NS1_11comp_targetILNS1_3genE10ELNS1_11target_archE1201ELNS1_3gpuE5ELNS1_3repE0EEENS1_30default_config_static_selectorELNS0_4arch9wavefront6targetE0EEEvT1_.has_indirect_call, 0
	.section	.AMDGPU.csdata,"",@progbits
; Kernel info:
; codeLenInByte = 4
; TotalNumSgprs: 0
; NumVgprs: 0
; ScratchSize: 0
; MemoryBound: 0
; FloatMode: 240
; IeeeMode: 1
; LDSByteSize: 0 bytes/workgroup (compile time only)
; SGPRBlocks: 0
; VGPRBlocks: 0
; NumSGPRsForWavesPerEU: 1
; NumVGPRsForWavesPerEU: 1
; Occupancy: 16
; WaveLimiterHint : 0
; COMPUTE_PGM_RSRC2:SCRATCH_EN: 0
; COMPUTE_PGM_RSRC2:USER_SGPR: 2
; COMPUTE_PGM_RSRC2:TRAP_HANDLER: 0
; COMPUTE_PGM_RSRC2:TGID_X_EN: 1
; COMPUTE_PGM_RSRC2:TGID_Y_EN: 0
; COMPUTE_PGM_RSRC2:TGID_Z_EN: 0
; COMPUTE_PGM_RSRC2:TIDIG_COMP_CNT: 0
	.section	.text._ZN7rocprim17ROCPRIM_400000_NS6detail17trampoline_kernelINS0_14default_configENS1_20scan_config_selectorIN3c107complexIfEEEEZZNS1_9scan_implILNS1_25lookback_scan_determinismE0ELb0ELb0ES3_PKS7_PS7_S7_ZZZN2at6native31launch_logcumsumexp_cuda_kernelERKNSE_10TensorBaseESI_lENKUlvE_clEvENKUlvE2_clEvEUlS7_S7_E_S7_EEDaPvRmT3_T4_T5_mT6_P12ihipStream_tbENKUlT_T0_E_clISt17integral_constantIbLb1EESZ_EEDaSU_SV_EUlSU_E_NS1_11comp_targetILNS1_3genE10ELNS1_11target_archE1200ELNS1_3gpuE4ELNS1_3repE0EEENS1_30default_config_static_selectorELNS0_4arch9wavefront6targetE0EEEvT1_,"axG",@progbits,_ZN7rocprim17ROCPRIM_400000_NS6detail17trampoline_kernelINS0_14default_configENS1_20scan_config_selectorIN3c107complexIfEEEEZZNS1_9scan_implILNS1_25lookback_scan_determinismE0ELb0ELb0ES3_PKS7_PS7_S7_ZZZN2at6native31launch_logcumsumexp_cuda_kernelERKNSE_10TensorBaseESI_lENKUlvE_clEvENKUlvE2_clEvEUlS7_S7_E_S7_EEDaPvRmT3_T4_T5_mT6_P12ihipStream_tbENKUlT_T0_E_clISt17integral_constantIbLb1EESZ_EEDaSU_SV_EUlSU_E_NS1_11comp_targetILNS1_3genE10ELNS1_11target_archE1200ELNS1_3gpuE4ELNS1_3repE0EEENS1_30default_config_static_selectorELNS0_4arch9wavefront6targetE0EEEvT1_,comdat
	.globl	_ZN7rocprim17ROCPRIM_400000_NS6detail17trampoline_kernelINS0_14default_configENS1_20scan_config_selectorIN3c107complexIfEEEEZZNS1_9scan_implILNS1_25lookback_scan_determinismE0ELb0ELb0ES3_PKS7_PS7_S7_ZZZN2at6native31launch_logcumsumexp_cuda_kernelERKNSE_10TensorBaseESI_lENKUlvE_clEvENKUlvE2_clEvEUlS7_S7_E_S7_EEDaPvRmT3_T4_T5_mT6_P12ihipStream_tbENKUlT_T0_E_clISt17integral_constantIbLb1EESZ_EEDaSU_SV_EUlSU_E_NS1_11comp_targetILNS1_3genE10ELNS1_11target_archE1200ELNS1_3gpuE4ELNS1_3repE0EEENS1_30default_config_static_selectorELNS0_4arch9wavefront6targetE0EEEvT1_ ; -- Begin function _ZN7rocprim17ROCPRIM_400000_NS6detail17trampoline_kernelINS0_14default_configENS1_20scan_config_selectorIN3c107complexIfEEEEZZNS1_9scan_implILNS1_25lookback_scan_determinismE0ELb0ELb0ES3_PKS7_PS7_S7_ZZZN2at6native31launch_logcumsumexp_cuda_kernelERKNSE_10TensorBaseESI_lENKUlvE_clEvENKUlvE2_clEvEUlS7_S7_E_S7_EEDaPvRmT3_T4_T5_mT6_P12ihipStream_tbENKUlT_T0_E_clISt17integral_constantIbLb1EESZ_EEDaSU_SV_EUlSU_E_NS1_11comp_targetILNS1_3genE10ELNS1_11target_archE1200ELNS1_3gpuE4ELNS1_3repE0EEENS1_30default_config_static_selectorELNS0_4arch9wavefront6targetE0EEEvT1_
	.p2align	8
	.type	_ZN7rocprim17ROCPRIM_400000_NS6detail17trampoline_kernelINS0_14default_configENS1_20scan_config_selectorIN3c107complexIfEEEEZZNS1_9scan_implILNS1_25lookback_scan_determinismE0ELb0ELb0ES3_PKS7_PS7_S7_ZZZN2at6native31launch_logcumsumexp_cuda_kernelERKNSE_10TensorBaseESI_lENKUlvE_clEvENKUlvE2_clEvEUlS7_S7_E_S7_EEDaPvRmT3_T4_T5_mT6_P12ihipStream_tbENKUlT_T0_E_clISt17integral_constantIbLb1EESZ_EEDaSU_SV_EUlSU_E_NS1_11comp_targetILNS1_3genE10ELNS1_11target_archE1200ELNS1_3gpuE4ELNS1_3repE0EEENS1_30default_config_static_selectorELNS0_4arch9wavefront6targetE0EEEvT1_,@function
_ZN7rocprim17ROCPRIM_400000_NS6detail17trampoline_kernelINS0_14default_configENS1_20scan_config_selectorIN3c107complexIfEEEEZZNS1_9scan_implILNS1_25lookback_scan_determinismE0ELb0ELb0ES3_PKS7_PS7_S7_ZZZN2at6native31launch_logcumsumexp_cuda_kernelERKNSE_10TensorBaseESI_lENKUlvE_clEvENKUlvE2_clEvEUlS7_S7_E_S7_EEDaPvRmT3_T4_T5_mT6_P12ihipStream_tbENKUlT_T0_E_clISt17integral_constantIbLb1EESZ_EEDaSU_SV_EUlSU_E_NS1_11comp_targetILNS1_3genE10ELNS1_11target_archE1200ELNS1_3gpuE4ELNS1_3repE0EEENS1_30default_config_static_selectorELNS0_4arch9wavefront6targetE0EEEvT1_: ; @_ZN7rocprim17ROCPRIM_400000_NS6detail17trampoline_kernelINS0_14default_configENS1_20scan_config_selectorIN3c107complexIfEEEEZZNS1_9scan_implILNS1_25lookback_scan_determinismE0ELb0ELb0ES3_PKS7_PS7_S7_ZZZN2at6native31launch_logcumsumexp_cuda_kernelERKNSE_10TensorBaseESI_lENKUlvE_clEvENKUlvE2_clEvEUlS7_S7_E_S7_EEDaPvRmT3_T4_T5_mT6_P12ihipStream_tbENKUlT_T0_E_clISt17integral_constantIbLb1EESZ_EEDaSU_SV_EUlSU_E_NS1_11comp_targetILNS1_3genE10ELNS1_11target_archE1200ELNS1_3gpuE4ELNS1_3repE0EEENS1_30default_config_static_selectorELNS0_4arch9wavefront6targetE0EEEvT1_
; %bb.0:
	.section	.rodata,"a",@progbits
	.p2align	6, 0x0
	.amdhsa_kernel _ZN7rocprim17ROCPRIM_400000_NS6detail17trampoline_kernelINS0_14default_configENS1_20scan_config_selectorIN3c107complexIfEEEEZZNS1_9scan_implILNS1_25lookback_scan_determinismE0ELb0ELb0ES3_PKS7_PS7_S7_ZZZN2at6native31launch_logcumsumexp_cuda_kernelERKNSE_10TensorBaseESI_lENKUlvE_clEvENKUlvE2_clEvEUlS7_S7_E_S7_EEDaPvRmT3_T4_T5_mT6_P12ihipStream_tbENKUlT_T0_E_clISt17integral_constantIbLb1EESZ_EEDaSU_SV_EUlSU_E_NS1_11comp_targetILNS1_3genE10ELNS1_11target_archE1200ELNS1_3gpuE4ELNS1_3repE0EEENS1_30default_config_static_selectorELNS0_4arch9wavefront6targetE0EEEvT1_
		.amdhsa_group_segment_fixed_size 0
		.amdhsa_private_segment_fixed_size 0
		.amdhsa_kernarg_size 104
		.amdhsa_user_sgpr_count 2
		.amdhsa_user_sgpr_dispatch_ptr 0
		.amdhsa_user_sgpr_queue_ptr 0
		.amdhsa_user_sgpr_kernarg_segment_ptr 1
		.amdhsa_user_sgpr_dispatch_id 0
		.amdhsa_user_sgpr_private_segment_size 0
		.amdhsa_wavefront_size32 1
		.amdhsa_uses_dynamic_stack 0
		.amdhsa_enable_private_segment 0
		.amdhsa_system_sgpr_workgroup_id_x 1
		.amdhsa_system_sgpr_workgroup_id_y 0
		.amdhsa_system_sgpr_workgroup_id_z 0
		.amdhsa_system_sgpr_workgroup_info 0
		.amdhsa_system_vgpr_workitem_id 0
		.amdhsa_next_free_vgpr 1
		.amdhsa_next_free_sgpr 1
		.amdhsa_reserve_vcc 0
		.amdhsa_float_round_mode_32 0
		.amdhsa_float_round_mode_16_64 0
		.amdhsa_float_denorm_mode_32 3
		.amdhsa_float_denorm_mode_16_64 3
		.amdhsa_fp16_overflow 0
		.amdhsa_workgroup_processor_mode 1
		.amdhsa_memory_ordered 1
		.amdhsa_forward_progress 1
		.amdhsa_inst_pref_size 0
		.amdhsa_round_robin_scheduling 0
		.amdhsa_exception_fp_ieee_invalid_op 0
		.amdhsa_exception_fp_denorm_src 0
		.amdhsa_exception_fp_ieee_div_zero 0
		.amdhsa_exception_fp_ieee_overflow 0
		.amdhsa_exception_fp_ieee_underflow 0
		.amdhsa_exception_fp_ieee_inexact 0
		.amdhsa_exception_int_div_zero 0
	.end_amdhsa_kernel
	.section	.text._ZN7rocprim17ROCPRIM_400000_NS6detail17trampoline_kernelINS0_14default_configENS1_20scan_config_selectorIN3c107complexIfEEEEZZNS1_9scan_implILNS1_25lookback_scan_determinismE0ELb0ELb0ES3_PKS7_PS7_S7_ZZZN2at6native31launch_logcumsumexp_cuda_kernelERKNSE_10TensorBaseESI_lENKUlvE_clEvENKUlvE2_clEvEUlS7_S7_E_S7_EEDaPvRmT3_T4_T5_mT6_P12ihipStream_tbENKUlT_T0_E_clISt17integral_constantIbLb1EESZ_EEDaSU_SV_EUlSU_E_NS1_11comp_targetILNS1_3genE10ELNS1_11target_archE1200ELNS1_3gpuE4ELNS1_3repE0EEENS1_30default_config_static_selectorELNS0_4arch9wavefront6targetE0EEEvT1_,"axG",@progbits,_ZN7rocprim17ROCPRIM_400000_NS6detail17trampoline_kernelINS0_14default_configENS1_20scan_config_selectorIN3c107complexIfEEEEZZNS1_9scan_implILNS1_25lookback_scan_determinismE0ELb0ELb0ES3_PKS7_PS7_S7_ZZZN2at6native31launch_logcumsumexp_cuda_kernelERKNSE_10TensorBaseESI_lENKUlvE_clEvENKUlvE2_clEvEUlS7_S7_E_S7_EEDaPvRmT3_T4_T5_mT6_P12ihipStream_tbENKUlT_T0_E_clISt17integral_constantIbLb1EESZ_EEDaSU_SV_EUlSU_E_NS1_11comp_targetILNS1_3genE10ELNS1_11target_archE1200ELNS1_3gpuE4ELNS1_3repE0EEENS1_30default_config_static_selectorELNS0_4arch9wavefront6targetE0EEEvT1_,comdat
.Lfunc_end297:
	.size	_ZN7rocprim17ROCPRIM_400000_NS6detail17trampoline_kernelINS0_14default_configENS1_20scan_config_selectorIN3c107complexIfEEEEZZNS1_9scan_implILNS1_25lookback_scan_determinismE0ELb0ELb0ES3_PKS7_PS7_S7_ZZZN2at6native31launch_logcumsumexp_cuda_kernelERKNSE_10TensorBaseESI_lENKUlvE_clEvENKUlvE2_clEvEUlS7_S7_E_S7_EEDaPvRmT3_T4_T5_mT6_P12ihipStream_tbENKUlT_T0_E_clISt17integral_constantIbLb1EESZ_EEDaSU_SV_EUlSU_E_NS1_11comp_targetILNS1_3genE10ELNS1_11target_archE1200ELNS1_3gpuE4ELNS1_3repE0EEENS1_30default_config_static_selectorELNS0_4arch9wavefront6targetE0EEEvT1_, .Lfunc_end297-_ZN7rocprim17ROCPRIM_400000_NS6detail17trampoline_kernelINS0_14default_configENS1_20scan_config_selectorIN3c107complexIfEEEEZZNS1_9scan_implILNS1_25lookback_scan_determinismE0ELb0ELb0ES3_PKS7_PS7_S7_ZZZN2at6native31launch_logcumsumexp_cuda_kernelERKNSE_10TensorBaseESI_lENKUlvE_clEvENKUlvE2_clEvEUlS7_S7_E_S7_EEDaPvRmT3_T4_T5_mT6_P12ihipStream_tbENKUlT_T0_E_clISt17integral_constantIbLb1EESZ_EEDaSU_SV_EUlSU_E_NS1_11comp_targetILNS1_3genE10ELNS1_11target_archE1200ELNS1_3gpuE4ELNS1_3repE0EEENS1_30default_config_static_selectorELNS0_4arch9wavefront6targetE0EEEvT1_
                                        ; -- End function
	.set _ZN7rocprim17ROCPRIM_400000_NS6detail17trampoline_kernelINS0_14default_configENS1_20scan_config_selectorIN3c107complexIfEEEEZZNS1_9scan_implILNS1_25lookback_scan_determinismE0ELb0ELb0ES3_PKS7_PS7_S7_ZZZN2at6native31launch_logcumsumexp_cuda_kernelERKNSE_10TensorBaseESI_lENKUlvE_clEvENKUlvE2_clEvEUlS7_S7_E_S7_EEDaPvRmT3_T4_T5_mT6_P12ihipStream_tbENKUlT_T0_E_clISt17integral_constantIbLb1EESZ_EEDaSU_SV_EUlSU_E_NS1_11comp_targetILNS1_3genE10ELNS1_11target_archE1200ELNS1_3gpuE4ELNS1_3repE0EEENS1_30default_config_static_selectorELNS0_4arch9wavefront6targetE0EEEvT1_.num_vgpr, 0
	.set _ZN7rocprim17ROCPRIM_400000_NS6detail17trampoline_kernelINS0_14default_configENS1_20scan_config_selectorIN3c107complexIfEEEEZZNS1_9scan_implILNS1_25lookback_scan_determinismE0ELb0ELb0ES3_PKS7_PS7_S7_ZZZN2at6native31launch_logcumsumexp_cuda_kernelERKNSE_10TensorBaseESI_lENKUlvE_clEvENKUlvE2_clEvEUlS7_S7_E_S7_EEDaPvRmT3_T4_T5_mT6_P12ihipStream_tbENKUlT_T0_E_clISt17integral_constantIbLb1EESZ_EEDaSU_SV_EUlSU_E_NS1_11comp_targetILNS1_3genE10ELNS1_11target_archE1200ELNS1_3gpuE4ELNS1_3repE0EEENS1_30default_config_static_selectorELNS0_4arch9wavefront6targetE0EEEvT1_.num_agpr, 0
	.set _ZN7rocprim17ROCPRIM_400000_NS6detail17trampoline_kernelINS0_14default_configENS1_20scan_config_selectorIN3c107complexIfEEEEZZNS1_9scan_implILNS1_25lookback_scan_determinismE0ELb0ELb0ES3_PKS7_PS7_S7_ZZZN2at6native31launch_logcumsumexp_cuda_kernelERKNSE_10TensorBaseESI_lENKUlvE_clEvENKUlvE2_clEvEUlS7_S7_E_S7_EEDaPvRmT3_T4_T5_mT6_P12ihipStream_tbENKUlT_T0_E_clISt17integral_constantIbLb1EESZ_EEDaSU_SV_EUlSU_E_NS1_11comp_targetILNS1_3genE10ELNS1_11target_archE1200ELNS1_3gpuE4ELNS1_3repE0EEENS1_30default_config_static_selectorELNS0_4arch9wavefront6targetE0EEEvT1_.numbered_sgpr, 0
	.set _ZN7rocprim17ROCPRIM_400000_NS6detail17trampoline_kernelINS0_14default_configENS1_20scan_config_selectorIN3c107complexIfEEEEZZNS1_9scan_implILNS1_25lookback_scan_determinismE0ELb0ELb0ES3_PKS7_PS7_S7_ZZZN2at6native31launch_logcumsumexp_cuda_kernelERKNSE_10TensorBaseESI_lENKUlvE_clEvENKUlvE2_clEvEUlS7_S7_E_S7_EEDaPvRmT3_T4_T5_mT6_P12ihipStream_tbENKUlT_T0_E_clISt17integral_constantIbLb1EESZ_EEDaSU_SV_EUlSU_E_NS1_11comp_targetILNS1_3genE10ELNS1_11target_archE1200ELNS1_3gpuE4ELNS1_3repE0EEENS1_30default_config_static_selectorELNS0_4arch9wavefront6targetE0EEEvT1_.num_named_barrier, 0
	.set _ZN7rocprim17ROCPRIM_400000_NS6detail17trampoline_kernelINS0_14default_configENS1_20scan_config_selectorIN3c107complexIfEEEEZZNS1_9scan_implILNS1_25lookback_scan_determinismE0ELb0ELb0ES3_PKS7_PS7_S7_ZZZN2at6native31launch_logcumsumexp_cuda_kernelERKNSE_10TensorBaseESI_lENKUlvE_clEvENKUlvE2_clEvEUlS7_S7_E_S7_EEDaPvRmT3_T4_T5_mT6_P12ihipStream_tbENKUlT_T0_E_clISt17integral_constantIbLb1EESZ_EEDaSU_SV_EUlSU_E_NS1_11comp_targetILNS1_3genE10ELNS1_11target_archE1200ELNS1_3gpuE4ELNS1_3repE0EEENS1_30default_config_static_selectorELNS0_4arch9wavefront6targetE0EEEvT1_.private_seg_size, 0
	.set _ZN7rocprim17ROCPRIM_400000_NS6detail17trampoline_kernelINS0_14default_configENS1_20scan_config_selectorIN3c107complexIfEEEEZZNS1_9scan_implILNS1_25lookback_scan_determinismE0ELb0ELb0ES3_PKS7_PS7_S7_ZZZN2at6native31launch_logcumsumexp_cuda_kernelERKNSE_10TensorBaseESI_lENKUlvE_clEvENKUlvE2_clEvEUlS7_S7_E_S7_EEDaPvRmT3_T4_T5_mT6_P12ihipStream_tbENKUlT_T0_E_clISt17integral_constantIbLb1EESZ_EEDaSU_SV_EUlSU_E_NS1_11comp_targetILNS1_3genE10ELNS1_11target_archE1200ELNS1_3gpuE4ELNS1_3repE0EEENS1_30default_config_static_selectorELNS0_4arch9wavefront6targetE0EEEvT1_.uses_vcc, 0
	.set _ZN7rocprim17ROCPRIM_400000_NS6detail17trampoline_kernelINS0_14default_configENS1_20scan_config_selectorIN3c107complexIfEEEEZZNS1_9scan_implILNS1_25lookback_scan_determinismE0ELb0ELb0ES3_PKS7_PS7_S7_ZZZN2at6native31launch_logcumsumexp_cuda_kernelERKNSE_10TensorBaseESI_lENKUlvE_clEvENKUlvE2_clEvEUlS7_S7_E_S7_EEDaPvRmT3_T4_T5_mT6_P12ihipStream_tbENKUlT_T0_E_clISt17integral_constantIbLb1EESZ_EEDaSU_SV_EUlSU_E_NS1_11comp_targetILNS1_3genE10ELNS1_11target_archE1200ELNS1_3gpuE4ELNS1_3repE0EEENS1_30default_config_static_selectorELNS0_4arch9wavefront6targetE0EEEvT1_.uses_flat_scratch, 0
	.set _ZN7rocprim17ROCPRIM_400000_NS6detail17trampoline_kernelINS0_14default_configENS1_20scan_config_selectorIN3c107complexIfEEEEZZNS1_9scan_implILNS1_25lookback_scan_determinismE0ELb0ELb0ES3_PKS7_PS7_S7_ZZZN2at6native31launch_logcumsumexp_cuda_kernelERKNSE_10TensorBaseESI_lENKUlvE_clEvENKUlvE2_clEvEUlS7_S7_E_S7_EEDaPvRmT3_T4_T5_mT6_P12ihipStream_tbENKUlT_T0_E_clISt17integral_constantIbLb1EESZ_EEDaSU_SV_EUlSU_E_NS1_11comp_targetILNS1_3genE10ELNS1_11target_archE1200ELNS1_3gpuE4ELNS1_3repE0EEENS1_30default_config_static_selectorELNS0_4arch9wavefront6targetE0EEEvT1_.has_dyn_sized_stack, 0
	.set _ZN7rocprim17ROCPRIM_400000_NS6detail17trampoline_kernelINS0_14default_configENS1_20scan_config_selectorIN3c107complexIfEEEEZZNS1_9scan_implILNS1_25lookback_scan_determinismE0ELb0ELb0ES3_PKS7_PS7_S7_ZZZN2at6native31launch_logcumsumexp_cuda_kernelERKNSE_10TensorBaseESI_lENKUlvE_clEvENKUlvE2_clEvEUlS7_S7_E_S7_EEDaPvRmT3_T4_T5_mT6_P12ihipStream_tbENKUlT_T0_E_clISt17integral_constantIbLb1EESZ_EEDaSU_SV_EUlSU_E_NS1_11comp_targetILNS1_3genE10ELNS1_11target_archE1200ELNS1_3gpuE4ELNS1_3repE0EEENS1_30default_config_static_selectorELNS0_4arch9wavefront6targetE0EEEvT1_.has_recursion, 0
	.set _ZN7rocprim17ROCPRIM_400000_NS6detail17trampoline_kernelINS0_14default_configENS1_20scan_config_selectorIN3c107complexIfEEEEZZNS1_9scan_implILNS1_25lookback_scan_determinismE0ELb0ELb0ES3_PKS7_PS7_S7_ZZZN2at6native31launch_logcumsumexp_cuda_kernelERKNSE_10TensorBaseESI_lENKUlvE_clEvENKUlvE2_clEvEUlS7_S7_E_S7_EEDaPvRmT3_T4_T5_mT6_P12ihipStream_tbENKUlT_T0_E_clISt17integral_constantIbLb1EESZ_EEDaSU_SV_EUlSU_E_NS1_11comp_targetILNS1_3genE10ELNS1_11target_archE1200ELNS1_3gpuE4ELNS1_3repE0EEENS1_30default_config_static_selectorELNS0_4arch9wavefront6targetE0EEEvT1_.has_indirect_call, 0
	.section	.AMDGPU.csdata,"",@progbits
; Kernel info:
; codeLenInByte = 0
; TotalNumSgprs: 0
; NumVgprs: 0
; ScratchSize: 0
; MemoryBound: 0
; FloatMode: 240
; IeeeMode: 1
; LDSByteSize: 0 bytes/workgroup (compile time only)
; SGPRBlocks: 0
; VGPRBlocks: 0
; NumSGPRsForWavesPerEU: 1
; NumVGPRsForWavesPerEU: 1
; Occupancy: 16
; WaveLimiterHint : 0
; COMPUTE_PGM_RSRC2:SCRATCH_EN: 0
; COMPUTE_PGM_RSRC2:USER_SGPR: 2
; COMPUTE_PGM_RSRC2:TRAP_HANDLER: 0
; COMPUTE_PGM_RSRC2:TGID_X_EN: 1
; COMPUTE_PGM_RSRC2:TGID_Y_EN: 0
; COMPUTE_PGM_RSRC2:TGID_Z_EN: 0
; COMPUTE_PGM_RSRC2:TIDIG_COMP_CNT: 0
	.section	.text._ZN7rocprim17ROCPRIM_400000_NS6detail17trampoline_kernelINS0_14default_configENS1_20scan_config_selectorIN3c107complexIfEEEEZZNS1_9scan_implILNS1_25lookback_scan_determinismE0ELb0ELb0ES3_PKS7_PS7_S7_ZZZN2at6native31launch_logcumsumexp_cuda_kernelERKNSE_10TensorBaseESI_lENKUlvE_clEvENKUlvE2_clEvEUlS7_S7_E_S7_EEDaPvRmT3_T4_T5_mT6_P12ihipStream_tbENKUlT_T0_E_clISt17integral_constantIbLb1EESZ_EEDaSU_SV_EUlSU_E_NS1_11comp_targetILNS1_3genE9ELNS1_11target_archE1100ELNS1_3gpuE3ELNS1_3repE0EEENS1_30default_config_static_selectorELNS0_4arch9wavefront6targetE0EEEvT1_,"axG",@progbits,_ZN7rocprim17ROCPRIM_400000_NS6detail17trampoline_kernelINS0_14default_configENS1_20scan_config_selectorIN3c107complexIfEEEEZZNS1_9scan_implILNS1_25lookback_scan_determinismE0ELb0ELb0ES3_PKS7_PS7_S7_ZZZN2at6native31launch_logcumsumexp_cuda_kernelERKNSE_10TensorBaseESI_lENKUlvE_clEvENKUlvE2_clEvEUlS7_S7_E_S7_EEDaPvRmT3_T4_T5_mT6_P12ihipStream_tbENKUlT_T0_E_clISt17integral_constantIbLb1EESZ_EEDaSU_SV_EUlSU_E_NS1_11comp_targetILNS1_3genE9ELNS1_11target_archE1100ELNS1_3gpuE3ELNS1_3repE0EEENS1_30default_config_static_selectorELNS0_4arch9wavefront6targetE0EEEvT1_,comdat
	.globl	_ZN7rocprim17ROCPRIM_400000_NS6detail17trampoline_kernelINS0_14default_configENS1_20scan_config_selectorIN3c107complexIfEEEEZZNS1_9scan_implILNS1_25lookback_scan_determinismE0ELb0ELb0ES3_PKS7_PS7_S7_ZZZN2at6native31launch_logcumsumexp_cuda_kernelERKNSE_10TensorBaseESI_lENKUlvE_clEvENKUlvE2_clEvEUlS7_S7_E_S7_EEDaPvRmT3_T4_T5_mT6_P12ihipStream_tbENKUlT_T0_E_clISt17integral_constantIbLb1EESZ_EEDaSU_SV_EUlSU_E_NS1_11comp_targetILNS1_3genE9ELNS1_11target_archE1100ELNS1_3gpuE3ELNS1_3repE0EEENS1_30default_config_static_selectorELNS0_4arch9wavefront6targetE0EEEvT1_ ; -- Begin function _ZN7rocprim17ROCPRIM_400000_NS6detail17trampoline_kernelINS0_14default_configENS1_20scan_config_selectorIN3c107complexIfEEEEZZNS1_9scan_implILNS1_25lookback_scan_determinismE0ELb0ELb0ES3_PKS7_PS7_S7_ZZZN2at6native31launch_logcumsumexp_cuda_kernelERKNSE_10TensorBaseESI_lENKUlvE_clEvENKUlvE2_clEvEUlS7_S7_E_S7_EEDaPvRmT3_T4_T5_mT6_P12ihipStream_tbENKUlT_T0_E_clISt17integral_constantIbLb1EESZ_EEDaSU_SV_EUlSU_E_NS1_11comp_targetILNS1_3genE9ELNS1_11target_archE1100ELNS1_3gpuE3ELNS1_3repE0EEENS1_30default_config_static_selectorELNS0_4arch9wavefront6targetE0EEEvT1_
	.p2align	8
	.type	_ZN7rocprim17ROCPRIM_400000_NS6detail17trampoline_kernelINS0_14default_configENS1_20scan_config_selectorIN3c107complexIfEEEEZZNS1_9scan_implILNS1_25lookback_scan_determinismE0ELb0ELb0ES3_PKS7_PS7_S7_ZZZN2at6native31launch_logcumsumexp_cuda_kernelERKNSE_10TensorBaseESI_lENKUlvE_clEvENKUlvE2_clEvEUlS7_S7_E_S7_EEDaPvRmT3_T4_T5_mT6_P12ihipStream_tbENKUlT_T0_E_clISt17integral_constantIbLb1EESZ_EEDaSU_SV_EUlSU_E_NS1_11comp_targetILNS1_3genE9ELNS1_11target_archE1100ELNS1_3gpuE3ELNS1_3repE0EEENS1_30default_config_static_selectorELNS0_4arch9wavefront6targetE0EEEvT1_,@function
_ZN7rocprim17ROCPRIM_400000_NS6detail17trampoline_kernelINS0_14default_configENS1_20scan_config_selectorIN3c107complexIfEEEEZZNS1_9scan_implILNS1_25lookback_scan_determinismE0ELb0ELb0ES3_PKS7_PS7_S7_ZZZN2at6native31launch_logcumsumexp_cuda_kernelERKNSE_10TensorBaseESI_lENKUlvE_clEvENKUlvE2_clEvEUlS7_S7_E_S7_EEDaPvRmT3_T4_T5_mT6_P12ihipStream_tbENKUlT_T0_E_clISt17integral_constantIbLb1EESZ_EEDaSU_SV_EUlSU_E_NS1_11comp_targetILNS1_3genE9ELNS1_11target_archE1100ELNS1_3gpuE3ELNS1_3repE0EEENS1_30default_config_static_selectorELNS0_4arch9wavefront6targetE0EEEvT1_: ; @_ZN7rocprim17ROCPRIM_400000_NS6detail17trampoline_kernelINS0_14default_configENS1_20scan_config_selectorIN3c107complexIfEEEEZZNS1_9scan_implILNS1_25lookback_scan_determinismE0ELb0ELb0ES3_PKS7_PS7_S7_ZZZN2at6native31launch_logcumsumexp_cuda_kernelERKNSE_10TensorBaseESI_lENKUlvE_clEvENKUlvE2_clEvEUlS7_S7_E_S7_EEDaPvRmT3_T4_T5_mT6_P12ihipStream_tbENKUlT_T0_E_clISt17integral_constantIbLb1EESZ_EEDaSU_SV_EUlSU_E_NS1_11comp_targetILNS1_3genE9ELNS1_11target_archE1100ELNS1_3gpuE3ELNS1_3repE0EEENS1_30default_config_static_selectorELNS0_4arch9wavefront6targetE0EEEvT1_
; %bb.0:
	.section	.rodata,"a",@progbits
	.p2align	6, 0x0
	.amdhsa_kernel _ZN7rocprim17ROCPRIM_400000_NS6detail17trampoline_kernelINS0_14default_configENS1_20scan_config_selectorIN3c107complexIfEEEEZZNS1_9scan_implILNS1_25lookback_scan_determinismE0ELb0ELb0ES3_PKS7_PS7_S7_ZZZN2at6native31launch_logcumsumexp_cuda_kernelERKNSE_10TensorBaseESI_lENKUlvE_clEvENKUlvE2_clEvEUlS7_S7_E_S7_EEDaPvRmT3_T4_T5_mT6_P12ihipStream_tbENKUlT_T0_E_clISt17integral_constantIbLb1EESZ_EEDaSU_SV_EUlSU_E_NS1_11comp_targetILNS1_3genE9ELNS1_11target_archE1100ELNS1_3gpuE3ELNS1_3repE0EEENS1_30default_config_static_selectorELNS0_4arch9wavefront6targetE0EEEvT1_
		.amdhsa_group_segment_fixed_size 0
		.amdhsa_private_segment_fixed_size 0
		.amdhsa_kernarg_size 104
		.amdhsa_user_sgpr_count 2
		.amdhsa_user_sgpr_dispatch_ptr 0
		.amdhsa_user_sgpr_queue_ptr 0
		.amdhsa_user_sgpr_kernarg_segment_ptr 1
		.amdhsa_user_sgpr_dispatch_id 0
		.amdhsa_user_sgpr_private_segment_size 0
		.amdhsa_wavefront_size32 1
		.amdhsa_uses_dynamic_stack 0
		.amdhsa_enable_private_segment 0
		.amdhsa_system_sgpr_workgroup_id_x 1
		.amdhsa_system_sgpr_workgroup_id_y 0
		.amdhsa_system_sgpr_workgroup_id_z 0
		.amdhsa_system_sgpr_workgroup_info 0
		.amdhsa_system_vgpr_workitem_id 0
		.amdhsa_next_free_vgpr 1
		.amdhsa_next_free_sgpr 1
		.amdhsa_reserve_vcc 0
		.amdhsa_float_round_mode_32 0
		.amdhsa_float_round_mode_16_64 0
		.amdhsa_float_denorm_mode_32 3
		.amdhsa_float_denorm_mode_16_64 3
		.amdhsa_fp16_overflow 0
		.amdhsa_workgroup_processor_mode 1
		.amdhsa_memory_ordered 1
		.amdhsa_forward_progress 1
		.amdhsa_inst_pref_size 0
		.amdhsa_round_robin_scheduling 0
		.amdhsa_exception_fp_ieee_invalid_op 0
		.amdhsa_exception_fp_denorm_src 0
		.amdhsa_exception_fp_ieee_div_zero 0
		.amdhsa_exception_fp_ieee_overflow 0
		.amdhsa_exception_fp_ieee_underflow 0
		.amdhsa_exception_fp_ieee_inexact 0
		.amdhsa_exception_int_div_zero 0
	.end_amdhsa_kernel
	.section	.text._ZN7rocprim17ROCPRIM_400000_NS6detail17trampoline_kernelINS0_14default_configENS1_20scan_config_selectorIN3c107complexIfEEEEZZNS1_9scan_implILNS1_25lookback_scan_determinismE0ELb0ELb0ES3_PKS7_PS7_S7_ZZZN2at6native31launch_logcumsumexp_cuda_kernelERKNSE_10TensorBaseESI_lENKUlvE_clEvENKUlvE2_clEvEUlS7_S7_E_S7_EEDaPvRmT3_T4_T5_mT6_P12ihipStream_tbENKUlT_T0_E_clISt17integral_constantIbLb1EESZ_EEDaSU_SV_EUlSU_E_NS1_11comp_targetILNS1_3genE9ELNS1_11target_archE1100ELNS1_3gpuE3ELNS1_3repE0EEENS1_30default_config_static_selectorELNS0_4arch9wavefront6targetE0EEEvT1_,"axG",@progbits,_ZN7rocprim17ROCPRIM_400000_NS6detail17trampoline_kernelINS0_14default_configENS1_20scan_config_selectorIN3c107complexIfEEEEZZNS1_9scan_implILNS1_25lookback_scan_determinismE0ELb0ELb0ES3_PKS7_PS7_S7_ZZZN2at6native31launch_logcumsumexp_cuda_kernelERKNSE_10TensorBaseESI_lENKUlvE_clEvENKUlvE2_clEvEUlS7_S7_E_S7_EEDaPvRmT3_T4_T5_mT6_P12ihipStream_tbENKUlT_T0_E_clISt17integral_constantIbLb1EESZ_EEDaSU_SV_EUlSU_E_NS1_11comp_targetILNS1_3genE9ELNS1_11target_archE1100ELNS1_3gpuE3ELNS1_3repE0EEENS1_30default_config_static_selectorELNS0_4arch9wavefront6targetE0EEEvT1_,comdat
.Lfunc_end298:
	.size	_ZN7rocprim17ROCPRIM_400000_NS6detail17trampoline_kernelINS0_14default_configENS1_20scan_config_selectorIN3c107complexIfEEEEZZNS1_9scan_implILNS1_25lookback_scan_determinismE0ELb0ELb0ES3_PKS7_PS7_S7_ZZZN2at6native31launch_logcumsumexp_cuda_kernelERKNSE_10TensorBaseESI_lENKUlvE_clEvENKUlvE2_clEvEUlS7_S7_E_S7_EEDaPvRmT3_T4_T5_mT6_P12ihipStream_tbENKUlT_T0_E_clISt17integral_constantIbLb1EESZ_EEDaSU_SV_EUlSU_E_NS1_11comp_targetILNS1_3genE9ELNS1_11target_archE1100ELNS1_3gpuE3ELNS1_3repE0EEENS1_30default_config_static_selectorELNS0_4arch9wavefront6targetE0EEEvT1_, .Lfunc_end298-_ZN7rocprim17ROCPRIM_400000_NS6detail17trampoline_kernelINS0_14default_configENS1_20scan_config_selectorIN3c107complexIfEEEEZZNS1_9scan_implILNS1_25lookback_scan_determinismE0ELb0ELb0ES3_PKS7_PS7_S7_ZZZN2at6native31launch_logcumsumexp_cuda_kernelERKNSE_10TensorBaseESI_lENKUlvE_clEvENKUlvE2_clEvEUlS7_S7_E_S7_EEDaPvRmT3_T4_T5_mT6_P12ihipStream_tbENKUlT_T0_E_clISt17integral_constantIbLb1EESZ_EEDaSU_SV_EUlSU_E_NS1_11comp_targetILNS1_3genE9ELNS1_11target_archE1100ELNS1_3gpuE3ELNS1_3repE0EEENS1_30default_config_static_selectorELNS0_4arch9wavefront6targetE0EEEvT1_
                                        ; -- End function
	.set _ZN7rocprim17ROCPRIM_400000_NS6detail17trampoline_kernelINS0_14default_configENS1_20scan_config_selectorIN3c107complexIfEEEEZZNS1_9scan_implILNS1_25lookback_scan_determinismE0ELb0ELb0ES3_PKS7_PS7_S7_ZZZN2at6native31launch_logcumsumexp_cuda_kernelERKNSE_10TensorBaseESI_lENKUlvE_clEvENKUlvE2_clEvEUlS7_S7_E_S7_EEDaPvRmT3_T4_T5_mT6_P12ihipStream_tbENKUlT_T0_E_clISt17integral_constantIbLb1EESZ_EEDaSU_SV_EUlSU_E_NS1_11comp_targetILNS1_3genE9ELNS1_11target_archE1100ELNS1_3gpuE3ELNS1_3repE0EEENS1_30default_config_static_selectorELNS0_4arch9wavefront6targetE0EEEvT1_.num_vgpr, 0
	.set _ZN7rocprim17ROCPRIM_400000_NS6detail17trampoline_kernelINS0_14default_configENS1_20scan_config_selectorIN3c107complexIfEEEEZZNS1_9scan_implILNS1_25lookback_scan_determinismE0ELb0ELb0ES3_PKS7_PS7_S7_ZZZN2at6native31launch_logcumsumexp_cuda_kernelERKNSE_10TensorBaseESI_lENKUlvE_clEvENKUlvE2_clEvEUlS7_S7_E_S7_EEDaPvRmT3_T4_T5_mT6_P12ihipStream_tbENKUlT_T0_E_clISt17integral_constantIbLb1EESZ_EEDaSU_SV_EUlSU_E_NS1_11comp_targetILNS1_3genE9ELNS1_11target_archE1100ELNS1_3gpuE3ELNS1_3repE0EEENS1_30default_config_static_selectorELNS0_4arch9wavefront6targetE0EEEvT1_.num_agpr, 0
	.set _ZN7rocprim17ROCPRIM_400000_NS6detail17trampoline_kernelINS0_14default_configENS1_20scan_config_selectorIN3c107complexIfEEEEZZNS1_9scan_implILNS1_25lookback_scan_determinismE0ELb0ELb0ES3_PKS7_PS7_S7_ZZZN2at6native31launch_logcumsumexp_cuda_kernelERKNSE_10TensorBaseESI_lENKUlvE_clEvENKUlvE2_clEvEUlS7_S7_E_S7_EEDaPvRmT3_T4_T5_mT6_P12ihipStream_tbENKUlT_T0_E_clISt17integral_constantIbLb1EESZ_EEDaSU_SV_EUlSU_E_NS1_11comp_targetILNS1_3genE9ELNS1_11target_archE1100ELNS1_3gpuE3ELNS1_3repE0EEENS1_30default_config_static_selectorELNS0_4arch9wavefront6targetE0EEEvT1_.numbered_sgpr, 0
	.set _ZN7rocprim17ROCPRIM_400000_NS6detail17trampoline_kernelINS0_14default_configENS1_20scan_config_selectorIN3c107complexIfEEEEZZNS1_9scan_implILNS1_25lookback_scan_determinismE0ELb0ELb0ES3_PKS7_PS7_S7_ZZZN2at6native31launch_logcumsumexp_cuda_kernelERKNSE_10TensorBaseESI_lENKUlvE_clEvENKUlvE2_clEvEUlS7_S7_E_S7_EEDaPvRmT3_T4_T5_mT6_P12ihipStream_tbENKUlT_T0_E_clISt17integral_constantIbLb1EESZ_EEDaSU_SV_EUlSU_E_NS1_11comp_targetILNS1_3genE9ELNS1_11target_archE1100ELNS1_3gpuE3ELNS1_3repE0EEENS1_30default_config_static_selectorELNS0_4arch9wavefront6targetE0EEEvT1_.num_named_barrier, 0
	.set _ZN7rocprim17ROCPRIM_400000_NS6detail17trampoline_kernelINS0_14default_configENS1_20scan_config_selectorIN3c107complexIfEEEEZZNS1_9scan_implILNS1_25lookback_scan_determinismE0ELb0ELb0ES3_PKS7_PS7_S7_ZZZN2at6native31launch_logcumsumexp_cuda_kernelERKNSE_10TensorBaseESI_lENKUlvE_clEvENKUlvE2_clEvEUlS7_S7_E_S7_EEDaPvRmT3_T4_T5_mT6_P12ihipStream_tbENKUlT_T0_E_clISt17integral_constantIbLb1EESZ_EEDaSU_SV_EUlSU_E_NS1_11comp_targetILNS1_3genE9ELNS1_11target_archE1100ELNS1_3gpuE3ELNS1_3repE0EEENS1_30default_config_static_selectorELNS0_4arch9wavefront6targetE0EEEvT1_.private_seg_size, 0
	.set _ZN7rocprim17ROCPRIM_400000_NS6detail17trampoline_kernelINS0_14default_configENS1_20scan_config_selectorIN3c107complexIfEEEEZZNS1_9scan_implILNS1_25lookback_scan_determinismE0ELb0ELb0ES3_PKS7_PS7_S7_ZZZN2at6native31launch_logcumsumexp_cuda_kernelERKNSE_10TensorBaseESI_lENKUlvE_clEvENKUlvE2_clEvEUlS7_S7_E_S7_EEDaPvRmT3_T4_T5_mT6_P12ihipStream_tbENKUlT_T0_E_clISt17integral_constantIbLb1EESZ_EEDaSU_SV_EUlSU_E_NS1_11comp_targetILNS1_3genE9ELNS1_11target_archE1100ELNS1_3gpuE3ELNS1_3repE0EEENS1_30default_config_static_selectorELNS0_4arch9wavefront6targetE0EEEvT1_.uses_vcc, 0
	.set _ZN7rocprim17ROCPRIM_400000_NS6detail17trampoline_kernelINS0_14default_configENS1_20scan_config_selectorIN3c107complexIfEEEEZZNS1_9scan_implILNS1_25lookback_scan_determinismE0ELb0ELb0ES3_PKS7_PS7_S7_ZZZN2at6native31launch_logcumsumexp_cuda_kernelERKNSE_10TensorBaseESI_lENKUlvE_clEvENKUlvE2_clEvEUlS7_S7_E_S7_EEDaPvRmT3_T4_T5_mT6_P12ihipStream_tbENKUlT_T0_E_clISt17integral_constantIbLb1EESZ_EEDaSU_SV_EUlSU_E_NS1_11comp_targetILNS1_3genE9ELNS1_11target_archE1100ELNS1_3gpuE3ELNS1_3repE0EEENS1_30default_config_static_selectorELNS0_4arch9wavefront6targetE0EEEvT1_.uses_flat_scratch, 0
	.set _ZN7rocprim17ROCPRIM_400000_NS6detail17trampoline_kernelINS0_14default_configENS1_20scan_config_selectorIN3c107complexIfEEEEZZNS1_9scan_implILNS1_25lookback_scan_determinismE0ELb0ELb0ES3_PKS7_PS7_S7_ZZZN2at6native31launch_logcumsumexp_cuda_kernelERKNSE_10TensorBaseESI_lENKUlvE_clEvENKUlvE2_clEvEUlS7_S7_E_S7_EEDaPvRmT3_T4_T5_mT6_P12ihipStream_tbENKUlT_T0_E_clISt17integral_constantIbLb1EESZ_EEDaSU_SV_EUlSU_E_NS1_11comp_targetILNS1_3genE9ELNS1_11target_archE1100ELNS1_3gpuE3ELNS1_3repE0EEENS1_30default_config_static_selectorELNS0_4arch9wavefront6targetE0EEEvT1_.has_dyn_sized_stack, 0
	.set _ZN7rocprim17ROCPRIM_400000_NS6detail17trampoline_kernelINS0_14default_configENS1_20scan_config_selectorIN3c107complexIfEEEEZZNS1_9scan_implILNS1_25lookback_scan_determinismE0ELb0ELb0ES3_PKS7_PS7_S7_ZZZN2at6native31launch_logcumsumexp_cuda_kernelERKNSE_10TensorBaseESI_lENKUlvE_clEvENKUlvE2_clEvEUlS7_S7_E_S7_EEDaPvRmT3_T4_T5_mT6_P12ihipStream_tbENKUlT_T0_E_clISt17integral_constantIbLb1EESZ_EEDaSU_SV_EUlSU_E_NS1_11comp_targetILNS1_3genE9ELNS1_11target_archE1100ELNS1_3gpuE3ELNS1_3repE0EEENS1_30default_config_static_selectorELNS0_4arch9wavefront6targetE0EEEvT1_.has_recursion, 0
	.set _ZN7rocprim17ROCPRIM_400000_NS6detail17trampoline_kernelINS0_14default_configENS1_20scan_config_selectorIN3c107complexIfEEEEZZNS1_9scan_implILNS1_25lookback_scan_determinismE0ELb0ELb0ES3_PKS7_PS7_S7_ZZZN2at6native31launch_logcumsumexp_cuda_kernelERKNSE_10TensorBaseESI_lENKUlvE_clEvENKUlvE2_clEvEUlS7_S7_E_S7_EEDaPvRmT3_T4_T5_mT6_P12ihipStream_tbENKUlT_T0_E_clISt17integral_constantIbLb1EESZ_EEDaSU_SV_EUlSU_E_NS1_11comp_targetILNS1_3genE9ELNS1_11target_archE1100ELNS1_3gpuE3ELNS1_3repE0EEENS1_30default_config_static_selectorELNS0_4arch9wavefront6targetE0EEEvT1_.has_indirect_call, 0
	.section	.AMDGPU.csdata,"",@progbits
; Kernel info:
; codeLenInByte = 0
; TotalNumSgprs: 0
; NumVgprs: 0
; ScratchSize: 0
; MemoryBound: 0
; FloatMode: 240
; IeeeMode: 1
; LDSByteSize: 0 bytes/workgroup (compile time only)
; SGPRBlocks: 0
; VGPRBlocks: 0
; NumSGPRsForWavesPerEU: 1
; NumVGPRsForWavesPerEU: 1
; Occupancy: 16
; WaveLimiterHint : 0
; COMPUTE_PGM_RSRC2:SCRATCH_EN: 0
; COMPUTE_PGM_RSRC2:USER_SGPR: 2
; COMPUTE_PGM_RSRC2:TRAP_HANDLER: 0
; COMPUTE_PGM_RSRC2:TGID_X_EN: 1
; COMPUTE_PGM_RSRC2:TGID_Y_EN: 0
; COMPUTE_PGM_RSRC2:TGID_Z_EN: 0
; COMPUTE_PGM_RSRC2:TIDIG_COMP_CNT: 0
	.section	.text._ZN7rocprim17ROCPRIM_400000_NS6detail17trampoline_kernelINS0_14default_configENS1_20scan_config_selectorIN3c107complexIfEEEEZZNS1_9scan_implILNS1_25lookback_scan_determinismE0ELb0ELb0ES3_PKS7_PS7_S7_ZZZN2at6native31launch_logcumsumexp_cuda_kernelERKNSE_10TensorBaseESI_lENKUlvE_clEvENKUlvE2_clEvEUlS7_S7_E_S7_EEDaPvRmT3_T4_T5_mT6_P12ihipStream_tbENKUlT_T0_E_clISt17integral_constantIbLb1EESZ_EEDaSU_SV_EUlSU_E_NS1_11comp_targetILNS1_3genE8ELNS1_11target_archE1030ELNS1_3gpuE2ELNS1_3repE0EEENS1_30default_config_static_selectorELNS0_4arch9wavefront6targetE0EEEvT1_,"axG",@progbits,_ZN7rocprim17ROCPRIM_400000_NS6detail17trampoline_kernelINS0_14default_configENS1_20scan_config_selectorIN3c107complexIfEEEEZZNS1_9scan_implILNS1_25lookback_scan_determinismE0ELb0ELb0ES3_PKS7_PS7_S7_ZZZN2at6native31launch_logcumsumexp_cuda_kernelERKNSE_10TensorBaseESI_lENKUlvE_clEvENKUlvE2_clEvEUlS7_S7_E_S7_EEDaPvRmT3_T4_T5_mT6_P12ihipStream_tbENKUlT_T0_E_clISt17integral_constantIbLb1EESZ_EEDaSU_SV_EUlSU_E_NS1_11comp_targetILNS1_3genE8ELNS1_11target_archE1030ELNS1_3gpuE2ELNS1_3repE0EEENS1_30default_config_static_selectorELNS0_4arch9wavefront6targetE0EEEvT1_,comdat
	.globl	_ZN7rocprim17ROCPRIM_400000_NS6detail17trampoline_kernelINS0_14default_configENS1_20scan_config_selectorIN3c107complexIfEEEEZZNS1_9scan_implILNS1_25lookback_scan_determinismE0ELb0ELb0ES3_PKS7_PS7_S7_ZZZN2at6native31launch_logcumsumexp_cuda_kernelERKNSE_10TensorBaseESI_lENKUlvE_clEvENKUlvE2_clEvEUlS7_S7_E_S7_EEDaPvRmT3_T4_T5_mT6_P12ihipStream_tbENKUlT_T0_E_clISt17integral_constantIbLb1EESZ_EEDaSU_SV_EUlSU_E_NS1_11comp_targetILNS1_3genE8ELNS1_11target_archE1030ELNS1_3gpuE2ELNS1_3repE0EEENS1_30default_config_static_selectorELNS0_4arch9wavefront6targetE0EEEvT1_ ; -- Begin function _ZN7rocprim17ROCPRIM_400000_NS6detail17trampoline_kernelINS0_14default_configENS1_20scan_config_selectorIN3c107complexIfEEEEZZNS1_9scan_implILNS1_25lookback_scan_determinismE0ELb0ELb0ES3_PKS7_PS7_S7_ZZZN2at6native31launch_logcumsumexp_cuda_kernelERKNSE_10TensorBaseESI_lENKUlvE_clEvENKUlvE2_clEvEUlS7_S7_E_S7_EEDaPvRmT3_T4_T5_mT6_P12ihipStream_tbENKUlT_T0_E_clISt17integral_constantIbLb1EESZ_EEDaSU_SV_EUlSU_E_NS1_11comp_targetILNS1_3genE8ELNS1_11target_archE1030ELNS1_3gpuE2ELNS1_3repE0EEENS1_30default_config_static_selectorELNS0_4arch9wavefront6targetE0EEEvT1_
	.p2align	8
	.type	_ZN7rocprim17ROCPRIM_400000_NS6detail17trampoline_kernelINS0_14default_configENS1_20scan_config_selectorIN3c107complexIfEEEEZZNS1_9scan_implILNS1_25lookback_scan_determinismE0ELb0ELb0ES3_PKS7_PS7_S7_ZZZN2at6native31launch_logcumsumexp_cuda_kernelERKNSE_10TensorBaseESI_lENKUlvE_clEvENKUlvE2_clEvEUlS7_S7_E_S7_EEDaPvRmT3_T4_T5_mT6_P12ihipStream_tbENKUlT_T0_E_clISt17integral_constantIbLb1EESZ_EEDaSU_SV_EUlSU_E_NS1_11comp_targetILNS1_3genE8ELNS1_11target_archE1030ELNS1_3gpuE2ELNS1_3repE0EEENS1_30default_config_static_selectorELNS0_4arch9wavefront6targetE0EEEvT1_,@function
_ZN7rocprim17ROCPRIM_400000_NS6detail17trampoline_kernelINS0_14default_configENS1_20scan_config_selectorIN3c107complexIfEEEEZZNS1_9scan_implILNS1_25lookback_scan_determinismE0ELb0ELb0ES3_PKS7_PS7_S7_ZZZN2at6native31launch_logcumsumexp_cuda_kernelERKNSE_10TensorBaseESI_lENKUlvE_clEvENKUlvE2_clEvEUlS7_S7_E_S7_EEDaPvRmT3_T4_T5_mT6_P12ihipStream_tbENKUlT_T0_E_clISt17integral_constantIbLb1EESZ_EEDaSU_SV_EUlSU_E_NS1_11comp_targetILNS1_3genE8ELNS1_11target_archE1030ELNS1_3gpuE2ELNS1_3repE0EEENS1_30default_config_static_selectorELNS0_4arch9wavefront6targetE0EEEvT1_: ; @_ZN7rocprim17ROCPRIM_400000_NS6detail17trampoline_kernelINS0_14default_configENS1_20scan_config_selectorIN3c107complexIfEEEEZZNS1_9scan_implILNS1_25lookback_scan_determinismE0ELb0ELb0ES3_PKS7_PS7_S7_ZZZN2at6native31launch_logcumsumexp_cuda_kernelERKNSE_10TensorBaseESI_lENKUlvE_clEvENKUlvE2_clEvEUlS7_S7_E_S7_EEDaPvRmT3_T4_T5_mT6_P12ihipStream_tbENKUlT_T0_E_clISt17integral_constantIbLb1EESZ_EEDaSU_SV_EUlSU_E_NS1_11comp_targetILNS1_3genE8ELNS1_11target_archE1030ELNS1_3gpuE2ELNS1_3repE0EEENS1_30default_config_static_selectorELNS0_4arch9wavefront6targetE0EEEvT1_
; %bb.0:
	.section	.rodata,"a",@progbits
	.p2align	6, 0x0
	.amdhsa_kernel _ZN7rocprim17ROCPRIM_400000_NS6detail17trampoline_kernelINS0_14default_configENS1_20scan_config_selectorIN3c107complexIfEEEEZZNS1_9scan_implILNS1_25lookback_scan_determinismE0ELb0ELb0ES3_PKS7_PS7_S7_ZZZN2at6native31launch_logcumsumexp_cuda_kernelERKNSE_10TensorBaseESI_lENKUlvE_clEvENKUlvE2_clEvEUlS7_S7_E_S7_EEDaPvRmT3_T4_T5_mT6_P12ihipStream_tbENKUlT_T0_E_clISt17integral_constantIbLb1EESZ_EEDaSU_SV_EUlSU_E_NS1_11comp_targetILNS1_3genE8ELNS1_11target_archE1030ELNS1_3gpuE2ELNS1_3repE0EEENS1_30default_config_static_selectorELNS0_4arch9wavefront6targetE0EEEvT1_
		.amdhsa_group_segment_fixed_size 0
		.amdhsa_private_segment_fixed_size 0
		.amdhsa_kernarg_size 104
		.amdhsa_user_sgpr_count 2
		.amdhsa_user_sgpr_dispatch_ptr 0
		.amdhsa_user_sgpr_queue_ptr 0
		.amdhsa_user_sgpr_kernarg_segment_ptr 1
		.amdhsa_user_sgpr_dispatch_id 0
		.amdhsa_user_sgpr_private_segment_size 0
		.amdhsa_wavefront_size32 1
		.amdhsa_uses_dynamic_stack 0
		.amdhsa_enable_private_segment 0
		.amdhsa_system_sgpr_workgroup_id_x 1
		.amdhsa_system_sgpr_workgroup_id_y 0
		.amdhsa_system_sgpr_workgroup_id_z 0
		.amdhsa_system_sgpr_workgroup_info 0
		.amdhsa_system_vgpr_workitem_id 0
		.amdhsa_next_free_vgpr 1
		.amdhsa_next_free_sgpr 1
		.amdhsa_reserve_vcc 0
		.amdhsa_float_round_mode_32 0
		.amdhsa_float_round_mode_16_64 0
		.amdhsa_float_denorm_mode_32 3
		.amdhsa_float_denorm_mode_16_64 3
		.amdhsa_fp16_overflow 0
		.amdhsa_workgroup_processor_mode 1
		.amdhsa_memory_ordered 1
		.amdhsa_forward_progress 1
		.amdhsa_inst_pref_size 0
		.amdhsa_round_robin_scheduling 0
		.amdhsa_exception_fp_ieee_invalid_op 0
		.amdhsa_exception_fp_denorm_src 0
		.amdhsa_exception_fp_ieee_div_zero 0
		.amdhsa_exception_fp_ieee_overflow 0
		.amdhsa_exception_fp_ieee_underflow 0
		.amdhsa_exception_fp_ieee_inexact 0
		.amdhsa_exception_int_div_zero 0
	.end_amdhsa_kernel
	.section	.text._ZN7rocprim17ROCPRIM_400000_NS6detail17trampoline_kernelINS0_14default_configENS1_20scan_config_selectorIN3c107complexIfEEEEZZNS1_9scan_implILNS1_25lookback_scan_determinismE0ELb0ELb0ES3_PKS7_PS7_S7_ZZZN2at6native31launch_logcumsumexp_cuda_kernelERKNSE_10TensorBaseESI_lENKUlvE_clEvENKUlvE2_clEvEUlS7_S7_E_S7_EEDaPvRmT3_T4_T5_mT6_P12ihipStream_tbENKUlT_T0_E_clISt17integral_constantIbLb1EESZ_EEDaSU_SV_EUlSU_E_NS1_11comp_targetILNS1_3genE8ELNS1_11target_archE1030ELNS1_3gpuE2ELNS1_3repE0EEENS1_30default_config_static_selectorELNS0_4arch9wavefront6targetE0EEEvT1_,"axG",@progbits,_ZN7rocprim17ROCPRIM_400000_NS6detail17trampoline_kernelINS0_14default_configENS1_20scan_config_selectorIN3c107complexIfEEEEZZNS1_9scan_implILNS1_25lookback_scan_determinismE0ELb0ELb0ES3_PKS7_PS7_S7_ZZZN2at6native31launch_logcumsumexp_cuda_kernelERKNSE_10TensorBaseESI_lENKUlvE_clEvENKUlvE2_clEvEUlS7_S7_E_S7_EEDaPvRmT3_T4_T5_mT6_P12ihipStream_tbENKUlT_T0_E_clISt17integral_constantIbLb1EESZ_EEDaSU_SV_EUlSU_E_NS1_11comp_targetILNS1_3genE8ELNS1_11target_archE1030ELNS1_3gpuE2ELNS1_3repE0EEENS1_30default_config_static_selectorELNS0_4arch9wavefront6targetE0EEEvT1_,comdat
.Lfunc_end299:
	.size	_ZN7rocprim17ROCPRIM_400000_NS6detail17trampoline_kernelINS0_14default_configENS1_20scan_config_selectorIN3c107complexIfEEEEZZNS1_9scan_implILNS1_25lookback_scan_determinismE0ELb0ELb0ES3_PKS7_PS7_S7_ZZZN2at6native31launch_logcumsumexp_cuda_kernelERKNSE_10TensorBaseESI_lENKUlvE_clEvENKUlvE2_clEvEUlS7_S7_E_S7_EEDaPvRmT3_T4_T5_mT6_P12ihipStream_tbENKUlT_T0_E_clISt17integral_constantIbLb1EESZ_EEDaSU_SV_EUlSU_E_NS1_11comp_targetILNS1_3genE8ELNS1_11target_archE1030ELNS1_3gpuE2ELNS1_3repE0EEENS1_30default_config_static_selectorELNS0_4arch9wavefront6targetE0EEEvT1_, .Lfunc_end299-_ZN7rocprim17ROCPRIM_400000_NS6detail17trampoline_kernelINS0_14default_configENS1_20scan_config_selectorIN3c107complexIfEEEEZZNS1_9scan_implILNS1_25lookback_scan_determinismE0ELb0ELb0ES3_PKS7_PS7_S7_ZZZN2at6native31launch_logcumsumexp_cuda_kernelERKNSE_10TensorBaseESI_lENKUlvE_clEvENKUlvE2_clEvEUlS7_S7_E_S7_EEDaPvRmT3_T4_T5_mT6_P12ihipStream_tbENKUlT_T0_E_clISt17integral_constantIbLb1EESZ_EEDaSU_SV_EUlSU_E_NS1_11comp_targetILNS1_3genE8ELNS1_11target_archE1030ELNS1_3gpuE2ELNS1_3repE0EEENS1_30default_config_static_selectorELNS0_4arch9wavefront6targetE0EEEvT1_
                                        ; -- End function
	.set _ZN7rocprim17ROCPRIM_400000_NS6detail17trampoline_kernelINS0_14default_configENS1_20scan_config_selectorIN3c107complexIfEEEEZZNS1_9scan_implILNS1_25lookback_scan_determinismE0ELb0ELb0ES3_PKS7_PS7_S7_ZZZN2at6native31launch_logcumsumexp_cuda_kernelERKNSE_10TensorBaseESI_lENKUlvE_clEvENKUlvE2_clEvEUlS7_S7_E_S7_EEDaPvRmT3_T4_T5_mT6_P12ihipStream_tbENKUlT_T0_E_clISt17integral_constantIbLb1EESZ_EEDaSU_SV_EUlSU_E_NS1_11comp_targetILNS1_3genE8ELNS1_11target_archE1030ELNS1_3gpuE2ELNS1_3repE0EEENS1_30default_config_static_selectorELNS0_4arch9wavefront6targetE0EEEvT1_.num_vgpr, 0
	.set _ZN7rocprim17ROCPRIM_400000_NS6detail17trampoline_kernelINS0_14default_configENS1_20scan_config_selectorIN3c107complexIfEEEEZZNS1_9scan_implILNS1_25lookback_scan_determinismE0ELb0ELb0ES3_PKS7_PS7_S7_ZZZN2at6native31launch_logcumsumexp_cuda_kernelERKNSE_10TensorBaseESI_lENKUlvE_clEvENKUlvE2_clEvEUlS7_S7_E_S7_EEDaPvRmT3_T4_T5_mT6_P12ihipStream_tbENKUlT_T0_E_clISt17integral_constantIbLb1EESZ_EEDaSU_SV_EUlSU_E_NS1_11comp_targetILNS1_3genE8ELNS1_11target_archE1030ELNS1_3gpuE2ELNS1_3repE0EEENS1_30default_config_static_selectorELNS0_4arch9wavefront6targetE0EEEvT1_.num_agpr, 0
	.set _ZN7rocprim17ROCPRIM_400000_NS6detail17trampoline_kernelINS0_14default_configENS1_20scan_config_selectorIN3c107complexIfEEEEZZNS1_9scan_implILNS1_25lookback_scan_determinismE0ELb0ELb0ES3_PKS7_PS7_S7_ZZZN2at6native31launch_logcumsumexp_cuda_kernelERKNSE_10TensorBaseESI_lENKUlvE_clEvENKUlvE2_clEvEUlS7_S7_E_S7_EEDaPvRmT3_T4_T5_mT6_P12ihipStream_tbENKUlT_T0_E_clISt17integral_constantIbLb1EESZ_EEDaSU_SV_EUlSU_E_NS1_11comp_targetILNS1_3genE8ELNS1_11target_archE1030ELNS1_3gpuE2ELNS1_3repE0EEENS1_30default_config_static_selectorELNS0_4arch9wavefront6targetE0EEEvT1_.numbered_sgpr, 0
	.set _ZN7rocprim17ROCPRIM_400000_NS6detail17trampoline_kernelINS0_14default_configENS1_20scan_config_selectorIN3c107complexIfEEEEZZNS1_9scan_implILNS1_25lookback_scan_determinismE0ELb0ELb0ES3_PKS7_PS7_S7_ZZZN2at6native31launch_logcumsumexp_cuda_kernelERKNSE_10TensorBaseESI_lENKUlvE_clEvENKUlvE2_clEvEUlS7_S7_E_S7_EEDaPvRmT3_T4_T5_mT6_P12ihipStream_tbENKUlT_T0_E_clISt17integral_constantIbLb1EESZ_EEDaSU_SV_EUlSU_E_NS1_11comp_targetILNS1_3genE8ELNS1_11target_archE1030ELNS1_3gpuE2ELNS1_3repE0EEENS1_30default_config_static_selectorELNS0_4arch9wavefront6targetE0EEEvT1_.num_named_barrier, 0
	.set _ZN7rocprim17ROCPRIM_400000_NS6detail17trampoline_kernelINS0_14default_configENS1_20scan_config_selectorIN3c107complexIfEEEEZZNS1_9scan_implILNS1_25lookback_scan_determinismE0ELb0ELb0ES3_PKS7_PS7_S7_ZZZN2at6native31launch_logcumsumexp_cuda_kernelERKNSE_10TensorBaseESI_lENKUlvE_clEvENKUlvE2_clEvEUlS7_S7_E_S7_EEDaPvRmT3_T4_T5_mT6_P12ihipStream_tbENKUlT_T0_E_clISt17integral_constantIbLb1EESZ_EEDaSU_SV_EUlSU_E_NS1_11comp_targetILNS1_3genE8ELNS1_11target_archE1030ELNS1_3gpuE2ELNS1_3repE0EEENS1_30default_config_static_selectorELNS0_4arch9wavefront6targetE0EEEvT1_.private_seg_size, 0
	.set _ZN7rocprim17ROCPRIM_400000_NS6detail17trampoline_kernelINS0_14default_configENS1_20scan_config_selectorIN3c107complexIfEEEEZZNS1_9scan_implILNS1_25lookback_scan_determinismE0ELb0ELb0ES3_PKS7_PS7_S7_ZZZN2at6native31launch_logcumsumexp_cuda_kernelERKNSE_10TensorBaseESI_lENKUlvE_clEvENKUlvE2_clEvEUlS7_S7_E_S7_EEDaPvRmT3_T4_T5_mT6_P12ihipStream_tbENKUlT_T0_E_clISt17integral_constantIbLb1EESZ_EEDaSU_SV_EUlSU_E_NS1_11comp_targetILNS1_3genE8ELNS1_11target_archE1030ELNS1_3gpuE2ELNS1_3repE0EEENS1_30default_config_static_selectorELNS0_4arch9wavefront6targetE0EEEvT1_.uses_vcc, 0
	.set _ZN7rocprim17ROCPRIM_400000_NS6detail17trampoline_kernelINS0_14default_configENS1_20scan_config_selectorIN3c107complexIfEEEEZZNS1_9scan_implILNS1_25lookback_scan_determinismE0ELb0ELb0ES3_PKS7_PS7_S7_ZZZN2at6native31launch_logcumsumexp_cuda_kernelERKNSE_10TensorBaseESI_lENKUlvE_clEvENKUlvE2_clEvEUlS7_S7_E_S7_EEDaPvRmT3_T4_T5_mT6_P12ihipStream_tbENKUlT_T0_E_clISt17integral_constantIbLb1EESZ_EEDaSU_SV_EUlSU_E_NS1_11comp_targetILNS1_3genE8ELNS1_11target_archE1030ELNS1_3gpuE2ELNS1_3repE0EEENS1_30default_config_static_selectorELNS0_4arch9wavefront6targetE0EEEvT1_.uses_flat_scratch, 0
	.set _ZN7rocprim17ROCPRIM_400000_NS6detail17trampoline_kernelINS0_14default_configENS1_20scan_config_selectorIN3c107complexIfEEEEZZNS1_9scan_implILNS1_25lookback_scan_determinismE0ELb0ELb0ES3_PKS7_PS7_S7_ZZZN2at6native31launch_logcumsumexp_cuda_kernelERKNSE_10TensorBaseESI_lENKUlvE_clEvENKUlvE2_clEvEUlS7_S7_E_S7_EEDaPvRmT3_T4_T5_mT6_P12ihipStream_tbENKUlT_T0_E_clISt17integral_constantIbLb1EESZ_EEDaSU_SV_EUlSU_E_NS1_11comp_targetILNS1_3genE8ELNS1_11target_archE1030ELNS1_3gpuE2ELNS1_3repE0EEENS1_30default_config_static_selectorELNS0_4arch9wavefront6targetE0EEEvT1_.has_dyn_sized_stack, 0
	.set _ZN7rocprim17ROCPRIM_400000_NS6detail17trampoline_kernelINS0_14default_configENS1_20scan_config_selectorIN3c107complexIfEEEEZZNS1_9scan_implILNS1_25lookback_scan_determinismE0ELb0ELb0ES3_PKS7_PS7_S7_ZZZN2at6native31launch_logcumsumexp_cuda_kernelERKNSE_10TensorBaseESI_lENKUlvE_clEvENKUlvE2_clEvEUlS7_S7_E_S7_EEDaPvRmT3_T4_T5_mT6_P12ihipStream_tbENKUlT_T0_E_clISt17integral_constantIbLb1EESZ_EEDaSU_SV_EUlSU_E_NS1_11comp_targetILNS1_3genE8ELNS1_11target_archE1030ELNS1_3gpuE2ELNS1_3repE0EEENS1_30default_config_static_selectorELNS0_4arch9wavefront6targetE0EEEvT1_.has_recursion, 0
	.set _ZN7rocprim17ROCPRIM_400000_NS6detail17trampoline_kernelINS0_14default_configENS1_20scan_config_selectorIN3c107complexIfEEEEZZNS1_9scan_implILNS1_25lookback_scan_determinismE0ELb0ELb0ES3_PKS7_PS7_S7_ZZZN2at6native31launch_logcumsumexp_cuda_kernelERKNSE_10TensorBaseESI_lENKUlvE_clEvENKUlvE2_clEvEUlS7_S7_E_S7_EEDaPvRmT3_T4_T5_mT6_P12ihipStream_tbENKUlT_T0_E_clISt17integral_constantIbLb1EESZ_EEDaSU_SV_EUlSU_E_NS1_11comp_targetILNS1_3genE8ELNS1_11target_archE1030ELNS1_3gpuE2ELNS1_3repE0EEENS1_30default_config_static_selectorELNS0_4arch9wavefront6targetE0EEEvT1_.has_indirect_call, 0
	.section	.AMDGPU.csdata,"",@progbits
; Kernel info:
; codeLenInByte = 0
; TotalNumSgprs: 0
; NumVgprs: 0
; ScratchSize: 0
; MemoryBound: 0
; FloatMode: 240
; IeeeMode: 1
; LDSByteSize: 0 bytes/workgroup (compile time only)
; SGPRBlocks: 0
; VGPRBlocks: 0
; NumSGPRsForWavesPerEU: 1
; NumVGPRsForWavesPerEU: 1
; Occupancy: 16
; WaveLimiterHint : 0
; COMPUTE_PGM_RSRC2:SCRATCH_EN: 0
; COMPUTE_PGM_RSRC2:USER_SGPR: 2
; COMPUTE_PGM_RSRC2:TRAP_HANDLER: 0
; COMPUTE_PGM_RSRC2:TGID_X_EN: 1
; COMPUTE_PGM_RSRC2:TGID_Y_EN: 0
; COMPUTE_PGM_RSRC2:TGID_Z_EN: 0
; COMPUTE_PGM_RSRC2:TIDIG_COMP_CNT: 0
	.section	.text._ZN7rocprim17ROCPRIM_400000_NS6detail17trampoline_kernelINS0_14default_configENS1_20scan_config_selectorIN3c107complexIfEEEEZZNS1_9scan_implILNS1_25lookback_scan_determinismE0ELb0ELb0ES3_PKS7_PS7_S7_ZZZN2at6native31launch_logcumsumexp_cuda_kernelERKNSE_10TensorBaseESI_lENKUlvE_clEvENKUlvE2_clEvEUlS7_S7_E_S7_EEDaPvRmT3_T4_T5_mT6_P12ihipStream_tbENKUlT_T0_E_clISt17integral_constantIbLb1EESZ_EEDaSU_SV_EUlSU_E0_NS1_11comp_targetILNS1_3genE0ELNS1_11target_archE4294967295ELNS1_3gpuE0ELNS1_3repE0EEENS1_30default_config_static_selectorELNS0_4arch9wavefront6targetE0EEEvT1_,"axG",@progbits,_ZN7rocprim17ROCPRIM_400000_NS6detail17trampoline_kernelINS0_14default_configENS1_20scan_config_selectorIN3c107complexIfEEEEZZNS1_9scan_implILNS1_25lookback_scan_determinismE0ELb0ELb0ES3_PKS7_PS7_S7_ZZZN2at6native31launch_logcumsumexp_cuda_kernelERKNSE_10TensorBaseESI_lENKUlvE_clEvENKUlvE2_clEvEUlS7_S7_E_S7_EEDaPvRmT3_T4_T5_mT6_P12ihipStream_tbENKUlT_T0_E_clISt17integral_constantIbLb1EESZ_EEDaSU_SV_EUlSU_E0_NS1_11comp_targetILNS1_3genE0ELNS1_11target_archE4294967295ELNS1_3gpuE0ELNS1_3repE0EEENS1_30default_config_static_selectorELNS0_4arch9wavefront6targetE0EEEvT1_,comdat
	.globl	_ZN7rocprim17ROCPRIM_400000_NS6detail17trampoline_kernelINS0_14default_configENS1_20scan_config_selectorIN3c107complexIfEEEEZZNS1_9scan_implILNS1_25lookback_scan_determinismE0ELb0ELb0ES3_PKS7_PS7_S7_ZZZN2at6native31launch_logcumsumexp_cuda_kernelERKNSE_10TensorBaseESI_lENKUlvE_clEvENKUlvE2_clEvEUlS7_S7_E_S7_EEDaPvRmT3_T4_T5_mT6_P12ihipStream_tbENKUlT_T0_E_clISt17integral_constantIbLb1EESZ_EEDaSU_SV_EUlSU_E0_NS1_11comp_targetILNS1_3genE0ELNS1_11target_archE4294967295ELNS1_3gpuE0ELNS1_3repE0EEENS1_30default_config_static_selectorELNS0_4arch9wavefront6targetE0EEEvT1_ ; -- Begin function _ZN7rocprim17ROCPRIM_400000_NS6detail17trampoline_kernelINS0_14default_configENS1_20scan_config_selectorIN3c107complexIfEEEEZZNS1_9scan_implILNS1_25lookback_scan_determinismE0ELb0ELb0ES3_PKS7_PS7_S7_ZZZN2at6native31launch_logcumsumexp_cuda_kernelERKNSE_10TensorBaseESI_lENKUlvE_clEvENKUlvE2_clEvEUlS7_S7_E_S7_EEDaPvRmT3_T4_T5_mT6_P12ihipStream_tbENKUlT_T0_E_clISt17integral_constantIbLb1EESZ_EEDaSU_SV_EUlSU_E0_NS1_11comp_targetILNS1_3genE0ELNS1_11target_archE4294967295ELNS1_3gpuE0ELNS1_3repE0EEENS1_30default_config_static_selectorELNS0_4arch9wavefront6targetE0EEEvT1_
	.p2align	8
	.type	_ZN7rocprim17ROCPRIM_400000_NS6detail17trampoline_kernelINS0_14default_configENS1_20scan_config_selectorIN3c107complexIfEEEEZZNS1_9scan_implILNS1_25lookback_scan_determinismE0ELb0ELb0ES3_PKS7_PS7_S7_ZZZN2at6native31launch_logcumsumexp_cuda_kernelERKNSE_10TensorBaseESI_lENKUlvE_clEvENKUlvE2_clEvEUlS7_S7_E_S7_EEDaPvRmT3_T4_T5_mT6_P12ihipStream_tbENKUlT_T0_E_clISt17integral_constantIbLb1EESZ_EEDaSU_SV_EUlSU_E0_NS1_11comp_targetILNS1_3genE0ELNS1_11target_archE4294967295ELNS1_3gpuE0ELNS1_3repE0EEENS1_30default_config_static_selectorELNS0_4arch9wavefront6targetE0EEEvT1_,@function
_ZN7rocprim17ROCPRIM_400000_NS6detail17trampoline_kernelINS0_14default_configENS1_20scan_config_selectorIN3c107complexIfEEEEZZNS1_9scan_implILNS1_25lookback_scan_determinismE0ELb0ELb0ES3_PKS7_PS7_S7_ZZZN2at6native31launch_logcumsumexp_cuda_kernelERKNSE_10TensorBaseESI_lENKUlvE_clEvENKUlvE2_clEvEUlS7_S7_E_S7_EEDaPvRmT3_T4_T5_mT6_P12ihipStream_tbENKUlT_T0_E_clISt17integral_constantIbLb1EESZ_EEDaSU_SV_EUlSU_E0_NS1_11comp_targetILNS1_3genE0ELNS1_11target_archE4294967295ELNS1_3gpuE0ELNS1_3repE0EEENS1_30default_config_static_selectorELNS0_4arch9wavefront6targetE0EEEvT1_: ; @_ZN7rocprim17ROCPRIM_400000_NS6detail17trampoline_kernelINS0_14default_configENS1_20scan_config_selectorIN3c107complexIfEEEEZZNS1_9scan_implILNS1_25lookback_scan_determinismE0ELb0ELb0ES3_PKS7_PS7_S7_ZZZN2at6native31launch_logcumsumexp_cuda_kernelERKNSE_10TensorBaseESI_lENKUlvE_clEvENKUlvE2_clEvEUlS7_S7_E_S7_EEDaPvRmT3_T4_T5_mT6_P12ihipStream_tbENKUlT_T0_E_clISt17integral_constantIbLb1EESZ_EEDaSU_SV_EUlSU_E0_NS1_11comp_targetILNS1_3genE0ELNS1_11target_archE4294967295ELNS1_3gpuE0ELNS1_3repE0EEENS1_30default_config_static_selectorELNS0_4arch9wavefront6targetE0EEEvT1_
; %bb.0:
	.section	.rodata,"a",@progbits
	.p2align	6, 0x0
	.amdhsa_kernel _ZN7rocprim17ROCPRIM_400000_NS6detail17trampoline_kernelINS0_14default_configENS1_20scan_config_selectorIN3c107complexIfEEEEZZNS1_9scan_implILNS1_25lookback_scan_determinismE0ELb0ELb0ES3_PKS7_PS7_S7_ZZZN2at6native31launch_logcumsumexp_cuda_kernelERKNSE_10TensorBaseESI_lENKUlvE_clEvENKUlvE2_clEvEUlS7_S7_E_S7_EEDaPvRmT3_T4_T5_mT6_P12ihipStream_tbENKUlT_T0_E_clISt17integral_constantIbLb1EESZ_EEDaSU_SV_EUlSU_E0_NS1_11comp_targetILNS1_3genE0ELNS1_11target_archE4294967295ELNS1_3gpuE0ELNS1_3repE0EEENS1_30default_config_static_selectorELNS0_4arch9wavefront6targetE0EEEvT1_
		.amdhsa_group_segment_fixed_size 0
		.amdhsa_private_segment_fixed_size 0
		.amdhsa_kernarg_size 40
		.amdhsa_user_sgpr_count 2
		.amdhsa_user_sgpr_dispatch_ptr 0
		.amdhsa_user_sgpr_queue_ptr 0
		.amdhsa_user_sgpr_kernarg_segment_ptr 1
		.amdhsa_user_sgpr_dispatch_id 0
		.amdhsa_user_sgpr_private_segment_size 0
		.amdhsa_wavefront_size32 1
		.amdhsa_uses_dynamic_stack 0
		.amdhsa_enable_private_segment 0
		.amdhsa_system_sgpr_workgroup_id_x 1
		.amdhsa_system_sgpr_workgroup_id_y 0
		.amdhsa_system_sgpr_workgroup_id_z 0
		.amdhsa_system_sgpr_workgroup_info 0
		.amdhsa_system_vgpr_workitem_id 0
		.amdhsa_next_free_vgpr 1
		.amdhsa_next_free_sgpr 1
		.amdhsa_reserve_vcc 0
		.amdhsa_float_round_mode_32 0
		.amdhsa_float_round_mode_16_64 0
		.amdhsa_float_denorm_mode_32 3
		.amdhsa_float_denorm_mode_16_64 3
		.amdhsa_fp16_overflow 0
		.amdhsa_workgroup_processor_mode 1
		.amdhsa_memory_ordered 1
		.amdhsa_forward_progress 1
		.amdhsa_inst_pref_size 0
		.amdhsa_round_robin_scheduling 0
		.amdhsa_exception_fp_ieee_invalid_op 0
		.amdhsa_exception_fp_denorm_src 0
		.amdhsa_exception_fp_ieee_div_zero 0
		.amdhsa_exception_fp_ieee_overflow 0
		.amdhsa_exception_fp_ieee_underflow 0
		.amdhsa_exception_fp_ieee_inexact 0
		.amdhsa_exception_int_div_zero 0
	.end_amdhsa_kernel
	.section	.text._ZN7rocprim17ROCPRIM_400000_NS6detail17trampoline_kernelINS0_14default_configENS1_20scan_config_selectorIN3c107complexIfEEEEZZNS1_9scan_implILNS1_25lookback_scan_determinismE0ELb0ELb0ES3_PKS7_PS7_S7_ZZZN2at6native31launch_logcumsumexp_cuda_kernelERKNSE_10TensorBaseESI_lENKUlvE_clEvENKUlvE2_clEvEUlS7_S7_E_S7_EEDaPvRmT3_T4_T5_mT6_P12ihipStream_tbENKUlT_T0_E_clISt17integral_constantIbLb1EESZ_EEDaSU_SV_EUlSU_E0_NS1_11comp_targetILNS1_3genE0ELNS1_11target_archE4294967295ELNS1_3gpuE0ELNS1_3repE0EEENS1_30default_config_static_selectorELNS0_4arch9wavefront6targetE0EEEvT1_,"axG",@progbits,_ZN7rocprim17ROCPRIM_400000_NS6detail17trampoline_kernelINS0_14default_configENS1_20scan_config_selectorIN3c107complexIfEEEEZZNS1_9scan_implILNS1_25lookback_scan_determinismE0ELb0ELb0ES3_PKS7_PS7_S7_ZZZN2at6native31launch_logcumsumexp_cuda_kernelERKNSE_10TensorBaseESI_lENKUlvE_clEvENKUlvE2_clEvEUlS7_S7_E_S7_EEDaPvRmT3_T4_T5_mT6_P12ihipStream_tbENKUlT_T0_E_clISt17integral_constantIbLb1EESZ_EEDaSU_SV_EUlSU_E0_NS1_11comp_targetILNS1_3genE0ELNS1_11target_archE4294967295ELNS1_3gpuE0ELNS1_3repE0EEENS1_30default_config_static_selectorELNS0_4arch9wavefront6targetE0EEEvT1_,comdat
.Lfunc_end300:
	.size	_ZN7rocprim17ROCPRIM_400000_NS6detail17trampoline_kernelINS0_14default_configENS1_20scan_config_selectorIN3c107complexIfEEEEZZNS1_9scan_implILNS1_25lookback_scan_determinismE0ELb0ELb0ES3_PKS7_PS7_S7_ZZZN2at6native31launch_logcumsumexp_cuda_kernelERKNSE_10TensorBaseESI_lENKUlvE_clEvENKUlvE2_clEvEUlS7_S7_E_S7_EEDaPvRmT3_T4_T5_mT6_P12ihipStream_tbENKUlT_T0_E_clISt17integral_constantIbLb1EESZ_EEDaSU_SV_EUlSU_E0_NS1_11comp_targetILNS1_3genE0ELNS1_11target_archE4294967295ELNS1_3gpuE0ELNS1_3repE0EEENS1_30default_config_static_selectorELNS0_4arch9wavefront6targetE0EEEvT1_, .Lfunc_end300-_ZN7rocprim17ROCPRIM_400000_NS6detail17trampoline_kernelINS0_14default_configENS1_20scan_config_selectorIN3c107complexIfEEEEZZNS1_9scan_implILNS1_25lookback_scan_determinismE0ELb0ELb0ES3_PKS7_PS7_S7_ZZZN2at6native31launch_logcumsumexp_cuda_kernelERKNSE_10TensorBaseESI_lENKUlvE_clEvENKUlvE2_clEvEUlS7_S7_E_S7_EEDaPvRmT3_T4_T5_mT6_P12ihipStream_tbENKUlT_T0_E_clISt17integral_constantIbLb1EESZ_EEDaSU_SV_EUlSU_E0_NS1_11comp_targetILNS1_3genE0ELNS1_11target_archE4294967295ELNS1_3gpuE0ELNS1_3repE0EEENS1_30default_config_static_selectorELNS0_4arch9wavefront6targetE0EEEvT1_
                                        ; -- End function
	.set _ZN7rocprim17ROCPRIM_400000_NS6detail17trampoline_kernelINS0_14default_configENS1_20scan_config_selectorIN3c107complexIfEEEEZZNS1_9scan_implILNS1_25lookback_scan_determinismE0ELb0ELb0ES3_PKS7_PS7_S7_ZZZN2at6native31launch_logcumsumexp_cuda_kernelERKNSE_10TensorBaseESI_lENKUlvE_clEvENKUlvE2_clEvEUlS7_S7_E_S7_EEDaPvRmT3_T4_T5_mT6_P12ihipStream_tbENKUlT_T0_E_clISt17integral_constantIbLb1EESZ_EEDaSU_SV_EUlSU_E0_NS1_11comp_targetILNS1_3genE0ELNS1_11target_archE4294967295ELNS1_3gpuE0ELNS1_3repE0EEENS1_30default_config_static_selectorELNS0_4arch9wavefront6targetE0EEEvT1_.num_vgpr, 0
	.set _ZN7rocprim17ROCPRIM_400000_NS6detail17trampoline_kernelINS0_14default_configENS1_20scan_config_selectorIN3c107complexIfEEEEZZNS1_9scan_implILNS1_25lookback_scan_determinismE0ELb0ELb0ES3_PKS7_PS7_S7_ZZZN2at6native31launch_logcumsumexp_cuda_kernelERKNSE_10TensorBaseESI_lENKUlvE_clEvENKUlvE2_clEvEUlS7_S7_E_S7_EEDaPvRmT3_T4_T5_mT6_P12ihipStream_tbENKUlT_T0_E_clISt17integral_constantIbLb1EESZ_EEDaSU_SV_EUlSU_E0_NS1_11comp_targetILNS1_3genE0ELNS1_11target_archE4294967295ELNS1_3gpuE0ELNS1_3repE0EEENS1_30default_config_static_selectorELNS0_4arch9wavefront6targetE0EEEvT1_.num_agpr, 0
	.set _ZN7rocprim17ROCPRIM_400000_NS6detail17trampoline_kernelINS0_14default_configENS1_20scan_config_selectorIN3c107complexIfEEEEZZNS1_9scan_implILNS1_25lookback_scan_determinismE0ELb0ELb0ES3_PKS7_PS7_S7_ZZZN2at6native31launch_logcumsumexp_cuda_kernelERKNSE_10TensorBaseESI_lENKUlvE_clEvENKUlvE2_clEvEUlS7_S7_E_S7_EEDaPvRmT3_T4_T5_mT6_P12ihipStream_tbENKUlT_T0_E_clISt17integral_constantIbLb1EESZ_EEDaSU_SV_EUlSU_E0_NS1_11comp_targetILNS1_3genE0ELNS1_11target_archE4294967295ELNS1_3gpuE0ELNS1_3repE0EEENS1_30default_config_static_selectorELNS0_4arch9wavefront6targetE0EEEvT1_.numbered_sgpr, 0
	.set _ZN7rocprim17ROCPRIM_400000_NS6detail17trampoline_kernelINS0_14default_configENS1_20scan_config_selectorIN3c107complexIfEEEEZZNS1_9scan_implILNS1_25lookback_scan_determinismE0ELb0ELb0ES3_PKS7_PS7_S7_ZZZN2at6native31launch_logcumsumexp_cuda_kernelERKNSE_10TensorBaseESI_lENKUlvE_clEvENKUlvE2_clEvEUlS7_S7_E_S7_EEDaPvRmT3_T4_T5_mT6_P12ihipStream_tbENKUlT_T0_E_clISt17integral_constantIbLb1EESZ_EEDaSU_SV_EUlSU_E0_NS1_11comp_targetILNS1_3genE0ELNS1_11target_archE4294967295ELNS1_3gpuE0ELNS1_3repE0EEENS1_30default_config_static_selectorELNS0_4arch9wavefront6targetE0EEEvT1_.num_named_barrier, 0
	.set _ZN7rocprim17ROCPRIM_400000_NS6detail17trampoline_kernelINS0_14default_configENS1_20scan_config_selectorIN3c107complexIfEEEEZZNS1_9scan_implILNS1_25lookback_scan_determinismE0ELb0ELb0ES3_PKS7_PS7_S7_ZZZN2at6native31launch_logcumsumexp_cuda_kernelERKNSE_10TensorBaseESI_lENKUlvE_clEvENKUlvE2_clEvEUlS7_S7_E_S7_EEDaPvRmT3_T4_T5_mT6_P12ihipStream_tbENKUlT_T0_E_clISt17integral_constantIbLb1EESZ_EEDaSU_SV_EUlSU_E0_NS1_11comp_targetILNS1_3genE0ELNS1_11target_archE4294967295ELNS1_3gpuE0ELNS1_3repE0EEENS1_30default_config_static_selectorELNS0_4arch9wavefront6targetE0EEEvT1_.private_seg_size, 0
	.set _ZN7rocprim17ROCPRIM_400000_NS6detail17trampoline_kernelINS0_14default_configENS1_20scan_config_selectorIN3c107complexIfEEEEZZNS1_9scan_implILNS1_25lookback_scan_determinismE0ELb0ELb0ES3_PKS7_PS7_S7_ZZZN2at6native31launch_logcumsumexp_cuda_kernelERKNSE_10TensorBaseESI_lENKUlvE_clEvENKUlvE2_clEvEUlS7_S7_E_S7_EEDaPvRmT3_T4_T5_mT6_P12ihipStream_tbENKUlT_T0_E_clISt17integral_constantIbLb1EESZ_EEDaSU_SV_EUlSU_E0_NS1_11comp_targetILNS1_3genE0ELNS1_11target_archE4294967295ELNS1_3gpuE0ELNS1_3repE0EEENS1_30default_config_static_selectorELNS0_4arch9wavefront6targetE0EEEvT1_.uses_vcc, 0
	.set _ZN7rocprim17ROCPRIM_400000_NS6detail17trampoline_kernelINS0_14default_configENS1_20scan_config_selectorIN3c107complexIfEEEEZZNS1_9scan_implILNS1_25lookback_scan_determinismE0ELb0ELb0ES3_PKS7_PS7_S7_ZZZN2at6native31launch_logcumsumexp_cuda_kernelERKNSE_10TensorBaseESI_lENKUlvE_clEvENKUlvE2_clEvEUlS7_S7_E_S7_EEDaPvRmT3_T4_T5_mT6_P12ihipStream_tbENKUlT_T0_E_clISt17integral_constantIbLb1EESZ_EEDaSU_SV_EUlSU_E0_NS1_11comp_targetILNS1_3genE0ELNS1_11target_archE4294967295ELNS1_3gpuE0ELNS1_3repE0EEENS1_30default_config_static_selectorELNS0_4arch9wavefront6targetE0EEEvT1_.uses_flat_scratch, 0
	.set _ZN7rocprim17ROCPRIM_400000_NS6detail17trampoline_kernelINS0_14default_configENS1_20scan_config_selectorIN3c107complexIfEEEEZZNS1_9scan_implILNS1_25lookback_scan_determinismE0ELb0ELb0ES3_PKS7_PS7_S7_ZZZN2at6native31launch_logcumsumexp_cuda_kernelERKNSE_10TensorBaseESI_lENKUlvE_clEvENKUlvE2_clEvEUlS7_S7_E_S7_EEDaPvRmT3_T4_T5_mT6_P12ihipStream_tbENKUlT_T0_E_clISt17integral_constantIbLb1EESZ_EEDaSU_SV_EUlSU_E0_NS1_11comp_targetILNS1_3genE0ELNS1_11target_archE4294967295ELNS1_3gpuE0ELNS1_3repE0EEENS1_30default_config_static_selectorELNS0_4arch9wavefront6targetE0EEEvT1_.has_dyn_sized_stack, 0
	.set _ZN7rocprim17ROCPRIM_400000_NS6detail17trampoline_kernelINS0_14default_configENS1_20scan_config_selectorIN3c107complexIfEEEEZZNS1_9scan_implILNS1_25lookback_scan_determinismE0ELb0ELb0ES3_PKS7_PS7_S7_ZZZN2at6native31launch_logcumsumexp_cuda_kernelERKNSE_10TensorBaseESI_lENKUlvE_clEvENKUlvE2_clEvEUlS7_S7_E_S7_EEDaPvRmT3_T4_T5_mT6_P12ihipStream_tbENKUlT_T0_E_clISt17integral_constantIbLb1EESZ_EEDaSU_SV_EUlSU_E0_NS1_11comp_targetILNS1_3genE0ELNS1_11target_archE4294967295ELNS1_3gpuE0ELNS1_3repE0EEENS1_30default_config_static_selectorELNS0_4arch9wavefront6targetE0EEEvT1_.has_recursion, 0
	.set _ZN7rocprim17ROCPRIM_400000_NS6detail17trampoline_kernelINS0_14default_configENS1_20scan_config_selectorIN3c107complexIfEEEEZZNS1_9scan_implILNS1_25lookback_scan_determinismE0ELb0ELb0ES3_PKS7_PS7_S7_ZZZN2at6native31launch_logcumsumexp_cuda_kernelERKNSE_10TensorBaseESI_lENKUlvE_clEvENKUlvE2_clEvEUlS7_S7_E_S7_EEDaPvRmT3_T4_T5_mT6_P12ihipStream_tbENKUlT_T0_E_clISt17integral_constantIbLb1EESZ_EEDaSU_SV_EUlSU_E0_NS1_11comp_targetILNS1_3genE0ELNS1_11target_archE4294967295ELNS1_3gpuE0ELNS1_3repE0EEENS1_30default_config_static_selectorELNS0_4arch9wavefront6targetE0EEEvT1_.has_indirect_call, 0
	.section	.AMDGPU.csdata,"",@progbits
; Kernel info:
; codeLenInByte = 0
; TotalNumSgprs: 0
; NumVgprs: 0
; ScratchSize: 0
; MemoryBound: 0
; FloatMode: 240
; IeeeMode: 1
; LDSByteSize: 0 bytes/workgroup (compile time only)
; SGPRBlocks: 0
; VGPRBlocks: 0
; NumSGPRsForWavesPerEU: 1
; NumVGPRsForWavesPerEU: 1
; Occupancy: 16
; WaveLimiterHint : 0
; COMPUTE_PGM_RSRC2:SCRATCH_EN: 0
; COMPUTE_PGM_RSRC2:USER_SGPR: 2
; COMPUTE_PGM_RSRC2:TRAP_HANDLER: 0
; COMPUTE_PGM_RSRC2:TGID_X_EN: 1
; COMPUTE_PGM_RSRC2:TGID_Y_EN: 0
; COMPUTE_PGM_RSRC2:TGID_Z_EN: 0
; COMPUTE_PGM_RSRC2:TIDIG_COMP_CNT: 0
	.section	.text._ZN7rocprim17ROCPRIM_400000_NS6detail17trampoline_kernelINS0_14default_configENS1_20scan_config_selectorIN3c107complexIfEEEEZZNS1_9scan_implILNS1_25lookback_scan_determinismE0ELb0ELb0ES3_PKS7_PS7_S7_ZZZN2at6native31launch_logcumsumexp_cuda_kernelERKNSE_10TensorBaseESI_lENKUlvE_clEvENKUlvE2_clEvEUlS7_S7_E_S7_EEDaPvRmT3_T4_T5_mT6_P12ihipStream_tbENKUlT_T0_E_clISt17integral_constantIbLb1EESZ_EEDaSU_SV_EUlSU_E0_NS1_11comp_targetILNS1_3genE5ELNS1_11target_archE942ELNS1_3gpuE9ELNS1_3repE0EEENS1_30default_config_static_selectorELNS0_4arch9wavefront6targetE0EEEvT1_,"axG",@progbits,_ZN7rocprim17ROCPRIM_400000_NS6detail17trampoline_kernelINS0_14default_configENS1_20scan_config_selectorIN3c107complexIfEEEEZZNS1_9scan_implILNS1_25lookback_scan_determinismE0ELb0ELb0ES3_PKS7_PS7_S7_ZZZN2at6native31launch_logcumsumexp_cuda_kernelERKNSE_10TensorBaseESI_lENKUlvE_clEvENKUlvE2_clEvEUlS7_S7_E_S7_EEDaPvRmT3_T4_T5_mT6_P12ihipStream_tbENKUlT_T0_E_clISt17integral_constantIbLb1EESZ_EEDaSU_SV_EUlSU_E0_NS1_11comp_targetILNS1_3genE5ELNS1_11target_archE942ELNS1_3gpuE9ELNS1_3repE0EEENS1_30default_config_static_selectorELNS0_4arch9wavefront6targetE0EEEvT1_,comdat
	.globl	_ZN7rocprim17ROCPRIM_400000_NS6detail17trampoline_kernelINS0_14default_configENS1_20scan_config_selectorIN3c107complexIfEEEEZZNS1_9scan_implILNS1_25lookback_scan_determinismE0ELb0ELb0ES3_PKS7_PS7_S7_ZZZN2at6native31launch_logcumsumexp_cuda_kernelERKNSE_10TensorBaseESI_lENKUlvE_clEvENKUlvE2_clEvEUlS7_S7_E_S7_EEDaPvRmT3_T4_T5_mT6_P12ihipStream_tbENKUlT_T0_E_clISt17integral_constantIbLb1EESZ_EEDaSU_SV_EUlSU_E0_NS1_11comp_targetILNS1_3genE5ELNS1_11target_archE942ELNS1_3gpuE9ELNS1_3repE0EEENS1_30default_config_static_selectorELNS0_4arch9wavefront6targetE0EEEvT1_ ; -- Begin function _ZN7rocprim17ROCPRIM_400000_NS6detail17trampoline_kernelINS0_14default_configENS1_20scan_config_selectorIN3c107complexIfEEEEZZNS1_9scan_implILNS1_25lookback_scan_determinismE0ELb0ELb0ES3_PKS7_PS7_S7_ZZZN2at6native31launch_logcumsumexp_cuda_kernelERKNSE_10TensorBaseESI_lENKUlvE_clEvENKUlvE2_clEvEUlS7_S7_E_S7_EEDaPvRmT3_T4_T5_mT6_P12ihipStream_tbENKUlT_T0_E_clISt17integral_constantIbLb1EESZ_EEDaSU_SV_EUlSU_E0_NS1_11comp_targetILNS1_3genE5ELNS1_11target_archE942ELNS1_3gpuE9ELNS1_3repE0EEENS1_30default_config_static_selectorELNS0_4arch9wavefront6targetE0EEEvT1_
	.p2align	8
	.type	_ZN7rocprim17ROCPRIM_400000_NS6detail17trampoline_kernelINS0_14default_configENS1_20scan_config_selectorIN3c107complexIfEEEEZZNS1_9scan_implILNS1_25lookback_scan_determinismE0ELb0ELb0ES3_PKS7_PS7_S7_ZZZN2at6native31launch_logcumsumexp_cuda_kernelERKNSE_10TensorBaseESI_lENKUlvE_clEvENKUlvE2_clEvEUlS7_S7_E_S7_EEDaPvRmT3_T4_T5_mT6_P12ihipStream_tbENKUlT_T0_E_clISt17integral_constantIbLb1EESZ_EEDaSU_SV_EUlSU_E0_NS1_11comp_targetILNS1_3genE5ELNS1_11target_archE942ELNS1_3gpuE9ELNS1_3repE0EEENS1_30default_config_static_selectorELNS0_4arch9wavefront6targetE0EEEvT1_,@function
_ZN7rocprim17ROCPRIM_400000_NS6detail17trampoline_kernelINS0_14default_configENS1_20scan_config_selectorIN3c107complexIfEEEEZZNS1_9scan_implILNS1_25lookback_scan_determinismE0ELb0ELb0ES3_PKS7_PS7_S7_ZZZN2at6native31launch_logcumsumexp_cuda_kernelERKNSE_10TensorBaseESI_lENKUlvE_clEvENKUlvE2_clEvEUlS7_S7_E_S7_EEDaPvRmT3_T4_T5_mT6_P12ihipStream_tbENKUlT_T0_E_clISt17integral_constantIbLb1EESZ_EEDaSU_SV_EUlSU_E0_NS1_11comp_targetILNS1_3genE5ELNS1_11target_archE942ELNS1_3gpuE9ELNS1_3repE0EEENS1_30default_config_static_selectorELNS0_4arch9wavefront6targetE0EEEvT1_: ; @_ZN7rocprim17ROCPRIM_400000_NS6detail17trampoline_kernelINS0_14default_configENS1_20scan_config_selectorIN3c107complexIfEEEEZZNS1_9scan_implILNS1_25lookback_scan_determinismE0ELb0ELb0ES3_PKS7_PS7_S7_ZZZN2at6native31launch_logcumsumexp_cuda_kernelERKNSE_10TensorBaseESI_lENKUlvE_clEvENKUlvE2_clEvEUlS7_S7_E_S7_EEDaPvRmT3_T4_T5_mT6_P12ihipStream_tbENKUlT_T0_E_clISt17integral_constantIbLb1EESZ_EEDaSU_SV_EUlSU_E0_NS1_11comp_targetILNS1_3genE5ELNS1_11target_archE942ELNS1_3gpuE9ELNS1_3repE0EEENS1_30default_config_static_selectorELNS0_4arch9wavefront6targetE0EEEvT1_
; %bb.0:
	.section	.rodata,"a",@progbits
	.p2align	6, 0x0
	.amdhsa_kernel _ZN7rocprim17ROCPRIM_400000_NS6detail17trampoline_kernelINS0_14default_configENS1_20scan_config_selectorIN3c107complexIfEEEEZZNS1_9scan_implILNS1_25lookback_scan_determinismE0ELb0ELb0ES3_PKS7_PS7_S7_ZZZN2at6native31launch_logcumsumexp_cuda_kernelERKNSE_10TensorBaseESI_lENKUlvE_clEvENKUlvE2_clEvEUlS7_S7_E_S7_EEDaPvRmT3_T4_T5_mT6_P12ihipStream_tbENKUlT_T0_E_clISt17integral_constantIbLb1EESZ_EEDaSU_SV_EUlSU_E0_NS1_11comp_targetILNS1_3genE5ELNS1_11target_archE942ELNS1_3gpuE9ELNS1_3repE0EEENS1_30default_config_static_selectorELNS0_4arch9wavefront6targetE0EEEvT1_
		.amdhsa_group_segment_fixed_size 0
		.amdhsa_private_segment_fixed_size 0
		.amdhsa_kernarg_size 40
		.amdhsa_user_sgpr_count 2
		.amdhsa_user_sgpr_dispatch_ptr 0
		.amdhsa_user_sgpr_queue_ptr 0
		.amdhsa_user_sgpr_kernarg_segment_ptr 1
		.amdhsa_user_sgpr_dispatch_id 0
		.amdhsa_user_sgpr_private_segment_size 0
		.amdhsa_wavefront_size32 1
		.amdhsa_uses_dynamic_stack 0
		.amdhsa_enable_private_segment 0
		.amdhsa_system_sgpr_workgroup_id_x 1
		.amdhsa_system_sgpr_workgroup_id_y 0
		.amdhsa_system_sgpr_workgroup_id_z 0
		.amdhsa_system_sgpr_workgroup_info 0
		.amdhsa_system_vgpr_workitem_id 0
		.amdhsa_next_free_vgpr 1
		.amdhsa_next_free_sgpr 1
		.amdhsa_reserve_vcc 0
		.amdhsa_float_round_mode_32 0
		.amdhsa_float_round_mode_16_64 0
		.amdhsa_float_denorm_mode_32 3
		.amdhsa_float_denorm_mode_16_64 3
		.amdhsa_fp16_overflow 0
		.amdhsa_workgroup_processor_mode 1
		.amdhsa_memory_ordered 1
		.amdhsa_forward_progress 1
		.amdhsa_inst_pref_size 0
		.amdhsa_round_robin_scheduling 0
		.amdhsa_exception_fp_ieee_invalid_op 0
		.amdhsa_exception_fp_denorm_src 0
		.amdhsa_exception_fp_ieee_div_zero 0
		.amdhsa_exception_fp_ieee_overflow 0
		.amdhsa_exception_fp_ieee_underflow 0
		.amdhsa_exception_fp_ieee_inexact 0
		.amdhsa_exception_int_div_zero 0
	.end_amdhsa_kernel
	.section	.text._ZN7rocprim17ROCPRIM_400000_NS6detail17trampoline_kernelINS0_14default_configENS1_20scan_config_selectorIN3c107complexIfEEEEZZNS1_9scan_implILNS1_25lookback_scan_determinismE0ELb0ELb0ES3_PKS7_PS7_S7_ZZZN2at6native31launch_logcumsumexp_cuda_kernelERKNSE_10TensorBaseESI_lENKUlvE_clEvENKUlvE2_clEvEUlS7_S7_E_S7_EEDaPvRmT3_T4_T5_mT6_P12ihipStream_tbENKUlT_T0_E_clISt17integral_constantIbLb1EESZ_EEDaSU_SV_EUlSU_E0_NS1_11comp_targetILNS1_3genE5ELNS1_11target_archE942ELNS1_3gpuE9ELNS1_3repE0EEENS1_30default_config_static_selectorELNS0_4arch9wavefront6targetE0EEEvT1_,"axG",@progbits,_ZN7rocprim17ROCPRIM_400000_NS6detail17trampoline_kernelINS0_14default_configENS1_20scan_config_selectorIN3c107complexIfEEEEZZNS1_9scan_implILNS1_25lookback_scan_determinismE0ELb0ELb0ES3_PKS7_PS7_S7_ZZZN2at6native31launch_logcumsumexp_cuda_kernelERKNSE_10TensorBaseESI_lENKUlvE_clEvENKUlvE2_clEvEUlS7_S7_E_S7_EEDaPvRmT3_T4_T5_mT6_P12ihipStream_tbENKUlT_T0_E_clISt17integral_constantIbLb1EESZ_EEDaSU_SV_EUlSU_E0_NS1_11comp_targetILNS1_3genE5ELNS1_11target_archE942ELNS1_3gpuE9ELNS1_3repE0EEENS1_30default_config_static_selectorELNS0_4arch9wavefront6targetE0EEEvT1_,comdat
.Lfunc_end301:
	.size	_ZN7rocprim17ROCPRIM_400000_NS6detail17trampoline_kernelINS0_14default_configENS1_20scan_config_selectorIN3c107complexIfEEEEZZNS1_9scan_implILNS1_25lookback_scan_determinismE0ELb0ELb0ES3_PKS7_PS7_S7_ZZZN2at6native31launch_logcumsumexp_cuda_kernelERKNSE_10TensorBaseESI_lENKUlvE_clEvENKUlvE2_clEvEUlS7_S7_E_S7_EEDaPvRmT3_T4_T5_mT6_P12ihipStream_tbENKUlT_T0_E_clISt17integral_constantIbLb1EESZ_EEDaSU_SV_EUlSU_E0_NS1_11comp_targetILNS1_3genE5ELNS1_11target_archE942ELNS1_3gpuE9ELNS1_3repE0EEENS1_30default_config_static_selectorELNS0_4arch9wavefront6targetE0EEEvT1_, .Lfunc_end301-_ZN7rocprim17ROCPRIM_400000_NS6detail17trampoline_kernelINS0_14default_configENS1_20scan_config_selectorIN3c107complexIfEEEEZZNS1_9scan_implILNS1_25lookback_scan_determinismE0ELb0ELb0ES3_PKS7_PS7_S7_ZZZN2at6native31launch_logcumsumexp_cuda_kernelERKNSE_10TensorBaseESI_lENKUlvE_clEvENKUlvE2_clEvEUlS7_S7_E_S7_EEDaPvRmT3_T4_T5_mT6_P12ihipStream_tbENKUlT_T0_E_clISt17integral_constantIbLb1EESZ_EEDaSU_SV_EUlSU_E0_NS1_11comp_targetILNS1_3genE5ELNS1_11target_archE942ELNS1_3gpuE9ELNS1_3repE0EEENS1_30default_config_static_selectorELNS0_4arch9wavefront6targetE0EEEvT1_
                                        ; -- End function
	.set _ZN7rocprim17ROCPRIM_400000_NS6detail17trampoline_kernelINS0_14default_configENS1_20scan_config_selectorIN3c107complexIfEEEEZZNS1_9scan_implILNS1_25lookback_scan_determinismE0ELb0ELb0ES3_PKS7_PS7_S7_ZZZN2at6native31launch_logcumsumexp_cuda_kernelERKNSE_10TensorBaseESI_lENKUlvE_clEvENKUlvE2_clEvEUlS7_S7_E_S7_EEDaPvRmT3_T4_T5_mT6_P12ihipStream_tbENKUlT_T0_E_clISt17integral_constantIbLb1EESZ_EEDaSU_SV_EUlSU_E0_NS1_11comp_targetILNS1_3genE5ELNS1_11target_archE942ELNS1_3gpuE9ELNS1_3repE0EEENS1_30default_config_static_selectorELNS0_4arch9wavefront6targetE0EEEvT1_.num_vgpr, 0
	.set _ZN7rocprim17ROCPRIM_400000_NS6detail17trampoline_kernelINS0_14default_configENS1_20scan_config_selectorIN3c107complexIfEEEEZZNS1_9scan_implILNS1_25lookback_scan_determinismE0ELb0ELb0ES3_PKS7_PS7_S7_ZZZN2at6native31launch_logcumsumexp_cuda_kernelERKNSE_10TensorBaseESI_lENKUlvE_clEvENKUlvE2_clEvEUlS7_S7_E_S7_EEDaPvRmT3_T4_T5_mT6_P12ihipStream_tbENKUlT_T0_E_clISt17integral_constantIbLb1EESZ_EEDaSU_SV_EUlSU_E0_NS1_11comp_targetILNS1_3genE5ELNS1_11target_archE942ELNS1_3gpuE9ELNS1_3repE0EEENS1_30default_config_static_selectorELNS0_4arch9wavefront6targetE0EEEvT1_.num_agpr, 0
	.set _ZN7rocprim17ROCPRIM_400000_NS6detail17trampoline_kernelINS0_14default_configENS1_20scan_config_selectorIN3c107complexIfEEEEZZNS1_9scan_implILNS1_25lookback_scan_determinismE0ELb0ELb0ES3_PKS7_PS7_S7_ZZZN2at6native31launch_logcumsumexp_cuda_kernelERKNSE_10TensorBaseESI_lENKUlvE_clEvENKUlvE2_clEvEUlS7_S7_E_S7_EEDaPvRmT3_T4_T5_mT6_P12ihipStream_tbENKUlT_T0_E_clISt17integral_constantIbLb1EESZ_EEDaSU_SV_EUlSU_E0_NS1_11comp_targetILNS1_3genE5ELNS1_11target_archE942ELNS1_3gpuE9ELNS1_3repE0EEENS1_30default_config_static_selectorELNS0_4arch9wavefront6targetE0EEEvT1_.numbered_sgpr, 0
	.set _ZN7rocprim17ROCPRIM_400000_NS6detail17trampoline_kernelINS0_14default_configENS1_20scan_config_selectorIN3c107complexIfEEEEZZNS1_9scan_implILNS1_25lookback_scan_determinismE0ELb0ELb0ES3_PKS7_PS7_S7_ZZZN2at6native31launch_logcumsumexp_cuda_kernelERKNSE_10TensorBaseESI_lENKUlvE_clEvENKUlvE2_clEvEUlS7_S7_E_S7_EEDaPvRmT3_T4_T5_mT6_P12ihipStream_tbENKUlT_T0_E_clISt17integral_constantIbLb1EESZ_EEDaSU_SV_EUlSU_E0_NS1_11comp_targetILNS1_3genE5ELNS1_11target_archE942ELNS1_3gpuE9ELNS1_3repE0EEENS1_30default_config_static_selectorELNS0_4arch9wavefront6targetE0EEEvT1_.num_named_barrier, 0
	.set _ZN7rocprim17ROCPRIM_400000_NS6detail17trampoline_kernelINS0_14default_configENS1_20scan_config_selectorIN3c107complexIfEEEEZZNS1_9scan_implILNS1_25lookback_scan_determinismE0ELb0ELb0ES3_PKS7_PS7_S7_ZZZN2at6native31launch_logcumsumexp_cuda_kernelERKNSE_10TensorBaseESI_lENKUlvE_clEvENKUlvE2_clEvEUlS7_S7_E_S7_EEDaPvRmT3_T4_T5_mT6_P12ihipStream_tbENKUlT_T0_E_clISt17integral_constantIbLb1EESZ_EEDaSU_SV_EUlSU_E0_NS1_11comp_targetILNS1_3genE5ELNS1_11target_archE942ELNS1_3gpuE9ELNS1_3repE0EEENS1_30default_config_static_selectorELNS0_4arch9wavefront6targetE0EEEvT1_.private_seg_size, 0
	.set _ZN7rocprim17ROCPRIM_400000_NS6detail17trampoline_kernelINS0_14default_configENS1_20scan_config_selectorIN3c107complexIfEEEEZZNS1_9scan_implILNS1_25lookback_scan_determinismE0ELb0ELb0ES3_PKS7_PS7_S7_ZZZN2at6native31launch_logcumsumexp_cuda_kernelERKNSE_10TensorBaseESI_lENKUlvE_clEvENKUlvE2_clEvEUlS7_S7_E_S7_EEDaPvRmT3_T4_T5_mT6_P12ihipStream_tbENKUlT_T0_E_clISt17integral_constantIbLb1EESZ_EEDaSU_SV_EUlSU_E0_NS1_11comp_targetILNS1_3genE5ELNS1_11target_archE942ELNS1_3gpuE9ELNS1_3repE0EEENS1_30default_config_static_selectorELNS0_4arch9wavefront6targetE0EEEvT1_.uses_vcc, 0
	.set _ZN7rocprim17ROCPRIM_400000_NS6detail17trampoline_kernelINS0_14default_configENS1_20scan_config_selectorIN3c107complexIfEEEEZZNS1_9scan_implILNS1_25lookback_scan_determinismE0ELb0ELb0ES3_PKS7_PS7_S7_ZZZN2at6native31launch_logcumsumexp_cuda_kernelERKNSE_10TensorBaseESI_lENKUlvE_clEvENKUlvE2_clEvEUlS7_S7_E_S7_EEDaPvRmT3_T4_T5_mT6_P12ihipStream_tbENKUlT_T0_E_clISt17integral_constantIbLb1EESZ_EEDaSU_SV_EUlSU_E0_NS1_11comp_targetILNS1_3genE5ELNS1_11target_archE942ELNS1_3gpuE9ELNS1_3repE0EEENS1_30default_config_static_selectorELNS0_4arch9wavefront6targetE0EEEvT1_.uses_flat_scratch, 0
	.set _ZN7rocprim17ROCPRIM_400000_NS6detail17trampoline_kernelINS0_14default_configENS1_20scan_config_selectorIN3c107complexIfEEEEZZNS1_9scan_implILNS1_25lookback_scan_determinismE0ELb0ELb0ES3_PKS7_PS7_S7_ZZZN2at6native31launch_logcumsumexp_cuda_kernelERKNSE_10TensorBaseESI_lENKUlvE_clEvENKUlvE2_clEvEUlS7_S7_E_S7_EEDaPvRmT3_T4_T5_mT6_P12ihipStream_tbENKUlT_T0_E_clISt17integral_constantIbLb1EESZ_EEDaSU_SV_EUlSU_E0_NS1_11comp_targetILNS1_3genE5ELNS1_11target_archE942ELNS1_3gpuE9ELNS1_3repE0EEENS1_30default_config_static_selectorELNS0_4arch9wavefront6targetE0EEEvT1_.has_dyn_sized_stack, 0
	.set _ZN7rocprim17ROCPRIM_400000_NS6detail17trampoline_kernelINS0_14default_configENS1_20scan_config_selectorIN3c107complexIfEEEEZZNS1_9scan_implILNS1_25lookback_scan_determinismE0ELb0ELb0ES3_PKS7_PS7_S7_ZZZN2at6native31launch_logcumsumexp_cuda_kernelERKNSE_10TensorBaseESI_lENKUlvE_clEvENKUlvE2_clEvEUlS7_S7_E_S7_EEDaPvRmT3_T4_T5_mT6_P12ihipStream_tbENKUlT_T0_E_clISt17integral_constantIbLb1EESZ_EEDaSU_SV_EUlSU_E0_NS1_11comp_targetILNS1_3genE5ELNS1_11target_archE942ELNS1_3gpuE9ELNS1_3repE0EEENS1_30default_config_static_selectorELNS0_4arch9wavefront6targetE0EEEvT1_.has_recursion, 0
	.set _ZN7rocprim17ROCPRIM_400000_NS6detail17trampoline_kernelINS0_14default_configENS1_20scan_config_selectorIN3c107complexIfEEEEZZNS1_9scan_implILNS1_25lookback_scan_determinismE0ELb0ELb0ES3_PKS7_PS7_S7_ZZZN2at6native31launch_logcumsumexp_cuda_kernelERKNSE_10TensorBaseESI_lENKUlvE_clEvENKUlvE2_clEvEUlS7_S7_E_S7_EEDaPvRmT3_T4_T5_mT6_P12ihipStream_tbENKUlT_T0_E_clISt17integral_constantIbLb1EESZ_EEDaSU_SV_EUlSU_E0_NS1_11comp_targetILNS1_3genE5ELNS1_11target_archE942ELNS1_3gpuE9ELNS1_3repE0EEENS1_30default_config_static_selectorELNS0_4arch9wavefront6targetE0EEEvT1_.has_indirect_call, 0
	.section	.AMDGPU.csdata,"",@progbits
; Kernel info:
; codeLenInByte = 0
; TotalNumSgprs: 0
; NumVgprs: 0
; ScratchSize: 0
; MemoryBound: 0
; FloatMode: 240
; IeeeMode: 1
; LDSByteSize: 0 bytes/workgroup (compile time only)
; SGPRBlocks: 0
; VGPRBlocks: 0
; NumSGPRsForWavesPerEU: 1
; NumVGPRsForWavesPerEU: 1
; Occupancy: 16
; WaveLimiterHint : 0
; COMPUTE_PGM_RSRC2:SCRATCH_EN: 0
; COMPUTE_PGM_RSRC2:USER_SGPR: 2
; COMPUTE_PGM_RSRC2:TRAP_HANDLER: 0
; COMPUTE_PGM_RSRC2:TGID_X_EN: 1
; COMPUTE_PGM_RSRC2:TGID_Y_EN: 0
; COMPUTE_PGM_RSRC2:TGID_Z_EN: 0
; COMPUTE_PGM_RSRC2:TIDIG_COMP_CNT: 0
	.section	.text._ZN7rocprim17ROCPRIM_400000_NS6detail17trampoline_kernelINS0_14default_configENS1_20scan_config_selectorIN3c107complexIfEEEEZZNS1_9scan_implILNS1_25lookback_scan_determinismE0ELb0ELb0ES3_PKS7_PS7_S7_ZZZN2at6native31launch_logcumsumexp_cuda_kernelERKNSE_10TensorBaseESI_lENKUlvE_clEvENKUlvE2_clEvEUlS7_S7_E_S7_EEDaPvRmT3_T4_T5_mT6_P12ihipStream_tbENKUlT_T0_E_clISt17integral_constantIbLb1EESZ_EEDaSU_SV_EUlSU_E0_NS1_11comp_targetILNS1_3genE4ELNS1_11target_archE910ELNS1_3gpuE8ELNS1_3repE0EEENS1_30default_config_static_selectorELNS0_4arch9wavefront6targetE0EEEvT1_,"axG",@progbits,_ZN7rocprim17ROCPRIM_400000_NS6detail17trampoline_kernelINS0_14default_configENS1_20scan_config_selectorIN3c107complexIfEEEEZZNS1_9scan_implILNS1_25lookback_scan_determinismE0ELb0ELb0ES3_PKS7_PS7_S7_ZZZN2at6native31launch_logcumsumexp_cuda_kernelERKNSE_10TensorBaseESI_lENKUlvE_clEvENKUlvE2_clEvEUlS7_S7_E_S7_EEDaPvRmT3_T4_T5_mT6_P12ihipStream_tbENKUlT_T0_E_clISt17integral_constantIbLb1EESZ_EEDaSU_SV_EUlSU_E0_NS1_11comp_targetILNS1_3genE4ELNS1_11target_archE910ELNS1_3gpuE8ELNS1_3repE0EEENS1_30default_config_static_selectorELNS0_4arch9wavefront6targetE0EEEvT1_,comdat
	.globl	_ZN7rocprim17ROCPRIM_400000_NS6detail17trampoline_kernelINS0_14default_configENS1_20scan_config_selectorIN3c107complexIfEEEEZZNS1_9scan_implILNS1_25lookback_scan_determinismE0ELb0ELb0ES3_PKS7_PS7_S7_ZZZN2at6native31launch_logcumsumexp_cuda_kernelERKNSE_10TensorBaseESI_lENKUlvE_clEvENKUlvE2_clEvEUlS7_S7_E_S7_EEDaPvRmT3_T4_T5_mT6_P12ihipStream_tbENKUlT_T0_E_clISt17integral_constantIbLb1EESZ_EEDaSU_SV_EUlSU_E0_NS1_11comp_targetILNS1_3genE4ELNS1_11target_archE910ELNS1_3gpuE8ELNS1_3repE0EEENS1_30default_config_static_selectorELNS0_4arch9wavefront6targetE0EEEvT1_ ; -- Begin function _ZN7rocprim17ROCPRIM_400000_NS6detail17trampoline_kernelINS0_14default_configENS1_20scan_config_selectorIN3c107complexIfEEEEZZNS1_9scan_implILNS1_25lookback_scan_determinismE0ELb0ELb0ES3_PKS7_PS7_S7_ZZZN2at6native31launch_logcumsumexp_cuda_kernelERKNSE_10TensorBaseESI_lENKUlvE_clEvENKUlvE2_clEvEUlS7_S7_E_S7_EEDaPvRmT3_T4_T5_mT6_P12ihipStream_tbENKUlT_T0_E_clISt17integral_constantIbLb1EESZ_EEDaSU_SV_EUlSU_E0_NS1_11comp_targetILNS1_3genE4ELNS1_11target_archE910ELNS1_3gpuE8ELNS1_3repE0EEENS1_30default_config_static_selectorELNS0_4arch9wavefront6targetE0EEEvT1_
	.p2align	8
	.type	_ZN7rocprim17ROCPRIM_400000_NS6detail17trampoline_kernelINS0_14default_configENS1_20scan_config_selectorIN3c107complexIfEEEEZZNS1_9scan_implILNS1_25lookback_scan_determinismE0ELb0ELb0ES3_PKS7_PS7_S7_ZZZN2at6native31launch_logcumsumexp_cuda_kernelERKNSE_10TensorBaseESI_lENKUlvE_clEvENKUlvE2_clEvEUlS7_S7_E_S7_EEDaPvRmT3_T4_T5_mT6_P12ihipStream_tbENKUlT_T0_E_clISt17integral_constantIbLb1EESZ_EEDaSU_SV_EUlSU_E0_NS1_11comp_targetILNS1_3genE4ELNS1_11target_archE910ELNS1_3gpuE8ELNS1_3repE0EEENS1_30default_config_static_selectorELNS0_4arch9wavefront6targetE0EEEvT1_,@function
_ZN7rocprim17ROCPRIM_400000_NS6detail17trampoline_kernelINS0_14default_configENS1_20scan_config_selectorIN3c107complexIfEEEEZZNS1_9scan_implILNS1_25lookback_scan_determinismE0ELb0ELb0ES3_PKS7_PS7_S7_ZZZN2at6native31launch_logcumsumexp_cuda_kernelERKNSE_10TensorBaseESI_lENKUlvE_clEvENKUlvE2_clEvEUlS7_S7_E_S7_EEDaPvRmT3_T4_T5_mT6_P12ihipStream_tbENKUlT_T0_E_clISt17integral_constantIbLb1EESZ_EEDaSU_SV_EUlSU_E0_NS1_11comp_targetILNS1_3genE4ELNS1_11target_archE910ELNS1_3gpuE8ELNS1_3repE0EEENS1_30default_config_static_selectorELNS0_4arch9wavefront6targetE0EEEvT1_: ; @_ZN7rocprim17ROCPRIM_400000_NS6detail17trampoline_kernelINS0_14default_configENS1_20scan_config_selectorIN3c107complexIfEEEEZZNS1_9scan_implILNS1_25lookback_scan_determinismE0ELb0ELb0ES3_PKS7_PS7_S7_ZZZN2at6native31launch_logcumsumexp_cuda_kernelERKNSE_10TensorBaseESI_lENKUlvE_clEvENKUlvE2_clEvEUlS7_S7_E_S7_EEDaPvRmT3_T4_T5_mT6_P12ihipStream_tbENKUlT_T0_E_clISt17integral_constantIbLb1EESZ_EEDaSU_SV_EUlSU_E0_NS1_11comp_targetILNS1_3genE4ELNS1_11target_archE910ELNS1_3gpuE8ELNS1_3repE0EEENS1_30default_config_static_selectorELNS0_4arch9wavefront6targetE0EEEvT1_
; %bb.0:
	.section	.rodata,"a",@progbits
	.p2align	6, 0x0
	.amdhsa_kernel _ZN7rocprim17ROCPRIM_400000_NS6detail17trampoline_kernelINS0_14default_configENS1_20scan_config_selectorIN3c107complexIfEEEEZZNS1_9scan_implILNS1_25lookback_scan_determinismE0ELb0ELb0ES3_PKS7_PS7_S7_ZZZN2at6native31launch_logcumsumexp_cuda_kernelERKNSE_10TensorBaseESI_lENKUlvE_clEvENKUlvE2_clEvEUlS7_S7_E_S7_EEDaPvRmT3_T4_T5_mT6_P12ihipStream_tbENKUlT_T0_E_clISt17integral_constantIbLb1EESZ_EEDaSU_SV_EUlSU_E0_NS1_11comp_targetILNS1_3genE4ELNS1_11target_archE910ELNS1_3gpuE8ELNS1_3repE0EEENS1_30default_config_static_selectorELNS0_4arch9wavefront6targetE0EEEvT1_
		.amdhsa_group_segment_fixed_size 0
		.amdhsa_private_segment_fixed_size 0
		.amdhsa_kernarg_size 40
		.amdhsa_user_sgpr_count 2
		.amdhsa_user_sgpr_dispatch_ptr 0
		.amdhsa_user_sgpr_queue_ptr 0
		.amdhsa_user_sgpr_kernarg_segment_ptr 1
		.amdhsa_user_sgpr_dispatch_id 0
		.amdhsa_user_sgpr_private_segment_size 0
		.amdhsa_wavefront_size32 1
		.amdhsa_uses_dynamic_stack 0
		.amdhsa_enable_private_segment 0
		.amdhsa_system_sgpr_workgroup_id_x 1
		.amdhsa_system_sgpr_workgroup_id_y 0
		.amdhsa_system_sgpr_workgroup_id_z 0
		.amdhsa_system_sgpr_workgroup_info 0
		.amdhsa_system_vgpr_workitem_id 0
		.amdhsa_next_free_vgpr 1
		.amdhsa_next_free_sgpr 1
		.amdhsa_reserve_vcc 0
		.amdhsa_float_round_mode_32 0
		.amdhsa_float_round_mode_16_64 0
		.amdhsa_float_denorm_mode_32 3
		.amdhsa_float_denorm_mode_16_64 3
		.amdhsa_fp16_overflow 0
		.amdhsa_workgroup_processor_mode 1
		.amdhsa_memory_ordered 1
		.amdhsa_forward_progress 1
		.amdhsa_inst_pref_size 0
		.amdhsa_round_robin_scheduling 0
		.amdhsa_exception_fp_ieee_invalid_op 0
		.amdhsa_exception_fp_denorm_src 0
		.amdhsa_exception_fp_ieee_div_zero 0
		.amdhsa_exception_fp_ieee_overflow 0
		.amdhsa_exception_fp_ieee_underflow 0
		.amdhsa_exception_fp_ieee_inexact 0
		.amdhsa_exception_int_div_zero 0
	.end_amdhsa_kernel
	.section	.text._ZN7rocprim17ROCPRIM_400000_NS6detail17trampoline_kernelINS0_14default_configENS1_20scan_config_selectorIN3c107complexIfEEEEZZNS1_9scan_implILNS1_25lookback_scan_determinismE0ELb0ELb0ES3_PKS7_PS7_S7_ZZZN2at6native31launch_logcumsumexp_cuda_kernelERKNSE_10TensorBaseESI_lENKUlvE_clEvENKUlvE2_clEvEUlS7_S7_E_S7_EEDaPvRmT3_T4_T5_mT6_P12ihipStream_tbENKUlT_T0_E_clISt17integral_constantIbLb1EESZ_EEDaSU_SV_EUlSU_E0_NS1_11comp_targetILNS1_3genE4ELNS1_11target_archE910ELNS1_3gpuE8ELNS1_3repE0EEENS1_30default_config_static_selectorELNS0_4arch9wavefront6targetE0EEEvT1_,"axG",@progbits,_ZN7rocprim17ROCPRIM_400000_NS6detail17trampoline_kernelINS0_14default_configENS1_20scan_config_selectorIN3c107complexIfEEEEZZNS1_9scan_implILNS1_25lookback_scan_determinismE0ELb0ELb0ES3_PKS7_PS7_S7_ZZZN2at6native31launch_logcumsumexp_cuda_kernelERKNSE_10TensorBaseESI_lENKUlvE_clEvENKUlvE2_clEvEUlS7_S7_E_S7_EEDaPvRmT3_T4_T5_mT6_P12ihipStream_tbENKUlT_T0_E_clISt17integral_constantIbLb1EESZ_EEDaSU_SV_EUlSU_E0_NS1_11comp_targetILNS1_3genE4ELNS1_11target_archE910ELNS1_3gpuE8ELNS1_3repE0EEENS1_30default_config_static_selectorELNS0_4arch9wavefront6targetE0EEEvT1_,comdat
.Lfunc_end302:
	.size	_ZN7rocprim17ROCPRIM_400000_NS6detail17trampoline_kernelINS0_14default_configENS1_20scan_config_selectorIN3c107complexIfEEEEZZNS1_9scan_implILNS1_25lookback_scan_determinismE0ELb0ELb0ES3_PKS7_PS7_S7_ZZZN2at6native31launch_logcumsumexp_cuda_kernelERKNSE_10TensorBaseESI_lENKUlvE_clEvENKUlvE2_clEvEUlS7_S7_E_S7_EEDaPvRmT3_T4_T5_mT6_P12ihipStream_tbENKUlT_T0_E_clISt17integral_constantIbLb1EESZ_EEDaSU_SV_EUlSU_E0_NS1_11comp_targetILNS1_3genE4ELNS1_11target_archE910ELNS1_3gpuE8ELNS1_3repE0EEENS1_30default_config_static_selectorELNS0_4arch9wavefront6targetE0EEEvT1_, .Lfunc_end302-_ZN7rocprim17ROCPRIM_400000_NS6detail17trampoline_kernelINS0_14default_configENS1_20scan_config_selectorIN3c107complexIfEEEEZZNS1_9scan_implILNS1_25lookback_scan_determinismE0ELb0ELb0ES3_PKS7_PS7_S7_ZZZN2at6native31launch_logcumsumexp_cuda_kernelERKNSE_10TensorBaseESI_lENKUlvE_clEvENKUlvE2_clEvEUlS7_S7_E_S7_EEDaPvRmT3_T4_T5_mT6_P12ihipStream_tbENKUlT_T0_E_clISt17integral_constantIbLb1EESZ_EEDaSU_SV_EUlSU_E0_NS1_11comp_targetILNS1_3genE4ELNS1_11target_archE910ELNS1_3gpuE8ELNS1_3repE0EEENS1_30default_config_static_selectorELNS0_4arch9wavefront6targetE0EEEvT1_
                                        ; -- End function
	.set _ZN7rocprim17ROCPRIM_400000_NS6detail17trampoline_kernelINS0_14default_configENS1_20scan_config_selectorIN3c107complexIfEEEEZZNS1_9scan_implILNS1_25lookback_scan_determinismE0ELb0ELb0ES3_PKS7_PS7_S7_ZZZN2at6native31launch_logcumsumexp_cuda_kernelERKNSE_10TensorBaseESI_lENKUlvE_clEvENKUlvE2_clEvEUlS7_S7_E_S7_EEDaPvRmT3_T4_T5_mT6_P12ihipStream_tbENKUlT_T0_E_clISt17integral_constantIbLb1EESZ_EEDaSU_SV_EUlSU_E0_NS1_11comp_targetILNS1_3genE4ELNS1_11target_archE910ELNS1_3gpuE8ELNS1_3repE0EEENS1_30default_config_static_selectorELNS0_4arch9wavefront6targetE0EEEvT1_.num_vgpr, 0
	.set _ZN7rocprim17ROCPRIM_400000_NS6detail17trampoline_kernelINS0_14default_configENS1_20scan_config_selectorIN3c107complexIfEEEEZZNS1_9scan_implILNS1_25lookback_scan_determinismE0ELb0ELb0ES3_PKS7_PS7_S7_ZZZN2at6native31launch_logcumsumexp_cuda_kernelERKNSE_10TensorBaseESI_lENKUlvE_clEvENKUlvE2_clEvEUlS7_S7_E_S7_EEDaPvRmT3_T4_T5_mT6_P12ihipStream_tbENKUlT_T0_E_clISt17integral_constantIbLb1EESZ_EEDaSU_SV_EUlSU_E0_NS1_11comp_targetILNS1_3genE4ELNS1_11target_archE910ELNS1_3gpuE8ELNS1_3repE0EEENS1_30default_config_static_selectorELNS0_4arch9wavefront6targetE0EEEvT1_.num_agpr, 0
	.set _ZN7rocprim17ROCPRIM_400000_NS6detail17trampoline_kernelINS0_14default_configENS1_20scan_config_selectorIN3c107complexIfEEEEZZNS1_9scan_implILNS1_25lookback_scan_determinismE0ELb0ELb0ES3_PKS7_PS7_S7_ZZZN2at6native31launch_logcumsumexp_cuda_kernelERKNSE_10TensorBaseESI_lENKUlvE_clEvENKUlvE2_clEvEUlS7_S7_E_S7_EEDaPvRmT3_T4_T5_mT6_P12ihipStream_tbENKUlT_T0_E_clISt17integral_constantIbLb1EESZ_EEDaSU_SV_EUlSU_E0_NS1_11comp_targetILNS1_3genE4ELNS1_11target_archE910ELNS1_3gpuE8ELNS1_3repE0EEENS1_30default_config_static_selectorELNS0_4arch9wavefront6targetE0EEEvT1_.numbered_sgpr, 0
	.set _ZN7rocprim17ROCPRIM_400000_NS6detail17trampoline_kernelINS0_14default_configENS1_20scan_config_selectorIN3c107complexIfEEEEZZNS1_9scan_implILNS1_25lookback_scan_determinismE0ELb0ELb0ES3_PKS7_PS7_S7_ZZZN2at6native31launch_logcumsumexp_cuda_kernelERKNSE_10TensorBaseESI_lENKUlvE_clEvENKUlvE2_clEvEUlS7_S7_E_S7_EEDaPvRmT3_T4_T5_mT6_P12ihipStream_tbENKUlT_T0_E_clISt17integral_constantIbLb1EESZ_EEDaSU_SV_EUlSU_E0_NS1_11comp_targetILNS1_3genE4ELNS1_11target_archE910ELNS1_3gpuE8ELNS1_3repE0EEENS1_30default_config_static_selectorELNS0_4arch9wavefront6targetE0EEEvT1_.num_named_barrier, 0
	.set _ZN7rocprim17ROCPRIM_400000_NS6detail17trampoline_kernelINS0_14default_configENS1_20scan_config_selectorIN3c107complexIfEEEEZZNS1_9scan_implILNS1_25lookback_scan_determinismE0ELb0ELb0ES3_PKS7_PS7_S7_ZZZN2at6native31launch_logcumsumexp_cuda_kernelERKNSE_10TensorBaseESI_lENKUlvE_clEvENKUlvE2_clEvEUlS7_S7_E_S7_EEDaPvRmT3_T4_T5_mT6_P12ihipStream_tbENKUlT_T0_E_clISt17integral_constantIbLb1EESZ_EEDaSU_SV_EUlSU_E0_NS1_11comp_targetILNS1_3genE4ELNS1_11target_archE910ELNS1_3gpuE8ELNS1_3repE0EEENS1_30default_config_static_selectorELNS0_4arch9wavefront6targetE0EEEvT1_.private_seg_size, 0
	.set _ZN7rocprim17ROCPRIM_400000_NS6detail17trampoline_kernelINS0_14default_configENS1_20scan_config_selectorIN3c107complexIfEEEEZZNS1_9scan_implILNS1_25lookback_scan_determinismE0ELb0ELb0ES3_PKS7_PS7_S7_ZZZN2at6native31launch_logcumsumexp_cuda_kernelERKNSE_10TensorBaseESI_lENKUlvE_clEvENKUlvE2_clEvEUlS7_S7_E_S7_EEDaPvRmT3_T4_T5_mT6_P12ihipStream_tbENKUlT_T0_E_clISt17integral_constantIbLb1EESZ_EEDaSU_SV_EUlSU_E0_NS1_11comp_targetILNS1_3genE4ELNS1_11target_archE910ELNS1_3gpuE8ELNS1_3repE0EEENS1_30default_config_static_selectorELNS0_4arch9wavefront6targetE0EEEvT1_.uses_vcc, 0
	.set _ZN7rocprim17ROCPRIM_400000_NS6detail17trampoline_kernelINS0_14default_configENS1_20scan_config_selectorIN3c107complexIfEEEEZZNS1_9scan_implILNS1_25lookback_scan_determinismE0ELb0ELb0ES3_PKS7_PS7_S7_ZZZN2at6native31launch_logcumsumexp_cuda_kernelERKNSE_10TensorBaseESI_lENKUlvE_clEvENKUlvE2_clEvEUlS7_S7_E_S7_EEDaPvRmT3_T4_T5_mT6_P12ihipStream_tbENKUlT_T0_E_clISt17integral_constantIbLb1EESZ_EEDaSU_SV_EUlSU_E0_NS1_11comp_targetILNS1_3genE4ELNS1_11target_archE910ELNS1_3gpuE8ELNS1_3repE0EEENS1_30default_config_static_selectorELNS0_4arch9wavefront6targetE0EEEvT1_.uses_flat_scratch, 0
	.set _ZN7rocprim17ROCPRIM_400000_NS6detail17trampoline_kernelINS0_14default_configENS1_20scan_config_selectorIN3c107complexIfEEEEZZNS1_9scan_implILNS1_25lookback_scan_determinismE0ELb0ELb0ES3_PKS7_PS7_S7_ZZZN2at6native31launch_logcumsumexp_cuda_kernelERKNSE_10TensorBaseESI_lENKUlvE_clEvENKUlvE2_clEvEUlS7_S7_E_S7_EEDaPvRmT3_T4_T5_mT6_P12ihipStream_tbENKUlT_T0_E_clISt17integral_constantIbLb1EESZ_EEDaSU_SV_EUlSU_E0_NS1_11comp_targetILNS1_3genE4ELNS1_11target_archE910ELNS1_3gpuE8ELNS1_3repE0EEENS1_30default_config_static_selectorELNS0_4arch9wavefront6targetE0EEEvT1_.has_dyn_sized_stack, 0
	.set _ZN7rocprim17ROCPRIM_400000_NS6detail17trampoline_kernelINS0_14default_configENS1_20scan_config_selectorIN3c107complexIfEEEEZZNS1_9scan_implILNS1_25lookback_scan_determinismE0ELb0ELb0ES3_PKS7_PS7_S7_ZZZN2at6native31launch_logcumsumexp_cuda_kernelERKNSE_10TensorBaseESI_lENKUlvE_clEvENKUlvE2_clEvEUlS7_S7_E_S7_EEDaPvRmT3_T4_T5_mT6_P12ihipStream_tbENKUlT_T0_E_clISt17integral_constantIbLb1EESZ_EEDaSU_SV_EUlSU_E0_NS1_11comp_targetILNS1_3genE4ELNS1_11target_archE910ELNS1_3gpuE8ELNS1_3repE0EEENS1_30default_config_static_selectorELNS0_4arch9wavefront6targetE0EEEvT1_.has_recursion, 0
	.set _ZN7rocprim17ROCPRIM_400000_NS6detail17trampoline_kernelINS0_14default_configENS1_20scan_config_selectorIN3c107complexIfEEEEZZNS1_9scan_implILNS1_25lookback_scan_determinismE0ELb0ELb0ES3_PKS7_PS7_S7_ZZZN2at6native31launch_logcumsumexp_cuda_kernelERKNSE_10TensorBaseESI_lENKUlvE_clEvENKUlvE2_clEvEUlS7_S7_E_S7_EEDaPvRmT3_T4_T5_mT6_P12ihipStream_tbENKUlT_T0_E_clISt17integral_constantIbLb1EESZ_EEDaSU_SV_EUlSU_E0_NS1_11comp_targetILNS1_3genE4ELNS1_11target_archE910ELNS1_3gpuE8ELNS1_3repE0EEENS1_30default_config_static_selectorELNS0_4arch9wavefront6targetE0EEEvT1_.has_indirect_call, 0
	.section	.AMDGPU.csdata,"",@progbits
; Kernel info:
; codeLenInByte = 0
; TotalNumSgprs: 0
; NumVgprs: 0
; ScratchSize: 0
; MemoryBound: 0
; FloatMode: 240
; IeeeMode: 1
; LDSByteSize: 0 bytes/workgroup (compile time only)
; SGPRBlocks: 0
; VGPRBlocks: 0
; NumSGPRsForWavesPerEU: 1
; NumVGPRsForWavesPerEU: 1
; Occupancy: 16
; WaveLimiterHint : 0
; COMPUTE_PGM_RSRC2:SCRATCH_EN: 0
; COMPUTE_PGM_RSRC2:USER_SGPR: 2
; COMPUTE_PGM_RSRC2:TRAP_HANDLER: 0
; COMPUTE_PGM_RSRC2:TGID_X_EN: 1
; COMPUTE_PGM_RSRC2:TGID_Y_EN: 0
; COMPUTE_PGM_RSRC2:TGID_Z_EN: 0
; COMPUTE_PGM_RSRC2:TIDIG_COMP_CNT: 0
	.section	.text._ZN7rocprim17ROCPRIM_400000_NS6detail17trampoline_kernelINS0_14default_configENS1_20scan_config_selectorIN3c107complexIfEEEEZZNS1_9scan_implILNS1_25lookback_scan_determinismE0ELb0ELb0ES3_PKS7_PS7_S7_ZZZN2at6native31launch_logcumsumexp_cuda_kernelERKNSE_10TensorBaseESI_lENKUlvE_clEvENKUlvE2_clEvEUlS7_S7_E_S7_EEDaPvRmT3_T4_T5_mT6_P12ihipStream_tbENKUlT_T0_E_clISt17integral_constantIbLb1EESZ_EEDaSU_SV_EUlSU_E0_NS1_11comp_targetILNS1_3genE3ELNS1_11target_archE908ELNS1_3gpuE7ELNS1_3repE0EEENS1_30default_config_static_selectorELNS0_4arch9wavefront6targetE0EEEvT1_,"axG",@progbits,_ZN7rocprim17ROCPRIM_400000_NS6detail17trampoline_kernelINS0_14default_configENS1_20scan_config_selectorIN3c107complexIfEEEEZZNS1_9scan_implILNS1_25lookback_scan_determinismE0ELb0ELb0ES3_PKS7_PS7_S7_ZZZN2at6native31launch_logcumsumexp_cuda_kernelERKNSE_10TensorBaseESI_lENKUlvE_clEvENKUlvE2_clEvEUlS7_S7_E_S7_EEDaPvRmT3_T4_T5_mT6_P12ihipStream_tbENKUlT_T0_E_clISt17integral_constantIbLb1EESZ_EEDaSU_SV_EUlSU_E0_NS1_11comp_targetILNS1_3genE3ELNS1_11target_archE908ELNS1_3gpuE7ELNS1_3repE0EEENS1_30default_config_static_selectorELNS0_4arch9wavefront6targetE0EEEvT1_,comdat
	.globl	_ZN7rocprim17ROCPRIM_400000_NS6detail17trampoline_kernelINS0_14default_configENS1_20scan_config_selectorIN3c107complexIfEEEEZZNS1_9scan_implILNS1_25lookback_scan_determinismE0ELb0ELb0ES3_PKS7_PS7_S7_ZZZN2at6native31launch_logcumsumexp_cuda_kernelERKNSE_10TensorBaseESI_lENKUlvE_clEvENKUlvE2_clEvEUlS7_S7_E_S7_EEDaPvRmT3_T4_T5_mT6_P12ihipStream_tbENKUlT_T0_E_clISt17integral_constantIbLb1EESZ_EEDaSU_SV_EUlSU_E0_NS1_11comp_targetILNS1_3genE3ELNS1_11target_archE908ELNS1_3gpuE7ELNS1_3repE0EEENS1_30default_config_static_selectorELNS0_4arch9wavefront6targetE0EEEvT1_ ; -- Begin function _ZN7rocprim17ROCPRIM_400000_NS6detail17trampoline_kernelINS0_14default_configENS1_20scan_config_selectorIN3c107complexIfEEEEZZNS1_9scan_implILNS1_25lookback_scan_determinismE0ELb0ELb0ES3_PKS7_PS7_S7_ZZZN2at6native31launch_logcumsumexp_cuda_kernelERKNSE_10TensorBaseESI_lENKUlvE_clEvENKUlvE2_clEvEUlS7_S7_E_S7_EEDaPvRmT3_T4_T5_mT6_P12ihipStream_tbENKUlT_T0_E_clISt17integral_constantIbLb1EESZ_EEDaSU_SV_EUlSU_E0_NS1_11comp_targetILNS1_3genE3ELNS1_11target_archE908ELNS1_3gpuE7ELNS1_3repE0EEENS1_30default_config_static_selectorELNS0_4arch9wavefront6targetE0EEEvT1_
	.p2align	8
	.type	_ZN7rocprim17ROCPRIM_400000_NS6detail17trampoline_kernelINS0_14default_configENS1_20scan_config_selectorIN3c107complexIfEEEEZZNS1_9scan_implILNS1_25lookback_scan_determinismE0ELb0ELb0ES3_PKS7_PS7_S7_ZZZN2at6native31launch_logcumsumexp_cuda_kernelERKNSE_10TensorBaseESI_lENKUlvE_clEvENKUlvE2_clEvEUlS7_S7_E_S7_EEDaPvRmT3_T4_T5_mT6_P12ihipStream_tbENKUlT_T0_E_clISt17integral_constantIbLb1EESZ_EEDaSU_SV_EUlSU_E0_NS1_11comp_targetILNS1_3genE3ELNS1_11target_archE908ELNS1_3gpuE7ELNS1_3repE0EEENS1_30default_config_static_selectorELNS0_4arch9wavefront6targetE0EEEvT1_,@function
_ZN7rocprim17ROCPRIM_400000_NS6detail17trampoline_kernelINS0_14default_configENS1_20scan_config_selectorIN3c107complexIfEEEEZZNS1_9scan_implILNS1_25lookback_scan_determinismE0ELb0ELb0ES3_PKS7_PS7_S7_ZZZN2at6native31launch_logcumsumexp_cuda_kernelERKNSE_10TensorBaseESI_lENKUlvE_clEvENKUlvE2_clEvEUlS7_S7_E_S7_EEDaPvRmT3_T4_T5_mT6_P12ihipStream_tbENKUlT_T0_E_clISt17integral_constantIbLb1EESZ_EEDaSU_SV_EUlSU_E0_NS1_11comp_targetILNS1_3genE3ELNS1_11target_archE908ELNS1_3gpuE7ELNS1_3repE0EEENS1_30default_config_static_selectorELNS0_4arch9wavefront6targetE0EEEvT1_: ; @_ZN7rocprim17ROCPRIM_400000_NS6detail17trampoline_kernelINS0_14default_configENS1_20scan_config_selectorIN3c107complexIfEEEEZZNS1_9scan_implILNS1_25lookback_scan_determinismE0ELb0ELb0ES3_PKS7_PS7_S7_ZZZN2at6native31launch_logcumsumexp_cuda_kernelERKNSE_10TensorBaseESI_lENKUlvE_clEvENKUlvE2_clEvEUlS7_S7_E_S7_EEDaPvRmT3_T4_T5_mT6_P12ihipStream_tbENKUlT_T0_E_clISt17integral_constantIbLb1EESZ_EEDaSU_SV_EUlSU_E0_NS1_11comp_targetILNS1_3genE3ELNS1_11target_archE908ELNS1_3gpuE7ELNS1_3repE0EEENS1_30default_config_static_selectorELNS0_4arch9wavefront6targetE0EEEvT1_
; %bb.0:
	.section	.rodata,"a",@progbits
	.p2align	6, 0x0
	.amdhsa_kernel _ZN7rocprim17ROCPRIM_400000_NS6detail17trampoline_kernelINS0_14default_configENS1_20scan_config_selectorIN3c107complexIfEEEEZZNS1_9scan_implILNS1_25lookback_scan_determinismE0ELb0ELb0ES3_PKS7_PS7_S7_ZZZN2at6native31launch_logcumsumexp_cuda_kernelERKNSE_10TensorBaseESI_lENKUlvE_clEvENKUlvE2_clEvEUlS7_S7_E_S7_EEDaPvRmT3_T4_T5_mT6_P12ihipStream_tbENKUlT_T0_E_clISt17integral_constantIbLb1EESZ_EEDaSU_SV_EUlSU_E0_NS1_11comp_targetILNS1_3genE3ELNS1_11target_archE908ELNS1_3gpuE7ELNS1_3repE0EEENS1_30default_config_static_selectorELNS0_4arch9wavefront6targetE0EEEvT1_
		.amdhsa_group_segment_fixed_size 0
		.amdhsa_private_segment_fixed_size 0
		.amdhsa_kernarg_size 40
		.amdhsa_user_sgpr_count 2
		.amdhsa_user_sgpr_dispatch_ptr 0
		.amdhsa_user_sgpr_queue_ptr 0
		.amdhsa_user_sgpr_kernarg_segment_ptr 1
		.amdhsa_user_sgpr_dispatch_id 0
		.amdhsa_user_sgpr_private_segment_size 0
		.amdhsa_wavefront_size32 1
		.amdhsa_uses_dynamic_stack 0
		.amdhsa_enable_private_segment 0
		.amdhsa_system_sgpr_workgroup_id_x 1
		.amdhsa_system_sgpr_workgroup_id_y 0
		.amdhsa_system_sgpr_workgroup_id_z 0
		.amdhsa_system_sgpr_workgroup_info 0
		.amdhsa_system_vgpr_workitem_id 0
		.amdhsa_next_free_vgpr 1
		.amdhsa_next_free_sgpr 1
		.amdhsa_reserve_vcc 0
		.amdhsa_float_round_mode_32 0
		.amdhsa_float_round_mode_16_64 0
		.amdhsa_float_denorm_mode_32 3
		.amdhsa_float_denorm_mode_16_64 3
		.amdhsa_fp16_overflow 0
		.amdhsa_workgroup_processor_mode 1
		.amdhsa_memory_ordered 1
		.amdhsa_forward_progress 1
		.amdhsa_inst_pref_size 0
		.amdhsa_round_robin_scheduling 0
		.amdhsa_exception_fp_ieee_invalid_op 0
		.amdhsa_exception_fp_denorm_src 0
		.amdhsa_exception_fp_ieee_div_zero 0
		.amdhsa_exception_fp_ieee_overflow 0
		.amdhsa_exception_fp_ieee_underflow 0
		.amdhsa_exception_fp_ieee_inexact 0
		.amdhsa_exception_int_div_zero 0
	.end_amdhsa_kernel
	.section	.text._ZN7rocprim17ROCPRIM_400000_NS6detail17trampoline_kernelINS0_14default_configENS1_20scan_config_selectorIN3c107complexIfEEEEZZNS1_9scan_implILNS1_25lookback_scan_determinismE0ELb0ELb0ES3_PKS7_PS7_S7_ZZZN2at6native31launch_logcumsumexp_cuda_kernelERKNSE_10TensorBaseESI_lENKUlvE_clEvENKUlvE2_clEvEUlS7_S7_E_S7_EEDaPvRmT3_T4_T5_mT6_P12ihipStream_tbENKUlT_T0_E_clISt17integral_constantIbLb1EESZ_EEDaSU_SV_EUlSU_E0_NS1_11comp_targetILNS1_3genE3ELNS1_11target_archE908ELNS1_3gpuE7ELNS1_3repE0EEENS1_30default_config_static_selectorELNS0_4arch9wavefront6targetE0EEEvT1_,"axG",@progbits,_ZN7rocprim17ROCPRIM_400000_NS6detail17trampoline_kernelINS0_14default_configENS1_20scan_config_selectorIN3c107complexIfEEEEZZNS1_9scan_implILNS1_25lookback_scan_determinismE0ELb0ELb0ES3_PKS7_PS7_S7_ZZZN2at6native31launch_logcumsumexp_cuda_kernelERKNSE_10TensorBaseESI_lENKUlvE_clEvENKUlvE2_clEvEUlS7_S7_E_S7_EEDaPvRmT3_T4_T5_mT6_P12ihipStream_tbENKUlT_T0_E_clISt17integral_constantIbLb1EESZ_EEDaSU_SV_EUlSU_E0_NS1_11comp_targetILNS1_3genE3ELNS1_11target_archE908ELNS1_3gpuE7ELNS1_3repE0EEENS1_30default_config_static_selectorELNS0_4arch9wavefront6targetE0EEEvT1_,comdat
.Lfunc_end303:
	.size	_ZN7rocprim17ROCPRIM_400000_NS6detail17trampoline_kernelINS0_14default_configENS1_20scan_config_selectorIN3c107complexIfEEEEZZNS1_9scan_implILNS1_25lookback_scan_determinismE0ELb0ELb0ES3_PKS7_PS7_S7_ZZZN2at6native31launch_logcumsumexp_cuda_kernelERKNSE_10TensorBaseESI_lENKUlvE_clEvENKUlvE2_clEvEUlS7_S7_E_S7_EEDaPvRmT3_T4_T5_mT6_P12ihipStream_tbENKUlT_T0_E_clISt17integral_constantIbLb1EESZ_EEDaSU_SV_EUlSU_E0_NS1_11comp_targetILNS1_3genE3ELNS1_11target_archE908ELNS1_3gpuE7ELNS1_3repE0EEENS1_30default_config_static_selectorELNS0_4arch9wavefront6targetE0EEEvT1_, .Lfunc_end303-_ZN7rocprim17ROCPRIM_400000_NS6detail17trampoline_kernelINS0_14default_configENS1_20scan_config_selectorIN3c107complexIfEEEEZZNS1_9scan_implILNS1_25lookback_scan_determinismE0ELb0ELb0ES3_PKS7_PS7_S7_ZZZN2at6native31launch_logcumsumexp_cuda_kernelERKNSE_10TensorBaseESI_lENKUlvE_clEvENKUlvE2_clEvEUlS7_S7_E_S7_EEDaPvRmT3_T4_T5_mT6_P12ihipStream_tbENKUlT_T0_E_clISt17integral_constantIbLb1EESZ_EEDaSU_SV_EUlSU_E0_NS1_11comp_targetILNS1_3genE3ELNS1_11target_archE908ELNS1_3gpuE7ELNS1_3repE0EEENS1_30default_config_static_selectorELNS0_4arch9wavefront6targetE0EEEvT1_
                                        ; -- End function
	.set _ZN7rocprim17ROCPRIM_400000_NS6detail17trampoline_kernelINS0_14default_configENS1_20scan_config_selectorIN3c107complexIfEEEEZZNS1_9scan_implILNS1_25lookback_scan_determinismE0ELb0ELb0ES3_PKS7_PS7_S7_ZZZN2at6native31launch_logcumsumexp_cuda_kernelERKNSE_10TensorBaseESI_lENKUlvE_clEvENKUlvE2_clEvEUlS7_S7_E_S7_EEDaPvRmT3_T4_T5_mT6_P12ihipStream_tbENKUlT_T0_E_clISt17integral_constantIbLb1EESZ_EEDaSU_SV_EUlSU_E0_NS1_11comp_targetILNS1_3genE3ELNS1_11target_archE908ELNS1_3gpuE7ELNS1_3repE0EEENS1_30default_config_static_selectorELNS0_4arch9wavefront6targetE0EEEvT1_.num_vgpr, 0
	.set _ZN7rocprim17ROCPRIM_400000_NS6detail17trampoline_kernelINS0_14default_configENS1_20scan_config_selectorIN3c107complexIfEEEEZZNS1_9scan_implILNS1_25lookback_scan_determinismE0ELb0ELb0ES3_PKS7_PS7_S7_ZZZN2at6native31launch_logcumsumexp_cuda_kernelERKNSE_10TensorBaseESI_lENKUlvE_clEvENKUlvE2_clEvEUlS7_S7_E_S7_EEDaPvRmT3_T4_T5_mT6_P12ihipStream_tbENKUlT_T0_E_clISt17integral_constantIbLb1EESZ_EEDaSU_SV_EUlSU_E0_NS1_11comp_targetILNS1_3genE3ELNS1_11target_archE908ELNS1_3gpuE7ELNS1_3repE0EEENS1_30default_config_static_selectorELNS0_4arch9wavefront6targetE0EEEvT1_.num_agpr, 0
	.set _ZN7rocprim17ROCPRIM_400000_NS6detail17trampoline_kernelINS0_14default_configENS1_20scan_config_selectorIN3c107complexIfEEEEZZNS1_9scan_implILNS1_25lookback_scan_determinismE0ELb0ELb0ES3_PKS7_PS7_S7_ZZZN2at6native31launch_logcumsumexp_cuda_kernelERKNSE_10TensorBaseESI_lENKUlvE_clEvENKUlvE2_clEvEUlS7_S7_E_S7_EEDaPvRmT3_T4_T5_mT6_P12ihipStream_tbENKUlT_T0_E_clISt17integral_constantIbLb1EESZ_EEDaSU_SV_EUlSU_E0_NS1_11comp_targetILNS1_3genE3ELNS1_11target_archE908ELNS1_3gpuE7ELNS1_3repE0EEENS1_30default_config_static_selectorELNS0_4arch9wavefront6targetE0EEEvT1_.numbered_sgpr, 0
	.set _ZN7rocprim17ROCPRIM_400000_NS6detail17trampoline_kernelINS0_14default_configENS1_20scan_config_selectorIN3c107complexIfEEEEZZNS1_9scan_implILNS1_25lookback_scan_determinismE0ELb0ELb0ES3_PKS7_PS7_S7_ZZZN2at6native31launch_logcumsumexp_cuda_kernelERKNSE_10TensorBaseESI_lENKUlvE_clEvENKUlvE2_clEvEUlS7_S7_E_S7_EEDaPvRmT3_T4_T5_mT6_P12ihipStream_tbENKUlT_T0_E_clISt17integral_constantIbLb1EESZ_EEDaSU_SV_EUlSU_E0_NS1_11comp_targetILNS1_3genE3ELNS1_11target_archE908ELNS1_3gpuE7ELNS1_3repE0EEENS1_30default_config_static_selectorELNS0_4arch9wavefront6targetE0EEEvT1_.num_named_barrier, 0
	.set _ZN7rocprim17ROCPRIM_400000_NS6detail17trampoline_kernelINS0_14default_configENS1_20scan_config_selectorIN3c107complexIfEEEEZZNS1_9scan_implILNS1_25lookback_scan_determinismE0ELb0ELb0ES3_PKS7_PS7_S7_ZZZN2at6native31launch_logcumsumexp_cuda_kernelERKNSE_10TensorBaseESI_lENKUlvE_clEvENKUlvE2_clEvEUlS7_S7_E_S7_EEDaPvRmT3_T4_T5_mT6_P12ihipStream_tbENKUlT_T0_E_clISt17integral_constantIbLb1EESZ_EEDaSU_SV_EUlSU_E0_NS1_11comp_targetILNS1_3genE3ELNS1_11target_archE908ELNS1_3gpuE7ELNS1_3repE0EEENS1_30default_config_static_selectorELNS0_4arch9wavefront6targetE0EEEvT1_.private_seg_size, 0
	.set _ZN7rocprim17ROCPRIM_400000_NS6detail17trampoline_kernelINS0_14default_configENS1_20scan_config_selectorIN3c107complexIfEEEEZZNS1_9scan_implILNS1_25lookback_scan_determinismE0ELb0ELb0ES3_PKS7_PS7_S7_ZZZN2at6native31launch_logcumsumexp_cuda_kernelERKNSE_10TensorBaseESI_lENKUlvE_clEvENKUlvE2_clEvEUlS7_S7_E_S7_EEDaPvRmT3_T4_T5_mT6_P12ihipStream_tbENKUlT_T0_E_clISt17integral_constantIbLb1EESZ_EEDaSU_SV_EUlSU_E0_NS1_11comp_targetILNS1_3genE3ELNS1_11target_archE908ELNS1_3gpuE7ELNS1_3repE0EEENS1_30default_config_static_selectorELNS0_4arch9wavefront6targetE0EEEvT1_.uses_vcc, 0
	.set _ZN7rocprim17ROCPRIM_400000_NS6detail17trampoline_kernelINS0_14default_configENS1_20scan_config_selectorIN3c107complexIfEEEEZZNS1_9scan_implILNS1_25lookback_scan_determinismE0ELb0ELb0ES3_PKS7_PS7_S7_ZZZN2at6native31launch_logcumsumexp_cuda_kernelERKNSE_10TensorBaseESI_lENKUlvE_clEvENKUlvE2_clEvEUlS7_S7_E_S7_EEDaPvRmT3_T4_T5_mT6_P12ihipStream_tbENKUlT_T0_E_clISt17integral_constantIbLb1EESZ_EEDaSU_SV_EUlSU_E0_NS1_11comp_targetILNS1_3genE3ELNS1_11target_archE908ELNS1_3gpuE7ELNS1_3repE0EEENS1_30default_config_static_selectorELNS0_4arch9wavefront6targetE0EEEvT1_.uses_flat_scratch, 0
	.set _ZN7rocprim17ROCPRIM_400000_NS6detail17trampoline_kernelINS0_14default_configENS1_20scan_config_selectorIN3c107complexIfEEEEZZNS1_9scan_implILNS1_25lookback_scan_determinismE0ELb0ELb0ES3_PKS7_PS7_S7_ZZZN2at6native31launch_logcumsumexp_cuda_kernelERKNSE_10TensorBaseESI_lENKUlvE_clEvENKUlvE2_clEvEUlS7_S7_E_S7_EEDaPvRmT3_T4_T5_mT6_P12ihipStream_tbENKUlT_T0_E_clISt17integral_constantIbLb1EESZ_EEDaSU_SV_EUlSU_E0_NS1_11comp_targetILNS1_3genE3ELNS1_11target_archE908ELNS1_3gpuE7ELNS1_3repE0EEENS1_30default_config_static_selectorELNS0_4arch9wavefront6targetE0EEEvT1_.has_dyn_sized_stack, 0
	.set _ZN7rocprim17ROCPRIM_400000_NS6detail17trampoline_kernelINS0_14default_configENS1_20scan_config_selectorIN3c107complexIfEEEEZZNS1_9scan_implILNS1_25lookback_scan_determinismE0ELb0ELb0ES3_PKS7_PS7_S7_ZZZN2at6native31launch_logcumsumexp_cuda_kernelERKNSE_10TensorBaseESI_lENKUlvE_clEvENKUlvE2_clEvEUlS7_S7_E_S7_EEDaPvRmT3_T4_T5_mT6_P12ihipStream_tbENKUlT_T0_E_clISt17integral_constantIbLb1EESZ_EEDaSU_SV_EUlSU_E0_NS1_11comp_targetILNS1_3genE3ELNS1_11target_archE908ELNS1_3gpuE7ELNS1_3repE0EEENS1_30default_config_static_selectorELNS0_4arch9wavefront6targetE0EEEvT1_.has_recursion, 0
	.set _ZN7rocprim17ROCPRIM_400000_NS6detail17trampoline_kernelINS0_14default_configENS1_20scan_config_selectorIN3c107complexIfEEEEZZNS1_9scan_implILNS1_25lookback_scan_determinismE0ELb0ELb0ES3_PKS7_PS7_S7_ZZZN2at6native31launch_logcumsumexp_cuda_kernelERKNSE_10TensorBaseESI_lENKUlvE_clEvENKUlvE2_clEvEUlS7_S7_E_S7_EEDaPvRmT3_T4_T5_mT6_P12ihipStream_tbENKUlT_T0_E_clISt17integral_constantIbLb1EESZ_EEDaSU_SV_EUlSU_E0_NS1_11comp_targetILNS1_3genE3ELNS1_11target_archE908ELNS1_3gpuE7ELNS1_3repE0EEENS1_30default_config_static_selectorELNS0_4arch9wavefront6targetE0EEEvT1_.has_indirect_call, 0
	.section	.AMDGPU.csdata,"",@progbits
; Kernel info:
; codeLenInByte = 0
; TotalNumSgprs: 0
; NumVgprs: 0
; ScratchSize: 0
; MemoryBound: 0
; FloatMode: 240
; IeeeMode: 1
; LDSByteSize: 0 bytes/workgroup (compile time only)
; SGPRBlocks: 0
; VGPRBlocks: 0
; NumSGPRsForWavesPerEU: 1
; NumVGPRsForWavesPerEU: 1
; Occupancy: 16
; WaveLimiterHint : 0
; COMPUTE_PGM_RSRC2:SCRATCH_EN: 0
; COMPUTE_PGM_RSRC2:USER_SGPR: 2
; COMPUTE_PGM_RSRC2:TRAP_HANDLER: 0
; COMPUTE_PGM_RSRC2:TGID_X_EN: 1
; COMPUTE_PGM_RSRC2:TGID_Y_EN: 0
; COMPUTE_PGM_RSRC2:TGID_Z_EN: 0
; COMPUTE_PGM_RSRC2:TIDIG_COMP_CNT: 0
	.section	.text._ZN7rocprim17ROCPRIM_400000_NS6detail17trampoline_kernelINS0_14default_configENS1_20scan_config_selectorIN3c107complexIfEEEEZZNS1_9scan_implILNS1_25lookback_scan_determinismE0ELb0ELb0ES3_PKS7_PS7_S7_ZZZN2at6native31launch_logcumsumexp_cuda_kernelERKNSE_10TensorBaseESI_lENKUlvE_clEvENKUlvE2_clEvEUlS7_S7_E_S7_EEDaPvRmT3_T4_T5_mT6_P12ihipStream_tbENKUlT_T0_E_clISt17integral_constantIbLb1EESZ_EEDaSU_SV_EUlSU_E0_NS1_11comp_targetILNS1_3genE2ELNS1_11target_archE906ELNS1_3gpuE6ELNS1_3repE0EEENS1_30default_config_static_selectorELNS0_4arch9wavefront6targetE0EEEvT1_,"axG",@progbits,_ZN7rocprim17ROCPRIM_400000_NS6detail17trampoline_kernelINS0_14default_configENS1_20scan_config_selectorIN3c107complexIfEEEEZZNS1_9scan_implILNS1_25lookback_scan_determinismE0ELb0ELb0ES3_PKS7_PS7_S7_ZZZN2at6native31launch_logcumsumexp_cuda_kernelERKNSE_10TensorBaseESI_lENKUlvE_clEvENKUlvE2_clEvEUlS7_S7_E_S7_EEDaPvRmT3_T4_T5_mT6_P12ihipStream_tbENKUlT_T0_E_clISt17integral_constantIbLb1EESZ_EEDaSU_SV_EUlSU_E0_NS1_11comp_targetILNS1_3genE2ELNS1_11target_archE906ELNS1_3gpuE6ELNS1_3repE0EEENS1_30default_config_static_selectorELNS0_4arch9wavefront6targetE0EEEvT1_,comdat
	.globl	_ZN7rocprim17ROCPRIM_400000_NS6detail17trampoline_kernelINS0_14default_configENS1_20scan_config_selectorIN3c107complexIfEEEEZZNS1_9scan_implILNS1_25lookback_scan_determinismE0ELb0ELb0ES3_PKS7_PS7_S7_ZZZN2at6native31launch_logcumsumexp_cuda_kernelERKNSE_10TensorBaseESI_lENKUlvE_clEvENKUlvE2_clEvEUlS7_S7_E_S7_EEDaPvRmT3_T4_T5_mT6_P12ihipStream_tbENKUlT_T0_E_clISt17integral_constantIbLb1EESZ_EEDaSU_SV_EUlSU_E0_NS1_11comp_targetILNS1_3genE2ELNS1_11target_archE906ELNS1_3gpuE6ELNS1_3repE0EEENS1_30default_config_static_selectorELNS0_4arch9wavefront6targetE0EEEvT1_ ; -- Begin function _ZN7rocprim17ROCPRIM_400000_NS6detail17trampoline_kernelINS0_14default_configENS1_20scan_config_selectorIN3c107complexIfEEEEZZNS1_9scan_implILNS1_25lookback_scan_determinismE0ELb0ELb0ES3_PKS7_PS7_S7_ZZZN2at6native31launch_logcumsumexp_cuda_kernelERKNSE_10TensorBaseESI_lENKUlvE_clEvENKUlvE2_clEvEUlS7_S7_E_S7_EEDaPvRmT3_T4_T5_mT6_P12ihipStream_tbENKUlT_T0_E_clISt17integral_constantIbLb1EESZ_EEDaSU_SV_EUlSU_E0_NS1_11comp_targetILNS1_3genE2ELNS1_11target_archE906ELNS1_3gpuE6ELNS1_3repE0EEENS1_30default_config_static_selectorELNS0_4arch9wavefront6targetE0EEEvT1_
	.p2align	8
	.type	_ZN7rocprim17ROCPRIM_400000_NS6detail17trampoline_kernelINS0_14default_configENS1_20scan_config_selectorIN3c107complexIfEEEEZZNS1_9scan_implILNS1_25lookback_scan_determinismE0ELb0ELb0ES3_PKS7_PS7_S7_ZZZN2at6native31launch_logcumsumexp_cuda_kernelERKNSE_10TensorBaseESI_lENKUlvE_clEvENKUlvE2_clEvEUlS7_S7_E_S7_EEDaPvRmT3_T4_T5_mT6_P12ihipStream_tbENKUlT_T0_E_clISt17integral_constantIbLb1EESZ_EEDaSU_SV_EUlSU_E0_NS1_11comp_targetILNS1_3genE2ELNS1_11target_archE906ELNS1_3gpuE6ELNS1_3repE0EEENS1_30default_config_static_selectorELNS0_4arch9wavefront6targetE0EEEvT1_,@function
_ZN7rocprim17ROCPRIM_400000_NS6detail17trampoline_kernelINS0_14default_configENS1_20scan_config_selectorIN3c107complexIfEEEEZZNS1_9scan_implILNS1_25lookback_scan_determinismE0ELb0ELb0ES3_PKS7_PS7_S7_ZZZN2at6native31launch_logcumsumexp_cuda_kernelERKNSE_10TensorBaseESI_lENKUlvE_clEvENKUlvE2_clEvEUlS7_S7_E_S7_EEDaPvRmT3_T4_T5_mT6_P12ihipStream_tbENKUlT_T0_E_clISt17integral_constantIbLb1EESZ_EEDaSU_SV_EUlSU_E0_NS1_11comp_targetILNS1_3genE2ELNS1_11target_archE906ELNS1_3gpuE6ELNS1_3repE0EEENS1_30default_config_static_selectorELNS0_4arch9wavefront6targetE0EEEvT1_: ; @_ZN7rocprim17ROCPRIM_400000_NS6detail17trampoline_kernelINS0_14default_configENS1_20scan_config_selectorIN3c107complexIfEEEEZZNS1_9scan_implILNS1_25lookback_scan_determinismE0ELb0ELb0ES3_PKS7_PS7_S7_ZZZN2at6native31launch_logcumsumexp_cuda_kernelERKNSE_10TensorBaseESI_lENKUlvE_clEvENKUlvE2_clEvEUlS7_S7_E_S7_EEDaPvRmT3_T4_T5_mT6_P12ihipStream_tbENKUlT_T0_E_clISt17integral_constantIbLb1EESZ_EEDaSU_SV_EUlSU_E0_NS1_11comp_targetILNS1_3genE2ELNS1_11target_archE906ELNS1_3gpuE6ELNS1_3repE0EEENS1_30default_config_static_selectorELNS0_4arch9wavefront6targetE0EEEvT1_
; %bb.0:
	.section	.rodata,"a",@progbits
	.p2align	6, 0x0
	.amdhsa_kernel _ZN7rocprim17ROCPRIM_400000_NS6detail17trampoline_kernelINS0_14default_configENS1_20scan_config_selectorIN3c107complexIfEEEEZZNS1_9scan_implILNS1_25lookback_scan_determinismE0ELb0ELb0ES3_PKS7_PS7_S7_ZZZN2at6native31launch_logcumsumexp_cuda_kernelERKNSE_10TensorBaseESI_lENKUlvE_clEvENKUlvE2_clEvEUlS7_S7_E_S7_EEDaPvRmT3_T4_T5_mT6_P12ihipStream_tbENKUlT_T0_E_clISt17integral_constantIbLb1EESZ_EEDaSU_SV_EUlSU_E0_NS1_11comp_targetILNS1_3genE2ELNS1_11target_archE906ELNS1_3gpuE6ELNS1_3repE0EEENS1_30default_config_static_selectorELNS0_4arch9wavefront6targetE0EEEvT1_
		.amdhsa_group_segment_fixed_size 0
		.amdhsa_private_segment_fixed_size 0
		.amdhsa_kernarg_size 40
		.amdhsa_user_sgpr_count 2
		.amdhsa_user_sgpr_dispatch_ptr 0
		.amdhsa_user_sgpr_queue_ptr 0
		.amdhsa_user_sgpr_kernarg_segment_ptr 1
		.amdhsa_user_sgpr_dispatch_id 0
		.amdhsa_user_sgpr_private_segment_size 0
		.amdhsa_wavefront_size32 1
		.amdhsa_uses_dynamic_stack 0
		.amdhsa_enable_private_segment 0
		.amdhsa_system_sgpr_workgroup_id_x 1
		.amdhsa_system_sgpr_workgroup_id_y 0
		.amdhsa_system_sgpr_workgroup_id_z 0
		.amdhsa_system_sgpr_workgroup_info 0
		.amdhsa_system_vgpr_workitem_id 0
		.amdhsa_next_free_vgpr 1
		.amdhsa_next_free_sgpr 1
		.amdhsa_reserve_vcc 0
		.amdhsa_float_round_mode_32 0
		.amdhsa_float_round_mode_16_64 0
		.amdhsa_float_denorm_mode_32 3
		.amdhsa_float_denorm_mode_16_64 3
		.amdhsa_fp16_overflow 0
		.amdhsa_workgroup_processor_mode 1
		.amdhsa_memory_ordered 1
		.amdhsa_forward_progress 1
		.amdhsa_inst_pref_size 0
		.amdhsa_round_robin_scheduling 0
		.amdhsa_exception_fp_ieee_invalid_op 0
		.amdhsa_exception_fp_denorm_src 0
		.amdhsa_exception_fp_ieee_div_zero 0
		.amdhsa_exception_fp_ieee_overflow 0
		.amdhsa_exception_fp_ieee_underflow 0
		.amdhsa_exception_fp_ieee_inexact 0
		.amdhsa_exception_int_div_zero 0
	.end_amdhsa_kernel
	.section	.text._ZN7rocprim17ROCPRIM_400000_NS6detail17trampoline_kernelINS0_14default_configENS1_20scan_config_selectorIN3c107complexIfEEEEZZNS1_9scan_implILNS1_25lookback_scan_determinismE0ELb0ELb0ES3_PKS7_PS7_S7_ZZZN2at6native31launch_logcumsumexp_cuda_kernelERKNSE_10TensorBaseESI_lENKUlvE_clEvENKUlvE2_clEvEUlS7_S7_E_S7_EEDaPvRmT3_T4_T5_mT6_P12ihipStream_tbENKUlT_T0_E_clISt17integral_constantIbLb1EESZ_EEDaSU_SV_EUlSU_E0_NS1_11comp_targetILNS1_3genE2ELNS1_11target_archE906ELNS1_3gpuE6ELNS1_3repE0EEENS1_30default_config_static_selectorELNS0_4arch9wavefront6targetE0EEEvT1_,"axG",@progbits,_ZN7rocprim17ROCPRIM_400000_NS6detail17trampoline_kernelINS0_14default_configENS1_20scan_config_selectorIN3c107complexIfEEEEZZNS1_9scan_implILNS1_25lookback_scan_determinismE0ELb0ELb0ES3_PKS7_PS7_S7_ZZZN2at6native31launch_logcumsumexp_cuda_kernelERKNSE_10TensorBaseESI_lENKUlvE_clEvENKUlvE2_clEvEUlS7_S7_E_S7_EEDaPvRmT3_T4_T5_mT6_P12ihipStream_tbENKUlT_T0_E_clISt17integral_constantIbLb1EESZ_EEDaSU_SV_EUlSU_E0_NS1_11comp_targetILNS1_3genE2ELNS1_11target_archE906ELNS1_3gpuE6ELNS1_3repE0EEENS1_30default_config_static_selectorELNS0_4arch9wavefront6targetE0EEEvT1_,comdat
.Lfunc_end304:
	.size	_ZN7rocprim17ROCPRIM_400000_NS6detail17trampoline_kernelINS0_14default_configENS1_20scan_config_selectorIN3c107complexIfEEEEZZNS1_9scan_implILNS1_25lookback_scan_determinismE0ELb0ELb0ES3_PKS7_PS7_S7_ZZZN2at6native31launch_logcumsumexp_cuda_kernelERKNSE_10TensorBaseESI_lENKUlvE_clEvENKUlvE2_clEvEUlS7_S7_E_S7_EEDaPvRmT3_T4_T5_mT6_P12ihipStream_tbENKUlT_T0_E_clISt17integral_constantIbLb1EESZ_EEDaSU_SV_EUlSU_E0_NS1_11comp_targetILNS1_3genE2ELNS1_11target_archE906ELNS1_3gpuE6ELNS1_3repE0EEENS1_30default_config_static_selectorELNS0_4arch9wavefront6targetE0EEEvT1_, .Lfunc_end304-_ZN7rocprim17ROCPRIM_400000_NS6detail17trampoline_kernelINS0_14default_configENS1_20scan_config_selectorIN3c107complexIfEEEEZZNS1_9scan_implILNS1_25lookback_scan_determinismE0ELb0ELb0ES3_PKS7_PS7_S7_ZZZN2at6native31launch_logcumsumexp_cuda_kernelERKNSE_10TensorBaseESI_lENKUlvE_clEvENKUlvE2_clEvEUlS7_S7_E_S7_EEDaPvRmT3_T4_T5_mT6_P12ihipStream_tbENKUlT_T0_E_clISt17integral_constantIbLb1EESZ_EEDaSU_SV_EUlSU_E0_NS1_11comp_targetILNS1_3genE2ELNS1_11target_archE906ELNS1_3gpuE6ELNS1_3repE0EEENS1_30default_config_static_selectorELNS0_4arch9wavefront6targetE0EEEvT1_
                                        ; -- End function
	.set _ZN7rocprim17ROCPRIM_400000_NS6detail17trampoline_kernelINS0_14default_configENS1_20scan_config_selectorIN3c107complexIfEEEEZZNS1_9scan_implILNS1_25lookback_scan_determinismE0ELb0ELb0ES3_PKS7_PS7_S7_ZZZN2at6native31launch_logcumsumexp_cuda_kernelERKNSE_10TensorBaseESI_lENKUlvE_clEvENKUlvE2_clEvEUlS7_S7_E_S7_EEDaPvRmT3_T4_T5_mT6_P12ihipStream_tbENKUlT_T0_E_clISt17integral_constantIbLb1EESZ_EEDaSU_SV_EUlSU_E0_NS1_11comp_targetILNS1_3genE2ELNS1_11target_archE906ELNS1_3gpuE6ELNS1_3repE0EEENS1_30default_config_static_selectorELNS0_4arch9wavefront6targetE0EEEvT1_.num_vgpr, 0
	.set _ZN7rocprim17ROCPRIM_400000_NS6detail17trampoline_kernelINS0_14default_configENS1_20scan_config_selectorIN3c107complexIfEEEEZZNS1_9scan_implILNS1_25lookback_scan_determinismE0ELb0ELb0ES3_PKS7_PS7_S7_ZZZN2at6native31launch_logcumsumexp_cuda_kernelERKNSE_10TensorBaseESI_lENKUlvE_clEvENKUlvE2_clEvEUlS7_S7_E_S7_EEDaPvRmT3_T4_T5_mT6_P12ihipStream_tbENKUlT_T0_E_clISt17integral_constantIbLb1EESZ_EEDaSU_SV_EUlSU_E0_NS1_11comp_targetILNS1_3genE2ELNS1_11target_archE906ELNS1_3gpuE6ELNS1_3repE0EEENS1_30default_config_static_selectorELNS0_4arch9wavefront6targetE0EEEvT1_.num_agpr, 0
	.set _ZN7rocprim17ROCPRIM_400000_NS6detail17trampoline_kernelINS0_14default_configENS1_20scan_config_selectorIN3c107complexIfEEEEZZNS1_9scan_implILNS1_25lookback_scan_determinismE0ELb0ELb0ES3_PKS7_PS7_S7_ZZZN2at6native31launch_logcumsumexp_cuda_kernelERKNSE_10TensorBaseESI_lENKUlvE_clEvENKUlvE2_clEvEUlS7_S7_E_S7_EEDaPvRmT3_T4_T5_mT6_P12ihipStream_tbENKUlT_T0_E_clISt17integral_constantIbLb1EESZ_EEDaSU_SV_EUlSU_E0_NS1_11comp_targetILNS1_3genE2ELNS1_11target_archE906ELNS1_3gpuE6ELNS1_3repE0EEENS1_30default_config_static_selectorELNS0_4arch9wavefront6targetE0EEEvT1_.numbered_sgpr, 0
	.set _ZN7rocprim17ROCPRIM_400000_NS6detail17trampoline_kernelINS0_14default_configENS1_20scan_config_selectorIN3c107complexIfEEEEZZNS1_9scan_implILNS1_25lookback_scan_determinismE0ELb0ELb0ES3_PKS7_PS7_S7_ZZZN2at6native31launch_logcumsumexp_cuda_kernelERKNSE_10TensorBaseESI_lENKUlvE_clEvENKUlvE2_clEvEUlS7_S7_E_S7_EEDaPvRmT3_T4_T5_mT6_P12ihipStream_tbENKUlT_T0_E_clISt17integral_constantIbLb1EESZ_EEDaSU_SV_EUlSU_E0_NS1_11comp_targetILNS1_3genE2ELNS1_11target_archE906ELNS1_3gpuE6ELNS1_3repE0EEENS1_30default_config_static_selectorELNS0_4arch9wavefront6targetE0EEEvT1_.num_named_barrier, 0
	.set _ZN7rocprim17ROCPRIM_400000_NS6detail17trampoline_kernelINS0_14default_configENS1_20scan_config_selectorIN3c107complexIfEEEEZZNS1_9scan_implILNS1_25lookback_scan_determinismE0ELb0ELb0ES3_PKS7_PS7_S7_ZZZN2at6native31launch_logcumsumexp_cuda_kernelERKNSE_10TensorBaseESI_lENKUlvE_clEvENKUlvE2_clEvEUlS7_S7_E_S7_EEDaPvRmT3_T4_T5_mT6_P12ihipStream_tbENKUlT_T0_E_clISt17integral_constantIbLb1EESZ_EEDaSU_SV_EUlSU_E0_NS1_11comp_targetILNS1_3genE2ELNS1_11target_archE906ELNS1_3gpuE6ELNS1_3repE0EEENS1_30default_config_static_selectorELNS0_4arch9wavefront6targetE0EEEvT1_.private_seg_size, 0
	.set _ZN7rocprim17ROCPRIM_400000_NS6detail17trampoline_kernelINS0_14default_configENS1_20scan_config_selectorIN3c107complexIfEEEEZZNS1_9scan_implILNS1_25lookback_scan_determinismE0ELb0ELb0ES3_PKS7_PS7_S7_ZZZN2at6native31launch_logcumsumexp_cuda_kernelERKNSE_10TensorBaseESI_lENKUlvE_clEvENKUlvE2_clEvEUlS7_S7_E_S7_EEDaPvRmT3_T4_T5_mT6_P12ihipStream_tbENKUlT_T0_E_clISt17integral_constantIbLb1EESZ_EEDaSU_SV_EUlSU_E0_NS1_11comp_targetILNS1_3genE2ELNS1_11target_archE906ELNS1_3gpuE6ELNS1_3repE0EEENS1_30default_config_static_selectorELNS0_4arch9wavefront6targetE0EEEvT1_.uses_vcc, 0
	.set _ZN7rocprim17ROCPRIM_400000_NS6detail17trampoline_kernelINS0_14default_configENS1_20scan_config_selectorIN3c107complexIfEEEEZZNS1_9scan_implILNS1_25lookback_scan_determinismE0ELb0ELb0ES3_PKS7_PS7_S7_ZZZN2at6native31launch_logcumsumexp_cuda_kernelERKNSE_10TensorBaseESI_lENKUlvE_clEvENKUlvE2_clEvEUlS7_S7_E_S7_EEDaPvRmT3_T4_T5_mT6_P12ihipStream_tbENKUlT_T0_E_clISt17integral_constantIbLb1EESZ_EEDaSU_SV_EUlSU_E0_NS1_11comp_targetILNS1_3genE2ELNS1_11target_archE906ELNS1_3gpuE6ELNS1_3repE0EEENS1_30default_config_static_selectorELNS0_4arch9wavefront6targetE0EEEvT1_.uses_flat_scratch, 0
	.set _ZN7rocprim17ROCPRIM_400000_NS6detail17trampoline_kernelINS0_14default_configENS1_20scan_config_selectorIN3c107complexIfEEEEZZNS1_9scan_implILNS1_25lookback_scan_determinismE0ELb0ELb0ES3_PKS7_PS7_S7_ZZZN2at6native31launch_logcumsumexp_cuda_kernelERKNSE_10TensorBaseESI_lENKUlvE_clEvENKUlvE2_clEvEUlS7_S7_E_S7_EEDaPvRmT3_T4_T5_mT6_P12ihipStream_tbENKUlT_T0_E_clISt17integral_constantIbLb1EESZ_EEDaSU_SV_EUlSU_E0_NS1_11comp_targetILNS1_3genE2ELNS1_11target_archE906ELNS1_3gpuE6ELNS1_3repE0EEENS1_30default_config_static_selectorELNS0_4arch9wavefront6targetE0EEEvT1_.has_dyn_sized_stack, 0
	.set _ZN7rocprim17ROCPRIM_400000_NS6detail17trampoline_kernelINS0_14default_configENS1_20scan_config_selectorIN3c107complexIfEEEEZZNS1_9scan_implILNS1_25lookback_scan_determinismE0ELb0ELb0ES3_PKS7_PS7_S7_ZZZN2at6native31launch_logcumsumexp_cuda_kernelERKNSE_10TensorBaseESI_lENKUlvE_clEvENKUlvE2_clEvEUlS7_S7_E_S7_EEDaPvRmT3_T4_T5_mT6_P12ihipStream_tbENKUlT_T0_E_clISt17integral_constantIbLb1EESZ_EEDaSU_SV_EUlSU_E0_NS1_11comp_targetILNS1_3genE2ELNS1_11target_archE906ELNS1_3gpuE6ELNS1_3repE0EEENS1_30default_config_static_selectorELNS0_4arch9wavefront6targetE0EEEvT1_.has_recursion, 0
	.set _ZN7rocprim17ROCPRIM_400000_NS6detail17trampoline_kernelINS0_14default_configENS1_20scan_config_selectorIN3c107complexIfEEEEZZNS1_9scan_implILNS1_25lookback_scan_determinismE0ELb0ELb0ES3_PKS7_PS7_S7_ZZZN2at6native31launch_logcumsumexp_cuda_kernelERKNSE_10TensorBaseESI_lENKUlvE_clEvENKUlvE2_clEvEUlS7_S7_E_S7_EEDaPvRmT3_T4_T5_mT6_P12ihipStream_tbENKUlT_T0_E_clISt17integral_constantIbLb1EESZ_EEDaSU_SV_EUlSU_E0_NS1_11comp_targetILNS1_3genE2ELNS1_11target_archE906ELNS1_3gpuE6ELNS1_3repE0EEENS1_30default_config_static_selectorELNS0_4arch9wavefront6targetE0EEEvT1_.has_indirect_call, 0
	.section	.AMDGPU.csdata,"",@progbits
; Kernel info:
; codeLenInByte = 0
; TotalNumSgprs: 0
; NumVgprs: 0
; ScratchSize: 0
; MemoryBound: 0
; FloatMode: 240
; IeeeMode: 1
; LDSByteSize: 0 bytes/workgroup (compile time only)
; SGPRBlocks: 0
; VGPRBlocks: 0
; NumSGPRsForWavesPerEU: 1
; NumVGPRsForWavesPerEU: 1
; Occupancy: 16
; WaveLimiterHint : 0
; COMPUTE_PGM_RSRC2:SCRATCH_EN: 0
; COMPUTE_PGM_RSRC2:USER_SGPR: 2
; COMPUTE_PGM_RSRC2:TRAP_HANDLER: 0
; COMPUTE_PGM_RSRC2:TGID_X_EN: 1
; COMPUTE_PGM_RSRC2:TGID_Y_EN: 0
; COMPUTE_PGM_RSRC2:TGID_Z_EN: 0
; COMPUTE_PGM_RSRC2:TIDIG_COMP_CNT: 0
	.section	.text._ZN7rocprim17ROCPRIM_400000_NS6detail17trampoline_kernelINS0_14default_configENS1_20scan_config_selectorIN3c107complexIfEEEEZZNS1_9scan_implILNS1_25lookback_scan_determinismE0ELb0ELb0ES3_PKS7_PS7_S7_ZZZN2at6native31launch_logcumsumexp_cuda_kernelERKNSE_10TensorBaseESI_lENKUlvE_clEvENKUlvE2_clEvEUlS7_S7_E_S7_EEDaPvRmT3_T4_T5_mT6_P12ihipStream_tbENKUlT_T0_E_clISt17integral_constantIbLb1EESZ_EEDaSU_SV_EUlSU_E0_NS1_11comp_targetILNS1_3genE10ELNS1_11target_archE1201ELNS1_3gpuE5ELNS1_3repE0EEENS1_30default_config_static_selectorELNS0_4arch9wavefront6targetE0EEEvT1_,"axG",@progbits,_ZN7rocprim17ROCPRIM_400000_NS6detail17trampoline_kernelINS0_14default_configENS1_20scan_config_selectorIN3c107complexIfEEEEZZNS1_9scan_implILNS1_25lookback_scan_determinismE0ELb0ELb0ES3_PKS7_PS7_S7_ZZZN2at6native31launch_logcumsumexp_cuda_kernelERKNSE_10TensorBaseESI_lENKUlvE_clEvENKUlvE2_clEvEUlS7_S7_E_S7_EEDaPvRmT3_T4_T5_mT6_P12ihipStream_tbENKUlT_T0_E_clISt17integral_constantIbLb1EESZ_EEDaSU_SV_EUlSU_E0_NS1_11comp_targetILNS1_3genE10ELNS1_11target_archE1201ELNS1_3gpuE5ELNS1_3repE0EEENS1_30default_config_static_selectorELNS0_4arch9wavefront6targetE0EEEvT1_,comdat
	.globl	_ZN7rocprim17ROCPRIM_400000_NS6detail17trampoline_kernelINS0_14default_configENS1_20scan_config_selectorIN3c107complexIfEEEEZZNS1_9scan_implILNS1_25lookback_scan_determinismE0ELb0ELb0ES3_PKS7_PS7_S7_ZZZN2at6native31launch_logcumsumexp_cuda_kernelERKNSE_10TensorBaseESI_lENKUlvE_clEvENKUlvE2_clEvEUlS7_S7_E_S7_EEDaPvRmT3_T4_T5_mT6_P12ihipStream_tbENKUlT_T0_E_clISt17integral_constantIbLb1EESZ_EEDaSU_SV_EUlSU_E0_NS1_11comp_targetILNS1_3genE10ELNS1_11target_archE1201ELNS1_3gpuE5ELNS1_3repE0EEENS1_30default_config_static_selectorELNS0_4arch9wavefront6targetE0EEEvT1_ ; -- Begin function _ZN7rocprim17ROCPRIM_400000_NS6detail17trampoline_kernelINS0_14default_configENS1_20scan_config_selectorIN3c107complexIfEEEEZZNS1_9scan_implILNS1_25lookback_scan_determinismE0ELb0ELb0ES3_PKS7_PS7_S7_ZZZN2at6native31launch_logcumsumexp_cuda_kernelERKNSE_10TensorBaseESI_lENKUlvE_clEvENKUlvE2_clEvEUlS7_S7_E_S7_EEDaPvRmT3_T4_T5_mT6_P12ihipStream_tbENKUlT_T0_E_clISt17integral_constantIbLb1EESZ_EEDaSU_SV_EUlSU_E0_NS1_11comp_targetILNS1_3genE10ELNS1_11target_archE1201ELNS1_3gpuE5ELNS1_3repE0EEENS1_30default_config_static_selectorELNS0_4arch9wavefront6targetE0EEEvT1_
	.p2align	8
	.type	_ZN7rocprim17ROCPRIM_400000_NS6detail17trampoline_kernelINS0_14default_configENS1_20scan_config_selectorIN3c107complexIfEEEEZZNS1_9scan_implILNS1_25lookback_scan_determinismE0ELb0ELb0ES3_PKS7_PS7_S7_ZZZN2at6native31launch_logcumsumexp_cuda_kernelERKNSE_10TensorBaseESI_lENKUlvE_clEvENKUlvE2_clEvEUlS7_S7_E_S7_EEDaPvRmT3_T4_T5_mT6_P12ihipStream_tbENKUlT_T0_E_clISt17integral_constantIbLb1EESZ_EEDaSU_SV_EUlSU_E0_NS1_11comp_targetILNS1_3genE10ELNS1_11target_archE1201ELNS1_3gpuE5ELNS1_3repE0EEENS1_30default_config_static_selectorELNS0_4arch9wavefront6targetE0EEEvT1_,@function
_ZN7rocprim17ROCPRIM_400000_NS6detail17trampoline_kernelINS0_14default_configENS1_20scan_config_selectorIN3c107complexIfEEEEZZNS1_9scan_implILNS1_25lookback_scan_determinismE0ELb0ELb0ES3_PKS7_PS7_S7_ZZZN2at6native31launch_logcumsumexp_cuda_kernelERKNSE_10TensorBaseESI_lENKUlvE_clEvENKUlvE2_clEvEUlS7_S7_E_S7_EEDaPvRmT3_T4_T5_mT6_P12ihipStream_tbENKUlT_T0_E_clISt17integral_constantIbLb1EESZ_EEDaSU_SV_EUlSU_E0_NS1_11comp_targetILNS1_3genE10ELNS1_11target_archE1201ELNS1_3gpuE5ELNS1_3repE0EEENS1_30default_config_static_selectorELNS0_4arch9wavefront6targetE0EEEvT1_: ; @_ZN7rocprim17ROCPRIM_400000_NS6detail17trampoline_kernelINS0_14default_configENS1_20scan_config_selectorIN3c107complexIfEEEEZZNS1_9scan_implILNS1_25lookback_scan_determinismE0ELb0ELb0ES3_PKS7_PS7_S7_ZZZN2at6native31launch_logcumsumexp_cuda_kernelERKNSE_10TensorBaseESI_lENKUlvE_clEvENKUlvE2_clEvEUlS7_S7_E_S7_EEDaPvRmT3_T4_T5_mT6_P12ihipStream_tbENKUlT_T0_E_clISt17integral_constantIbLb1EESZ_EEDaSU_SV_EUlSU_E0_NS1_11comp_targetILNS1_3genE10ELNS1_11target_archE1201ELNS1_3gpuE5ELNS1_3repE0EEENS1_30default_config_static_selectorELNS0_4arch9wavefront6targetE0EEEvT1_
; %bb.0:
	s_load_b128 s[4:7], s[0:1], 0x0
	s_mov_b32 s32, 0
	s_wait_kmcnt 0x0
	s_load_b64 s[2:3], s[4:5], 0x0
	s_wait_kmcnt 0x0
	v_dual_mov_b32 v84, v0 :: v_dual_mov_b32 v1, s3
	s_delay_alu instid0(VALU_DEP_1)
	v_cmp_gt_u32_e64 s7, s6, v84
	v_dual_mov_b32 v0, s2 :: v_dual_lshlrev_b32 v91, 3, v84
	s_and_saveexec_b32 s8, s7
	s_cbranch_execz .LBB305_2
; %bb.1:
	global_load_b64 v[0:1], v91, s[4:5]
.LBB305_2:
	s_or_b32 exec_lo, exec_lo, s8
	v_or_b32_e32 v32, 0x100, v84
	v_dual_mov_b32 v3, s3 :: v_dual_mov_b32 v2, s2
	s_delay_alu instid0(VALU_DEP_2)
	v_cmp_gt_u32_e64 s8, s6, v32
	s_and_saveexec_b32 s9, s8
	s_cbranch_execz .LBB305_4
; %bb.3:
	global_load_b64 v[2:3], v91, s[4:5] offset:2048
.LBB305_4:
	s_or_b32 exec_lo, exec_lo, s9
	v_or_b32_e32 v33, 0x200, v84
	v_dual_mov_b32 v5, s3 :: v_dual_mov_b32 v4, s2
	s_delay_alu instid0(VALU_DEP_2)
	v_cmp_gt_u32_e64 s9, s6, v33
	s_and_saveexec_b32 s10, s9
	s_cbranch_execz .LBB305_6
; %bb.5:
	global_load_b64 v[4:5], v91, s[4:5] offset:4096
.LBB305_6:
	;; [unrolled: 10-line block ×15, first 2 shown]
	s_wait_alu 0xfffe
	s_or_b32 exec_lo, exec_lo, s2
	v_lshrrev_b32_e32 v47, 2, v84
	v_lshrrev_b32_e32 v33, 2, v33
	;; [unrolled: 1-line block ×5, first 2 shown]
	v_and_b32_e32 v47, 56, v47
	v_and_b32_e32 v33, 0xf8, v33
	;; [unrolled: 1-line block ×4, first 2 shown]
	s_load_b64 s[24:25], s[0:1], 0x20
	v_add_nc_u32_e32 v92, v47, v91
	v_add_nc_u32_e32 v94, v33, v91
	v_and_b32_e32 v33, 0x1f8, v35
	v_lshrrev_b32_e32 v35, 2, v38
	v_add_nc_u32_e32 v93, v32, v91
	v_add_nc_u32_e32 v95, v34, v91
	s_wait_loadcnt 0x0
	ds_store_b64 v92, v[0:1]
	ds_store_b64 v93, v[2:3] offset:2048
	ds_store_b64 v94, v[4:5] offset:4096
	;; [unrolled: 1-line block ×3, first 2 shown]
	v_and_b32_e32 v0, 0x1f8, v35
	v_lshrrev_b32_e32 v1, 2, v39
	v_lshrrev_b32_e32 v2, 2, v40
	;; [unrolled: 1-line block ×4, first 2 shown]
	v_add_nc_u32_e32 v99, v0, v91
	v_and_b32_e32 v0, 0x3f8, v1
	v_and_b32_e32 v1, 0x3f8, v2
	;; [unrolled: 1-line block ×4, first 2 shown]
	v_lshlrev_b32_e32 v4, 2, v84
	v_add_nc_u32_e32 v100, v0, v91
	v_add_nc_u32_e32 v101, v1, v91
	v_lshrrev_b32_e32 v0, 2, v43
	v_lshrrev_b32_e32 v1, 2, v44
	;; [unrolled: 1-line block ×4, first 2 shown]
	v_add_nc_u32_e32 v102, v2, v91
	v_and_b32_e32 v0, 0x3f8, v0
	v_and_b32_e32 v1, 0x3f8, v1
	v_lshrrev_b32_e32 v2, 2, v45
	v_add_nc_u32_e32 v103, v3, v91
	v_lshrrev_b32_e32 v3, 2, v46
	v_add_nc_u32_e32 v104, v0, v91
	v_add_nc_u32_e32 v105, v1, v91
	v_and_b32_e32 v0, 0x3f8, v4
	v_lshlrev_b32_e32 v1, 7, v84
	v_and_b32_e32 v32, 0x1f8, v32
	v_and_b32_e32 v34, 0x1f8, v36
	;; [unrolled: 1-line block ×4, first 2 shown]
	v_add_nc_u32_e32 v96, v33, v91
	v_add_nc_u32_e32 v108, v0, v1
	;; [unrolled: 1-line block ×6, first 2 shown]
	ds_store_b64 v96, v[6:7] offset:8192
	ds_store_b64 v97, v[10:11] offset:10240
	;; [unrolled: 1-line block ×12, first 2 shown]
	s_wait_dscnt 0x0
	s_barrier_signal -1
	s_barrier_wait -1
	global_inv scope:SCOPE_SE
	ds_load_2addr_b64 v[22:25], v108 offset1:1
	ds_load_2addr_b64 v[50:53], v108 offset0:2 offset1:3
	ds_load_2addr_b64 v[46:49], v108 offset0:4 offset1:5
	ds_load_2addr_b64 v[42:45], v108 offset0:6 offset1:7
	ds_load_2addr_b64 v[38:41], v108 offset0:8 offset1:9
	ds_load_2addr_b64 v[34:37], v108 offset0:10 offset1:11
	ds_load_2addr_b64 v[30:33], v108 offset0:12 offset1:13
	ds_load_2addr_b64 v[26:29], v108 offset0:14 offset1:15
	s_getpc_b64 s[26:27]
	s_sext_i32_i16 s27, s27
	s_add_co_u32 s26, s26, _ZZZZN2at6native31launch_logcumsumexp_cuda_kernelERKNS_10TensorBaseES3_lENKUlvE_clEvENKUlvE2_clEvENKUlN3c107complexIfEES8_E_clES8_S8_@rel32@lo+8
	s_add_co_ci_u32 s27, s27, _ZZZZN2at6native31launch_logcumsumexp_cuda_kernelERKNS_10TensorBaseES3_lENKUlvE_clEvENKUlvE2_clEvENKUlN3c107complexIfEES8_E_clES8_S8_@rel32@hi+16
	s_wait_loadcnt_dscnt 0x0
	s_barrier_signal -1
	s_barrier_wait -1
	global_inv scope:SCOPE_SE
	v_dual_mov_b32 v0, v22 :: v_dual_mov_b32 v1, v23
	v_dual_mov_b32 v2, v24 :: v_dual_mov_b32 v3, v25
	s_swappc_b64 s[30:31], s[26:27]
	v_dual_mov_b32 v2, v50 :: v_dual_mov_b32 v3, v51
	s_delay_alu instid0(VALU_DEP_3)
	v_dual_mov_b32 v85, v0 :: v_dual_mov_b32 v86, v1
	s_wait_alu 0xfffe
	s_swappc_b64 s[30:31], s[26:27]
	v_dual_mov_b32 v2, v52 :: v_dual_mov_b32 v3, v53
	v_dual_mov_b32 v54, v0 :: v_dual_mov_b32 v55, v1
	s_wait_alu 0xfffe
	s_swappc_b64 s[30:31], s[26:27]
	v_dual_mov_b32 v2, v46 :: v_dual_mov_b32 v3, v47
	v_dual_mov_b32 v56, v0 :: v_dual_mov_b32 v57, v1
	s_wait_alu 0xfffe
	s_swappc_b64 s[30:31], s[26:27]
	v_dual_mov_b32 v2, v48 :: v_dual_mov_b32 v3, v49
	v_dual_mov_b32 v58, v0 :: v_dual_mov_b32 v59, v1
	s_wait_alu 0xfffe
	s_swappc_b64 s[30:31], s[26:27]
	v_dual_mov_b32 v2, v42 :: v_dual_mov_b32 v3, v43
	v_dual_mov_b32 v60, v0 :: v_dual_mov_b32 v61, v1
	s_wait_alu 0xfffe
	s_swappc_b64 s[30:31], s[26:27]
	v_dual_mov_b32 v2, v44 :: v_dual_mov_b32 v3, v45
	v_dual_mov_b32 v62, v0 :: v_dual_mov_b32 v63, v1
	s_wait_alu 0xfffe
	s_swappc_b64 s[30:31], s[26:27]
	v_dual_mov_b32 v2, v38 :: v_dual_mov_b32 v3, v39
	v_dual_mov_b32 v64, v0 :: v_dual_mov_b32 v65, v1
	s_wait_alu 0xfffe
	s_swappc_b64 s[30:31], s[26:27]
	v_dual_mov_b32 v2, v40 :: v_dual_mov_b32 v3, v41
	v_dual_mov_b32 v66, v0 :: v_dual_mov_b32 v67, v1
	s_wait_alu 0xfffe
	s_swappc_b64 s[30:31], s[26:27]
	v_dual_mov_b32 v2, v34 :: v_dual_mov_b32 v3, v35
	v_dual_mov_b32 v68, v0 :: v_dual_mov_b32 v69, v1
	s_wait_alu 0xfffe
	s_swappc_b64 s[30:31], s[26:27]
	v_dual_mov_b32 v2, v36 :: v_dual_mov_b32 v3, v37
	v_dual_mov_b32 v70, v0 :: v_dual_mov_b32 v71, v1
	s_wait_alu 0xfffe
	s_swappc_b64 s[30:31], s[26:27]
	v_dual_mov_b32 v2, v30 :: v_dual_mov_b32 v3, v31
	v_dual_mov_b32 v72, v0 :: v_dual_mov_b32 v73, v1
	s_wait_alu 0xfffe
	s_swappc_b64 s[30:31], s[26:27]
	v_dual_mov_b32 v2, v32 :: v_dual_mov_b32 v3, v33
	v_dual_mov_b32 v74, v0 :: v_dual_mov_b32 v75, v1
	s_wait_alu 0xfffe
	s_swappc_b64 s[30:31], s[26:27]
	v_dual_mov_b32 v2, v26 :: v_dual_mov_b32 v3, v27
	v_dual_mov_b32 v76, v0 :: v_dual_mov_b32 v77, v1
	s_wait_alu 0xfffe
	s_swappc_b64 s[30:31], s[26:27]
	v_dual_mov_b32 v2, v28 :: v_dual_mov_b32 v3, v29
	v_dual_mov_b32 v78, v0 :: v_dual_mov_b32 v79, v1
	s_wait_alu 0xfffe
	s_swappc_b64 s[30:31], s[26:27]
	v_dual_mov_b32 v80, v0 :: v_dual_mov_b32 v81, v1
	s_mov_b32 s23, exec_lo
	ds_store_b64 v92, v[80:81]
	s_wait_storecnt_dscnt 0x0
	s_barrier_signal -1
	s_barrier_wait -1
	global_inv scope:SCOPE_SE
	v_cmpx_gt_u32_e32 32, v84
	s_cbranch_execz .LBB305_44
; %bb.33:
	v_lshlrev_b32_e32 v0, 1, v84
	v_lshlrev_b32_e32 v1, 6, v84
	s_delay_alu instid0(VALU_DEP_2) | instskip(NEXT) | instid1(VALU_DEP_1)
	v_and_b32_e32 v0, 0x1f8, v0
	v_add_nc_u32_e32 v109, v0, v1
	ds_load_b64 v[82:83], v109
	ds_load_2addr_b64 v[87:90], v109 offset0:1 offset1:2
	s_wait_dscnt 0x1
	v_dual_mov_b32 v0, v82 :: v_dual_mov_b32 v1, v83
	s_wait_dscnt 0x0
	v_dual_mov_b32 v2, v87 :: v_dual_mov_b32 v3, v88
	s_wait_alu 0xfffe
	s_swappc_b64 s[30:31], s[26:27]
	v_dual_mov_b32 v2, v89 :: v_dual_mov_b32 v3, v90
	s_wait_alu 0xfffe
	s_swappc_b64 s[30:31], s[26:27]
	ds_load_2addr_b64 v[87:90], v109 offset0:3 offset1:4
	s_wait_dscnt 0x0
	v_dual_mov_b32 v2, v87 :: v_dual_mov_b32 v3, v88
	s_wait_alu 0xfffe
	s_swappc_b64 s[30:31], s[26:27]
	v_dual_mov_b32 v2, v89 :: v_dual_mov_b32 v3, v90
	s_wait_alu 0xfffe
	s_swappc_b64 s[30:31], s[26:27]
	ds_load_2addr_b64 v[87:90], v109 offset0:5 offset1:6
	s_wait_dscnt 0x0
	v_dual_mov_b32 v2, v87 :: v_dual_mov_b32 v3, v88
	s_wait_alu 0xfffe
	s_swappc_b64 s[30:31], s[26:27]
	v_dual_mov_b32 v2, v89 :: v_dual_mov_b32 v3, v90
	s_wait_alu 0xfffe
	s_swappc_b64 s[30:31], s[26:27]
	ds_load_b64 v[2:3], v109 offset:56
	s_wait_alu 0xfffe
	s_swappc_b64 s[30:31], s[26:27]
	v_dual_mov_b32 v2, v0 :: v_dual_mov_b32 v3, v1
	v_mbcnt_lo_u32_b32 v87, -1, 0
	s_mov_b32 s26, exec_lo
	s_delay_alu instid0(VALU_DEP_2) | instskip(NEXT) | instid1(VALU_DEP_3)
	v_mov_b32_dpp v0, v2 row_shr:1 row_mask:0xf bank_mask:0xf
	v_mov_b32_dpp v1, v3 row_shr:1 row_mask:0xf bank_mask:0xf
	s_delay_alu instid0(VALU_DEP_3) | instskip(NEXT) | instid1(VALU_DEP_1)
	v_and_b32_e32 v88, 15, v87
	v_cmpx_ne_u32_e32 0, v88
	s_cbranch_execz .LBB305_35
; %bb.34:
	s_getpc_b64 s[0:1]
	s_wait_alu 0xfffe
	s_sext_i32_i16 s1, s1
	s_add_co_u32 s0, s0, _ZZZZN2at6native31launch_logcumsumexp_cuda_kernelERKNS_10TensorBaseES3_lENKUlvE_clEvENKUlvE2_clEvENKUlN3c107complexIfEES8_E_clES8_S8_@rel32@lo+12
	s_wait_alu 0xfffe
	s_add_co_ci_u32 s1, s1, _ZZZZN2at6native31launch_logcumsumexp_cuda_kernelERKNS_10TensorBaseES3_lENKUlvE_clEvENKUlvE2_clEvENKUlN3c107complexIfEES8_E_clES8_S8_@rel32@hi+24
	s_wait_alu 0xfffe
	s_swappc_b64 s[30:31], s[0:1]
	v_dual_mov_b32 v2, v0 :: v_dual_mov_b32 v3, v1
.LBB305_35:
	s_wait_alu 0xfffe
	s_or_b32 exec_lo, exec_lo, s26
	s_delay_alu instid0(VALU_DEP_1) | instskip(NEXT) | instid1(VALU_DEP_2)
	v_mov_b32_dpp v0, v2 row_shr:2 row_mask:0xf bank_mask:0xf
	v_mov_b32_dpp v1, v3 row_shr:2 row_mask:0xf bank_mask:0xf
	s_mov_b32 s26, exec_lo
	v_cmpx_lt_u32_e32 1, v88
	s_cbranch_execz .LBB305_37
; %bb.36:
	s_getpc_b64 s[0:1]
	s_wait_alu 0xfffe
	s_sext_i32_i16 s1, s1
	s_add_co_u32 s0, s0, _ZZZZN2at6native31launch_logcumsumexp_cuda_kernelERKNS_10TensorBaseES3_lENKUlvE_clEvENKUlvE2_clEvENKUlN3c107complexIfEES8_E_clES8_S8_@rel32@lo+12
	s_wait_alu 0xfffe
	s_add_co_ci_u32 s1, s1, _ZZZZN2at6native31launch_logcumsumexp_cuda_kernelERKNS_10TensorBaseES3_lENKUlvE_clEvENKUlvE2_clEvENKUlN3c107complexIfEES8_E_clES8_S8_@rel32@hi+24
	s_wait_alu 0xfffe
	s_swappc_b64 s[30:31], s[0:1]
	v_dual_mov_b32 v2, v0 :: v_dual_mov_b32 v3, v1
.LBB305_37:
	s_wait_alu 0xfffe
	s_or_b32 exec_lo, exec_lo, s26
	s_delay_alu instid0(VALU_DEP_1) | instskip(NEXT) | instid1(VALU_DEP_2)
	v_mov_b32_dpp v0, v2 row_shr:4 row_mask:0xf bank_mask:0xf
	v_mov_b32_dpp v1, v3 row_shr:4 row_mask:0xf bank_mask:0xf
	s_mov_b32 s26, exec_lo
	v_cmpx_lt_u32_e32 3, v88
	;; [unrolled: 19-line block ×3, first 2 shown]
	s_cbranch_execz .LBB305_41
; %bb.40:
	s_getpc_b64 s[0:1]
	s_wait_alu 0xfffe
	s_sext_i32_i16 s1, s1
	s_add_co_u32 s0, s0, _ZZZZN2at6native31launch_logcumsumexp_cuda_kernelERKNS_10TensorBaseES3_lENKUlvE_clEvENKUlvE2_clEvENKUlN3c107complexIfEES8_E_clES8_S8_@rel32@lo+12
	s_wait_alu 0xfffe
	s_add_co_ci_u32 s1, s1, _ZZZZN2at6native31launch_logcumsumexp_cuda_kernelERKNS_10TensorBaseES3_lENKUlvE_clEvENKUlvE2_clEvENKUlN3c107complexIfEES8_E_clES8_S8_@rel32@hi+24
	s_wait_alu 0xfffe
	s_swappc_b64 s[30:31], s[0:1]
	v_dual_mov_b32 v2, v0 :: v_dual_mov_b32 v3, v1
.LBB305_41:
	s_wait_alu 0xfffe
	s_or_b32 exec_lo, exec_lo, s26
	ds_swizzle_b32 v0, v2 offset:swizzle(BROADCAST,32,15)
	ds_swizzle_b32 v1, v3 offset:swizzle(BROADCAST,32,15)
	v_and_b32_e32 v4, 16, v87
	s_mov_b32 s26, exec_lo
	s_delay_alu instid0(VALU_DEP_1)
	v_cmpx_ne_u32_e32 0, v4
	s_cbranch_execz .LBB305_43
; %bb.42:
	s_getpc_b64 s[0:1]
	s_wait_alu 0xfffe
	s_sext_i32_i16 s1, s1
	s_add_co_u32 s0, s0, _ZZZZN2at6native31launch_logcumsumexp_cuda_kernelERKNS_10TensorBaseES3_lENKUlvE_clEvENKUlvE2_clEvENKUlN3c107complexIfEES8_E_clES8_S8_@rel32@lo+12
	s_wait_alu 0xfffe
	s_add_co_ci_u32 s1, s1, _ZZZZN2at6native31launch_logcumsumexp_cuda_kernelERKNS_10TensorBaseES3_lENKUlvE_clEvENKUlvE2_clEvENKUlN3c107complexIfEES8_E_clES8_S8_@rel32@hi+24
	s_wait_alu 0xfffe
	s_swappc_b64 s[30:31], s[0:1]
	v_dual_mov_b32 v2, v0 :: v_dual_mov_b32 v3, v1
.LBB305_43:
	s_wait_alu 0xfffe
	s_or_b32 exec_lo, exec_lo, s26
	s_wait_dscnt 0x1
	v_add_nc_u32_e32 v0, -1, v87
	s_getpc_b64 s[26:27]
	s_wait_alu 0xfffe
	s_sext_i32_i16 s27, s27
	s_add_co_u32 s26, s26, _ZZZZN2at6native31launch_logcumsumexp_cuda_kernelERKNS_10TensorBaseES3_lENKUlvE_clEvENKUlvE2_clEvENKUlN3c107complexIfEES8_E_clES8_S8_@rel32@lo+12
	s_wait_alu 0xfffe
	s_add_co_ci_u32 s27, s27, _ZZZZN2at6native31launch_logcumsumexp_cuda_kernelERKNS_10TensorBaseES3_lENKUlvE_clEvENKUlvE2_clEvENKUlN3c107complexIfEES8_E_clES8_S8_@rel32@hi+24
	v_cmp_gt_i32_e32 vcc_lo, 0, v0
	s_wait_alu 0xfffd
	v_cndmask_b32_e32 v0, v0, v87, vcc_lo
	s_wait_dscnt 0x0
	s_delay_alu instid0(VALU_DEP_1)
	v_lshlrev_b32_e32 v1, 2, v0
	ds_bpermute_b32 v0, v1, v2
	v_mov_b32_e32 v2, v82
	ds_bpermute_b32 v1, v1, v3
	v_mov_b32_e32 v3, v83
	s_wait_alu 0xfffe
	s_swappc_b64 s[30:31], s[26:27]
	v_cmp_eq_u32_e32 vcc_lo, 0, v84
	; wave barrier
	s_wait_alu 0xfffd
	v_dual_cndmask_b32 v0, v0, v80 :: v_dual_cndmask_b32 v1, v1, v81
	ds_store_b64 v109, v[0:1]
	; wave barrier
	ds_load_2addr_b64 v[87:90], v109 offset0:1 offset1:2
	s_wait_dscnt 0x0
	v_dual_mov_b32 v2, v87 :: v_dual_mov_b32 v3, v88
	s_wait_alu 0xfffe
	s_swappc_b64 s[30:31], s[26:27]
	v_dual_mov_b32 v2, v89 :: v_dual_mov_b32 v3, v90
	v_dual_mov_b32 v82, v0 :: v_dual_mov_b32 v83, v1
	s_wait_alu 0xfffe
	s_swappc_b64 s[30:31], s[26:27]
	ds_load_2addr_b64 v[87:90], v109 offset0:3 offset1:4
	ds_store_2addr_b64 v109, v[82:83], v[0:1] offset0:1 offset1:2
	s_wait_dscnt 0x1
	v_dual_mov_b32 v2, v87 :: v_dual_mov_b32 v3, v88
	s_wait_alu 0xfffe
	s_swappc_b64 s[30:31], s[26:27]
	v_dual_mov_b32 v2, v89 :: v_dual_mov_b32 v3, v90
	v_dual_mov_b32 v82, v0 :: v_dual_mov_b32 v83, v1
	s_wait_alu 0xfffe
	s_swappc_b64 s[30:31], s[26:27]
	ds_load_2addr_b64 v[87:90], v109 offset0:5 offset1:6
	ds_store_2addr_b64 v109, v[82:83], v[0:1] offset0:3 offset1:4
	s_wait_dscnt 0x1
	v_dual_mov_b32 v2, v87 :: v_dual_mov_b32 v3, v88
	s_wait_alu 0xfffe
	s_swappc_b64 s[30:31], s[26:27]
	v_dual_mov_b32 v2, v89 :: v_dual_mov_b32 v3, v90
	v_dual_mov_b32 v82, v0 :: v_dual_mov_b32 v83, v1
	s_wait_alu 0xfffe
	s_swappc_b64 s[30:31], s[26:27]
	ds_load_b64 v[2:3], v109 offset:56
	ds_store_2addr_b64 v109, v[82:83], v[0:1] offset0:5 offset1:6
	s_wait_alu 0xfffe
	s_swappc_b64 s[30:31], s[26:27]
	ds_store_b64 v109, v[0:1] offset:56
.LBB305_44:
	s_wait_alu 0xfffe
	s_or_b32 exec_lo, exec_lo, s23
	s_delay_alu instid0(SALU_CYCLE_1)
	s_mov_b32 s23, exec_lo
	s_wait_storecnt 0x0
	s_wait_loadcnt_dscnt 0x0
	s_barrier_signal -1
	s_barrier_wait -1
	global_inv scope:SCOPE_SE
	v_cmpx_ne_u32_e32 0, v84
	s_cbranch_execz .LBB305_46
; %bb.45:
	v_dual_mov_b32 v3, v23 :: v_dual_add_nc_u32 v0, -1, v84
	s_getpc_b64 s[26:27]
	s_wait_alu 0xfffe
	s_sext_i32_i16 s27, s27
	s_add_co_u32 s26, s26, _ZZZZN2at6native31launch_logcumsumexp_cuda_kernelERKNS_10TensorBaseES3_lENKUlvE_clEvENKUlvE2_clEvENKUlN3c107complexIfEES8_E_clES8_S8_@rel32@lo+12
	s_wait_alu 0xfffe
	s_add_co_ci_u32 s27, s27, _ZZZZN2at6native31launch_logcumsumexp_cuda_kernelERKNS_10TensorBaseES3_lENKUlvE_clEvENKUlvE2_clEvENKUlN3c107complexIfEES8_E_clES8_S8_@rel32@hi+24
	v_mov_b32_e32 v2, v22
	v_lshrrev_b32_e32 v1, 2, v0
	s_delay_alu instid0(VALU_DEP_1) | instskip(NEXT) | instid1(VALU_DEP_1)
	v_and_b32_e32 v1, 0x3ffffff8, v1
	v_lshl_add_u32 v0, v0, 3, v1
	ds_load_b64 v[0:1], v0
	s_wait_alu 0xfffe
	s_swappc_b64 s[30:31], s[26:27]
	v_dual_mov_b32 v2, v24 :: v_dual_mov_b32 v3, v25
	v_dual_mov_b32 v22, v0 :: v_dual_mov_b32 v23, v1
	;;#ASMSTART
	;;#ASMEND
	s_wait_alu 0xfffe
	s_swappc_b64 s[30:31], s[26:27]
	v_dual_mov_b32 v2, v50 :: v_dual_mov_b32 v3, v51
	v_dual_mov_b32 v85, v0 :: v_dual_mov_b32 v86, v1
	s_wait_alu 0xfffe
	s_swappc_b64 s[30:31], s[26:27]
	v_dual_mov_b32 v2, v52 :: v_dual_mov_b32 v3, v53
	v_dual_mov_b32 v54, v0 :: v_dual_mov_b32 v55, v1
	;; [unrolled: 4-line block ×14, first 2 shown]
	s_wait_alu 0xfffe
	s_swappc_b64 s[30:31], s[26:27]
	v_dual_mov_b32 v80, v0 :: v_dual_mov_b32 v81, v1
.LBB305_46:
	s_wait_alu 0xfffe
	s_or_b32 exec_lo, exec_lo, s23
	v_dual_mov_b32 v0, v85 :: v_dual_mov_b32 v1, v86
	s_wait_loadcnt 0x0
	s_wait_storecnt 0x0
	s_barrier_signal -1
	s_barrier_wait -1
	global_inv scope:SCOPE_SE
	ds_store_2addr_b64 v108, v[22:23], v[0:1] offset1:1
	ds_store_2addr_b64 v108, v[54:55], v[56:57] offset0:2 offset1:3
	ds_store_2addr_b64 v108, v[58:59], v[60:61] offset0:4 offset1:5
	;; [unrolled: 1-line block ×7, first 2 shown]
	s_wait_loadcnt_dscnt 0x0
	s_barrier_signal -1
	s_barrier_wait -1
	global_inv scope:SCOPE_SE
	ds_load_b64 v[30:31], v93 offset:2048
	ds_load_b64 v[28:29], v94 offset:4096
	;; [unrolled: 1-line block ×15, first 2 shown]
	v_add_co_u32 v2, s0, s24, v91
	s_wait_alu 0xf1ff
	v_add_co_ci_u32_e64 v3, null, s25, 0, s0
	s_and_saveexec_b32 s0, s7
	s_cbranch_execnz .LBB305_63
; %bb.47:
	s_wait_alu 0xfffe
	s_or_b32 exec_lo, exec_lo, s0
	s_and_saveexec_b32 s0, s8
	s_cbranch_execnz .LBB305_64
.LBB305_48:
	s_wait_alu 0xfffe
	s_or_b32 exec_lo, exec_lo, s0
	s_and_saveexec_b32 s0, s9
	s_cbranch_execnz .LBB305_65
.LBB305_49:
	s_wait_alu 0xfffe
	s_or_b32 exec_lo, exec_lo, s0
	s_and_saveexec_b32 s0, s10
	s_cbranch_execnz .LBB305_66
.LBB305_50:
	s_wait_alu 0xfffe
	s_or_b32 exec_lo, exec_lo, s0
	s_and_saveexec_b32 s0, s11
	s_cbranch_execnz .LBB305_67
.LBB305_51:
	s_wait_alu 0xfffe
	s_or_b32 exec_lo, exec_lo, s0
	s_and_saveexec_b32 s0, s12
	s_cbranch_execnz .LBB305_68
.LBB305_52:
	s_wait_alu 0xfffe
	s_or_b32 exec_lo, exec_lo, s0
	s_and_saveexec_b32 s0, s13
	s_cbranch_execnz .LBB305_69
.LBB305_53:
	s_wait_alu 0xfffe
	s_or_b32 exec_lo, exec_lo, s0
	s_and_saveexec_b32 s0, s14
	s_cbranch_execnz .LBB305_70
.LBB305_54:
	s_wait_alu 0xfffe
	s_or_b32 exec_lo, exec_lo, s0
	s_and_saveexec_b32 s0, s15
	s_cbranch_execnz .LBB305_71
.LBB305_55:
	s_wait_alu 0xfffe
	s_or_b32 exec_lo, exec_lo, s0
	s_and_saveexec_b32 s0, s16
	s_cbranch_execnz .LBB305_72
.LBB305_56:
	s_wait_alu 0xfffe
	s_or_b32 exec_lo, exec_lo, s0
	s_and_saveexec_b32 s0, s17
	s_cbranch_execnz .LBB305_73
.LBB305_57:
	s_wait_alu 0xfffe
	s_or_b32 exec_lo, exec_lo, s0
	s_and_saveexec_b32 s0, s18
	s_cbranch_execnz .LBB305_74
.LBB305_58:
	s_wait_alu 0xfffe
	s_or_b32 exec_lo, exec_lo, s0
	s_and_saveexec_b32 s0, s19
	s_cbranch_execnz .LBB305_75
.LBB305_59:
	s_wait_alu 0xfffe
	s_or_b32 exec_lo, exec_lo, s0
	s_and_saveexec_b32 s0, s20
	s_cbranch_execnz .LBB305_76
.LBB305_60:
	s_wait_alu 0xfffe
	s_or_b32 exec_lo, exec_lo, s0
	s_and_saveexec_b32 s0, s21
	s_cbranch_execnz .LBB305_77
.LBB305_61:
	s_wait_alu 0xfffe
	s_or_b32 exec_lo, exec_lo, s0
	s_and_saveexec_b32 s0, s22
	s_cbranch_execnz .LBB305_78
.LBB305_62:
	s_nop 0
	s_sendmsg sendmsg(MSG_DEALLOC_VGPRS)
	s_endpgm
.LBB305_63:
	ds_load_b64 v[32:33], v92
	s_wait_dscnt 0x0
	global_store_b64 v[2:3], v[32:33], off
	s_wait_alu 0xfffe
	s_or_b32 exec_lo, exec_lo, s0
	s_and_saveexec_b32 s0, s8
	s_cbranch_execz .LBB305_48
.LBB305_64:
	s_wait_dscnt 0xe
	global_store_b64 v[2:3], v[30:31], off offset:2048
	s_wait_alu 0xfffe
	s_or_b32 exec_lo, exec_lo, s0
	s_and_saveexec_b32 s0, s9
	s_cbranch_execz .LBB305_49
.LBB305_65:
	s_wait_dscnt 0xd
	global_store_b64 v[2:3], v[28:29], off offset:4096
	s_wait_alu 0xfffe
	s_or_b32 exec_lo, exec_lo, s0
	s_and_saveexec_b32 s0, s10
	s_cbranch_execz .LBB305_50
.LBB305_66:
	s_wait_dscnt 0xc
	global_store_b64 v[2:3], v[26:27], off offset:6144
	s_wait_alu 0xfffe
	s_or_b32 exec_lo, exec_lo, s0
	s_and_saveexec_b32 s0, s11
	s_cbranch_execz .LBB305_51
.LBB305_67:
	s_wait_dscnt 0xb
	global_store_b64 v[2:3], v[24:25], off offset:8192
	s_wait_alu 0xfffe
	s_or_b32 exec_lo, exec_lo, s0
	s_and_saveexec_b32 s0, s12
	s_cbranch_execz .LBB305_52
.LBB305_68:
	s_wait_dscnt 0xa
	global_store_b64 v[2:3], v[22:23], off offset:10240
	s_wait_alu 0xfffe
	s_or_b32 exec_lo, exec_lo, s0
	s_and_saveexec_b32 s0, s13
	s_cbranch_execz .LBB305_53
.LBB305_69:
	s_wait_dscnt 0x9
	global_store_b64 v[2:3], v[20:21], off offset:12288
	s_wait_alu 0xfffe
	s_or_b32 exec_lo, exec_lo, s0
	s_and_saveexec_b32 s0, s14
	s_cbranch_execz .LBB305_54
.LBB305_70:
	s_wait_dscnt 0x8
	global_store_b64 v[2:3], v[18:19], off offset:14336
	s_wait_alu 0xfffe
	s_or_b32 exec_lo, exec_lo, s0
	s_and_saveexec_b32 s0, s15
	s_cbranch_execz .LBB305_55
.LBB305_71:
	s_wait_dscnt 0x7
	global_store_b64 v[2:3], v[16:17], off offset:16384
	s_wait_alu 0xfffe
	s_or_b32 exec_lo, exec_lo, s0
	s_and_saveexec_b32 s0, s16
	s_cbranch_execz .LBB305_56
.LBB305_72:
	s_wait_dscnt 0x6
	global_store_b64 v[2:3], v[14:15], off offset:18432
	s_wait_alu 0xfffe
	s_or_b32 exec_lo, exec_lo, s0
	s_and_saveexec_b32 s0, s17
	s_cbranch_execz .LBB305_57
.LBB305_73:
	s_wait_dscnt 0x5
	global_store_b64 v[2:3], v[12:13], off offset:20480
	s_wait_alu 0xfffe
	s_or_b32 exec_lo, exec_lo, s0
	s_and_saveexec_b32 s0, s18
	s_cbranch_execz .LBB305_58
.LBB305_74:
	s_wait_dscnt 0x4
	global_store_b64 v[2:3], v[10:11], off offset:22528
	s_wait_alu 0xfffe
	s_or_b32 exec_lo, exec_lo, s0
	s_and_saveexec_b32 s0, s19
	s_cbranch_execz .LBB305_59
.LBB305_75:
	s_wait_dscnt 0x3
	global_store_b64 v[2:3], v[8:9], off offset:24576
	s_wait_alu 0xfffe
	s_or_b32 exec_lo, exec_lo, s0
	s_and_saveexec_b32 s0, s20
	s_cbranch_execz .LBB305_60
.LBB305_76:
	s_wait_dscnt 0x2
	global_store_b64 v[2:3], v[6:7], off offset:26624
	s_wait_alu 0xfffe
	s_or_b32 exec_lo, exec_lo, s0
	s_and_saveexec_b32 s0, s21
	s_cbranch_execz .LBB305_61
.LBB305_77:
	s_wait_dscnt 0x1
	global_store_b64 v[2:3], v[4:5], off offset:28672
	s_wait_alu 0xfffe
	s_or_b32 exec_lo, exec_lo, s0
	s_and_saveexec_b32 s0, s22
	s_cbranch_execz .LBB305_62
.LBB305_78:
	s_wait_dscnt 0x0
	global_store_b64 v[2:3], v[0:1], off offset:30720
	s_nop 0
	s_sendmsg sendmsg(MSG_DEALLOC_VGPRS)
	s_endpgm
	.section	.rodata,"a",@progbits
	.p2align	6, 0x0
	.amdhsa_kernel _ZN7rocprim17ROCPRIM_400000_NS6detail17trampoline_kernelINS0_14default_configENS1_20scan_config_selectorIN3c107complexIfEEEEZZNS1_9scan_implILNS1_25lookback_scan_determinismE0ELb0ELb0ES3_PKS7_PS7_S7_ZZZN2at6native31launch_logcumsumexp_cuda_kernelERKNSE_10TensorBaseESI_lENKUlvE_clEvENKUlvE2_clEvEUlS7_S7_E_S7_EEDaPvRmT3_T4_T5_mT6_P12ihipStream_tbENKUlT_T0_E_clISt17integral_constantIbLb1EESZ_EEDaSU_SV_EUlSU_E0_NS1_11comp_targetILNS1_3genE10ELNS1_11target_archE1201ELNS1_3gpuE5ELNS1_3repE0EEENS1_30default_config_static_selectorELNS0_4arch9wavefront6targetE0EEEvT1_
		.amdhsa_group_segment_fixed_size 33792
		.amdhsa_private_segment_fixed_size 0
		.amdhsa_kernarg_size 40
		.amdhsa_user_sgpr_count 2
		.amdhsa_user_sgpr_dispatch_ptr 0
		.amdhsa_user_sgpr_queue_ptr 0
		.amdhsa_user_sgpr_kernarg_segment_ptr 1
		.amdhsa_user_sgpr_dispatch_id 0
		.amdhsa_user_sgpr_private_segment_size 0
		.amdhsa_wavefront_size32 1
		.amdhsa_uses_dynamic_stack 0
		.amdhsa_enable_private_segment 0
		.amdhsa_system_sgpr_workgroup_id_x 1
		.amdhsa_system_sgpr_workgroup_id_y 0
		.amdhsa_system_sgpr_workgroup_id_z 0
		.amdhsa_system_sgpr_workgroup_info 0
		.amdhsa_system_vgpr_workitem_id 0
		.amdhsa_next_free_vgpr 217
		.amdhsa_next_free_sgpr 33
		.amdhsa_reserve_vcc 1
		.amdhsa_float_round_mode_32 0
		.amdhsa_float_round_mode_16_64 0
		.amdhsa_float_denorm_mode_32 3
		.amdhsa_float_denorm_mode_16_64 3
		.amdhsa_fp16_overflow 0
		.amdhsa_workgroup_processor_mode 1
		.amdhsa_memory_ordered 1
		.amdhsa_forward_progress 1
		.amdhsa_inst_pref_size 35
		.amdhsa_round_robin_scheduling 0
		.amdhsa_exception_fp_ieee_invalid_op 0
		.amdhsa_exception_fp_denorm_src 0
		.amdhsa_exception_fp_ieee_div_zero 0
		.amdhsa_exception_fp_ieee_overflow 0
		.amdhsa_exception_fp_ieee_underflow 0
		.amdhsa_exception_fp_ieee_inexact 0
		.amdhsa_exception_int_div_zero 0
	.end_amdhsa_kernel
	.section	.text._ZN7rocprim17ROCPRIM_400000_NS6detail17trampoline_kernelINS0_14default_configENS1_20scan_config_selectorIN3c107complexIfEEEEZZNS1_9scan_implILNS1_25lookback_scan_determinismE0ELb0ELb0ES3_PKS7_PS7_S7_ZZZN2at6native31launch_logcumsumexp_cuda_kernelERKNSE_10TensorBaseESI_lENKUlvE_clEvENKUlvE2_clEvEUlS7_S7_E_S7_EEDaPvRmT3_T4_T5_mT6_P12ihipStream_tbENKUlT_T0_E_clISt17integral_constantIbLb1EESZ_EEDaSU_SV_EUlSU_E0_NS1_11comp_targetILNS1_3genE10ELNS1_11target_archE1201ELNS1_3gpuE5ELNS1_3repE0EEENS1_30default_config_static_selectorELNS0_4arch9wavefront6targetE0EEEvT1_,"axG",@progbits,_ZN7rocprim17ROCPRIM_400000_NS6detail17trampoline_kernelINS0_14default_configENS1_20scan_config_selectorIN3c107complexIfEEEEZZNS1_9scan_implILNS1_25lookback_scan_determinismE0ELb0ELb0ES3_PKS7_PS7_S7_ZZZN2at6native31launch_logcumsumexp_cuda_kernelERKNSE_10TensorBaseESI_lENKUlvE_clEvENKUlvE2_clEvEUlS7_S7_E_S7_EEDaPvRmT3_T4_T5_mT6_P12ihipStream_tbENKUlT_T0_E_clISt17integral_constantIbLb1EESZ_EEDaSU_SV_EUlSU_E0_NS1_11comp_targetILNS1_3genE10ELNS1_11target_archE1201ELNS1_3gpuE5ELNS1_3repE0EEENS1_30default_config_static_selectorELNS0_4arch9wavefront6targetE0EEEvT1_,comdat
.Lfunc_end305:
	.size	_ZN7rocprim17ROCPRIM_400000_NS6detail17trampoline_kernelINS0_14default_configENS1_20scan_config_selectorIN3c107complexIfEEEEZZNS1_9scan_implILNS1_25lookback_scan_determinismE0ELb0ELb0ES3_PKS7_PS7_S7_ZZZN2at6native31launch_logcumsumexp_cuda_kernelERKNSE_10TensorBaseESI_lENKUlvE_clEvENKUlvE2_clEvEUlS7_S7_E_S7_EEDaPvRmT3_T4_T5_mT6_P12ihipStream_tbENKUlT_T0_E_clISt17integral_constantIbLb1EESZ_EEDaSU_SV_EUlSU_E0_NS1_11comp_targetILNS1_3genE10ELNS1_11target_archE1201ELNS1_3gpuE5ELNS1_3repE0EEENS1_30default_config_static_selectorELNS0_4arch9wavefront6targetE0EEEvT1_, .Lfunc_end305-_ZN7rocprim17ROCPRIM_400000_NS6detail17trampoline_kernelINS0_14default_configENS1_20scan_config_selectorIN3c107complexIfEEEEZZNS1_9scan_implILNS1_25lookback_scan_determinismE0ELb0ELb0ES3_PKS7_PS7_S7_ZZZN2at6native31launch_logcumsumexp_cuda_kernelERKNSE_10TensorBaseESI_lENKUlvE_clEvENKUlvE2_clEvEUlS7_S7_E_S7_EEDaPvRmT3_T4_T5_mT6_P12ihipStream_tbENKUlT_T0_E_clISt17integral_constantIbLb1EESZ_EEDaSU_SV_EUlSU_E0_NS1_11comp_targetILNS1_3genE10ELNS1_11target_archE1201ELNS1_3gpuE5ELNS1_3repE0EEENS1_30default_config_static_selectorELNS0_4arch9wavefront6targetE0EEEvT1_
                                        ; -- End function
	.set _ZN7rocprim17ROCPRIM_400000_NS6detail17trampoline_kernelINS0_14default_configENS1_20scan_config_selectorIN3c107complexIfEEEEZZNS1_9scan_implILNS1_25lookback_scan_determinismE0ELb0ELb0ES3_PKS7_PS7_S7_ZZZN2at6native31launch_logcumsumexp_cuda_kernelERKNSE_10TensorBaseESI_lENKUlvE_clEvENKUlvE2_clEvEUlS7_S7_E_S7_EEDaPvRmT3_T4_T5_mT6_P12ihipStream_tbENKUlT_T0_E_clISt17integral_constantIbLb1EESZ_EEDaSU_SV_EUlSU_E0_NS1_11comp_targetILNS1_3genE10ELNS1_11target_archE1201ELNS1_3gpuE5ELNS1_3repE0EEENS1_30default_config_static_selectorELNS0_4arch9wavefront6targetE0EEEvT1_.num_vgpr, max(110, .L_ZZZZN2at6native31launch_logcumsumexp_cuda_kernelERKNS_10TensorBaseES3_lENKUlvE_clEvENKUlvE2_clEvENKUlN3c107complexIfEES8_E_clES8_S8_.num_vgpr)
	.set _ZN7rocprim17ROCPRIM_400000_NS6detail17trampoline_kernelINS0_14default_configENS1_20scan_config_selectorIN3c107complexIfEEEEZZNS1_9scan_implILNS1_25lookback_scan_determinismE0ELb0ELb0ES3_PKS7_PS7_S7_ZZZN2at6native31launch_logcumsumexp_cuda_kernelERKNSE_10TensorBaseESI_lENKUlvE_clEvENKUlvE2_clEvEUlS7_S7_E_S7_EEDaPvRmT3_T4_T5_mT6_P12ihipStream_tbENKUlT_T0_E_clISt17integral_constantIbLb1EESZ_EEDaSU_SV_EUlSU_E0_NS1_11comp_targetILNS1_3genE10ELNS1_11target_archE1201ELNS1_3gpuE5ELNS1_3repE0EEENS1_30default_config_static_selectorELNS0_4arch9wavefront6targetE0EEEvT1_.num_agpr, max(0, .L_ZZZZN2at6native31launch_logcumsumexp_cuda_kernelERKNS_10TensorBaseES3_lENKUlvE_clEvENKUlvE2_clEvENKUlN3c107complexIfEES8_E_clES8_S8_.num_agpr)
	.set _ZN7rocprim17ROCPRIM_400000_NS6detail17trampoline_kernelINS0_14default_configENS1_20scan_config_selectorIN3c107complexIfEEEEZZNS1_9scan_implILNS1_25lookback_scan_determinismE0ELb0ELb0ES3_PKS7_PS7_S7_ZZZN2at6native31launch_logcumsumexp_cuda_kernelERKNSE_10TensorBaseESI_lENKUlvE_clEvENKUlvE2_clEvEUlS7_S7_E_S7_EEDaPvRmT3_T4_T5_mT6_P12ihipStream_tbENKUlT_T0_E_clISt17integral_constantIbLb1EESZ_EEDaSU_SV_EUlSU_E0_NS1_11comp_targetILNS1_3genE10ELNS1_11target_archE1201ELNS1_3gpuE5ELNS1_3repE0EEENS1_30default_config_static_selectorELNS0_4arch9wavefront6targetE0EEEvT1_.numbered_sgpr, max(33, .L_ZZZZN2at6native31launch_logcumsumexp_cuda_kernelERKNS_10TensorBaseES3_lENKUlvE_clEvENKUlvE2_clEvENKUlN3c107complexIfEES8_E_clES8_S8_.numbered_sgpr)
	.set _ZN7rocprim17ROCPRIM_400000_NS6detail17trampoline_kernelINS0_14default_configENS1_20scan_config_selectorIN3c107complexIfEEEEZZNS1_9scan_implILNS1_25lookback_scan_determinismE0ELb0ELb0ES3_PKS7_PS7_S7_ZZZN2at6native31launch_logcumsumexp_cuda_kernelERKNSE_10TensorBaseESI_lENKUlvE_clEvENKUlvE2_clEvEUlS7_S7_E_S7_EEDaPvRmT3_T4_T5_mT6_P12ihipStream_tbENKUlT_T0_E_clISt17integral_constantIbLb1EESZ_EEDaSU_SV_EUlSU_E0_NS1_11comp_targetILNS1_3genE10ELNS1_11target_archE1201ELNS1_3gpuE5ELNS1_3repE0EEENS1_30default_config_static_selectorELNS0_4arch9wavefront6targetE0EEEvT1_.num_named_barrier, max(0, .L_ZZZZN2at6native31launch_logcumsumexp_cuda_kernelERKNS_10TensorBaseES3_lENKUlvE_clEvENKUlvE2_clEvENKUlN3c107complexIfEES8_E_clES8_S8_.num_named_barrier)
	.set _ZN7rocprim17ROCPRIM_400000_NS6detail17trampoline_kernelINS0_14default_configENS1_20scan_config_selectorIN3c107complexIfEEEEZZNS1_9scan_implILNS1_25lookback_scan_determinismE0ELb0ELb0ES3_PKS7_PS7_S7_ZZZN2at6native31launch_logcumsumexp_cuda_kernelERKNSE_10TensorBaseESI_lENKUlvE_clEvENKUlvE2_clEvEUlS7_S7_E_S7_EEDaPvRmT3_T4_T5_mT6_P12ihipStream_tbENKUlT_T0_E_clISt17integral_constantIbLb1EESZ_EEDaSU_SV_EUlSU_E0_NS1_11comp_targetILNS1_3genE10ELNS1_11target_archE1201ELNS1_3gpuE5ELNS1_3repE0EEENS1_30default_config_static_selectorELNS0_4arch9wavefront6targetE0EEEvT1_.private_seg_size, 0+max(.L_ZZZZN2at6native31launch_logcumsumexp_cuda_kernelERKNS_10TensorBaseES3_lENKUlvE_clEvENKUlvE2_clEvENKUlN3c107complexIfEES8_E_clES8_S8_.private_seg_size)
	.set _ZN7rocprim17ROCPRIM_400000_NS6detail17trampoline_kernelINS0_14default_configENS1_20scan_config_selectorIN3c107complexIfEEEEZZNS1_9scan_implILNS1_25lookback_scan_determinismE0ELb0ELb0ES3_PKS7_PS7_S7_ZZZN2at6native31launch_logcumsumexp_cuda_kernelERKNSE_10TensorBaseESI_lENKUlvE_clEvENKUlvE2_clEvEUlS7_S7_E_S7_EEDaPvRmT3_T4_T5_mT6_P12ihipStream_tbENKUlT_T0_E_clISt17integral_constantIbLb1EESZ_EEDaSU_SV_EUlSU_E0_NS1_11comp_targetILNS1_3genE10ELNS1_11target_archE1201ELNS1_3gpuE5ELNS1_3repE0EEENS1_30default_config_static_selectorELNS0_4arch9wavefront6targetE0EEEvT1_.uses_vcc, or(1, .L_ZZZZN2at6native31launch_logcumsumexp_cuda_kernelERKNS_10TensorBaseES3_lENKUlvE_clEvENKUlvE2_clEvENKUlN3c107complexIfEES8_E_clES8_S8_.uses_vcc)
	.set _ZN7rocprim17ROCPRIM_400000_NS6detail17trampoline_kernelINS0_14default_configENS1_20scan_config_selectorIN3c107complexIfEEEEZZNS1_9scan_implILNS1_25lookback_scan_determinismE0ELb0ELb0ES3_PKS7_PS7_S7_ZZZN2at6native31launch_logcumsumexp_cuda_kernelERKNSE_10TensorBaseESI_lENKUlvE_clEvENKUlvE2_clEvEUlS7_S7_E_S7_EEDaPvRmT3_T4_T5_mT6_P12ihipStream_tbENKUlT_T0_E_clISt17integral_constantIbLb1EESZ_EEDaSU_SV_EUlSU_E0_NS1_11comp_targetILNS1_3genE10ELNS1_11target_archE1201ELNS1_3gpuE5ELNS1_3repE0EEENS1_30default_config_static_selectorELNS0_4arch9wavefront6targetE0EEEvT1_.uses_flat_scratch, or(0, .L_ZZZZN2at6native31launch_logcumsumexp_cuda_kernelERKNS_10TensorBaseES3_lENKUlvE_clEvENKUlvE2_clEvENKUlN3c107complexIfEES8_E_clES8_S8_.uses_flat_scratch)
	.set _ZN7rocprim17ROCPRIM_400000_NS6detail17trampoline_kernelINS0_14default_configENS1_20scan_config_selectorIN3c107complexIfEEEEZZNS1_9scan_implILNS1_25lookback_scan_determinismE0ELb0ELb0ES3_PKS7_PS7_S7_ZZZN2at6native31launch_logcumsumexp_cuda_kernelERKNSE_10TensorBaseESI_lENKUlvE_clEvENKUlvE2_clEvEUlS7_S7_E_S7_EEDaPvRmT3_T4_T5_mT6_P12ihipStream_tbENKUlT_T0_E_clISt17integral_constantIbLb1EESZ_EEDaSU_SV_EUlSU_E0_NS1_11comp_targetILNS1_3genE10ELNS1_11target_archE1201ELNS1_3gpuE5ELNS1_3repE0EEENS1_30default_config_static_selectorELNS0_4arch9wavefront6targetE0EEEvT1_.has_dyn_sized_stack, or(0, .L_ZZZZN2at6native31launch_logcumsumexp_cuda_kernelERKNS_10TensorBaseES3_lENKUlvE_clEvENKUlvE2_clEvENKUlN3c107complexIfEES8_E_clES8_S8_.has_dyn_sized_stack)
	.set _ZN7rocprim17ROCPRIM_400000_NS6detail17trampoline_kernelINS0_14default_configENS1_20scan_config_selectorIN3c107complexIfEEEEZZNS1_9scan_implILNS1_25lookback_scan_determinismE0ELb0ELb0ES3_PKS7_PS7_S7_ZZZN2at6native31launch_logcumsumexp_cuda_kernelERKNSE_10TensorBaseESI_lENKUlvE_clEvENKUlvE2_clEvEUlS7_S7_E_S7_EEDaPvRmT3_T4_T5_mT6_P12ihipStream_tbENKUlT_T0_E_clISt17integral_constantIbLb1EESZ_EEDaSU_SV_EUlSU_E0_NS1_11comp_targetILNS1_3genE10ELNS1_11target_archE1201ELNS1_3gpuE5ELNS1_3repE0EEENS1_30default_config_static_selectorELNS0_4arch9wavefront6targetE0EEEvT1_.has_recursion, or(0, .L_ZZZZN2at6native31launch_logcumsumexp_cuda_kernelERKNS_10TensorBaseES3_lENKUlvE_clEvENKUlvE2_clEvENKUlN3c107complexIfEES8_E_clES8_S8_.has_recursion)
	.set _ZN7rocprim17ROCPRIM_400000_NS6detail17trampoline_kernelINS0_14default_configENS1_20scan_config_selectorIN3c107complexIfEEEEZZNS1_9scan_implILNS1_25lookback_scan_determinismE0ELb0ELb0ES3_PKS7_PS7_S7_ZZZN2at6native31launch_logcumsumexp_cuda_kernelERKNSE_10TensorBaseESI_lENKUlvE_clEvENKUlvE2_clEvEUlS7_S7_E_S7_EEDaPvRmT3_T4_T5_mT6_P12ihipStream_tbENKUlT_T0_E_clISt17integral_constantIbLb1EESZ_EEDaSU_SV_EUlSU_E0_NS1_11comp_targetILNS1_3genE10ELNS1_11target_archE1201ELNS1_3gpuE5ELNS1_3repE0EEENS1_30default_config_static_selectorELNS0_4arch9wavefront6targetE0EEEvT1_.has_indirect_call, or(0, .L_ZZZZN2at6native31launch_logcumsumexp_cuda_kernelERKNS_10TensorBaseES3_lENKUlvE_clEvENKUlvE2_clEvENKUlN3c107complexIfEES8_E_clES8_S8_.has_indirect_call)
	.section	.AMDGPU.csdata,"",@progbits
; Kernel info:
; codeLenInByte = 4360
; TotalNumSgprs: 35
; NumVgprs: 110
; ScratchSize: 0
; MemoryBound: 0
; FloatMode: 240
; IeeeMode: 1
; LDSByteSize: 33792 bytes/workgroup (compile time only)
; SGPRBlocks: 0
; VGPRBlocks: 27
; NumSGPRsForWavesPerEU: 35
; NumVGPRsForWavesPerEU: 217
; Occupancy: 6
; WaveLimiterHint : 0
; COMPUTE_PGM_RSRC2:SCRATCH_EN: 0
; COMPUTE_PGM_RSRC2:USER_SGPR: 2
; COMPUTE_PGM_RSRC2:TRAP_HANDLER: 0
; COMPUTE_PGM_RSRC2:TGID_X_EN: 1
; COMPUTE_PGM_RSRC2:TGID_Y_EN: 0
; COMPUTE_PGM_RSRC2:TGID_Z_EN: 0
; COMPUTE_PGM_RSRC2:TIDIG_COMP_CNT: 0
	.section	.text._ZN7rocprim17ROCPRIM_400000_NS6detail17trampoline_kernelINS0_14default_configENS1_20scan_config_selectorIN3c107complexIfEEEEZZNS1_9scan_implILNS1_25lookback_scan_determinismE0ELb0ELb0ES3_PKS7_PS7_S7_ZZZN2at6native31launch_logcumsumexp_cuda_kernelERKNSE_10TensorBaseESI_lENKUlvE_clEvENKUlvE2_clEvEUlS7_S7_E_S7_EEDaPvRmT3_T4_T5_mT6_P12ihipStream_tbENKUlT_T0_E_clISt17integral_constantIbLb1EESZ_EEDaSU_SV_EUlSU_E0_NS1_11comp_targetILNS1_3genE10ELNS1_11target_archE1200ELNS1_3gpuE4ELNS1_3repE0EEENS1_30default_config_static_selectorELNS0_4arch9wavefront6targetE0EEEvT1_,"axG",@progbits,_ZN7rocprim17ROCPRIM_400000_NS6detail17trampoline_kernelINS0_14default_configENS1_20scan_config_selectorIN3c107complexIfEEEEZZNS1_9scan_implILNS1_25lookback_scan_determinismE0ELb0ELb0ES3_PKS7_PS7_S7_ZZZN2at6native31launch_logcumsumexp_cuda_kernelERKNSE_10TensorBaseESI_lENKUlvE_clEvENKUlvE2_clEvEUlS7_S7_E_S7_EEDaPvRmT3_T4_T5_mT6_P12ihipStream_tbENKUlT_T0_E_clISt17integral_constantIbLb1EESZ_EEDaSU_SV_EUlSU_E0_NS1_11comp_targetILNS1_3genE10ELNS1_11target_archE1200ELNS1_3gpuE4ELNS1_3repE0EEENS1_30default_config_static_selectorELNS0_4arch9wavefront6targetE0EEEvT1_,comdat
	.globl	_ZN7rocprim17ROCPRIM_400000_NS6detail17trampoline_kernelINS0_14default_configENS1_20scan_config_selectorIN3c107complexIfEEEEZZNS1_9scan_implILNS1_25lookback_scan_determinismE0ELb0ELb0ES3_PKS7_PS7_S7_ZZZN2at6native31launch_logcumsumexp_cuda_kernelERKNSE_10TensorBaseESI_lENKUlvE_clEvENKUlvE2_clEvEUlS7_S7_E_S7_EEDaPvRmT3_T4_T5_mT6_P12ihipStream_tbENKUlT_T0_E_clISt17integral_constantIbLb1EESZ_EEDaSU_SV_EUlSU_E0_NS1_11comp_targetILNS1_3genE10ELNS1_11target_archE1200ELNS1_3gpuE4ELNS1_3repE0EEENS1_30default_config_static_selectorELNS0_4arch9wavefront6targetE0EEEvT1_ ; -- Begin function _ZN7rocprim17ROCPRIM_400000_NS6detail17trampoline_kernelINS0_14default_configENS1_20scan_config_selectorIN3c107complexIfEEEEZZNS1_9scan_implILNS1_25lookback_scan_determinismE0ELb0ELb0ES3_PKS7_PS7_S7_ZZZN2at6native31launch_logcumsumexp_cuda_kernelERKNSE_10TensorBaseESI_lENKUlvE_clEvENKUlvE2_clEvEUlS7_S7_E_S7_EEDaPvRmT3_T4_T5_mT6_P12ihipStream_tbENKUlT_T0_E_clISt17integral_constantIbLb1EESZ_EEDaSU_SV_EUlSU_E0_NS1_11comp_targetILNS1_3genE10ELNS1_11target_archE1200ELNS1_3gpuE4ELNS1_3repE0EEENS1_30default_config_static_selectorELNS0_4arch9wavefront6targetE0EEEvT1_
	.p2align	8
	.type	_ZN7rocprim17ROCPRIM_400000_NS6detail17trampoline_kernelINS0_14default_configENS1_20scan_config_selectorIN3c107complexIfEEEEZZNS1_9scan_implILNS1_25lookback_scan_determinismE0ELb0ELb0ES3_PKS7_PS7_S7_ZZZN2at6native31launch_logcumsumexp_cuda_kernelERKNSE_10TensorBaseESI_lENKUlvE_clEvENKUlvE2_clEvEUlS7_S7_E_S7_EEDaPvRmT3_T4_T5_mT6_P12ihipStream_tbENKUlT_T0_E_clISt17integral_constantIbLb1EESZ_EEDaSU_SV_EUlSU_E0_NS1_11comp_targetILNS1_3genE10ELNS1_11target_archE1200ELNS1_3gpuE4ELNS1_3repE0EEENS1_30default_config_static_selectorELNS0_4arch9wavefront6targetE0EEEvT1_,@function
_ZN7rocprim17ROCPRIM_400000_NS6detail17trampoline_kernelINS0_14default_configENS1_20scan_config_selectorIN3c107complexIfEEEEZZNS1_9scan_implILNS1_25lookback_scan_determinismE0ELb0ELb0ES3_PKS7_PS7_S7_ZZZN2at6native31launch_logcumsumexp_cuda_kernelERKNSE_10TensorBaseESI_lENKUlvE_clEvENKUlvE2_clEvEUlS7_S7_E_S7_EEDaPvRmT3_T4_T5_mT6_P12ihipStream_tbENKUlT_T0_E_clISt17integral_constantIbLb1EESZ_EEDaSU_SV_EUlSU_E0_NS1_11comp_targetILNS1_3genE10ELNS1_11target_archE1200ELNS1_3gpuE4ELNS1_3repE0EEENS1_30default_config_static_selectorELNS0_4arch9wavefront6targetE0EEEvT1_: ; @_ZN7rocprim17ROCPRIM_400000_NS6detail17trampoline_kernelINS0_14default_configENS1_20scan_config_selectorIN3c107complexIfEEEEZZNS1_9scan_implILNS1_25lookback_scan_determinismE0ELb0ELb0ES3_PKS7_PS7_S7_ZZZN2at6native31launch_logcumsumexp_cuda_kernelERKNSE_10TensorBaseESI_lENKUlvE_clEvENKUlvE2_clEvEUlS7_S7_E_S7_EEDaPvRmT3_T4_T5_mT6_P12ihipStream_tbENKUlT_T0_E_clISt17integral_constantIbLb1EESZ_EEDaSU_SV_EUlSU_E0_NS1_11comp_targetILNS1_3genE10ELNS1_11target_archE1200ELNS1_3gpuE4ELNS1_3repE0EEENS1_30default_config_static_selectorELNS0_4arch9wavefront6targetE0EEEvT1_
; %bb.0:
	.section	.rodata,"a",@progbits
	.p2align	6, 0x0
	.amdhsa_kernel _ZN7rocprim17ROCPRIM_400000_NS6detail17trampoline_kernelINS0_14default_configENS1_20scan_config_selectorIN3c107complexIfEEEEZZNS1_9scan_implILNS1_25lookback_scan_determinismE0ELb0ELb0ES3_PKS7_PS7_S7_ZZZN2at6native31launch_logcumsumexp_cuda_kernelERKNSE_10TensorBaseESI_lENKUlvE_clEvENKUlvE2_clEvEUlS7_S7_E_S7_EEDaPvRmT3_T4_T5_mT6_P12ihipStream_tbENKUlT_T0_E_clISt17integral_constantIbLb1EESZ_EEDaSU_SV_EUlSU_E0_NS1_11comp_targetILNS1_3genE10ELNS1_11target_archE1200ELNS1_3gpuE4ELNS1_3repE0EEENS1_30default_config_static_selectorELNS0_4arch9wavefront6targetE0EEEvT1_
		.amdhsa_group_segment_fixed_size 0
		.amdhsa_private_segment_fixed_size 0
		.amdhsa_kernarg_size 40
		.amdhsa_user_sgpr_count 2
		.amdhsa_user_sgpr_dispatch_ptr 0
		.amdhsa_user_sgpr_queue_ptr 0
		.amdhsa_user_sgpr_kernarg_segment_ptr 1
		.amdhsa_user_sgpr_dispatch_id 0
		.amdhsa_user_sgpr_private_segment_size 0
		.amdhsa_wavefront_size32 1
		.amdhsa_uses_dynamic_stack 0
		.amdhsa_enable_private_segment 0
		.amdhsa_system_sgpr_workgroup_id_x 1
		.amdhsa_system_sgpr_workgroup_id_y 0
		.amdhsa_system_sgpr_workgroup_id_z 0
		.amdhsa_system_sgpr_workgroup_info 0
		.amdhsa_system_vgpr_workitem_id 0
		.amdhsa_next_free_vgpr 1
		.amdhsa_next_free_sgpr 1
		.amdhsa_reserve_vcc 0
		.amdhsa_float_round_mode_32 0
		.amdhsa_float_round_mode_16_64 0
		.amdhsa_float_denorm_mode_32 3
		.amdhsa_float_denorm_mode_16_64 3
		.amdhsa_fp16_overflow 0
		.amdhsa_workgroup_processor_mode 1
		.amdhsa_memory_ordered 1
		.amdhsa_forward_progress 1
		.amdhsa_inst_pref_size 0
		.amdhsa_round_robin_scheduling 0
		.amdhsa_exception_fp_ieee_invalid_op 0
		.amdhsa_exception_fp_denorm_src 0
		.amdhsa_exception_fp_ieee_div_zero 0
		.amdhsa_exception_fp_ieee_overflow 0
		.amdhsa_exception_fp_ieee_underflow 0
		.amdhsa_exception_fp_ieee_inexact 0
		.amdhsa_exception_int_div_zero 0
	.end_amdhsa_kernel
	.section	.text._ZN7rocprim17ROCPRIM_400000_NS6detail17trampoline_kernelINS0_14default_configENS1_20scan_config_selectorIN3c107complexIfEEEEZZNS1_9scan_implILNS1_25lookback_scan_determinismE0ELb0ELb0ES3_PKS7_PS7_S7_ZZZN2at6native31launch_logcumsumexp_cuda_kernelERKNSE_10TensorBaseESI_lENKUlvE_clEvENKUlvE2_clEvEUlS7_S7_E_S7_EEDaPvRmT3_T4_T5_mT6_P12ihipStream_tbENKUlT_T0_E_clISt17integral_constantIbLb1EESZ_EEDaSU_SV_EUlSU_E0_NS1_11comp_targetILNS1_3genE10ELNS1_11target_archE1200ELNS1_3gpuE4ELNS1_3repE0EEENS1_30default_config_static_selectorELNS0_4arch9wavefront6targetE0EEEvT1_,"axG",@progbits,_ZN7rocprim17ROCPRIM_400000_NS6detail17trampoline_kernelINS0_14default_configENS1_20scan_config_selectorIN3c107complexIfEEEEZZNS1_9scan_implILNS1_25lookback_scan_determinismE0ELb0ELb0ES3_PKS7_PS7_S7_ZZZN2at6native31launch_logcumsumexp_cuda_kernelERKNSE_10TensorBaseESI_lENKUlvE_clEvENKUlvE2_clEvEUlS7_S7_E_S7_EEDaPvRmT3_T4_T5_mT6_P12ihipStream_tbENKUlT_T0_E_clISt17integral_constantIbLb1EESZ_EEDaSU_SV_EUlSU_E0_NS1_11comp_targetILNS1_3genE10ELNS1_11target_archE1200ELNS1_3gpuE4ELNS1_3repE0EEENS1_30default_config_static_selectorELNS0_4arch9wavefront6targetE0EEEvT1_,comdat
.Lfunc_end306:
	.size	_ZN7rocprim17ROCPRIM_400000_NS6detail17trampoline_kernelINS0_14default_configENS1_20scan_config_selectorIN3c107complexIfEEEEZZNS1_9scan_implILNS1_25lookback_scan_determinismE0ELb0ELb0ES3_PKS7_PS7_S7_ZZZN2at6native31launch_logcumsumexp_cuda_kernelERKNSE_10TensorBaseESI_lENKUlvE_clEvENKUlvE2_clEvEUlS7_S7_E_S7_EEDaPvRmT3_T4_T5_mT6_P12ihipStream_tbENKUlT_T0_E_clISt17integral_constantIbLb1EESZ_EEDaSU_SV_EUlSU_E0_NS1_11comp_targetILNS1_3genE10ELNS1_11target_archE1200ELNS1_3gpuE4ELNS1_3repE0EEENS1_30default_config_static_selectorELNS0_4arch9wavefront6targetE0EEEvT1_, .Lfunc_end306-_ZN7rocprim17ROCPRIM_400000_NS6detail17trampoline_kernelINS0_14default_configENS1_20scan_config_selectorIN3c107complexIfEEEEZZNS1_9scan_implILNS1_25lookback_scan_determinismE0ELb0ELb0ES3_PKS7_PS7_S7_ZZZN2at6native31launch_logcumsumexp_cuda_kernelERKNSE_10TensorBaseESI_lENKUlvE_clEvENKUlvE2_clEvEUlS7_S7_E_S7_EEDaPvRmT3_T4_T5_mT6_P12ihipStream_tbENKUlT_T0_E_clISt17integral_constantIbLb1EESZ_EEDaSU_SV_EUlSU_E0_NS1_11comp_targetILNS1_3genE10ELNS1_11target_archE1200ELNS1_3gpuE4ELNS1_3repE0EEENS1_30default_config_static_selectorELNS0_4arch9wavefront6targetE0EEEvT1_
                                        ; -- End function
	.set _ZN7rocprim17ROCPRIM_400000_NS6detail17trampoline_kernelINS0_14default_configENS1_20scan_config_selectorIN3c107complexIfEEEEZZNS1_9scan_implILNS1_25lookback_scan_determinismE0ELb0ELb0ES3_PKS7_PS7_S7_ZZZN2at6native31launch_logcumsumexp_cuda_kernelERKNSE_10TensorBaseESI_lENKUlvE_clEvENKUlvE2_clEvEUlS7_S7_E_S7_EEDaPvRmT3_T4_T5_mT6_P12ihipStream_tbENKUlT_T0_E_clISt17integral_constantIbLb1EESZ_EEDaSU_SV_EUlSU_E0_NS1_11comp_targetILNS1_3genE10ELNS1_11target_archE1200ELNS1_3gpuE4ELNS1_3repE0EEENS1_30default_config_static_selectorELNS0_4arch9wavefront6targetE0EEEvT1_.num_vgpr, 0
	.set _ZN7rocprim17ROCPRIM_400000_NS6detail17trampoline_kernelINS0_14default_configENS1_20scan_config_selectorIN3c107complexIfEEEEZZNS1_9scan_implILNS1_25lookback_scan_determinismE0ELb0ELb0ES3_PKS7_PS7_S7_ZZZN2at6native31launch_logcumsumexp_cuda_kernelERKNSE_10TensorBaseESI_lENKUlvE_clEvENKUlvE2_clEvEUlS7_S7_E_S7_EEDaPvRmT3_T4_T5_mT6_P12ihipStream_tbENKUlT_T0_E_clISt17integral_constantIbLb1EESZ_EEDaSU_SV_EUlSU_E0_NS1_11comp_targetILNS1_3genE10ELNS1_11target_archE1200ELNS1_3gpuE4ELNS1_3repE0EEENS1_30default_config_static_selectorELNS0_4arch9wavefront6targetE0EEEvT1_.num_agpr, 0
	.set _ZN7rocprim17ROCPRIM_400000_NS6detail17trampoline_kernelINS0_14default_configENS1_20scan_config_selectorIN3c107complexIfEEEEZZNS1_9scan_implILNS1_25lookback_scan_determinismE0ELb0ELb0ES3_PKS7_PS7_S7_ZZZN2at6native31launch_logcumsumexp_cuda_kernelERKNSE_10TensorBaseESI_lENKUlvE_clEvENKUlvE2_clEvEUlS7_S7_E_S7_EEDaPvRmT3_T4_T5_mT6_P12ihipStream_tbENKUlT_T0_E_clISt17integral_constantIbLb1EESZ_EEDaSU_SV_EUlSU_E0_NS1_11comp_targetILNS1_3genE10ELNS1_11target_archE1200ELNS1_3gpuE4ELNS1_3repE0EEENS1_30default_config_static_selectorELNS0_4arch9wavefront6targetE0EEEvT1_.numbered_sgpr, 0
	.set _ZN7rocprim17ROCPRIM_400000_NS6detail17trampoline_kernelINS0_14default_configENS1_20scan_config_selectorIN3c107complexIfEEEEZZNS1_9scan_implILNS1_25lookback_scan_determinismE0ELb0ELb0ES3_PKS7_PS7_S7_ZZZN2at6native31launch_logcumsumexp_cuda_kernelERKNSE_10TensorBaseESI_lENKUlvE_clEvENKUlvE2_clEvEUlS7_S7_E_S7_EEDaPvRmT3_T4_T5_mT6_P12ihipStream_tbENKUlT_T0_E_clISt17integral_constantIbLb1EESZ_EEDaSU_SV_EUlSU_E0_NS1_11comp_targetILNS1_3genE10ELNS1_11target_archE1200ELNS1_3gpuE4ELNS1_3repE0EEENS1_30default_config_static_selectorELNS0_4arch9wavefront6targetE0EEEvT1_.num_named_barrier, 0
	.set _ZN7rocprim17ROCPRIM_400000_NS6detail17trampoline_kernelINS0_14default_configENS1_20scan_config_selectorIN3c107complexIfEEEEZZNS1_9scan_implILNS1_25lookback_scan_determinismE0ELb0ELb0ES3_PKS7_PS7_S7_ZZZN2at6native31launch_logcumsumexp_cuda_kernelERKNSE_10TensorBaseESI_lENKUlvE_clEvENKUlvE2_clEvEUlS7_S7_E_S7_EEDaPvRmT3_T4_T5_mT6_P12ihipStream_tbENKUlT_T0_E_clISt17integral_constantIbLb1EESZ_EEDaSU_SV_EUlSU_E0_NS1_11comp_targetILNS1_3genE10ELNS1_11target_archE1200ELNS1_3gpuE4ELNS1_3repE0EEENS1_30default_config_static_selectorELNS0_4arch9wavefront6targetE0EEEvT1_.private_seg_size, 0
	.set _ZN7rocprim17ROCPRIM_400000_NS6detail17trampoline_kernelINS0_14default_configENS1_20scan_config_selectorIN3c107complexIfEEEEZZNS1_9scan_implILNS1_25lookback_scan_determinismE0ELb0ELb0ES3_PKS7_PS7_S7_ZZZN2at6native31launch_logcumsumexp_cuda_kernelERKNSE_10TensorBaseESI_lENKUlvE_clEvENKUlvE2_clEvEUlS7_S7_E_S7_EEDaPvRmT3_T4_T5_mT6_P12ihipStream_tbENKUlT_T0_E_clISt17integral_constantIbLb1EESZ_EEDaSU_SV_EUlSU_E0_NS1_11comp_targetILNS1_3genE10ELNS1_11target_archE1200ELNS1_3gpuE4ELNS1_3repE0EEENS1_30default_config_static_selectorELNS0_4arch9wavefront6targetE0EEEvT1_.uses_vcc, 0
	.set _ZN7rocprim17ROCPRIM_400000_NS6detail17trampoline_kernelINS0_14default_configENS1_20scan_config_selectorIN3c107complexIfEEEEZZNS1_9scan_implILNS1_25lookback_scan_determinismE0ELb0ELb0ES3_PKS7_PS7_S7_ZZZN2at6native31launch_logcumsumexp_cuda_kernelERKNSE_10TensorBaseESI_lENKUlvE_clEvENKUlvE2_clEvEUlS7_S7_E_S7_EEDaPvRmT3_T4_T5_mT6_P12ihipStream_tbENKUlT_T0_E_clISt17integral_constantIbLb1EESZ_EEDaSU_SV_EUlSU_E0_NS1_11comp_targetILNS1_3genE10ELNS1_11target_archE1200ELNS1_3gpuE4ELNS1_3repE0EEENS1_30default_config_static_selectorELNS0_4arch9wavefront6targetE0EEEvT1_.uses_flat_scratch, 0
	.set _ZN7rocprim17ROCPRIM_400000_NS6detail17trampoline_kernelINS0_14default_configENS1_20scan_config_selectorIN3c107complexIfEEEEZZNS1_9scan_implILNS1_25lookback_scan_determinismE0ELb0ELb0ES3_PKS7_PS7_S7_ZZZN2at6native31launch_logcumsumexp_cuda_kernelERKNSE_10TensorBaseESI_lENKUlvE_clEvENKUlvE2_clEvEUlS7_S7_E_S7_EEDaPvRmT3_T4_T5_mT6_P12ihipStream_tbENKUlT_T0_E_clISt17integral_constantIbLb1EESZ_EEDaSU_SV_EUlSU_E0_NS1_11comp_targetILNS1_3genE10ELNS1_11target_archE1200ELNS1_3gpuE4ELNS1_3repE0EEENS1_30default_config_static_selectorELNS0_4arch9wavefront6targetE0EEEvT1_.has_dyn_sized_stack, 0
	.set _ZN7rocprim17ROCPRIM_400000_NS6detail17trampoline_kernelINS0_14default_configENS1_20scan_config_selectorIN3c107complexIfEEEEZZNS1_9scan_implILNS1_25lookback_scan_determinismE0ELb0ELb0ES3_PKS7_PS7_S7_ZZZN2at6native31launch_logcumsumexp_cuda_kernelERKNSE_10TensorBaseESI_lENKUlvE_clEvENKUlvE2_clEvEUlS7_S7_E_S7_EEDaPvRmT3_T4_T5_mT6_P12ihipStream_tbENKUlT_T0_E_clISt17integral_constantIbLb1EESZ_EEDaSU_SV_EUlSU_E0_NS1_11comp_targetILNS1_3genE10ELNS1_11target_archE1200ELNS1_3gpuE4ELNS1_3repE0EEENS1_30default_config_static_selectorELNS0_4arch9wavefront6targetE0EEEvT1_.has_recursion, 0
	.set _ZN7rocprim17ROCPRIM_400000_NS6detail17trampoline_kernelINS0_14default_configENS1_20scan_config_selectorIN3c107complexIfEEEEZZNS1_9scan_implILNS1_25lookback_scan_determinismE0ELb0ELb0ES3_PKS7_PS7_S7_ZZZN2at6native31launch_logcumsumexp_cuda_kernelERKNSE_10TensorBaseESI_lENKUlvE_clEvENKUlvE2_clEvEUlS7_S7_E_S7_EEDaPvRmT3_T4_T5_mT6_P12ihipStream_tbENKUlT_T0_E_clISt17integral_constantIbLb1EESZ_EEDaSU_SV_EUlSU_E0_NS1_11comp_targetILNS1_3genE10ELNS1_11target_archE1200ELNS1_3gpuE4ELNS1_3repE0EEENS1_30default_config_static_selectorELNS0_4arch9wavefront6targetE0EEEvT1_.has_indirect_call, 0
	.section	.AMDGPU.csdata,"",@progbits
; Kernel info:
; codeLenInByte = 0
; TotalNumSgprs: 0
; NumVgprs: 0
; ScratchSize: 0
; MemoryBound: 0
; FloatMode: 240
; IeeeMode: 1
; LDSByteSize: 0 bytes/workgroup (compile time only)
; SGPRBlocks: 0
; VGPRBlocks: 0
; NumSGPRsForWavesPerEU: 1
; NumVGPRsForWavesPerEU: 1
; Occupancy: 16
; WaveLimiterHint : 0
; COMPUTE_PGM_RSRC2:SCRATCH_EN: 0
; COMPUTE_PGM_RSRC2:USER_SGPR: 2
; COMPUTE_PGM_RSRC2:TRAP_HANDLER: 0
; COMPUTE_PGM_RSRC2:TGID_X_EN: 1
; COMPUTE_PGM_RSRC2:TGID_Y_EN: 0
; COMPUTE_PGM_RSRC2:TGID_Z_EN: 0
; COMPUTE_PGM_RSRC2:TIDIG_COMP_CNT: 0
	.section	.text._ZN7rocprim17ROCPRIM_400000_NS6detail17trampoline_kernelINS0_14default_configENS1_20scan_config_selectorIN3c107complexIfEEEEZZNS1_9scan_implILNS1_25lookback_scan_determinismE0ELb0ELb0ES3_PKS7_PS7_S7_ZZZN2at6native31launch_logcumsumexp_cuda_kernelERKNSE_10TensorBaseESI_lENKUlvE_clEvENKUlvE2_clEvEUlS7_S7_E_S7_EEDaPvRmT3_T4_T5_mT6_P12ihipStream_tbENKUlT_T0_E_clISt17integral_constantIbLb1EESZ_EEDaSU_SV_EUlSU_E0_NS1_11comp_targetILNS1_3genE9ELNS1_11target_archE1100ELNS1_3gpuE3ELNS1_3repE0EEENS1_30default_config_static_selectorELNS0_4arch9wavefront6targetE0EEEvT1_,"axG",@progbits,_ZN7rocprim17ROCPRIM_400000_NS6detail17trampoline_kernelINS0_14default_configENS1_20scan_config_selectorIN3c107complexIfEEEEZZNS1_9scan_implILNS1_25lookback_scan_determinismE0ELb0ELb0ES3_PKS7_PS7_S7_ZZZN2at6native31launch_logcumsumexp_cuda_kernelERKNSE_10TensorBaseESI_lENKUlvE_clEvENKUlvE2_clEvEUlS7_S7_E_S7_EEDaPvRmT3_T4_T5_mT6_P12ihipStream_tbENKUlT_T0_E_clISt17integral_constantIbLb1EESZ_EEDaSU_SV_EUlSU_E0_NS1_11comp_targetILNS1_3genE9ELNS1_11target_archE1100ELNS1_3gpuE3ELNS1_3repE0EEENS1_30default_config_static_selectorELNS0_4arch9wavefront6targetE0EEEvT1_,comdat
	.globl	_ZN7rocprim17ROCPRIM_400000_NS6detail17trampoline_kernelINS0_14default_configENS1_20scan_config_selectorIN3c107complexIfEEEEZZNS1_9scan_implILNS1_25lookback_scan_determinismE0ELb0ELb0ES3_PKS7_PS7_S7_ZZZN2at6native31launch_logcumsumexp_cuda_kernelERKNSE_10TensorBaseESI_lENKUlvE_clEvENKUlvE2_clEvEUlS7_S7_E_S7_EEDaPvRmT3_T4_T5_mT6_P12ihipStream_tbENKUlT_T0_E_clISt17integral_constantIbLb1EESZ_EEDaSU_SV_EUlSU_E0_NS1_11comp_targetILNS1_3genE9ELNS1_11target_archE1100ELNS1_3gpuE3ELNS1_3repE0EEENS1_30default_config_static_selectorELNS0_4arch9wavefront6targetE0EEEvT1_ ; -- Begin function _ZN7rocprim17ROCPRIM_400000_NS6detail17trampoline_kernelINS0_14default_configENS1_20scan_config_selectorIN3c107complexIfEEEEZZNS1_9scan_implILNS1_25lookback_scan_determinismE0ELb0ELb0ES3_PKS7_PS7_S7_ZZZN2at6native31launch_logcumsumexp_cuda_kernelERKNSE_10TensorBaseESI_lENKUlvE_clEvENKUlvE2_clEvEUlS7_S7_E_S7_EEDaPvRmT3_T4_T5_mT6_P12ihipStream_tbENKUlT_T0_E_clISt17integral_constantIbLb1EESZ_EEDaSU_SV_EUlSU_E0_NS1_11comp_targetILNS1_3genE9ELNS1_11target_archE1100ELNS1_3gpuE3ELNS1_3repE0EEENS1_30default_config_static_selectorELNS0_4arch9wavefront6targetE0EEEvT1_
	.p2align	8
	.type	_ZN7rocprim17ROCPRIM_400000_NS6detail17trampoline_kernelINS0_14default_configENS1_20scan_config_selectorIN3c107complexIfEEEEZZNS1_9scan_implILNS1_25lookback_scan_determinismE0ELb0ELb0ES3_PKS7_PS7_S7_ZZZN2at6native31launch_logcumsumexp_cuda_kernelERKNSE_10TensorBaseESI_lENKUlvE_clEvENKUlvE2_clEvEUlS7_S7_E_S7_EEDaPvRmT3_T4_T5_mT6_P12ihipStream_tbENKUlT_T0_E_clISt17integral_constantIbLb1EESZ_EEDaSU_SV_EUlSU_E0_NS1_11comp_targetILNS1_3genE9ELNS1_11target_archE1100ELNS1_3gpuE3ELNS1_3repE0EEENS1_30default_config_static_selectorELNS0_4arch9wavefront6targetE0EEEvT1_,@function
_ZN7rocprim17ROCPRIM_400000_NS6detail17trampoline_kernelINS0_14default_configENS1_20scan_config_selectorIN3c107complexIfEEEEZZNS1_9scan_implILNS1_25lookback_scan_determinismE0ELb0ELb0ES3_PKS7_PS7_S7_ZZZN2at6native31launch_logcumsumexp_cuda_kernelERKNSE_10TensorBaseESI_lENKUlvE_clEvENKUlvE2_clEvEUlS7_S7_E_S7_EEDaPvRmT3_T4_T5_mT6_P12ihipStream_tbENKUlT_T0_E_clISt17integral_constantIbLb1EESZ_EEDaSU_SV_EUlSU_E0_NS1_11comp_targetILNS1_3genE9ELNS1_11target_archE1100ELNS1_3gpuE3ELNS1_3repE0EEENS1_30default_config_static_selectorELNS0_4arch9wavefront6targetE0EEEvT1_: ; @_ZN7rocprim17ROCPRIM_400000_NS6detail17trampoline_kernelINS0_14default_configENS1_20scan_config_selectorIN3c107complexIfEEEEZZNS1_9scan_implILNS1_25lookback_scan_determinismE0ELb0ELb0ES3_PKS7_PS7_S7_ZZZN2at6native31launch_logcumsumexp_cuda_kernelERKNSE_10TensorBaseESI_lENKUlvE_clEvENKUlvE2_clEvEUlS7_S7_E_S7_EEDaPvRmT3_T4_T5_mT6_P12ihipStream_tbENKUlT_T0_E_clISt17integral_constantIbLb1EESZ_EEDaSU_SV_EUlSU_E0_NS1_11comp_targetILNS1_3genE9ELNS1_11target_archE1100ELNS1_3gpuE3ELNS1_3repE0EEENS1_30default_config_static_selectorELNS0_4arch9wavefront6targetE0EEEvT1_
; %bb.0:
	.section	.rodata,"a",@progbits
	.p2align	6, 0x0
	.amdhsa_kernel _ZN7rocprim17ROCPRIM_400000_NS6detail17trampoline_kernelINS0_14default_configENS1_20scan_config_selectorIN3c107complexIfEEEEZZNS1_9scan_implILNS1_25lookback_scan_determinismE0ELb0ELb0ES3_PKS7_PS7_S7_ZZZN2at6native31launch_logcumsumexp_cuda_kernelERKNSE_10TensorBaseESI_lENKUlvE_clEvENKUlvE2_clEvEUlS7_S7_E_S7_EEDaPvRmT3_T4_T5_mT6_P12ihipStream_tbENKUlT_T0_E_clISt17integral_constantIbLb1EESZ_EEDaSU_SV_EUlSU_E0_NS1_11comp_targetILNS1_3genE9ELNS1_11target_archE1100ELNS1_3gpuE3ELNS1_3repE0EEENS1_30default_config_static_selectorELNS0_4arch9wavefront6targetE0EEEvT1_
		.amdhsa_group_segment_fixed_size 0
		.amdhsa_private_segment_fixed_size 0
		.amdhsa_kernarg_size 40
		.amdhsa_user_sgpr_count 2
		.amdhsa_user_sgpr_dispatch_ptr 0
		.amdhsa_user_sgpr_queue_ptr 0
		.amdhsa_user_sgpr_kernarg_segment_ptr 1
		.amdhsa_user_sgpr_dispatch_id 0
		.amdhsa_user_sgpr_private_segment_size 0
		.amdhsa_wavefront_size32 1
		.amdhsa_uses_dynamic_stack 0
		.amdhsa_enable_private_segment 0
		.amdhsa_system_sgpr_workgroup_id_x 1
		.amdhsa_system_sgpr_workgroup_id_y 0
		.amdhsa_system_sgpr_workgroup_id_z 0
		.amdhsa_system_sgpr_workgroup_info 0
		.amdhsa_system_vgpr_workitem_id 0
		.amdhsa_next_free_vgpr 1
		.amdhsa_next_free_sgpr 1
		.amdhsa_reserve_vcc 0
		.amdhsa_float_round_mode_32 0
		.amdhsa_float_round_mode_16_64 0
		.amdhsa_float_denorm_mode_32 3
		.amdhsa_float_denorm_mode_16_64 3
		.amdhsa_fp16_overflow 0
		.amdhsa_workgroup_processor_mode 1
		.amdhsa_memory_ordered 1
		.amdhsa_forward_progress 1
		.amdhsa_inst_pref_size 0
		.amdhsa_round_robin_scheduling 0
		.amdhsa_exception_fp_ieee_invalid_op 0
		.amdhsa_exception_fp_denorm_src 0
		.amdhsa_exception_fp_ieee_div_zero 0
		.amdhsa_exception_fp_ieee_overflow 0
		.amdhsa_exception_fp_ieee_underflow 0
		.amdhsa_exception_fp_ieee_inexact 0
		.amdhsa_exception_int_div_zero 0
	.end_amdhsa_kernel
	.section	.text._ZN7rocprim17ROCPRIM_400000_NS6detail17trampoline_kernelINS0_14default_configENS1_20scan_config_selectorIN3c107complexIfEEEEZZNS1_9scan_implILNS1_25lookback_scan_determinismE0ELb0ELb0ES3_PKS7_PS7_S7_ZZZN2at6native31launch_logcumsumexp_cuda_kernelERKNSE_10TensorBaseESI_lENKUlvE_clEvENKUlvE2_clEvEUlS7_S7_E_S7_EEDaPvRmT3_T4_T5_mT6_P12ihipStream_tbENKUlT_T0_E_clISt17integral_constantIbLb1EESZ_EEDaSU_SV_EUlSU_E0_NS1_11comp_targetILNS1_3genE9ELNS1_11target_archE1100ELNS1_3gpuE3ELNS1_3repE0EEENS1_30default_config_static_selectorELNS0_4arch9wavefront6targetE0EEEvT1_,"axG",@progbits,_ZN7rocprim17ROCPRIM_400000_NS6detail17trampoline_kernelINS0_14default_configENS1_20scan_config_selectorIN3c107complexIfEEEEZZNS1_9scan_implILNS1_25lookback_scan_determinismE0ELb0ELb0ES3_PKS7_PS7_S7_ZZZN2at6native31launch_logcumsumexp_cuda_kernelERKNSE_10TensorBaseESI_lENKUlvE_clEvENKUlvE2_clEvEUlS7_S7_E_S7_EEDaPvRmT3_T4_T5_mT6_P12ihipStream_tbENKUlT_T0_E_clISt17integral_constantIbLb1EESZ_EEDaSU_SV_EUlSU_E0_NS1_11comp_targetILNS1_3genE9ELNS1_11target_archE1100ELNS1_3gpuE3ELNS1_3repE0EEENS1_30default_config_static_selectorELNS0_4arch9wavefront6targetE0EEEvT1_,comdat
.Lfunc_end307:
	.size	_ZN7rocprim17ROCPRIM_400000_NS6detail17trampoline_kernelINS0_14default_configENS1_20scan_config_selectorIN3c107complexIfEEEEZZNS1_9scan_implILNS1_25lookback_scan_determinismE0ELb0ELb0ES3_PKS7_PS7_S7_ZZZN2at6native31launch_logcumsumexp_cuda_kernelERKNSE_10TensorBaseESI_lENKUlvE_clEvENKUlvE2_clEvEUlS7_S7_E_S7_EEDaPvRmT3_T4_T5_mT6_P12ihipStream_tbENKUlT_T0_E_clISt17integral_constantIbLb1EESZ_EEDaSU_SV_EUlSU_E0_NS1_11comp_targetILNS1_3genE9ELNS1_11target_archE1100ELNS1_3gpuE3ELNS1_3repE0EEENS1_30default_config_static_selectorELNS0_4arch9wavefront6targetE0EEEvT1_, .Lfunc_end307-_ZN7rocprim17ROCPRIM_400000_NS6detail17trampoline_kernelINS0_14default_configENS1_20scan_config_selectorIN3c107complexIfEEEEZZNS1_9scan_implILNS1_25lookback_scan_determinismE0ELb0ELb0ES3_PKS7_PS7_S7_ZZZN2at6native31launch_logcumsumexp_cuda_kernelERKNSE_10TensorBaseESI_lENKUlvE_clEvENKUlvE2_clEvEUlS7_S7_E_S7_EEDaPvRmT3_T4_T5_mT6_P12ihipStream_tbENKUlT_T0_E_clISt17integral_constantIbLb1EESZ_EEDaSU_SV_EUlSU_E0_NS1_11comp_targetILNS1_3genE9ELNS1_11target_archE1100ELNS1_3gpuE3ELNS1_3repE0EEENS1_30default_config_static_selectorELNS0_4arch9wavefront6targetE0EEEvT1_
                                        ; -- End function
	.set _ZN7rocprim17ROCPRIM_400000_NS6detail17trampoline_kernelINS0_14default_configENS1_20scan_config_selectorIN3c107complexIfEEEEZZNS1_9scan_implILNS1_25lookback_scan_determinismE0ELb0ELb0ES3_PKS7_PS7_S7_ZZZN2at6native31launch_logcumsumexp_cuda_kernelERKNSE_10TensorBaseESI_lENKUlvE_clEvENKUlvE2_clEvEUlS7_S7_E_S7_EEDaPvRmT3_T4_T5_mT6_P12ihipStream_tbENKUlT_T0_E_clISt17integral_constantIbLb1EESZ_EEDaSU_SV_EUlSU_E0_NS1_11comp_targetILNS1_3genE9ELNS1_11target_archE1100ELNS1_3gpuE3ELNS1_3repE0EEENS1_30default_config_static_selectorELNS0_4arch9wavefront6targetE0EEEvT1_.num_vgpr, 0
	.set _ZN7rocprim17ROCPRIM_400000_NS6detail17trampoline_kernelINS0_14default_configENS1_20scan_config_selectorIN3c107complexIfEEEEZZNS1_9scan_implILNS1_25lookback_scan_determinismE0ELb0ELb0ES3_PKS7_PS7_S7_ZZZN2at6native31launch_logcumsumexp_cuda_kernelERKNSE_10TensorBaseESI_lENKUlvE_clEvENKUlvE2_clEvEUlS7_S7_E_S7_EEDaPvRmT3_T4_T5_mT6_P12ihipStream_tbENKUlT_T0_E_clISt17integral_constantIbLb1EESZ_EEDaSU_SV_EUlSU_E0_NS1_11comp_targetILNS1_3genE9ELNS1_11target_archE1100ELNS1_3gpuE3ELNS1_3repE0EEENS1_30default_config_static_selectorELNS0_4arch9wavefront6targetE0EEEvT1_.num_agpr, 0
	.set _ZN7rocprim17ROCPRIM_400000_NS6detail17trampoline_kernelINS0_14default_configENS1_20scan_config_selectorIN3c107complexIfEEEEZZNS1_9scan_implILNS1_25lookback_scan_determinismE0ELb0ELb0ES3_PKS7_PS7_S7_ZZZN2at6native31launch_logcumsumexp_cuda_kernelERKNSE_10TensorBaseESI_lENKUlvE_clEvENKUlvE2_clEvEUlS7_S7_E_S7_EEDaPvRmT3_T4_T5_mT6_P12ihipStream_tbENKUlT_T0_E_clISt17integral_constantIbLb1EESZ_EEDaSU_SV_EUlSU_E0_NS1_11comp_targetILNS1_3genE9ELNS1_11target_archE1100ELNS1_3gpuE3ELNS1_3repE0EEENS1_30default_config_static_selectorELNS0_4arch9wavefront6targetE0EEEvT1_.numbered_sgpr, 0
	.set _ZN7rocprim17ROCPRIM_400000_NS6detail17trampoline_kernelINS0_14default_configENS1_20scan_config_selectorIN3c107complexIfEEEEZZNS1_9scan_implILNS1_25lookback_scan_determinismE0ELb0ELb0ES3_PKS7_PS7_S7_ZZZN2at6native31launch_logcumsumexp_cuda_kernelERKNSE_10TensorBaseESI_lENKUlvE_clEvENKUlvE2_clEvEUlS7_S7_E_S7_EEDaPvRmT3_T4_T5_mT6_P12ihipStream_tbENKUlT_T0_E_clISt17integral_constantIbLb1EESZ_EEDaSU_SV_EUlSU_E0_NS1_11comp_targetILNS1_3genE9ELNS1_11target_archE1100ELNS1_3gpuE3ELNS1_3repE0EEENS1_30default_config_static_selectorELNS0_4arch9wavefront6targetE0EEEvT1_.num_named_barrier, 0
	.set _ZN7rocprim17ROCPRIM_400000_NS6detail17trampoline_kernelINS0_14default_configENS1_20scan_config_selectorIN3c107complexIfEEEEZZNS1_9scan_implILNS1_25lookback_scan_determinismE0ELb0ELb0ES3_PKS7_PS7_S7_ZZZN2at6native31launch_logcumsumexp_cuda_kernelERKNSE_10TensorBaseESI_lENKUlvE_clEvENKUlvE2_clEvEUlS7_S7_E_S7_EEDaPvRmT3_T4_T5_mT6_P12ihipStream_tbENKUlT_T0_E_clISt17integral_constantIbLb1EESZ_EEDaSU_SV_EUlSU_E0_NS1_11comp_targetILNS1_3genE9ELNS1_11target_archE1100ELNS1_3gpuE3ELNS1_3repE0EEENS1_30default_config_static_selectorELNS0_4arch9wavefront6targetE0EEEvT1_.private_seg_size, 0
	.set _ZN7rocprim17ROCPRIM_400000_NS6detail17trampoline_kernelINS0_14default_configENS1_20scan_config_selectorIN3c107complexIfEEEEZZNS1_9scan_implILNS1_25lookback_scan_determinismE0ELb0ELb0ES3_PKS7_PS7_S7_ZZZN2at6native31launch_logcumsumexp_cuda_kernelERKNSE_10TensorBaseESI_lENKUlvE_clEvENKUlvE2_clEvEUlS7_S7_E_S7_EEDaPvRmT3_T4_T5_mT6_P12ihipStream_tbENKUlT_T0_E_clISt17integral_constantIbLb1EESZ_EEDaSU_SV_EUlSU_E0_NS1_11comp_targetILNS1_3genE9ELNS1_11target_archE1100ELNS1_3gpuE3ELNS1_3repE0EEENS1_30default_config_static_selectorELNS0_4arch9wavefront6targetE0EEEvT1_.uses_vcc, 0
	.set _ZN7rocprim17ROCPRIM_400000_NS6detail17trampoline_kernelINS0_14default_configENS1_20scan_config_selectorIN3c107complexIfEEEEZZNS1_9scan_implILNS1_25lookback_scan_determinismE0ELb0ELb0ES3_PKS7_PS7_S7_ZZZN2at6native31launch_logcumsumexp_cuda_kernelERKNSE_10TensorBaseESI_lENKUlvE_clEvENKUlvE2_clEvEUlS7_S7_E_S7_EEDaPvRmT3_T4_T5_mT6_P12ihipStream_tbENKUlT_T0_E_clISt17integral_constantIbLb1EESZ_EEDaSU_SV_EUlSU_E0_NS1_11comp_targetILNS1_3genE9ELNS1_11target_archE1100ELNS1_3gpuE3ELNS1_3repE0EEENS1_30default_config_static_selectorELNS0_4arch9wavefront6targetE0EEEvT1_.uses_flat_scratch, 0
	.set _ZN7rocprim17ROCPRIM_400000_NS6detail17trampoline_kernelINS0_14default_configENS1_20scan_config_selectorIN3c107complexIfEEEEZZNS1_9scan_implILNS1_25lookback_scan_determinismE0ELb0ELb0ES3_PKS7_PS7_S7_ZZZN2at6native31launch_logcumsumexp_cuda_kernelERKNSE_10TensorBaseESI_lENKUlvE_clEvENKUlvE2_clEvEUlS7_S7_E_S7_EEDaPvRmT3_T4_T5_mT6_P12ihipStream_tbENKUlT_T0_E_clISt17integral_constantIbLb1EESZ_EEDaSU_SV_EUlSU_E0_NS1_11comp_targetILNS1_3genE9ELNS1_11target_archE1100ELNS1_3gpuE3ELNS1_3repE0EEENS1_30default_config_static_selectorELNS0_4arch9wavefront6targetE0EEEvT1_.has_dyn_sized_stack, 0
	.set _ZN7rocprim17ROCPRIM_400000_NS6detail17trampoline_kernelINS0_14default_configENS1_20scan_config_selectorIN3c107complexIfEEEEZZNS1_9scan_implILNS1_25lookback_scan_determinismE0ELb0ELb0ES3_PKS7_PS7_S7_ZZZN2at6native31launch_logcumsumexp_cuda_kernelERKNSE_10TensorBaseESI_lENKUlvE_clEvENKUlvE2_clEvEUlS7_S7_E_S7_EEDaPvRmT3_T4_T5_mT6_P12ihipStream_tbENKUlT_T0_E_clISt17integral_constantIbLb1EESZ_EEDaSU_SV_EUlSU_E0_NS1_11comp_targetILNS1_3genE9ELNS1_11target_archE1100ELNS1_3gpuE3ELNS1_3repE0EEENS1_30default_config_static_selectorELNS0_4arch9wavefront6targetE0EEEvT1_.has_recursion, 0
	.set _ZN7rocprim17ROCPRIM_400000_NS6detail17trampoline_kernelINS0_14default_configENS1_20scan_config_selectorIN3c107complexIfEEEEZZNS1_9scan_implILNS1_25lookback_scan_determinismE0ELb0ELb0ES3_PKS7_PS7_S7_ZZZN2at6native31launch_logcumsumexp_cuda_kernelERKNSE_10TensorBaseESI_lENKUlvE_clEvENKUlvE2_clEvEUlS7_S7_E_S7_EEDaPvRmT3_T4_T5_mT6_P12ihipStream_tbENKUlT_T0_E_clISt17integral_constantIbLb1EESZ_EEDaSU_SV_EUlSU_E0_NS1_11comp_targetILNS1_3genE9ELNS1_11target_archE1100ELNS1_3gpuE3ELNS1_3repE0EEENS1_30default_config_static_selectorELNS0_4arch9wavefront6targetE0EEEvT1_.has_indirect_call, 0
	.section	.AMDGPU.csdata,"",@progbits
; Kernel info:
; codeLenInByte = 0
; TotalNumSgprs: 0
; NumVgprs: 0
; ScratchSize: 0
; MemoryBound: 0
; FloatMode: 240
; IeeeMode: 1
; LDSByteSize: 0 bytes/workgroup (compile time only)
; SGPRBlocks: 0
; VGPRBlocks: 0
; NumSGPRsForWavesPerEU: 1
; NumVGPRsForWavesPerEU: 1
; Occupancy: 16
; WaveLimiterHint : 0
; COMPUTE_PGM_RSRC2:SCRATCH_EN: 0
; COMPUTE_PGM_RSRC2:USER_SGPR: 2
; COMPUTE_PGM_RSRC2:TRAP_HANDLER: 0
; COMPUTE_PGM_RSRC2:TGID_X_EN: 1
; COMPUTE_PGM_RSRC2:TGID_Y_EN: 0
; COMPUTE_PGM_RSRC2:TGID_Z_EN: 0
; COMPUTE_PGM_RSRC2:TIDIG_COMP_CNT: 0
	.section	.text._ZN7rocprim17ROCPRIM_400000_NS6detail17trampoline_kernelINS0_14default_configENS1_20scan_config_selectorIN3c107complexIfEEEEZZNS1_9scan_implILNS1_25lookback_scan_determinismE0ELb0ELb0ES3_PKS7_PS7_S7_ZZZN2at6native31launch_logcumsumexp_cuda_kernelERKNSE_10TensorBaseESI_lENKUlvE_clEvENKUlvE2_clEvEUlS7_S7_E_S7_EEDaPvRmT3_T4_T5_mT6_P12ihipStream_tbENKUlT_T0_E_clISt17integral_constantIbLb1EESZ_EEDaSU_SV_EUlSU_E0_NS1_11comp_targetILNS1_3genE8ELNS1_11target_archE1030ELNS1_3gpuE2ELNS1_3repE0EEENS1_30default_config_static_selectorELNS0_4arch9wavefront6targetE0EEEvT1_,"axG",@progbits,_ZN7rocprim17ROCPRIM_400000_NS6detail17trampoline_kernelINS0_14default_configENS1_20scan_config_selectorIN3c107complexIfEEEEZZNS1_9scan_implILNS1_25lookback_scan_determinismE0ELb0ELb0ES3_PKS7_PS7_S7_ZZZN2at6native31launch_logcumsumexp_cuda_kernelERKNSE_10TensorBaseESI_lENKUlvE_clEvENKUlvE2_clEvEUlS7_S7_E_S7_EEDaPvRmT3_T4_T5_mT6_P12ihipStream_tbENKUlT_T0_E_clISt17integral_constantIbLb1EESZ_EEDaSU_SV_EUlSU_E0_NS1_11comp_targetILNS1_3genE8ELNS1_11target_archE1030ELNS1_3gpuE2ELNS1_3repE0EEENS1_30default_config_static_selectorELNS0_4arch9wavefront6targetE0EEEvT1_,comdat
	.globl	_ZN7rocprim17ROCPRIM_400000_NS6detail17trampoline_kernelINS0_14default_configENS1_20scan_config_selectorIN3c107complexIfEEEEZZNS1_9scan_implILNS1_25lookback_scan_determinismE0ELb0ELb0ES3_PKS7_PS7_S7_ZZZN2at6native31launch_logcumsumexp_cuda_kernelERKNSE_10TensorBaseESI_lENKUlvE_clEvENKUlvE2_clEvEUlS7_S7_E_S7_EEDaPvRmT3_T4_T5_mT6_P12ihipStream_tbENKUlT_T0_E_clISt17integral_constantIbLb1EESZ_EEDaSU_SV_EUlSU_E0_NS1_11comp_targetILNS1_3genE8ELNS1_11target_archE1030ELNS1_3gpuE2ELNS1_3repE0EEENS1_30default_config_static_selectorELNS0_4arch9wavefront6targetE0EEEvT1_ ; -- Begin function _ZN7rocprim17ROCPRIM_400000_NS6detail17trampoline_kernelINS0_14default_configENS1_20scan_config_selectorIN3c107complexIfEEEEZZNS1_9scan_implILNS1_25lookback_scan_determinismE0ELb0ELb0ES3_PKS7_PS7_S7_ZZZN2at6native31launch_logcumsumexp_cuda_kernelERKNSE_10TensorBaseESI_lENKUlvE_clEvENKUlvE2_clEvEUlS7_S7_E_S7_EEDaPvRmT3_T4_T5_mT6_P12ihipStream_tbENKUlT_T0_E_clISt17integral_constantIbLb1EESZ_EEDaSU_SV_EUlSU_E0_NS1_11comp_targetILNS1_3genE8ELNS1_11target_archE1030ELNS1_3gpuE2ELNS1_3repE0EEENS1_30default_config_static_selectorELNS0_4arch9wavefront6targetE0EEEvT1_
	.p2align	8
	.type	_ZN7rocprim17ROCPRIM_400000_NS6detail17trampoline_kernelINS0_14default_configENS1_20scan_config_selectorIN3c107complexIfEEEEZZNS1_9scan_implILNS1_25lookback_scan_determinismE0ELb0ELb0ES3_PKS7_PS7_S7_ZZZN2at6native31launch_logcumsumexp_cuda_kernelERKNSE_10TensorBaseESI_lENKUlvE_clEvENKUlvE2_clEvEUlS7_S7_E_S7_EEDaPvRmT3_T4_T5_mT6_P12ihipStream_tbENKUlT_T0_E_clISt17integral_constantIbLb1EESZ_EEDaSU_SV_EUlSU_E0_NS1_11comp_targetILNS1_3genE8ELNS1_11target_archE1030ELNS1_3gpuE2ELNS1_3repE0EEENS1_30default_config_static_selectorELNS0_4arch9wavefront6targetE0EEEvT1_,@function
_ZN7rocprim17ROCPRIM_400000_NS6detail17trampoline_kernelINS0_14default_configENS1_20scan_config_selectorIN3c107complexIfEEEEZZNS1_9scan_implILNS1_25lookback_scan_determinismE0ELb0ELb0ES3_PKS7_PS7_S7_ZZZN2at6native31launch_logcumsumexp_cuda_kernelERKNSE_10TensorBaseESI_lENKUlvE_clEvENKUlvE2_clEvEUlS7_S7_E_S7_EEDaPvRmT3_T4_T5_mT6_P12ihipStream_tbENKUlT_T0_E_clISt17integral_constantIbLb1EESZ_EEDaSU_SV_EUlSU_E0_NS1_11comp_targetILNS1_3genE8ELNS1_11target_archE1030ELNS1_3gpuE2ELNS1_3repE0EEENS1_30default_config_static_selectorELNS0_4arch9wavefront6targetE0EEEvT1_: ; @_ZN7rocprim17ROCPRIM_400000_NS6detail17trampoline_kernelINS0_14default_configENS1_20scan_config_selectorIN3c107complexIfEEEEZZNS1_9scan_implILNS1_25lookback_scan_determinismE0ELb0ELb0ES3_PKS7_PS7_S7_ZZZN2at6native31launch_logcumsumexp_cuda_kernelERKNSE_10TensorBaseESI_lENKUlvE_clEvENKUlvE2_clEvEUlS7_S7_E_S7_EEDaPvRmT3_T4_T5_mT6_P12ihipStream_tbENKUlT_T0_E_clISt17integral_constantIbLb1EESZ_EEDaSU_SV_EUlSU_E0_NS1_11comp_targetILNS1_3genE8ELNS1_11target_archE1030ELNS1_3gpuE2ELNS1_3repE0EEENS1_30default_config_static_selectorELNS0_4arch9wavefront6targetE0EEEvT1_
; %bb.0:
	.section	.rodata,"a",@progbits
	.p2align	6, 0x0
	.amdhsa_kernel _ZN7rocprim17ROCPRIM_400000_NS6detail17trampoline_kernelINS0_14default_configENS1_20scan_config_selectorIN3c107complexIfEEEEZZNS1_9scan_implILNS1_25lookback_scan_determinismE0ELb0ELb0ES3_PKS7_PS7_S7_ZZZN2at6native31launch_logcumsumexp_cuda_kernelERKNSE_10TensorBaseESI_lENKUlvE_clEvENKUlvE2_clEvEUlS7_S7_E_S7_EEDaPvRmT3_T4_T5_mT6_P12ihipStream_tbENKUlT_T0_E_clISt17integral_constantIbLb1EESZ_EEDaSU_SV_EUlSU_E0_NS1_11comp_targetILNS1_3genE8ELNS1_11target_archE1030ELNS1_3gpuE2ELNS1_3repE0EEENS1_30default_config_static_selectorELNS0_4arch9wavefront6targetE0EEEvT1_
		.amdhsa_group_segment_fixed_size 0
		.amdhsa_private_segment_fixed_size 0
		.amdhsa_kernarg_size 40
		.amdhsa_user_sgpr_count 2
		.amdhsa_user_sgpr_dispatch_ptr 0
		.amdhsa_user_sgpr_queue_ptr 0
		.amdhsa_user_sgpr_kernarg_segment_ptr 1
		.amdhsa_user_sgpr_dispatch_id 0
		.amdhsa_user_sgpr_private_segment_size 0
		.amdhsa_wavefront_size32 1
		.amdhsa_uses_dynamic_stack 0
		.amdhsa_enable_private_segment 0
		.amdhsa_system_sgpr_workgroup_id_x 1
		.amdhsa_system_sgpr_workgroup_id_y 0
		.amdhsa_system_sgpr_workgroup_id_z 0
		.amdhsa_system_sgpr_workgroup_info 0
		.amdhsa_system_vgpr_workitem_id 0
		.amdhsa_next_free_vgpr 1
		.amdhsa_next_free_sgpr 1
		.amdhsa_reserve_vcc 0
		.amdhsa_float_round_mode_32 0
		.amdhsa_float_round_mode_16_64 0
		.amdhsa_float_denorm_mode_32 3
		.amdhsa_float_denorm_mode_16_64 3
		.amdhsa_fp16_overflow 0
		.amdhsa_workgroup_processor_mode 1
		.amdhsa_memory_ordered 1
		.amdhsa_forward_progress 1
		.amdhsa_inst_pref_size 0
		.amdhsa_round_robin_scheduling 0
		.amdhsa_exception_fp_ieee_invalid_op 0
		.amdhsa_exception_fp_denorm_src 0
		.amdhsa_exception_fp_ieee_div_zero 0
		.amdhsa_exception_fp_ieee_overflow 0
		.amdhsa_exception_fp_ieee_underflow 0
		.amdhsa_exception_fp_ieee_inexact 0
		.amdhsa_exception_int_div_zero 0
	.end_amdhsa_kernel
	.section	.text._ZN7rocprim17ROCPRIM_400000_NS6detail17trampoline_kernelINS0_14default_configENS1_20scan_config_selectorIN3c107complexIfEEEEZZNS1_9scan_implILNS1_25lookback_scan_determinismE0ELb0ELb0ES3_PKS7_PS7_S7_ZZZN2at6native31launch_logcumsumexp_cuda_kernelERKNSE_10TensorBaseESI_lENKUlvE_clEvENKUlvE2_clEvEUlS7_S7_E_S7_EEDaPvRmT3_T4_T5_mT6_P12ihipStream_tbENKUlT_T0_E_clISt17integral_constantIbLb1EESZ_EEDaSU_SV_EUlSU_E0_NS1_11comp_targetILNS1_3genE8ELNS1_11target_archE1030ELNS1_3gpuE2ELNS1_3repE0EEENS1_30default_config_static_selectorELNS0_4arch9wavefront6targetE0EEEvT1_,"axG",@progbits,_ZN7rocprim17ROCPRIM_400000_NS6detail17trampoline_kernelINS0_14default_configENS1_20scan_config_selectorIN3c107complexIfEEEEZZNS1_9scan_implILNS1_25lookback_scan_determinismE0ELb0ELb0ES3_PKS7_PS7_S7_ZZZN2at6native31launch_logcumsumexp_cuda_kernelERKNSE_10TensorBaseESI_lENKUlvE_clEvENKUlvE2_clEvEUlS7_S7_E_S7_EEDaPvRmT3_T4_T5_mT6_P12ihipStream_tbENKUlT_T0_E_clISt17integral_constantIbLb1EESZ_EEDaSU_SV_EUlSU_E0_NS1_11comp_targetILNS1_3genE8ELNS1_11target_archE1030ELNS1_3gpuE2ELNS1_3repE0EEENS1_30default_config_static_selectorELNS0_4arch9wavefront6targetE0EEEvT1_,comdat
.Lfunc_end308:
	.size	_ZN7rocprim17ROCPRIM_400000_NS6detail17trampoline_kernelINS0_14default_configENS1_20scan_config_selectorIN3c107complexIfEEEEZZNS1_9scan_implILNS1_25lookback_scan_determinismE0ELb0ELb0ES3_PKS7_PS7_S7_ZZZN2at6native31launch_logcumsumexp_cuda_kernelERKNSE_10TensorBaseESI_lENKUlvE_clEvENKUlvE2_clEvEUlS7_S7_E_S7_EEDaPvRmT3_T4_T5_mT6_P12ihipStream_tbENKUlT_T0_E_clISt17integral_constantIbLb1EESZ_EEDaSU_SV_EUlSU_E0_NS1_11comp_targetILNS1_3genE8ELNS1_11target_archE1030ELNS1_3gpuE2ELNS1_3repE0EEENS1_30default_config_static_selectorELNS0_4arch9wavefront6targetE0EEEvT1_, .Lfunc_end308-_ZN7rocprim17ROCPRIM_400000_NS6detail17trampoline_kernelINS0_14default_configENS1_20scan_config_selectorIN3c107complexIfEEEEZZNS1_9scan_implILNS1_25lookback_scan_determinismE0ELb0ELb0ES3_PKS7_PS7_S7_ZZZN2at6native31launch_logcumsumexp_cuda_kernelERKNSE_10TensorBaseESI_lENKUlvE_clEvENKUlvE2_clEvEUlS7_S7_E_S7_EEDaPvRmT3_T4_T5_mT6_P12ihipStream_tbENKUlT_T0_E_clISt17integral_constantIbLb1EESZ_EEDaSU_SV_EUlSU_E0_NS1_11comp_targetILNS1_3genE8ELNS1_11target_archE1030ELNS1_3gpuE2ELNS1_3repE0EEENS1_30default_config_static_selectorELNS0_4arch9wavefront6targetE0EEEvT1_
                                        ; -- End function
	.set _ZN7rocprim17ROCPRIM_400000_NS6detail17trampoline_kernelINS0_14default_configENS1_20scan_config_selectorIN3c107complexIfEEEEZZNS1_9scan_implILNS1_25lookback_scan_determinismE0ELb0ELb0ES3_PKS7_PS7_S7_ZZZN2at6native31launch_logcumsumexp_cuda_kernelERKNSE_10TensorBaseESI_lENKUlvE_clEvENKUlvE2_clEvEUlS7_S7_E_S7_EEDaPvRmT3_T4_T5_mT6_P12ihipStream_tbENKUlT_T0_E_clISt17integral_constantIbLb1EESZ_EEDaSU_SV_EUlSU_E0_NS1_11comp_targetILNS1_3genE8ELNS1_11target_archE1030ELNS1_3gpuE2ELNS1_3repE0EEENS1_30default_config_static_selectorELNS0_4arch9wavefront6targetE0EEEvT1_.num_vgpr, 0
	.set _ZN7rocprim17ROCPRIM_400000_NS6detail17trampoline_kernelINS0_14default_configENS1_20scan_config_selectorIN3c107complexIfEEEEZZNS1_9scan_implILNS1_25lookback_scan_determinismE0ELb0ELb0ES3_PKS7_PS7_S7_ZZZN2at6native31launch_logcumsumexp_cuda_kernelERKNSE_10TensorBaseESI_lENKUlvE_clEvENKUlvE2_clEvEUlS7_S7_E_S7_EEDaPvRmT3_T4_T5_mT6_P12ihipStream_tbENKUlT_T0_E_clISt17integral_constantIbLb1EESZ_EEDaSU_SV_EUlSU_E0_NS1_11comp_targetILNS1_3genE8ELNS1_11target_archE1030ELNS1_3gpuE2ELNS1_3repE0EEENS1_30default_config_static_selectorELNS0_4arch9wavefront6targetE0EEEvT1_.num_agpr, 0
	.set _ZN7rocprim17ROCPRIM_400000_NS6detail17trampoline_kernelINS0_14default_configENS1_20scan_config_selectorIN3c107complexIfEEEEZZNS1_9scan_implILNS1_25lookback_scan_determinismE0ELb0ELb0ES3_PKS7_PS7_S7_ZZZN2at6native31launch_logcumsumexp_cuda_kernelERKNSE_10TensorBaseESI_lENKUlvE_clEvENKUlvE2_clEvEUlS7_S7_E_S7_EEDaPvRmT3_T4_T5_mT6_P12ihipStream_tbENKUlT_T0_E_clISt17integral_constantIbLb1EESZ_EEDaSU_SV_EUlSU_E0_NS1_11comp_targetILNS1_3genE8ELNS1_11target_archE1030ELNS1_3gpuE2ELNS1_3repE0EEENS1_30default_config_static_selectorELNS0_4arch9wavefront6targetE0EEEvT1_.numbered_sgpr, 0
	.set _ZN7rocprim17ROCPRIM_400000_NS6detail17trampoline_kernelINS0_14default_configENS1_20scan_config_selectorIN3c107complexIfEEEEZZNS1_9scan_implILNS1_25lookback_scan_determinismE0ELb0ELb0ES3_PKS7_PS7_S7_ZZZN2at6native31launch_logcumsumexp_cuda_kernelERKNSE_10TensorBaseESI_lENKUlvE_clEvENKUlvE2_clEvEUlS7_S7_E_S7_EEDaPvRmT3_T4_T5_mT6_P12ihipStream_tbENKUlT_T0_E_clISt17integral_constantIbLb1EESZ_EEDaSU_SV_EUlSU_E0_NS1_11comp_targetILNS1_3genE8ELNS1_11target_archE1030ELNS1_3gpuE2ELNS1_3repE0EEENS1_30default_config_static_selectorELNS0_4arch9wavefront6targetE0EEEvT1_.num_named_barrier, 0
	.set _ZN7rocprim17ROCPRIM_400000_NS6detail17trampoline_kernelINS0_14default_configENS1_20scan_config_selectorIN3c107complexIfEEEEZZNS1_9scan_implILNS1_25lookback_scan_determinismE0ELb0ELb0ES3_PKS7_PS7_S7_ZZZN2at6native31launch_logcumsumexp_cuda_kernelERKNSE_10TensorBaseESI_lENKUlvE_clEvENKUlvE2_clEvEUlS7_S7_E_S7_EEDaPvRmT3_T4_T5_mT6_P12ihipStream_tbENKUlT_T0_E_clISt17integral_constantIbLb1EESZ_EEDaSU_SV_EUlSU_E0_NS1_11comp_targetILNS1_3genE8ELNS1_11target_archE1030ELNS1_3gpuE2ELNS1_3repE0EEENS1_30default_config_static_selectorELNS0_4arch9wavefront6targetE0EEEvT1_.private_seg_size, 0
	.set _ZN7rocprim17ROCPRIM_400000_NS6detail17trampoline_kernelINS0_14default_configENS1_20scan_config_selectorIN3c107complexIfEEEEZZNS1_9scan_implILNS1_25lookback_scan_determinismE0ELb0ELb0ES3_PKS7_PS7_S7_ZZZN2at6native31launch_logcumsumexp_cuda_kernelERKNSE_10TensorBaseESI_lENKUlvE_clEvENKUlvE2_clEvEUlS7_S7_E_S7_EEDaPvRmT3_T4_T5_mT6_P12ihipStream_tbENKUlT_T0_E_clISt17integral_constantIbLb1EESZ_EEDaSU_SV_EUlSU_E0_NS1_11comp_targetILNS1_3genE8ELNS1_11target_archE1030ELNS1_3gpuE2ELNS1_3repE0EEENS1_30default_config_static_selectorELNS0_4arch9wavefront6targetE0EEEvT1_.uses_vcc, 0
	.set _ZN7rocprim17ROCPRIM_400000_NS6detail17trampoline_kernelINS0_14default_configENS1_20scan_config_selectorIN3c107complexIfEEEEZZNS1_9scan_implILNS1_25lookback_scan_determinismE0ELb0ELb0ES3_PKS7_PS7_S7_ZZZN2at6native31launch_logcumsumexp_cuda_kernelERKNSE_10TensorBaseESI_lENKUlvE_clEvENKUlvE2_clEvEUlS7_S7_E_S7_EEDaPvRmT3_T4_T5_mT6_P12ihipStream_tbENKUlT_T0_E_clISt17integral_constantIbLb1EESZ_EEDaSU_SV_EUlSU_E0_NS1_11comp_targetILNS1_3genE8ELNS1_11target_archE1030ELNS1_3gpuE2ELNS1_3repE0EEENS1_30default_config_static_selectorELNS0_4arch9wavefront6targetE0EEEvT1_.uses_flat_scratch, 0
	.set _ZN7rocprim17ROCPRIM_400000_NS6detail17trampoline_kernelINS0_14default_configENS1_20scan_config_selectorIN3c107complexIfEEEEZZNS1_9scan_implILNS1_25lookback_scan_determinismE0ELb0ELb0ES3_PKS7_PS7_S7_ZZZN2at6native31launch_logcumsumexp_cuda_kernelERKNSE_10TensorBaseESI_lENKUlvE_clEvENKUlvE2_clEvEUlS7_S7_E_S7_EEDaPvRmT3_T4_T5_mT6_P12ihipStream_tbENKUlT_T0_E_clISt17integral_constantIbLb1EESZ_EEDaSU_SV_EUlSU_E0_NS1_11comp_targetILNS1_3genE8ELNS1_11target_archE1030ELNS1_3gpuE2ELNS1_3repE0EEENS1_30default_config_static_selectorELNS0_4arch9wavefront6targetE0EEEvT1_.has_dyn_sized_stack, 0
	.set _ZN7rocprim17ROCPRIM_400000_NS6detail17trampoline_kernelINS0_14default_configENS1_20scan_config_selectorIN3c107complexIfEEEEZZNS1_9scan_implILNS1_25lookback_scan_determinismE0ELb0ELb0ES3_PKS7_PS7_S7_ZZZN2at6native31launch_logcumsumexp_cuda_kernelERKNSE_10TensorBaseESI_lENKUlvE_clEvENKUlvE2_clEvEUlS7_S7_E_S7_EEDaPvRmT3_T4_T5_mT6_P12ihipStream_tbENKUlT_T0_E_clISt17integral_constantIbLb1EESZ_EEDaSU_SV_EUlSU_E0_NS1_11comp_targetILNS1_3genE8ELNS1_11target_archE1030ELNS1_3gpuE2ELNS1_3repE0EEENS1_30default_config_static_selectorELNS0_4arch9wavefront6targetE0EEEvT1_.has_recursion, 0
	.set _ZN7rocprim17ROCPRIM_400000_NS6detail17trampoline_kernelINS0_14default_configENS1_20scan_config_selectorIN3c107complexIfEEEEZZNS1_9scan_implILNS1_25lookback_scan_determinismE0ELb0ELb0ES3_PKS7_PS7_S7_ZZZN2at6native31launch_logcumsumexp_cuda_kernelERKNSE_10TensorBaseESI_lENKUlvE_clEvENKUlvE2_clEvEUlS7_S7_E_S7_EEDaPvRmT3_T4_T5_mT6_P12ihipStream_tbENKUlT_T0_E_clISt17integral_constantIbLb1EESZ_EEDaSU_SV_EUlSU_E0_NS1_11comp_targetILNS1_3genE8ELNS1_11target_archE1030ELNS1_3gpuE2ELNS1_3repE0EEENS1_30default_config_static_selectorELNS0_4arch9wavefront6targetE0EEEvT1_.has_indirect_call, 0
	.section	.AMDGPU.csdata,"",@progbits
; Kernel info:
; codeLenInByte = 0
; TotalNumSgprs: 0
; NumVgprs: 0
; ScratchSize: 0
; MemoryBound: 0
; FloatMode: 240
; IeeeMode: 1
; LDSByteSize: 0 bytes/workgroup (compile time only)
; SGPRBlocks: 0
; VGPRBlocks: 0
; NumSGPRsForWavesPerEU: 1
; NumVGPRsForWavesPerEU: 1
; Occupancy: 16
; WaveLimiterHint : 0
; COMPUTE_PGM_RSRC2:SCRATCH_EN: 0
; COMPUTE_PGM_RSRC2:USER_SGPR: 2
; COMPUTE_PGM_RSRC2:TRAP_HANDLER: 0
; COMPUTE_PGM_RSRC2:TGID_X_EN: 1
; COMPUTE_PGM_RSRC2:TGID_Y_EN: 0
; COMPUTE_PGM_RSRC2:TGID_Z_EN: 0
; COMPUTE_PGM_RSRC2:TIDIG_COMP_CNT: 0
	.section	.text._ZN7rocprim17ROCPRIM_400000_NS6detail31init_lookback_scan_state_kernelINS1_19lookback_scan_stateIN3c107complexIfEELb1ELb1EEENS1_16block_id_wrapperIjLb0EEEEEvT_jT0_jPNSA_10value_typeE,"axG",@progbits,_ZN7rocprim17ROCPRIM_400000_NS6detail31init_lookback_scan_state_kernelINS1_19lookback_scan_stateIN3c107complexIfEELb1ELb1EEENS1_16block_id_wrapperIjLb0EEEEEvT_jT0_jPNSA_10value_typeE,comdat
	.protected	_ZN7rocprim17ROCPRIM_400000_NS6detail31init_lookback_scan_state_kernelINS1_19lookback_scan_stateIN3c107complexIfEELb1ELb1EEENS1_16block_id_wrapperIjLb0EEEEEvT_jT0_jPNSA_10value_typeE ; -- Begin function _ZN7rocprim17ROCPRIM_400000_NS6detail31init_lookback_scan_state_kernelINS1_19lookback_scan_stateIN3c107complexIfEELb1ELb1EEENS1_16block_id_wrapperIjLb0EEEEEvT_jT0_jPNSA_10value_typeE
	.globl	_ZN7rocprim17ROCPRIM_400000_NS6detail31init_lookback_scan_state_kernelINS1_19lookback_scan_stateIN3c107complexIfEELb1ELb1EEENS1_16block_id_wrapperIjLb0EEEEEvT_jT0_jPNSA_10value_typeE
	.p2align	8
	.type	_ZN7rocprim17ROCPRIM_400000_NS6detail31init_lookback_scan_state_kernelINS1_19lookback_scan_stateIN3c107complexIfEELb1ELb1EEENS1_16block_id_wrapperIjLb0EEEEEvT_jT0_jPNSA_10value_typeE,@function
_ZN7rocprim17ROCPRIM_400000_NS6detail31init_lookback_scan_state_kernelINS1_19lookback_scan_stateIN3c107complexIfEELb1ELb1EEENS1_16block_id_wrapperIjLb0EEEEEvT_jT0_jPNSA_10value_typeE: ; @_ZN7rocprim17ROCPRIM_400000_NS6detail31init_lookback_scan_state_kernelINS1_19lookback_scan_stateIN3c107complexIfEELb1ELb1EEENS1_16block_id_wrapperIjLb0EEEEEvT_jT0_jPNSA_10value_typeE
; %bb.0:
	s_clause 0x2
	s_load_b32 s7, s[0:1], 0x2c
	s_load_b64 s[2:3], s[0:1], 0x18
	s_load_b96 s[4:6], s[0:1], 0x0
	s_wait_kmcnt 0x0
	s_and_b32 s7, s7, 0xffff
	s_cmp_eq_u64 s[2:3], 0
	v_mad_co_u64_u32 v[0:1], null, ttmp9, s7, v[0:1]
	s_cbranch_scc1 .LBB309_10
; %bb.1:
	s_load_b32 s0, s[0:1], 0x10
	s_wait_kmcnt 0x0
	s_cmp_lt_u32 s0, s6
	s_cselect_b32 s1, s0, 0
	s_wait_alu 0xfffe
	v_cmp_eq_u32_e32 vcc_lo, s1, v0
	s_mov_b32 s1, 0
	s_and_saveexec_b32 s7, vcc_lo
	s_cbranch_execz .LBB309_9
; %bb.2:
	s_add_co_i32 s0, s0, 32
	s_mov_b32 s8, exec_lo
	s_wait_alu 0xfffe
	s_lshl_b64 s[0:1], s[0:1], 4
	v_mov_b32_e32 v5, 0
	s_wait_alu 0xfffe
	s_add_nc_u64 s[0:1], s[4:5], s[0:1]
	s_wait_alu 0xfffe
	v_dual_mov_b32 v2, s1 :: v_dual_mov_b32 v1, s0
	;;#ASMSTART
	global_load_b128 v[1:4], v[1:2] off scope:SCOPE_DEV	
s_wait_loadcnt 0x0
	;;#ASMEND
	v_and_b32_e32 v4, 0xff, v3
	s_delay_alu instid0(VALU_DEP_1)
	v_cmpx_eq_u64_e32 0, v[4:5]
	s_cbranch_execz .LBB309_8
; %bb.3:
	v_dual_mov_b32 v7, s1 :: v_dual_mov_b32 v6, s0
	s_mov_b32 s1, 1
	s_mov_b32 s0, 0
.LBB309_4:                              ; =>This Loop Header: Depth=1
                                        ;     Child Loop BB309_5 Depth 2
	s_wait_alu 0xfffe
	s_mov_b32 s9, s1
.LBB309_5:                              ;   Parent Loop BB309_4 Depth=1
                                        ; =>  This Inner Loop Header: Depth=2
	s_delay_alu instid0(SALU_CYCLE_1)
	s_add_co_i32 s9, s9, -1
	s_sleep 1
	s_cmp_eq_u32 s9, 0
	s_cbranch_scc0 .LBB309_5
; %bb.6:                                ;   in Loop: Header=BB309_4 Depth=1
	;;#ASMSTART
	global_load_b128 v[1:4], v[6:7] off scope:SCOPE_DEV	
s_wait_loadcnt 0x0
	;;#ASMEND
	v_and_b32_e32 v4, 0xff, v3
	s_cmp_lt_u32 s1, 32
	s_cselect_b32 s9, -1, 0
	s_delay_alu instid0(SALU_CYCLE_1) | instskip(NEXT) | instid1(VALU_DEP_1)
	s_cmp_lg_u32 s9, 0
	v_cmp_ne_u64_e32 vcc_lo, 0, v[4:5]
	s_add_co_ci_u32 s1, s1, 0
	s_or_b32 s0, vcc_lo, s0
	s_wait_alu 0xfffe
	s_and_not1_b32 exec_lo, exec_lo, s0
	s_cbranch_execnz .LBB309_4
; %bb.7:
	s_or_b32 exec_lo, exec_lo, s0
.LBB309_8:
	s_delay_alu instid0(SALU_CYCLE_1)
	s_or_b32 exec_lo, exec_lo, s8
	v_mov_b32_e32 v3, 0
	global_store_b64 v3, v[1:2], s[2:3]
.LBB309_9:
	s_wait_alu 0xfffe
	s_or_b32 exec_lo, exec_lo, s7
.LBB309_10:
	s_delay_alu instid0(SALU_CYCLE_1)
	s_mov_b32 s0, exec_lo
	v_cmpx_gt_u32_e64 s6, v0
	s_cbranch_execz .LBB309_12
; %bb.11:
	v_dual_mov_b32 v2, 0 :: v_dual_add_nc_u32 v1, 32, v0
	s_delay_alu instid0(VALU_DEP_1) | instskip(SKIP_2) | instid1(VALU_DEP_3)
	v_lshlrev_b64_e32 v[4:5], 4, v[1:2]
	v_mov_b32_e32 v1, v2
	v_mov_b32_e32 v3, v2
	v_add_co_u32 v6, vcc_lo, s4, v4
	s_delay_alu instid0(VALU_DEP_1)
	v_add_co_ci_u32_e64 v7, null, s5, v5, vcc_lo
	v_mov_b32_e32 v4, v2
	global_store_b128 v[6:7], v[1:4], off
.LBB309_12:
	s_wait_alu 0xfffe
	s_or_b32 exec_lo, exec_lo, s0
	s_delay_alu instid0(SALU_CYCLE_1)
	s_mov_b32 s0, exec_lo
	v_cmpx_gt_u32_e32 32, v0
	s_cbranch_execz .LBB309_14
; %bb.13:
	v_dual_mov_b32 v1, 0 :: v_dual_mov_b32 v2, 0xff
	s_delay_alu instid0(VALU_DEP_1) | instskip(SKIP_1) | instid1(VALU_DEP_2)
	v_lshlrev_b64_e32 v[3:4], 4, v[0:1]
	v_mov_b32_e32 v0, v1
	v_add_co_u32 v5, vcc_lo, s4, v3
	s_wait_alu 0xfffd
	s_delay_alu instid0(VALU_DEP_3)
	v_add_co_ci_u32_e64 v6, null, s5, v4, vcc_lo
	v_mov_b32_e32 v3, v1
	global_store_b128 v[5:6], v[0:3], off
.LBB309_14:
	s_endpgm
	.section	.rodata,"a",@progbits
	.p2align	6, 0x0
	.amdhsa_kernel _ZN7rocprim17ROCPRIM_400000_NS6detail31init_lookback_scan_state_kernelINS1_19lookback_scan_stateIN3c107complexIfEELb1ELb1EEENS1_16block_id_wrapperIjLb0EEEEEvT_jT0_jPNSA_10value_typeE
		.amdhsa_group_segment_fixed_size 0
		.amdhsa_private_segment_fixed_size 0
		.amdhsa_kernarg_size 288
		.amdhsa_user_sgpr_count 2
		.amdhsa_user_sgpr_dispatch_ptr 0
		.amdhsa_user_sgpr_queue_ptr 0
		.amdhsa_user_sgpr_kernarg_segment_ptr 1
		.amdhsa_user_sgpr_dispatch_id 0
		.amdhsa_user_sgpr_private_segment_size 0
		.amdhsa_wavefront_size32 1
		.amdhsa_uses_dynamic_stack 0
		.amdhsa_enable_private_segment 0
		.amdhsa_system_sgpr_workgroup_id_x 1
		.amdhsa_system_sgpr_workgroup_id_y 0
		.amdhsa_system_sgpr_workgroup_id_z 0
		.amdhsa_system_sgpr_workgroup_info 0
		.amdhsa_system_vgpr_workitem_id 0
		.amdhsa_next_free_vgpr 8
		.amdhsa_next_free_sgpr 10
		.amdhsa_reserve_vcc 1
		.amdhsa_float_round_mode_32 0
		.amdhsa_float_round_mode_16_64 0
		.amdhsa_float_denorm_mode_32 3
		.amdhsa_float_denorm_mode_16_64 3
		.amdhsa_fp16_overflow 0
		.amdhsa_workgroup_processor_mode 1
		.amdhsa_memory_ordered 1
		.amdhsa_forward_progress 1
		.amdhsa_inst_pref_size 4
		.amdhsa_round_robin_scheduling 0
		.amdhsa_exception_fp_ieee_invalid_op 0
		.amdhsa_exception_fp_denorm_src 0
		.amdhsa_exception_fp_ieee_div_zero 0
		.amdhsa_exception_fp_ieee_overflow 0
		.amdhsa_exception_fp_ieee_underflow 0
		.amdhsa_exception_fp_ieee_inexact 0
		.amdhsa_exception_int_div_zero 0
	.end_amdhsa_kernel
	.section	.text._ZN7rocprim17ROCPRIM_400000_NS6detail31init_lookback_scan_state_kernelINS1_19lookback_scan_stateIN3c107complexIfEELb1ELb1EEENS1_16block_id_wrapperIjLb0EEEEEvT_jT0_jPNSA_10value_typeE,"axG",@progbits,_ZN7rocprim17ROCPRIM_400000_NS6detail31init_lookback_scan_state_kernelINS1_19lookback_scan_stateIN3c107complexIfEELb1ELb1EEENS1_16block_id_wrapperIjLb0EEEEEvT_jT0_jPNSA_10value_typeE,comdat
.Lfunc_end309:
	.size	_ZN7rocprim17ROCPRIM_400000_NS6detail31init_lookback_scan_state_kernelINS1_19lookback_scan_stateIN3c107complexIfEELb1ELb1EEENS1_16block_id_wrapperIjLb0EEEEEvT_jT0_jPNSA_10value_typeE, .Lfunc_end309-_ZN7rocprim17ROCPRIM_400000_NS6detail31init_lookback_scan_state_kernelINS1_19lookback_scan_stateIN3c107complexIfEELb1ELb1EEENS1_16block_id_wrapperIjLb0EEEEEvT_jT0_jPNSA_10value_typeE
                                        ; -- End function
	.set _ZN7rocprim17ROCPRIM_400000_NS6detail31init_lookback_scan_state_kernelINS1_19lookback_scan_stateIN3c107complexIfEELb1ELb1EEENS1_16block_id_wrapperIjLb0EEEEEvT_jT0_jPNSA_10value_typeE.num_vgpr, 8
	.set _ZN7rocprim17ROCPRIM_400000_NS6detail31init_lookback_scan_state_kernelINS1_19lookback_scan_stateIN3c107complexIfEELb1ELb1EEENS1_16block_id_wrapperIjLb0EEEEEvT_jT0_jPNSA_10value_typeE.num_agpr, 0
	.set _ZN7rocprim17ROCPRIM_400000_NS6detail31init_lookback_scan_state_kernelINS1_19lookback_scan_stateIN3c107complexIfEELb1ELb1EEENS1_16block_id_wrapperIjLb0EEEEEvT_jT0_jPNSA_10value_typeE.numbered_sgpr, 10
	.set _ZN7rocprim17ROCPRIM_400000_NS6detail31init_lookback_scan_state_kernelINS1_19lookback_scan_stateIN3c107complexIfEELb1ELb1EEENS1_16block_id_wrapperIjLb0EEEEEvT_jT0_jPNSA_10value_typeE.num_named_barrier, 0
	.set _ZN7rocprim17ROCPRIM_400000_NS6detail31init_lookback_scan_state_kernelINS1_19lookback_scan_stateIN3c107complexIfEELb1ELb1EEENS1_16block_id_wrapperIjLb0EEEEEvT_jT0_jPNSA_10value_typeE.private_seg_size, 0
	.set _ZN7rocprim17ROCPRIM_400000_NS6detail31init_lookback_scan_state_kernelINS1_19lookback_scan_stateIN3c107complexIfEELb1ELb1EEENS1_16block_id_wrapperIjLb0EEEEEvT_jT0_jPNSA_10value_typeE.uses_vcc, 1
	.set _ZN7rocprim17ROCPRIM_400000_NS6detail31init_lookback_scan_state_kernelINS1_19lookback_scan_stateIN3c107complexIfEELb1ELb1EEENS1_16block_id_wrapperIjLb0EEEEEvT_jT0_jPNSA_10value_typeE.uses_flat_scratch, 0
	.set _ZN7rocprim17ROCPRIM_400000_NS6detail31init_lookback_scan_state_kernelINS1_19lookback_scan_stateIN3c107complexIfEELb1ELb1EEENS1_16block_id_wrapperIjLb0EEEEEvT_jT0_jPNSA_10value_typeE.has_dyn_sized_stack, 0
	.set _ZN7rocprim17ROCPRIM_400000_NS6detail31init_lookback_scan_state_kernelINS1_19lookback_scan_stateIN3c107complexIfEELb1ELb1EEENS1_16block_id_wrapperIjLb0EEEEEvT_jT0_jPNSA_10value_typeE.has_recursion, 0
	.set _ZN7rocprim17ROCPRIM_400000_NS6detail31init_lookback_scan_state_kernelINS1_19lookback_scan_stateIN3c107complexIfEELb1ELb1EEENS1_16block_id_wrapperIjLb0EEEEEvT_jT0_jPNSA_10value_typeE.has_indirect_call, 0
	.section	.AMDGPU.csdata,"",@progbits
; Kernel info:
; codeLenInByte = 456
; TotalNumSgprs: 12
; NumVgprs: 8
; ScratchSize: 0
; MemoryBound: 0
; FloatMode: 240
; IeeeMode: 1
; LDSByteSize: 0 bytes/workgroup (compile time only)
; SGPRBlocks: 0
; VGPRBlocks: 0
; NumSGPRsForWavesPerEU: 12
; NumVGPRsForWavesPerEU: 8
; Occupancy: 16
; WaveLimiterHint : 0
; COMPUTE_PGM_RSRC2:SCRATCH_EN: 0
; COMPUTE_PGM_RSRC2:USER_SGPR: 2
; COMPUTE_PGM_RSRC2:TRAP_HANDLER: 0
; COMPUTE_PGM_RSRC2:TGID_X_EN: 1
; COMPUTE_PGM_RSRC2:TGID_Y_EN: 0
; COMPUTE_PGM_RSRC2:TGID_Z_EN: 0
; COMPUTE_PGM_RSRC2:TIDIG_COMP_CNT: 0
	.section	.text._ZN7rocprim17ROCPRIM_400000_NS6detail17trampoline_kernelINS0_14default_configENS1_20scan_config_selectorIN3c107complexIfEEEEZZNS1_9scan_implILNS1_25lookback_scan_determinismE0ELb0ELb0ES3_PKS7_PS7_S7_ZZZN2at6native31launch_logcumsumexp_cuda_kernelERKNSE_10TensorBaseESI_lENKUlvE_clEvENKUlvE2_clEvEUlS7_S7_E_S7_EEDaPvRmT3_T4_T5_mT6_P12ihipStream_tbENKUlT_T0_E_clISt17integral_constantIbLb1EESY_IbLb0EEEEDaSU_SV_EUlSU_E_NS1_11comp_targetILNS1_3genE0ELNS1_11target_archE4294967295ELNS1_3gpuE0ELNS1_3repE0EEENS1_30default_config_static_selectorELNS0_4arch9wavefront6targetE0EEEvT1_,"axG",@progbits,_ZN7rocprim17ROCPRIM_400000_NS6detail17trampoline_kernelINS0_14default_configENS1_20scan_config_selectorIN3c107complexIfEEEEZZNS1_9scan_implILNS1_25lookback_scan_determinismE0ELb0ELb0ES3_PKS7_PS7_S7_ZZZN2at6native31launch_logcumsumexp_cuda_kernelERKNSE_10TensorBaseESI_lENKUlvE_clEvENKUlvE2_clEvEUlS7_S7_E_S7_EEDaPvRmT3_T4_T5_mT6_P12ihipStream_tbENKUlT_T0_E_clISt17integral_constantIbLb1EESY_IbLb0EEEEDaSU_SV_EUlSU_E_NS1_11comp_targetILNS1_3genE0ELNS1_11target_archE4294967295ELNS1_3gpuE0ELNS1_3repE0EEENS1_30default_config_static_selectorELNS0_4arch9wavefront6targetE0EEEvT1_,comdat
	.globl	_ZN7rocprim17ROCPRIM_400000_NS6detail17trampoline_kernelINS0_14default_configENS1_20scan_config_selectorIN3c107complexIfEEEEZZNS1_9scan_implILNS1_25lookback_scan_determinismE0ELb0ELb0ES3_PKS7_PS7_S7_ZZZN2at6native31launch_logcumsumexp_cuda_kernelERKNSE_10TensorBaseESI_lENKUlvE_clEvENKUlvE2_clEvEUlS7_S7_E_S7_EEDaPvRmT3_T4_T5_mT6_P12ihipStream_tbENKUlT_T0_E_clISt17integral_constantIbLb1EESY_IbLb0EEEEDaSU_SV_EUlSU_E_NS1_11comp_targetILNS1_3genE0ELNS1_11target_archE4294967295ELNS1_3gpuE0ELNS1_3repE0EEENS1_30default_config_static_selectorELNS0_4arch9wavefront6targetE0EEEvT1_ ; -- Begin function _ZN7rocprim17ROCPRIM_400000_NS6detail17trampoline_kernelINS0_14default_configENS1_20scan_config_selectorIN3c107complexIfEEEEZZNS1_9scan_implILNS1_25lookback_scan_determinismE0ELb0ELb0ES3_PKS7_PS7_S7_ZZZN2at6native31launch_logcumsumexp_cuda_kernelERKNSE_10TensorBaseESI_lENKUlvE_clEvENKUlvE2_clEvEUlS7_S7_E_S7_EEDaPvRmT3_T4_T5_mT6_P12ihipStream_tbENKUlT_T0_E_clISt17integral_constantIbLb1EESY_IbLb0EEEEDaSU_SV_EUlSU_E_NS1_11comp_targetILNS1_3genE0ELNS1_11target_archE4294967295ELNS1_3gpuE0ELNS1_3repE0EEENS1_30default_config_static_selectorELNS0_4arch9wavefront6targetE0EEEvT1_
	.p2align	8
	.type	_ZN7rocprim17ROCPRIM_400000_NS6detail17trampoline_kernelINS0_14default_configENS1_20scan_config_selectorIN3c107complexIfEEEEZZNS1_9scan_implILNS1_25lookback_scan_determinismE0ELb0ELb0ES3_PKS7_PS7_S7_ZZZN2at6native31launch_logcumsumexp_cuda_kernelERKNSE_10TensorBaseESI_lENKUlvE_clEvENKUlvE2_clEvEUlS7_S7_E_S7_EEDaPvRmT3_T4_T5_mT6_P12ihipStream_tbENKUlT_T0_E_clISt17integral_constantIbLb1EESY_IbLb0EEEEDaSU_SV_EUlSU_E_NS1_11comp_targetILNS1_3genE0ELNS1_11target_archE4294967295ELNS1_3gpuE0ELNS1_3repE0EEENS1_30default_config_static_selectorELNS0_4arch9wavefront6targetE0EEEvT1_,@function
_ZN7rocprim17ROCPRIM_400000_NS6detail17trampoline_kernelINS0_14default_configENS1_20scan_config_selectorIN3c107complexIfEEEEZZNS1_9scan_implILNS1_25lookback_scan_determinismE0ELb0ELb0ES3_PKS7_PS7_S7_ZZZN2at6native31launch_logcumsumexp_cuda_kernelERKNSE_10TensorBaseESI_lENKUlvE_clEvENKUlvE2_clEvEUlS7_S7_E_S7_EEDaPvRmT3_T4_T5_mT6_P12ihipStream_tbENKUlT_T0_E_clISt17integral_constantIbLb1EESY_IbLb0EEEEDaSU_SV_EUlSU_E_NS1_11comp_targetILNS1_3genE0ELNS1_11target_archE4294967295ELNS1_3gpuE0ELNS1_3repE0EEENS1_30default_config_static_selectorELNS0_4arch9wavefront6targetE0EEEvT1_: ; @_ZN7rocprim17ROCPRIM_400000_NS6detail17trampoline_kernelINS0_14default_configENS1_20scan_config_selectorIN3c107complexIfEEEEZZNS1_9scan_implILNS1_25lookback_scan_determinismE0ELb0ELb0ES3_PKS7_PS7_S7_ZZZN2at6native31launch_logcumsumexp_cuda_kernelERKNSE_10TensorBaseESI_lENKUlvE_clEvENKUlvE2_clEvEUlS7_S7_E_S7_EEDaPvRmT3_T4_T5_mT6_P12ihipStream_tbENKUlT_T0_E_clISt17integral_constantIbLb1EESY_IbLb0EEEEDaSU_SV_EUlSU_E_NS1_11comp_targetILNS1_3genE0ELNS1_11target_archE4294967295ELNS1_3gpuE0ELNS1_3repE0EEENS1_30default_config_static_selectorELNS0_4arch9wavefront6targetE0EEEvT1_
; %bb.0:
	.section	.rodata,"a",@progbits
	.p2align	6, 0x0
	.amdhsa_kernel _ZN7rocprim17ROCPRIM_400000_NS6detail17trampoline_kernelINS0_14default_configENS1_20scan_config_selectorIN3c107complexIfEEEEZZNS1_9scan_implILNS1_25lookback_scan_determinismE0ELb0ELb0ES3_PKS7_PS7_S7_ZZZN2at6native31launch_logcumsumexp_cuda_kernelERKNSE_10TensorBaseESI_lENKUlvE_clEvENKUlvE2_clEvEUlS7_S7_E_S7_EEDaPvRmT3_T4_T5_mT6_P12ihipStream_tbENKUlT_T0_E_clISt17integral_constantIbLb1EESY_IbLb0EEEEDaSU_SV_EUlSU_E_NS1_11comp_targetILNS1_3genE0ELNS1_11target_archE4294967295ELNS1_3gpuE0ELNS1_3repE0EEENS1_30default_config_static_selectorELNS0_4arch9wavefront6targetE0EEEvT1_
		.amdhsa_group_segment_fixed_size 0
		.amdhsa_private_segment_fixed_size 0
		.amdhsa_kernarg_size 104
		.amdhsa_user_sgpr_count 2
		.amdhsa_user_sgpr_dispatch_ptr 0
		.amdhsa_user_sgpr_queue_ptr 0
		.amdhsa_user_sgpr_kernarg_segment_ptr 1
		.amdhsa_user_sgpr_dispatch_id 0
		.amdhsa_user_sgpr_private_segment_size 0
		.amdhsa_wavefront_size32 1
		.amdhsa_uses_dynamic_stack 0
		.amdhsa_enable_private_segment 0
		.amdhsa_system_sgpr_workgroup_id_x 1
		.amdhsa_system_sgpr_workgroup_id_y 0
		.amdhsa_system_sgpr_workgroup_id_z 0
		.amdhsa_system_sgpr_workgroup_info 0
		.amdhsa_system_vgpr_workitem_id 0
		.amdhsa_next_free_vgpr 1
		.amdhsa_next_free_sgpr 1
		.amdhsa_reserve_vcc 0
		.amdhsa_float_round_mode_32 0
		.amdhsa_float_round_mode_16_64 0
		.amdhsa_float_denorm_mode_32 3
		.amdhsa_float_denorm_mode_16_64 3
		.amdhsa_fp16_overflow 0
		.amdhsa_workgroup_processor_mode 1
		.amdhsa_memory_ordered 1
		.amdhsa_forward_progress 1
		.amdhsa_inst_pref_size 0
		.amdhsa_round_robin_scheduling 0
		.amdhsa_exception_fp_ieee_invalid_op 0
		.amdhsa_exception_fp_denorm_src 0
		.amdhsa_exception_fp_ieee_div_zero 0
		.amdhsa_exception_fp_ieee_overflow 0
		.amdhsa_exception_fp_ieee_underflow 0
		.amdhsa_exception_fp_ieee_inexact 0
		.amdhsa_exception_int_div_zero 0
	.end_amdhsa_kernel
	.section	.text._ZN7rocprim17ROCPRIM_400000_NS6detail17trampoline_kernelINS0_14default_configENS1_20scan_config_selectorIN3c107complexIfEEEEZZNS1_9scan_implILNS1_25lookback_scan_determinismE0ELb0ELb0ES3_PKS7_PS7_S7_ZZZN2at6native31launch_logcumsumexp_cuda_kernelERKNSE_10TensorBaseESI_lENKUlvE_clEvENKUlvE2_clEvEUlS7_S7_E_S7_EEDaPvRmT3_T4_T5_mT6_P12ihipStream_tbENKUlT_T0_E_clISt17integral_constantIbLb1EESY_IbLb0EEEEDaSU_SV_EUlSU_E_NS1_11comp_targetILNS1_3genE0ELNS1_11target_archE4294967295ELNS1_3gpuE0ELNS1_3repE0EEENS1_30default_config_static_selectorELNS0_4arch9wavefront6targetE0EEEvT1_,"axG",@progbits,_ZN7rocprim17ROCPRIM_400000_NS6detail17trampoline_kernelINS0_14default_configENS1_20scan_config_selectorIN3c107complexIfEEEEZZNS1_9scan_implILNS1_25lookback_scan_determinismE0ELb0ELb0ES3_PKS7_PS7_S7_ZZZN2at6native31launch_logcumsumexp_cuda_kernelERKNSE_10TensorBaseESI_lENKUlvE_clEvENKUlvE2_clEvEUlS7_S7_E_S7_EEDaPvRmT3_T4_T5_mT6_P12ihipStream_tbENKUlT_T0_E_clISt17integral_constantIbLb1EESY_IbLb0EEEEDaSU_SV_EUlSU_E_NS1_11comp_targetILNS1_3genE0ELNS1_11target_archE4294967295ELNS1_3gpuE0ELNS1_3repE0EEENS1_30default_config_static_selectorELNS0_4arch9wavefront6targetE0EEEvT1_,comdat
.Lfunc_end310:
	.size	_ZN7rocprim17ROCPRIM_400000_NS6detail17trampoline_kernelINS0_14default_configENS1_20scan_config_selectorIN3c107complexIfEEEEZZNS1_9scan_implILNS1_25lookback_scan_determinismE0ELb0ELb0ES3_PKS7_PS7_S7_ZZZN2at6native31launch_logcumsumexp_cuda_kernelERKNSE_10TensorBaseESI_lENKUlvE_clEvENKUlvE2_clEvEUlS7_S7_E_S7_EEDaPvRmT3_T4_T5_mT6_P12ihipStream_tbENKUlT_T0_E_clISt17integral_constantIbLb1EESY_IbLb0EEEEDaSU_SV_EUlSU_E_NS1_11comp_targetILNS1_3genE0ELNS1_11target_archE4294967295ELNS1_3gpuE0ELNS1_3repE0EEENS1_30default_config_static_selectorELNS0_4arch9wavefront6targetE0EEEvT1_, .Lfunc_end310-_ZN7rocprim17ROCPRIM_400000_NS6detail17trampoline_kernelINS0_14default_configENS1_20scan_config_selectorIN3c107complexIfEEEEZZNS1_9scan_implILNS1_25lookback_scan_determinismE0ELb0ELb0ES3_PKS7_PS7_S7_ZZZN2at6native31launch_logcumsumexp_cuda_kernelERKNSE_10TensorBaseESI_lENKUlvE_clEvENKUlvE2_clEvEUlS7_S7_E_S7_EEDaPvRmT3_T4_T5_mT6_P12ihipStream_tbENKUlT_T0_E_clISt17integral_constantIbLb1EESY_IbLb0EEEEDaSU_SV_EUlSU_E_NS1_11comp_targetILNS1_3genE0ELNS1_11target_archE4294967295ELNS1_3gpuE0ELNS1_3repE0EEENS1_30default_config_static_selectorELNS0_4arch9wavefront6targetE0EEEvT1_
                                        ; -- End function
	.set _ZN7rocprim17ROCPRIM_400000_NS6detail17trampoline_kernelINS0_14default_configENS1_20scan_config_selectorIN3c107complexIfEEEEZZNS1_9scan_implILNS1_25lookback_scan_determinismE0ELb0ELb0ES3_PKS7_PS7_S7_ZZZN2at6native31launch_logcumsumexp_cuda_kernelERKNSE_10TensorBaseESI_lENKUlvE_clEvENKUlvE2_clEvEUlS7_S7_E_S7_EEDaPvRmT3_T4_T5_mT6_P12ihipStream_tbENKUlT_T0_E_clISt17integral_constantIbLb1EESY_IbLb0EEEEDaSU_SV_EUlSU_E_NS1_11comp_targetILNS1_3genE0ELNS1_11target_archE4294967295ELNS1_3gpuE0ELNS1_3repE0EEENS1_30default_config_static_selectorELNS0_4arch9wavefront6targetE0EEEvT1_.num_vgpr, 0
	.set _ZN7rocprim17ROCPRIM_400000_NS6detail17trampoline_kernelINS0_14default_configENS1_20scan_config_selectorIN3c107complexIfEEEEZZNS1_9scan_implILNS1_25lookback_scan_determinismE0ELb0ELb0ES3_PKS7_PS7_S7_ZZZN2at6native31launch_logcumsumexp_cuda_kernelERKNSE_10TensorBaseESI_lENKUlvE_clEvENKUlvE2_clEvEUlS7_S7_E_S7_EEDaPvRmT3_T4_T5_mT6_P12ihipStream_tbENKUlT_T0_E_clISt17integral_constantIbLb1EESY_IbLb0EEEEDaSU_SV_EUlSU_E_NS1_11comp_targetILNS1_3genE0ELNS1_11target_archE4294967295ELNS1_3gpuE0ELNS1_3repE0EEENS1_30default_config_static_selectorELNS0_4arch9wavefront6targetE0EEEvT1_.num_agpr, 0
	.set _ZN7rocprim17ROCPRIM_400000_NS6detail17trampoline_kernelINS0_14default_configENS1_20scan_config_selectorIN3c107complexIfEEEEZZNS1_9scan_implILNS1_25lookback_scan_determinismE0ELb0ELb0ES3_PKS7_PS7_S7_ZZZN2at6native31launch_logcumsumexp_cuda_kernelERKNSE_10TensorBaseESI_lENKUlvE_clEvENKUlvE2_clEvEUlS7_S7_E_S7_EEDaPvRmT3_T4_T5_mT6_P12ihipStream_tbENKUlT_T0_E_clISt17integral_constantIbLb1EESY_IbLb0EEEEDaSU_SV_EUlSU_E_NS1_11comp_targetILNS1_3genE0ELNS1_11target_archE4294967295ELNS1_3gpuE0ELNS1_3repE0EEENS1_30default_config_static_selectorELNS0_4arch9wavefront6targetE0EEEvT1_.numbered_sgpr, 0
	.set _ZN7rocprim17ROCPRIM_400000_NS6detail17trampoline_kernelINS0_14default_configENS1_20scan_config_selectorIN3c107complexIfEEEEZZNS1_9scan_implILNS1_25lookback_scan_determinismE0ELb0ELb0ES3_PKS7_PS7_S7_ZZZN2at6native31launch_logcumsumexp_cuda_kernelERKNSE_10TensorBaseESI_lENKUlvE_clEvENKUlvE2_clEvEUlS7_S7_E_S7_EEDaPvRmT3_T4_T5_mT6_P12ihipStream_tbENKUlT_T0_E_clISt17integral_constantIbLb1EESY_IbLb0EEEEDaSU_SV_EUlSU_E_NS1_11comp_targetILNS1_3genE0ELNS1_11target_archE4294967295ELNS1_3gpuE0ELNS1_3repE0EEENS1_30default_config_static_selectorELNS0_4arch9wavefront6targetE0EEEvT1_.num_named_barrier, 0
	.set _ZN7rocprim17ROCPRIM_400000_NS6detail17trampoline_kernelINS0_14default_configENS1_20scan_config_selectorIN3c107complexIfEEEEZZNS1_9scan_implILNS1_25lookback_scan_determinismE0ELb0ELb0ES3_PKS7_PS7_S7_ZZZN2at6native31launch_logcumsumexp_cuda_kernelERKNSE_10TensorBaseESI_lENKUlvE_clEvENKUlvE2_clEvEUlS7_S7_E_S7_EEDaPvRmT3_T4_T5_mT6_P12ihipStream_tbENKUlT_T0_E_clISt17integral_constantIbLb1EESY_IbLb0EEEEDaSU_SV_EUlSU_E_NS1_11comp_targetILNS1_3genE0ELNS1_11target_archE4294967295ELNS1_3gpuE0ELNS1_3repE0EEENS1_30default_config_static_selectorELNS0_4arch9wavefront6targetE0EEEvT1_.private_seg_size, 0
	.set _ZN7rocprim17ROCPRIM_400000_NS6detail17trampoline_kernelINS0_14default_configENS1_20scan_config_selectorIN3c107complexIfEEEEZZNS1_9scan_implILNS1_25lookback_scan_determinismE0ELb0ELb0ES3_PKS7_PS7_S7_ZZZN2at6native31launch_logcumsumexp_cuda_kernelERKNSE_10TensorBaseESI_lENKUlvE_clEvENKUlvE2_clEvEUlS7_S7_E_S7_EEDaPvRmT3_T4_T5_mT6_P12ihipStream_tbENKUlT_T0_E_clISt17integral_constantIbLb1EESY_IbLb0EEEEDaSU_SV_EUlSU_E_NS1_11comp_targetILNS1_3genE0ELNS1_11target_archE4294967295ELNS1_3gpuE0ELNS1_3repE0EEENS1_30default_config_static_selectorELNS0_4arch9wavefront6targetE0EEEvT1_.uses_vcc, 0
	.set _ZN7rocprim17ROCPRIM_400000_NS6detail17trampoline_kernelINS0_14default_configENS1_20scan_config_selectorIN3c107complexIfEEEEZZNS1_9scan_implILNS1_25lookback_scan_determinismE0ELb0ELb0ES3_PKS7_PS7_S7_ZZZN2at6native31launch_logcumsumexp_cuda_kernelERKNSE_10TensorBaseESI_lENKUlvE_clEvENKUlvE2_clEvEUlS7_S7_E_S7_EEDaPvRmT3_T4_T5_mT6_P12ihipStream_tbENKUlT_T0_E_clISt17integral_constantIbLb1EESY_IbLb0EEEEDaSU_SV_EUlSU_E_NS1_11comp_targetILNS1_3genE0ELNS1_11target_archE4294967295ELNS1_3gpuE0ELNS1_3repE0EEENS1_30default_config_static_selectorELNS0_4arch9wavefront6targetE0EEEvT1_.uses_flat_scratch, 0
	.set _ZN7rocprim17ROCPRIM_400000_NS6detail17trampoline_kernelINS0_14default_configENS1_20scan_config_selectorIN3c107complexIfEEEEZZNS1_9scan_implILNS1_25lookback_scan_determinismE0ELb0ELb0ES3_PKS7_PS7_S7_ZZZN2at6native31launch_logcumsumexp_cuda_kernelERKNSE_10TensorBaseESI_lENKUlvE_clEvENKUlvE2_clEvEUlS7_S7_E_S7_EEDaPvRmT3_T4_T5_mT6_P12ihipStream_tbENKUlT_T0_E_clISt17integral_constantIbLb1EESY_IbLb0EEEEDaSU_SV_EUlSU_E_NS1_11comp_targetILNS1_3genE0ELNS1_11target_archE4294967295ELNS1_3gpuE0ELNS1_3repE0EEENS1_30default_config_static_selectorELNS0_4arch9wavefront6targetE0EEEvT1_.has_dyn_sized_stack, 0
	.set _ZN7rocprim17ROCPRIM_400000_NS6detail17trampoline_kernelINS0_14default_configENS1_20scan_config_selectorIN3c107complexIfEEEEZZNS1_9scan_implILNS1_25lookback_scan_determinismE0ELb0ELb0ES3_PKS7_PS7_S7_ZZZN2at6native31launch_logcumsumexp_cuda_kernelERKNSE_10TensorBaseESI_lENKUlvE_clEvENKUlvE2_clEvEUlS7_S7_E_S7_EEDaPvRmT3_T4_T5_mT6_P12ihipStream_tbENKUlT_T0_E_clISt17integral_constantIbLb1EESY_IbLb0EEEEDaSU_SV_EUlSU_E_NS1_11comp_targetILNS1_3genE0ELNS1_11target_archE4294967295ELNS1_3gpuE0ELNS1_3repE0EEENS1_30default_config_static_selectorELNS0_4arch9wavefront6targetE0EEEvT1_.has_recursion, 0
	.set _ZN7rocprim17ROCPRIM_400000_NS6detail17trampoline_kernelINS0_14default_configENS1_20scan_config_selectorIN3c107complexIfEEEEZZNS1_9scan_implILNS1_25lookback_scan_determinismE0ELb0ELb0ES3_PKS7_PS7_S7_ZZZN2at6native31launch_logcumsumexp_cuda_kernelERKNSE_10TensorBaseESI_lENKUlvE_clEvENKUlvE2_clEvEUlS7_S7_E_S7_EEDaPvRmT3_T4_T5_mT6_P12ihipStream_tbENKUlT_T0_E_clISt17integral_constantIbLb1EESY_IbLb0EEEEDaSU_SV_EUlSU_E_NS1_11comp_targetILNS1_3genE0ELNS1_11target_archE4294967295ELNS1_3gpuE0ELNS1_3repE0EEENS1_30default_config_static_selectorELNS0_4arch9wavefront6targetE0EEEvT1_.has_indirect_call, 0
	.section	.AMDGPU.csdata,"",@progbits
; Kernel info:
; codeLenInByte = 0
; TotalNumSgprs: 0
; NumVgprs: 0
; ScratchSize: 0
; MemoryBound: 0
; FloatMode: 240
; IeeeMode: 1
; LDSByteSize: 0 bytes/workgroup (compile time only)
; SGPRBlocks: 0
; VGPRBlocks: 0
; NumSGPRsForWavesPerEU: 1
; NumVGPRsForWavesPerEU: 1
; Occupancy: 16
; WaveLimiterHint : 0
; COMPUTE_PGM_RSRC2:SCRATCH_EN: 0
; COMPUTE_PGM_RSRC2:USER_SGPR: 2
; COMPUTE_PGM_RSRC2:TRAP_HANDLER: 0
; COMPUTE_PGM_RSRC2:TGID_X_EN: 1
; COMPUTE_PGM_RSRC2:TGID_Y_EN: 0
; COMPUTE_PGM_RSRC2:TGID_Z_EN: 0
; COMPUTE_PGM_RSRC2:TIDIG_COMP_CNT: 0
	.section	.text._ZN7rocprim17ROCPRIM_400000_NS6detail17trampoline_kernelINS0_14default_configENS1_20scan_config_selectorIN3c107complexIfEEEEZZNS1_9scan_implILNS1_25lookback_scan_determinismE0ELb0ELb0ES3_PKS7_PS7_S7_ZZZN2at6native31launch_logcumsumexp_cuda_kernelERKNSE_10TensorBaseESI_lENKUlvE_clEvENKUlvE2_clEvEUlS7_S7_E_S7_EEDaPvRmT3_T4_T5_mT6_P12ihipStream_tbENKUlT_T0_E_clISt17integral_constantIbLb1EESY_IbLb0EEEEDaSU_SV_EUlSU_E_NS1_11comp_targetILNS1_3genE5ELNS1_11target_archE942ELNS1_3gpuE9ELNS1_3repE0EEENS1_30default_config_static_selectorELNS0_4arch9wavefront6targetE0EEEvT1_,"axG",@progbits,_ZN7rocprim17ROCPRIM_400000_NS6detail17trampoline_kernelINS0_14default_configENS1_20scan_config_selectorIN3c107complexIfEEEEZZNS1_9scan_implILNS1_25lookback_scan_determinismE0ELb0ELb0ES3_PKS7_PS7_S7_ZZZN2at6native31launch_logcumsumexp_cuda_kernelERKNSE_10TensorBaseESI_lENKUlvE_clEvENKUlvE2_clEvEUlS7_S7_E_S7_EEDaPvRmT3_T4_T5_mT6_P12ihipStream_tbENKUlT_T0_E_clISt17integral_constantIbLb1EESY_IbLb0EEEEDaSU_SV_EUlSU_E_NS1_11comp_targetILNS1_3genE5ELNS1_11target_archE942ELNS1_3gpuE9ELNS1_3repE0EEENS1_30default_config_static_selectorELNS0_4arch9wavefront6targetE0EEEvT1_,comdat
	.globl	_ZN7rocprim17ROCPRIM_400000_NS6detail17trampoline_kernelINS0_14default_configENS1_20scan_config_selectorIN3c107complexIfEEEEZZNS1_9scan_implILNS1_25lookback_scan_determinismE0ELb0ELb0ES3_PKS7_PS7_S7_ZZZN2at6native31launch_logcumsumexp_cuda_kernelERKNSE_10TensorBaseESI_lENKUlvE_clEvENKUlvE2_clEvEUlS7_S7_E_S7_EEDaPvRmT3_T4_T5_mT6_P12ihipStream_tbENKUlT_T0_E_clISt17integral_constantIbLb1EESY_IbLb0EEEEDaSU_SV_EUlSU_E_NS1_11comp_targetILNS1_3genE5ELNS1_11target_archE942ELNS1_3gpuE9ELNS1_3repE0EEENS1_30default_config_static_selectorELNS0_4arch9wavefront6targetE0EEEvT1_ ; -- Begin function _ZN7rocprim17ROCPRIM_400000_NS6detail17trampoline_kernelINS0_14default_configENS1_20scan_config_selectorIN3c107complexIfEEEEZZNS1_9scan_implILNS1_25lookback_scan_determinismE0ELb0ELb0ES3_PKS7_PS7_S7_ZZZN2at6native31launch_logcumsumexp_cuda_kernelERKNSE_10TensorBaseESI_lENKUlvE_clEvENKUlvE2_clEvEUlS7_S7_E_S7_EEDaPvRmT3_T4_T5_mT6_P12ihipStream_tbENKUlT_T0_E_clISt17integral_constantIbLb1EESY_IbLb0EEEEDaSU_SV_EUlSU_E_NS1_11comp_targetILNS1_3genE5ELNS1_11target_archE942ELNS1_3gpuE9ELNS1_3repE0EEENS1_30default_config_static_selectorELNS0_4arch9wavefront6targetE0EEEvT1_
	.p2align	8
	.type	_ZN7rocprim17ROCPRIM_400000_NS6detail17trampoline_kernelINS0_14default_configENS1_20scan_config_selectorIN3c107complexIfEEEEZZNS1_9scan_implILNS1_25lookback_scan_determinismE0ELb0ELb0ES3_PKS7_PS7_S7_ZZZN2at6native31launch_logcumsumexp_cuda_kernelERKNSE_10TensorBaseESI_lENKUlvE_clEvENKUlvE2_clEvEUlS7_S7_E_S7_EEDaPvRmT3_T4_T5_mT6_P12ihipStream_tbENKUlT_T0_E_clISt17integral_constantIbLb1EESY_IbLb0EEEEDaSU_SV_EUlSU_E_NS1_11comp_targetILNS1_3genE5ELNS1_11target_archE942ELNS1_3gpuE9ELNS1_3repE0EEENS1_30default_config_static_selectorELNS0_4arch9wavefront6targetE0EEEvT1_,@function
_ZN7rocprim17ROCPRIM_400000_NS6detail17trampoline_kernelINS0_14default_configENS1_20scan_config_selectorIN3c107complexIfEEEEZZNS1_9scan_implILNS1_25lookback_scan_determinismE0ELb0ELb0ES3_PKS7_PS7_S7_ZZZN2at6native31launch_logcumsumexp_cuda_kernelERKNSE_10TensorBaseESI_lENKUlvE_clEvENKUlvE2_clEvEUlS7_S7_E_S7_EEDaPvRmT3_T4_T5_mT6_P12ihipStream_tbENKUlT_T0_E_clISt17integral_constantIbLb1EESY_IbLb0EEEEDaSU_SV_EUlSU_E_NS1_11comp_targetILNS1_3genE5ELNS1_11target_archE942ELNS1_3gpuE9ELNS1_3repE0EEENS1_30default_config_static_selectorELNS0_4arch9wavefront6targetE0EEEvT1_: ; @_ZN7rocprim17ROCPRIM_400000_NS6detail17trampoline_kernelINS0_14default_configENS1_20scan_config_selectorIN3c107complexIfEEEEZZNS1_9scan_implILNS1_25lookback_scan_determinismE0ELb0ELb0ES3_PKS7_PS7_S7_ZZZN2at6native31launch_logcumsumexp_cuda_kernelERKNSE_10TensorBaseESI_lENKUlvE_clEvENKUlvE2_clEvEUlS7_S7_E_S7_EEDaPvRmT3_T4_T5_mT6_P12ihipStream_tbENKUlT_T0_E_clISt17integral_constantIbLb1EESY_IbLb0EEEEDaSU_SV_EUlSU_E_NS1_11comp_targetILNS1_3genE5ELNS1_11target_archE942ELNS1_3gpuE9ELNS1_3repE0EEENS1_30default_config_static_selectorELNS0_4arch9wavefront6targetE0EEEvT1_
; %bb.0:
	.section	.rodata,"a",@progbits
	.p2align	6, 0x0
	.amdhsa_kernel _ZN7rocprim17ROCPRIM_400000_NS6detail17trampoline_kernelINS0_14default_configENS1_20scan_config_selectorIN3c107complexIfEEEEZZNS1_9scan_implILNS1_25lookback_scan_determinismE0ELb0ELb0ES3_PKS7_PS7_S7_ZZZN2at6native31launch_logcumsumexp_cuda_kernelERKNSE_10TensorBaseESI_lENKUlvE_clEvENKUlvE2_clEvEUlS7_S7_E_S7_EEDaPvRmT3_T4_T5_mT6_P12ihipStream_tbENKUlT_T0_E_clISt17integral_constantIbLb1EESY_IbLb0EEEEDaSU_SV_EUlSU_E_NS1_11comp_targetILNS1_3genE5ELNS1_11target_archE942ELNS1_3gpuE9ELNS1_3repE0EEENS1_30default_config_static_selectorELNS0_4arch9wavefront6targetE0EEEvT1_
		.amdhsa_group_segment_fixed_size 0
		.amdhsa_private_segment_fixed_size 0
		.amdhsa_kernarg_size 104
		.amdhsa_user_sgpr_count 2
		.amdhsa_user_sgpr_dispatch_ptr 0
		.amdhsa_user_sgpr_queue_ptr 0
		.amdhsa_user_sgpr_kernarg_segment_ptr 1
		.amdhsa_user_sgpr_dispatch_id 0
		.amdhsa_user_sgpr_private_segment_size 0
		.amdhsa_wavefront_size32 1
		.amdhsa_uses_dynamic_stack 0
		.amdhsa_enable_private_segment 0
		.amdhsa_system_sgpr_workgroup_id_x 1
		.amdhsa_system_sgpr_workgroup_id_y 0
		.amdhsa_system_sgpr_workgroup_id_z 0
		.amdhsa_system_sgpr_workgroup_info 0
		.amdhsa_system_vgpr_workitem_id 0
		.amdhsa_next_free_vgpr 1
		.amdhsa_next_free_sgpr 1
		.amdhsa_reserve_vcc 0
		.amdhsa_float_round_mode_32 0
		.amdhsa_float_round_mode_16_64 0
		.amdhsa_float_denorm_mode_32 3
		.amdhsa_float_denorm_mode_16_64 3
		.amdhsa_fp16_overflow 0
		.amdhsa_workgroup_processor_mode 1
		.amdhsa_memory_ordered 1
		.amdhsa_forward_progress 1
		.amdhsa_inst_pref_size 0
		.amdhsa_round_robin_scheduling 0
		.amdhsa_exception_fp_ieee_invalid_op 0
		.amdhsa_exception_fp_denorm_src 0
		.amdhsa_exception_fp_ieee_div_zero 0
		.amdhsa_exception_fp_ieee_overflow 0
		.amdhsa_exception_fp_ieee_underflow 0
		.amdhsa_exception_fp_ieee_inexact 0
		.amdhsa_exception_int_div_zero 0
	.end_amdhsa_kernel
	.section	.text._ZN7rocprim17ROCPRIM_400000_NS6detail17trampoline_kernelINS0_14default_configENS1_20scan_config_selectorIN3c107complexIfEEEEZZNS1_9scan_implILNS1_25lookback_scan_determinismE0ELb0ELb0ES3_PKS7_PS7_S7_ZZZN2at6native31launch_logcumsumexp_cuda_kernelERKNSE_10TensorBaseESI_lENKUlvE_clEvENKUlvE2_clEvEUlS7_S7_E_S7_EEDaPvRmT3_T4_T5_mT6_P12ihipStream_tbENKUlT_T0_E_clISt17integral_constantIbLb1EESY_IbLb0EEEEDaSU_SV_EUlSU_E_NS1_11comp_targetILNS1_3genE5ELNS1_11target_archE942ELNS1_3gpuE9ELNS1_3repE0EEENS1_30default_config_static_selectorELNS0_4arch9wavefront6targetE0EEEvT1_,"axG",@progbits,_ZN7rocprim17ROCPRIM_400000_NS6detail17trampoline_kernelINS0_14default_configENS1_20scan_config_selectorIN3c107complexIfEEEEZZNS1_9scan_implILNS1_25lookback_scan_determinismE0ELb0ELb0ES3_PKS7_PS7_S7_ZZZN2at6native31launch_logcumsumexp_cuda_kernelERKNSE_10TensorBaseESI_lENKUlvE_clEvENKUlvE2_clEvEUlS7_S7_E_S7_EEDaPvRmT3_T4_T5_mT6_P12ihipStream_tbENKUlT_T0_E_clISt17integral_constantIbLb1EESY_IbLb0EEEEDaSU_SV_EUlSU_E_NS1_11comp_targetILNS1_3genE5ELNS1_11target_archE942ELNS1_3gpuE9ELNS1_3repE0EEENS1_30default_config_static_selectorELNS0_4arch9wavefront6targetE0EEEvT1_,comdat
.Lfunc_end311:
	.size	_ZN7rocprim17ROCPRIM_400000_NS6detail17trampoline_kernelINS0_14default_configENS1_20scan_config_selectorIN3c107complexIfEEEEZZNS1_9scan_implILNS1_25lookback_scan_determinismE0ELb0ELb0ES3_PKS7_PS7_S7_ZZZN2at6native31launch_logcumsumexp_cuda_kernelERKNSE_10TensorBaseESI_lENKUlvE_clEvENKUlvE2_clEvEUlS7_S7_E_S7_EEDaPvRmT3_T4_T5_mT6_P12ihipStream_tbENKUlT_T0_E_clISt17integral_constantIbLb1EESY_IbLb0EEEEDaSU_SV_EUlSU_E_NS1_11comp_targetILNS1_3genE5ELNS1_11target_archE942ELNS1_3gpuE9ELNS1_3repE0EEENS1_30default_config_static_selectorELNS0_4arch9wavefront6targetE0EEEvT1_, .Lfunc_end311-_ZN7rocprim17ROCPRIM_400000_NS6detail17trampoline_kernelINS0_14default_configENS1_20scan_config_selectorIN3c107complexIfEEEEZZNS1_9scan_implILNS1_25lookback_scan_determinismE0ELb0ELb0ES3_PKS7_PS7_S7_ZZZN2at6native31launch_logcumsumexp_cuda_kernelERKNSE_10TensorBaseESI_lENKUlvE_clEvENKUlvE2_clEvEUlS7_S7_E_S7_EEDaPvRmT3_T4_T5_mT6_P12ihipStream_tbENKUlT_T0_E_clISt17integral_constantIbLb1EESY_IbLb0EEEEDaSU_SV_EUlSU_E_NS1_11comp_targetILNS1_3genE5ELNS1_11target_archE942ELNS1_3gpuE9ELNS1_3repE0EEENS1_30default_config_static_selectorELNS0_4arch9wavefront6targetE0EEEvT1_
                                        ; -- End function
	.set _ZN7rocprim17ROCPRIM_400000_NS6detail17trampoline_kernelINS0_14default_configENS1_20scan_config_selectorIN3c107complexIfEEEEZZNS1_9scan_implILNS1_25lookback_scan_determinismE0ELb0ELb0ES3_PKS7_PS7_S7_ZZZN2at6native31launch_logcumsumexp_cuda_kernelERKNSE_10TensorBaseESI_lENKUlvE_clEvENKUlvE2_clEvEUlS7_S7_E_S7_EEDaPvRmT3_T4_T5_mT6_P12ihipStream_tbENKUlT_T0_E_clISt17integral_constantIbLb1EESY_IbLb0EEEEDaSU_SV_EUlSU_E_NS1_11comp_targetILNS1_3genE5ELNS1_11target_archE942ELNS1_3gpuE9ELNS1_3repE0EEENS1_30default_config_static_selectorELNS0_4arch9wavefront6targetE0EEEvT1_.num_vgpr, 0
	.set _ZN7rocprim17ROCPRIM_400000_NS6detail17trampoline_kernelINS0_14default_configENS1_20scan_config_selectorIN3c107complexIfEEEEZZNS1_9scan_implILNS1_25lookback_scan_determinismE0ELb0ELb0ES3_PKS7_PS7_S7_ZZZN2at6native31launch_logcumsumexp_cuda_kernelERKNSE_10TensorBaseESI_lENKUlvE_clEvENKUlvE2_clEvEUlS7_S7_E_S7_EEDaPvRmT3_T4_T5_mT6_P12ihipStream_tbENKUlT_T0_E_clISt17integral_constantIbLb1EESY_IbLb0EEEEDaSU_SV_EUlSU_E_NS1_11comp_targetILNS1_3genE5ELNS1_11target_archE942ELNS1_3gpuE9ELNS1_3repE0EEENS1_30default_config_static_selectorELNS0_4arch9wavefront6targetE0EEEvT1_.num_agpr, 0
	.set _ZN7rocprim17ROCPRIM_400000_NS6detail17trampoline_kernelINS0_14default_configENS1_20scan_config_selectorIN3c107complexIfEEEEZZNS1_9scan_implILNS1_25lookback_scan_determinismE0ELb0ELb0ES3_PKS7_PS7_S7_ZZZN2at6native31launch_logcumsumexp_cuda_kernelERKNSE_10TensorBaseESI_lENKUlvE_clEvENKUlvE2_clEvEUlS7_S7_E_S7_EEDaPvRmT3_T4_T5_mT6_P12ihipStream_tbENKUlT_T0_E_clISt17integral_constantIbLb1EESY_IbLb0EEEEDaSU_SV_EUlSU_E_NS1_11comp_targetILNS1_3genE5ELNS1_11target_archE942ELNS1_3gpuE9ELNS1_3repE0EEENS1_30default_config_static_selectorELNS0_4arch9wavefront6targetE0EEEvT1_.numbered_sgpr, 0
	.set _ZN7rocprim17ROCPRIM_400000_NS6detail17trampoline_kernelINS0_14default_configENS1_20scan_config_selectorIN3c107complexIfEEEEZZNS1_9scan_implILNS1_25lookback_scan_determinismE0ELb0ELb0ES3_PKS7_PS7_S7_ZZZN2at6native31launch_logcumsumexp_cuda_kernelERKNSE_10TensorBaseESI_lENKUlvE_clEvENKUlvE2_clEvEUlS7_S7_E_S7_EEDaPvRmT3_T4_T5_mT6_P12ihipStream_tbENKUlT_T0_E_clISt17integral_constantIbLb1EESY_IbLb0EEEEDaSU_SV_EUlSU_E_NS1_11comp_targetILNS1_3genE5ELNS1_11target_archE942ELNS1_3gpuE9ELNS1_3repE0EEENS1_30default_config_static_selectorELNS0_4arch9wavefront6targetE0EEEvT1_.num_named_barrier, 0
	.set _ZN7rocprim17ROCPRIM_400000_NS6detail17trampoline_kernelINS0_14default_configENS1_20scan_config_selectorIN3c107complexIfEEEEZZNS1_9scan_implILNS1_25lookback_scan_determinismE0ELb0ELb0ES3_PKS7_PS7_S7_ZZZN2at6native31launch_logcumsumexp_cuda_kernelERKNSE_10TensorBaseESI_lENKUlvE_clEvENKUlvE2_clEvEUlS7_S7_E_S7_EEDaPvRmT3_T4_T5_mT6_P12ihipStream_tbENKUlT_T0_E_clISt17integral_constantIbLb1EESY_IbLb0EEEEDaSU_SV_EUlSU_E_NS1_11comp_targetILNS1_3genE5ELNS1_11target_archE942ELNS1_3gpuE9ELNS1_3repE0EEENS1_30default_config_static_selectorELNS0_4arch9wavefront6targetE0EEEvT1_.private_seg_size, 0
	.set _ZN7rocprim17ROCPRIM_400000_NS6detail17trampoline_kernelINS0_14default_configENS1_20scan_config_selectorIN3c107complexIfEEEEZZNS1_9scan_implILNS1_25lookback_scan_determinismE0ELb0ELb0ES3_PKS7_PS7_S7_ZZZN2at6native31launch_logcumsumexp_cuda_kernelERKNSE_10TensorBaseESI_lENKUlvE_clEvENKUlvE2_clEvEUlS7_S7_E_S7_EEDaPvRmT3_T4_T5_mT6_P12ihipStream_tbENKUlT_T0_E_clISt17integral_constantIbLb1EESY_IbLb0EEEEDaSU_SV_EUlSU_E_NS1_11comp_targetILNS1_3genE5ELNS1_11target_archE942ELNS1_3gpuE9ELNS1_3repE0EEENS1_30default_config_static_selectorELNS0_4arch9wavefront6targetE0EEEvT1_.uses_vcc, 0
	.set _ZN7rocprim17ROCPRIM_400000_NS6detail17trampoline_kernelINS0_14default_configENS1_20scan_config_selectorIN3c107complexIfEEEEZZNS1_9scan_implILNS1_25lookback_scan_determinismE0ELb0ELb0ES3_PKS7_PS7_S7_ZZZN2at6native31launch_logcumsumexp_cuda_kernelERKNSE_10TensorBaseESI_lENKUlvE_clEvENKUlvE2_clEvEUlS7_S7_E_S7_EEDaPvRmT3_T4_T5_mT6_P12ihipStream_tbENKUlT_T0_E_clISt17integral_constantIbLb1EESY_IbLb0EEEEDaSU_SV_EUlSU_E_NS1_11comp_targetILNS1_3genE5ELNS1_11target_archE942ELNS1_3gpuE9ELNS1_3repE0EEENS1_30default_config_static_selectorELNS0_4arch9wavefront6targetE0EEEvT1_.uses_flat_scratch, 0
	.set _ZN7rocprim17ROCPRIM_400000_NS6detail17trampoline_kernelINS0_14default_configENS1_20scan_config_selectorIN3c107complexIfEEEEZZNS1_9scan_implILNS1_25lookback_scan_determinismE0ELb0ELb0ES3_PKS7_PS7_S7_ZZZN2at6native31launch_logcumsumexp_cuda_kernelERKNSE_10TensorBaseESI_lENKUlvE_clEvENKUlvE2_clEvEUlS7_S7_E_S7_EEDaPvRmT3_T4_T5_mT6_P12ihipStream_tbENKUlT_T0_E_clISt17integral_constantIbLb1EESY_IbLb0EEEEDaSU_SV_EUlSU_E_NS1_11comp_targetILNS1_3genE5ELNS1_11target_archE942ELNS1_3gpuE9ELNS1_3repE0EEENS1_30default_config_static_selectorELNS0_4arch9wavefront6targetE0EEEvT1_.has_dyn_sized_stack, 0
	.set _ZN7rocprim17ROCPRIM_400000_NS6detail17trampoline_kernelINS0_14default_configENS1_20scan_config_selectorIN3c107complexIfEEEEZZNS1_9scan_implILNS1_25lookback_scan_determinismE0ELb0ELb0ES3_PKS7_PS7_S7_ZZZN2at6native31launch_logcumsumexp_cuda_kernelERKNSE_10TensorBaseESI_lENKUlvE_clEvENKUlvE2_clEvEUlS7_S7_E_S7_EEDaPvRmT3_T4_T5_mT6_P12ihipStream_tbENKUlT_T0_E_clISt17integral_constantIbLb1EESY_IbLb0EEEEDaSU_SV_EUlSU_E_NS1_11comp_targetILNS1_3genE5ELNS1_11target_archE942ELNS1_3gpuE9ELNS1_3repE0EEENS1_30default_config_static_selectorELNS0_4arch9wavefront6targetE0EEEvT1_.has_recursion, 0
	.set _ZN7rocprim17ROCPRIM_400000_NS6detail17trampoline_kernelINS0_14default_configENS1_20scan_config_selectorIN3c107complexIfEEEEZZNS1_9scan_implILNS1_25lookback_scan_determinismE0ELb0ELb0ES3_PKS7_PS7_S7_ZZZN2at6native31launch_logcumsumexp_cuda_kernelERKNSE_10TensorBaseESI_lENKUlvE_clEvENKUlvE2_clEvEUlS7_S7_E_S7_EEDaPvRmT3_T4_T5_mT6_P12ihipStream_tbENKUlT_T0_E_clISt17integral_constantIbLb1EESY_IbLb0EEEEDaSU_SV_EUlSU_E_NS1_11comp_targetILNS1_3genE5ELNS1_11target_archE942ELNS1_3gpuE9ELNS1_3repE0EEENS1_30default_config_static_selectorELNS0_4arch9wavefront6targetE0EEEvT1_.has_indirect_call, 0
	.section	.AMDGPU.csdata,"",@progbits
; Kernel info:
; codeLenInByte = 0
; TotalNumSgprs: 0
; NumVgprs: 0
; ScratchSize: 0
; MemoryBound: 0
; FloatMode: 240
; IeeeMode: 1
; LDSByteSize: 0 bytes/workgroup (compile time only)
; SGPRBlocks: 0
; VGPRBlocks: 0
; NumSGPRsForWavesPerEU: 1
; NumVGPRsForWavesPerEU: 1
; Occupancy: 16
; WaveLimiterHint : 0
; COMPUTE_PGM_RSRC2:SCRATCH_EN: 0
; COMPUTE_PGM_RSRC2:USER_SGPR: 2
; COMPUTE_PGM_RSRC2:TRAP_HANDLER: 0
; COMPUTE_PGM_RSRC2:TGID_X_EN: 1
; COMPUTE_PGM_RSRC2:TGID_Y_EN: 0
; COMPUTE_PGM_RSRC2:TGID_Z_EN: 0
; COMPUTE_PGM_RSRC2:TIDIG_COMP_CNT: 0
	.section	.text._ZN7rocprim17ROCPRIM_400000_NS6detail17trampoline_kernelINS0_14default_configENS1_20scan_config_selectorIN3c107complexIfEEEEZZNS1_9scan_implILNS1_25lookback_scan_determinismE0ELb0ELb0ES3_PKS7_PS7_S7_ZZZN2at6native31launch_logcumsumexp_cuda_kernelERKNSE_10TensorBaseESI_lENKUlvE_clEvENKUlvE2_clEvEUlS7_S7_E_S7_EEDaPvRmT3_T4_T5_mT6_P12ihipStream_tbENKUlT_T0_E_clISt17integral_constantIbLb1EESY_IbLb0EEEEDaSU_SV_EUlSU_E_NS1_11comp_targetILNS1_3genE4ELNS1_11target_archE910ELNS1_3gpuE8ELNS1_3repE0EEENS1_30default_config_static_selectorELNS0_4arch9wavefront6targetE0EEEvT1_,"axG",@progbits,_ZN7rocprim17ROCPRIM_400000_NS6detail17trampoline_kernelINS0_14default_configENS1_20scan_config_selectorIN3c107complexIfEEEEZZNS1_9scan_implILNS1_25lookback_scan_determinismE0ELb0ELb0ES3_PKS7_PS7_S7_ZZZN2at6native31launch_logcumsumexp_cuda_kernelERKNSE_10TensorBaseESI_lENKUlvE_clEvENKUlvE2_clEvEUlS7_S7_E_S7_EEDaPvRmT3_T4_T5_mT6_P12ihipStream_tbENKUlT_T0_E_clISt17integral_constantIbLb1EESY_IbLb0EEEEDaSU_SV_EUlSU_E_NS1_11comp_targetILNS1_3genE4ELNS1_11target_archE910ELNS1_3gpuE8ELNS1_3repE0EEENS1_30default_config_static_selectorELNS0_4arch9wavefront6targetE0EEEvT1_,comdat
	.globl	_ZN7rocprim17ROCPRIM_400000_NS6detail17trampoline_kernelINS0_14default_configENS1_20scan_config_selectorIN3c107complexIfEEEEZZNS1_9scan_implILNS1_25lookback_scan_determinismE0ELb0ELb0ES3_PKS7_PS7_S7_ZZZN2at6native31launch_logcumsumexp_cuda_kernelERKNSE_10TensorBaseESI_lENKUlvE_clEvENKUlvE2_clEvEUlS7_S7_E_S7_EEDaPvRmT3_T4_T5_mT6_P12ihipStream_tbENKUlT_T0_E_clISt17integral_constantIbLb1EESY_IbLb0EEEEDaSU_SV_EUlSU_E_NS1_11comp_targetILNS1_3genE4ELNS1_11target_archE910ELNS1_3gpuE8ELNS1_3repE0EEENS1_30default_config_static_selectorELNS0_4arch9wavefront6targetE0EEEvT1_ ; -- Begin function _ZN7rocprim17ROCPRIM_400000_NS6detail17trampoline_kernelINS0_14default_configENS1_20scan_config_selectorIN3c107complexIfEEEEZZNS1_9scan_implILNS1_25lookback_scan_determinismE0ELb0ELb0ES3_PKS7_PS7_S7_ZZZN2at6native31launch_logcumsumexp_cuda_kernelERKNSE_10TensorBaseESI_lENKUlvE_clEvENKUlvE2_clEvEUlS7_S7_E_S7_EEDaPvRmT3_T4_T5_mT6_P12ihipStream_tbENKUlT_T0_E_clISt17integral_constantIbLb1EESY_IbLb0EEEEDaSU_SV_EUlSU_E_NS1_11comp_targetILNS1_3genE4ELNS1_11target_archE910ELNS1_3gpuE8ELNS1_3repE0EEENS1_30default_config_static_selectorELNS0_4arch9wavefront6targetE0EEEvT1_
	.p2align	8
	.type	_ZN7rocprim17ROCPRIM_400000_NS6detail17trampoline_kernelINS0_14default_configENS1_20scan_config_selectorIN3c107complexIfEEEEZZNS1_9scan_implILNS1_25lookback_scan_determinismE0ELb0ELb0ES3_PKS7_PS7_S7_ZZZN2at6native31launch_logcumsumexp_cuda_kernelERKNSE_10TensorBaseESI_lENKUlvE_clEvENKUlvE2_clEvEUlS7_S7_E_S7_EEDaPvRmT3_T4_T5_mT6_P12ihipStream_tbENKUlT_T0_E_clISt17integral_constantIbLb1EESY_IbLb0EEEEDaSU_SV_EUlSU_E_NS1_11comp_targetILNS1_3genE4ELNS1_11target_archE910ELNS1_3gpuE8ELNS1_3repE0EEENS1_30default_config_static_selectorELNS0_4arch9wavefront6targetE0EEEvT1_,@function
_ZN7rocprim17ROCPRIM_400000_NS6detail17trampoline_kernelINS0_14default_configENS1_20scan_config_selectorIN3c107complexIfEEEEZZNS1_9scan_implILNS1_25lookback_scan_determinismE0ELb0ELb0ES3_PKS7_PS7_S7_ZZZN2at6native31launch_logcumsumexp_cuda_kernelERKNSE_10TensorBaseESI_lENKUlvE_clEvENKUlvE2_clEvEUlS7_S7_E_S7_EEDaPvRmT3_T4_T5_mT6_P12ihipStream_tbENKUlT_T0_E_clISt17integral_constantIbLb1EESY_IbLb0EEEEDaSU_SV_EUlSU_E_NS1_11comp_targetILNS1_3genE4ELNS1_11target_archE910ELNS1_3gpuE8ELNS1_3repE0EEENS1_30default_config_static_selectorELNS0_4arch9wavefront6targetE0EEEvT1_: ; @_ZN7rocprim17ROCPRIM_400000_NS6detail17trampoline_kernelINS0_14default_configENS1_20scan_config_selectorIN3c107complexIfEEEEZZNS1_9scan_implILNS1_25lookback_scan_determinismE0ELb0ELb0ES3_PKS7_PS7_S7_ZZZN2at6native31launch_logcumsumexp_cuda_kernelERKNSE_10TensorBaseESI_lENKUlvE_clEvENKUlvE2_clEvEUlS7_S7_E_S7_EEDaPvRmT3_T4_T5_mT6_P12ihipStream_tbENKUlT_T0_E_clISt17integral_constantIbLb1EESY_IbLb0EEEEDaSU_SV_EUlSU_E_NS1_11comp_targetILNS1_3genE4ELNS1_11target_archE910ELNS1_3gpuE8ELNS1_3repE0EEENS1_30default_config_static_selectorELNS0_4arch9wavefront6targetE0EEEvT1_
; %bb.0:
	.section	.rodata,"a",@progbits
	.p2align	6, 0x0
	.amdhsa_kernel _ZN7rocprim17ROCPRIM_400000_NS6detail17trampoline_kernelINS0_14default_configENS1_20scan_config_selectorIN3c107complexIfEEEEZZNS1_9scan_implILNS1_25lookback_scan_determinismE0ELb0ELb0ES3_PKS7_PS7_S7_ZZZN2at6native31launch_logcumsumexp_cuda_kernelERKNSE_10TensorBaseESI_lENKUlvE_clEvENKUlvE2_clEvEUlS7_S7_E_S7_EEDaPvRmT3_T4_T5_mT6_P12ihipStream_tbENKUlT_T0_E_clISt17integral_constantIbLb1EESY_IbLb0EEEEDaSU_SV_EUlSU_E_NS1_11comp_targetILNS1_3genE4ELNS1_11target_archE910ELNS1_3gpuE8ELNS1_3repE0EEENS1_30default_config_static_selectorELNS0_4arch9wavefront6targetE0EEEvT1_
		.amdhsa_group_segment_fixed_size 0
		.amdhsa_private_segment_fixed_size 0
		.amdhsa_kernarg_size 104
		.amdhsa_user_sgpr_count 2
		.amdhsa_user_sgpr_dispatch_ptr 0
		.amdhsa_user_sgpr_queue_ptr 0
		.amdhsa_user_sgpr_kernarg_segment_ptr 1
		.amdhsa_user_sgpr_dispatch_id 0
		.amdhsa_user_sgpr_private_segment_size 0
		.amdhsa_wavefront_size32 1
		.amdhsa_uses_dynamic_stack 0
		.amdhsa_enable_private_segment 0
		.amdhsa_system_sgpr_workgroup_id_x 1
		.amdhsa_system_sgpr_workgroup_id_y 0
		.amdhsa_system_sgpr_workgroup_id_z 0
		.amdhsa_system_sgpr_workgroup_info 0
		.amdhsa_system_vgpr_workitem_id 0
		.amdhsa_next_free_vgpr 1
		.amdhsa_next_free_sgpr 1
		.amdhsa_reserve_vcc 0
		.amdhsa_float_round_mode_32 0
		.amdhsa_float_round_mode_16_64 0
		.amdhsa_float_denorm_mode_32 3
		.amdhsa_float_denorm_mode_16_64 3
		.amdhsa_fp16_overflow 0
		.amdhsa_workgroup_processor_mode 1
		.amdhsa_memory_ordered 1
		.amdhsa_forward_progress 1
		.amdhsa_inst_pref_size 0
		.amdhsa_round_robin_scheduling 0
		.amdhsa_exception_fp_ieee_invalid_op 0
		.amdhsa_exception_fp_denorm_src 0
		.amdhsa_exception_fp_ieee_div_zero 0
		.amdhsa_exception_fp_ieee_overflow 0
		.amdhsa_exception_fp_ieee_underflow 0
		.amdhsa_exception_fp_ieee_inexact 0
		.amdhsa_exception_int_div_zero 0
	.end_amdhsa_kernel
	.section	.text._ZN7rocprim17ROCPRIM_400000_NS6detail17trampoline_kernelINS0_14default_configENS1_20scan_config_selectorIN3c107complexIfEEEEZZNS1_9scan_implILNS1_25lookback_scan_determinismE0ELb0ELb0ES3_PKS7_PS7_S7_ZZZN2at6native31launch_logcumsumexp_cuda_kernelERKNSE_10TensorBaseESI_lENKUlvE_clEvENKUlvE2_clEvEUlS7_S7_E_S7_EEDaPvRmT3_T4_T5_mT6_P12ihipStream_tbENKUlT_T0_E_clISt17integral_constantIbLb1EESY_IbLb0EEEEDaSU_SV_EUlSU_E_NS1_11comp_targetILNS1_3genE4ELNS1_11target_archE910ELNS1_3gpuE8ELNS1_3repE0EEENS1_30default_config_static_selectorELNS0_4arch9wavefront6targetE0EEEvT1_,"axG",@progbits,_ZN7rocprim17ROCPRIM_400000_NS6detail17trampoline_kernelINS0_14default_configENS1_20scan_config_selectorIN3c107complexIfEEEEZZNS1_9scan_implILNS1_25lookback_scan_determinismE0ELb0ELb0ES3_PKS7_PS7_S7_ZZZN2at6native31launch_logcumsumexp_cuda_kernelERKNSE_10TensorBaseESI_lENKUlvE_clEvENKUlvE2_clEvEUlS7_S7_E_S7_EEDaPvRmT3_T4_T5_mT6_P12ihipStream_tbENKUlT_T0_E_clISt17integral_constantIbLb1EESY_IbLb0EEEEDaSU_SV_EUlSU_E_NS1_11comp_targetILNS1_3genE4ELNS1_11target_archE910ELNS1_3gpuE8ELNS1_3repE0EEENS1_30default_config_static_selectorELNS0_4arch9wavefront6targetE0EEEvT1_,comdat
.Lfunc_end312:
	.size	_ZN7rocprim17ROCPRIM_400000_NS6detail17trampoline_kernelINS0_14default_configENS1_20scan_config_selectorIN3c107complexIfEEEEZZNS1_9scan_implILNS1_25lookback_scan_determinismE0ELb0ELb0ES3_PKS7_PS7_S7_ZZZN2at6native31launch_logcumsumexp_cuda_kernelERKNSE_10TensorBaseESI_lENKUlvE_clEvENKUlvE2_clEvEUlS7_S7_E_S7_EEDaPvRmT3_T4_T5_mT6_P12ihipStream_tbENKUlT_T0_E_clISt17integral_constantIbLb1EESY_IbLb0EEEEDaSU_SV_EUlSU_E_NS1_11comp_targetILNS1_3genE4ELNS1_11target_archE910ELNS1_3gpuE8ELNS1_3repE0EEENS1_30default_config_static_selectorELNS0_4arch9wavefront6targetE0EEEvT1_, .Lfunc_end312-_ZN7rocprim17ROCPRIM_400000_NS6detail17trampoline_kernelINS0_14default_configENS1_20scan_config_selectorIN3c107complexIfEEEEZZNS1_9scan_implILNS1_25lookback_scan_determinismE0ELb0ELb0ES3_PKS7_PS7_S7_ZZZN2at6native31launch_logcumsumexp_cuda_kernelERKNSE_10TensorBaseESI_lENKUlvE_clEvENKUlvE2_clEvEUlS7_S7_E_S7_EEDaPvRmT3_T4_T5_mT6_P12ihipStream_tbENKUlT_T0_E_clISt17integral_constantIbLb1EESY_IbLb0EEEEDaSU_SV_EUlSU_E_NS1_11comp_targetILNS1_3genE4ELNS1_11target_archE910ELNS1_3gpuE8ELNS1_3repE0EEENS1_30default_config_static_selectorELNS0_4arch9wavefront6targetE0EEEvT1_
                                        ; -- End function
	.set _ZN7rocprim17ROCPRIM_400000_NS6detail17trampoline_kernelINS0_14default_configENS1_20scan_config_selectorIN3c107complexIfEEEEZZNS1_9scan_implILNS1_25lookback_scan_determinismE0ELb0ELb0ES3_PKS7_PS7_S7_ZZZN2at6native31launch_logcumsumexp_cuda_kernelERKNSE_10TensorBaseESI_lENKUlvE_clEvENKUlvE2_clEvEUlS7_S7_E_S7_EEDaPvRmT3_T4_T5_mT6_P12ihipStream_tbENKUlT_T0_E_clISt17integral_constantIbLb1EESY_IbLb0EEEEDaSU_SV_EUlSU_E_NS1_11comp_targetILNS1_3genE4ELNS1_11target_archE910ELNS1_3gpuE8ELNS1_3repE0EEENS1_30default_config_static_selectorELNS0_4arch9wavefront6targetE0EEEvT1_.num_vgpr, 0
	.set _ZN7rocprim17ROCPRIM_400000_NS6detail17trampoline_kernelINS0_14default_configENS1_20scan_config_selectorIN3c107complexIfEEEEZZNS1_9scan_implILNS1_25lookback_scan_determinismE0ELb0ELb0ES3_PKS7_PS7_S7_ZZZN2at6native31launch_logcumsumexp_cuda_kernelERKNSE_10TensorBaseESI_lENKUlvE_clEvENKUlvE2_clEvEUlS7_S7_E_S7_EEDaPvRmT3_T4_T5_mT6_P12ihipStream_tbENKUlT_T0_E_clISt17integral_constantIbLb1EESY_IbLb0EEEEDaSU_SV_EUlSU_E_NS1_11comp_targetILNS1_3genE4ELNS1_11target_archE910ELNS1_3gpuE8ELNS1_3repE0EEENS1_30default_config_static_selectorELNS0_4arch9wavefront6targetE0EEEvT1_.num_agpr, 0
	.set _ZN7rocprim17ROCPRIM_400000_NS6detail17trampoline_kernelINS0_14default_configENS1_20scan_config_selectorIN3c107complexIfEEEEZZNS1_9scan_implILNS1_25lookback_scan_determinismE0ELb0ELb0ES3_PKS7_PS7_S7_ZZZN2at6native31launch_logcumsumexp_cuda_kernelERKNSE_10TensorBaseESI_lENKUlvE_clEvENKUlvE2_clEvEUlS7_S7_E_S7_EEDaPvRmT3_T4_T5_mT6_P12ihipStream_tbENKUlT_T0_E_clISt17integral_constantIbLb1EESY_IbLb0EEEEDaSU_SV_EUlSU_E_NS1_11comp_targetILNS1_3genE4ELNS1_11target_archE910ELNS1_3gpuE8ELNS1_3repE0EEENS1_30default_config_static_selectorELNS0_4arch9wavefront6targetE0EEEvT1_.numbered_sgpr, 0
	.set _ZN7rocprim17ROCPRIM_400000_NS6detail17trampoline_kernelINS0_14default_configENS1_20scan_config_selectorIN3c107complexIfEEEEZZNS1_9scan_implILNS1_25lookback_scan_determinismE0ELb0ELb0ES3_PKS7_PS7_S7_ZZZN2at6native31launch_logcumsumexp_cuda_kernelERKNSE_10TensorBaseESI_lENKUlvE_clEvENKUlvE2_clEvEUlS7_S7_E_S7_EEDaPvRmT3_T4_T5_mT6_P12ihipStream_tbENKUlT_T0_E_clISt17integral_constantIbLb1EESY_IbLb0EEEEDaSU_SV_EUlSU_E_NS1_11comp_targetILNS1_3genE4ELNS1_11target_archE910ELNS1_3gpuE8ELNS1_3repE0EEENS1_30default_config_static_selectorELNS0_4arch9wavefront6targetE0EEEvT1_.num_named_barrier, 0
	.set _ZN7rocprim17ROCPRIM_400000_NS6detail17trampoline_kernelINS0_14default_configENS1_20scan_config_selectorIN3c107complexIfEEEEZZNS1_9scan_implILNS1_25lookback_scan_determinismE0ELb0ELb0ES3_PKS7_PS7_S7_ZZZN2at6native31launch_logcumsumexp_cuda_kernelERKNSE_10TensorBaseESI_lENKUlvE_clEvENKUlvE2_clEvEUlS7_S7_E_S7_EEDaPvRmT3_T4_T5_mT6_P12ihipStream_tbENKUlT_T0_E_clISt17integral_constantIbLb1EESY_IbLb0EEEEDaSU_SV_EUlSU_E_NS1_11comp_targetILNS1_3genE4ELNS1_11target_archE910ELNS1_3gpuE8ELNS1_3repE0EEENS1_30default_config_static_selectorELNS0_4arch9wavefront6targetE0EEEvT1_.private_seg_size, 0
	.set _ZN7rocprim17ROCPRIM_400000_NS6detail17trampoline_kernelINS0_14default_configENS1_20scan_config_selectorIN3c107complexIfEEEEZZNS1_9scan_implILNS1_25lookback_scan_determinismE0ELb0ELb0ES3_PKS7_PS7_S7_ZZZN2at6native31launch_logcumsumexp_cuda_kernelERKNSE_10TensorBaseESI_lENKUlvE_clEvENKUlvE2_clEvEUlS7_S7_E_S7_EEDaPvRmT3_T4_T5_mT6_P12ihipStream_tbENKUlT_T0_E_clISt17integral_constantIbLb1EESY_IbLb0EEEEDaSU_SV_EUlSU_E_NS1_11comp_targetILNS1_3genE4ELNS1_11target_archE910ELNS1_3gpuE8ELNS1_3repE0EEENS1_30default_config_static_selectorELNS0_4arch9wavefront6targetE0EEEvT1_.uses_vcc, 0
	.set _ZN7rocprim17ROCPRIM_400000_NS6detail17trampoline_kernelINS0_14default_configENS1_20scan_config_selectorIN3c107complexIfEEEEZZNS1_9scan_implILNS1_25lookback_scan_determinismE0ELb0ELb0ES3_PKS7_PS7_S7_ZZZN2at6native31launch_logcumsumexp_cuda_kernelERKNSE_10TensorBaseESI_lENKUlvE_clEvENKUlvE2_clEvEUlS7_S7_E_S7_EEDaPvRmT3_T4_T5_mT6_P12ihipStream_tbENKUlT_T0_E_clISt17integral_constantIbLb1EESY_IbLb0EEEEDaSU_SV_EUlSU_E_NS1_11comp_targetILNS1_3genE4ELNS1_11target_archE910ELNS1_3gpuE8ELNS1_3repE0EEENS1_30default_config_static_selectorELNS0_4arch9wavefront6targetE0EEEvT1_.uses_flat_scratch, 0
	.set _ZN7rocprim17ROCPRIM_400000_NS6detail17trampoline_kernelINS0_14default_configENS1_20scan_config_selectorIN3c107complexIfEEEEZZNS1_9scan_implILNS1_25lookback_scan_determinismE0ELb0ELb0ES3_PKS7_PS7_S7_ZZZN2at6native31launch_logcumsumexp_cuda_kernelERKNSE_10TensorBaseESI_lENKUlvE_clEvENKUlvE2_clEvEUlS7_S7_E_S7_EEDaPvRmT3_T4_T5_mT6_P12ihipStream_tbENKUlT_T0_E_clISt17integral_constantIbLb1EESY_IbLb0EEEEDaSU_SV_EUlSU_E_NS1_11comp_targetILNS1_3genE4ELNS1_11target_archE910ELNS1_3gpuE8ELNS1_3repE0EEENS1_30default_config_static_selectorELNS0_4arch9wavefront6targetE0EEEvT1_.has_dyn_sized_stack, 0
	.set _ZN7rocprim17ROCPRIM_400000_NS6detail17trampoline_kernelINS0_14default_configENS1_20scan_config_selectorIN3c107complexIfEEEEZZNS1_9scan_implILNS1_25lookback_scan_determinismE0ELb0ELb0ES3_PKS7_PS7_S7_ZZZN2at6native31launch_logcumsumexp_cuda_kernelERKNSE_10TensorBaseESI_lENKUlvE_clEvENKUlvE2_clEvEUlS7_S7_E_S7_EEDaPvRmT3_T4_T5_mT6_P12ihipStream_tbENKUlT_T0_E_clISt17integral_constantIbLb1EESY_IbLb0EEEEDaSU_SV_EUlSU_E_NS1_11comp_targetILNS1_3genE4ELNS1_11target_archE910ELNS1_3gpuE8ELNS1_3repE0EEENS1_30default_config_static_selectorELNS0_4arch9wavefront6targetE0EEEvT1_.has_recursion, 0
	.set _ZN7rocprim17ROCPRIM_400000_NS6detail17trampoline_kernelINS0_14default_configENS1_20scan_config_selectorIN3c107complexIfEEEEZZNS1_9scan_implILNS1_25lookback_scan_determinismE0ELb0ELb0ES3_PKS7_PS7_S7_ZZZN2at6native31launch_logcumsumexp_cuda_kernelERKNSE_10TensorBaseESI_lENKUlvE_clEvENKUlvE2_clEvEUlS7_S7_E_S7_EEDaPvRmT3_T4_T5_mT6_P12ihipStream_tbENKUlT_T0_E_clISt17integral_constantIbLb1EESY_IbLb0EEEEDaSU_SV_EUlSU_E_NS1_11comp_targetILNS1_3genE4ELNS1_11target_archE910ELNS1_3gpuE8ELNS1_3repE0EEENS1_30default_config_static_selectorELNS0_4arch9wavefront6targetE0EEEvT1_.has_indirect_call, 0
	.section	.AMDGPU.csdata,"",@progbits
; Kernel info:
; codeLenInByte = 0
; TotalNumSgprs: 0
; NumVgprs: 0
; ScratchSize: 0
; MemoryBound: 0
; FloatMode: 240
; IeeeMode: 1
; LDSByteSize: 0 bytes/workgroup (compile time only)
; SGPRBlocks: 0
; VGPRBlocks: 0
; NumSGPRsForWavesPerEU: 1
; NumVGPRsForWavesPerEU: 1
; Occupancy: 16
; WaveLimiterHint : 0
; COMPUTE_PGM_RSRC2:SCRATCH_EN: 0
; COMPUTE_PGM_RSRC2:USER_SGPR: 2
; COMPUTE_PGM_RSRC2:TRAP_HANDLER: 0
; COMPUTE_PGM_RSRC2:TGID_X_EN: 1
; COMPUTE_PGM_RSRC2:TGID_Y_EN: 0
; COMPUTE_PGM_RSRC2:TGID_Z_EN: 0
; COMPUTE_PGM_RSRC2:TIDIG_COMP_CNT: 0
	.section	.text._ZN7rocprim17ROCPRIM_400000_NS6detail17trampoline_kernelINS0_14default_configENS1_20scan_config_selectorIN3c107complexIfEEEEZZNS1_9scan_implILNS1_25lookback_scan_determinismE0ELb0ELb0ES3_PKS7_PS7_S7_ZZZN2at6native31launch_logcumsumexp_cuda_kernelERKNSE_10TensorBaseESI_lENKUlvE_clEvENKUlvE2_clEvEUlS7_S7_E_S7_EEDaPvRmT3_T4_T5_mT6_P12ihipStream_tbENKUlT_T0_E_clISt17integral_constantIbLb1EESY_IbLb0EEEEDaSU_SV_EUlSU_E_NS1_11comp_targetILNS1_3genE3ELNS1_11target_archE908ELNS1_3gpuE7ELNS1_3repE0EEENS1_30default_config_static_selectorELNS0_4arch9wavefront6targetE0EEEvT1_,"axG",@progbits,_ZN7rocprim17ROCPRIM_400000_NS6detail17trampoline_kernelINS0_14default_configENS1_20scan_config_selectorIN3c107complexIfEEEEZZNS1_9scan_implILNS1_25lookback_scan_determinismE0ELb0ELb0ES3_PKS7_PS7_S7_ZZZN2at6native31launch_logcumsumexp_cuda_kernelERKNSE_10TensorBaseESI_lENKUlvE_clEvENKUlvE2_clEvEUlS7_S7_E_S7_EEDaPvRmT3_T4_T5_mT6_P12ihipStream_tbENKUlT_T0_E_clISt17integral_constantIbLb1EESY_IbLb0EEEEDaSU_SV_EUlSU_E_NS1_11comp_targetILNS1_3genE3ELNS1_11target_archE908ELNS1_3gpuE7ELNS1_3repE0EEENS1_30default_config_static_selectorELNS0_4arch9wavefront6targetE0EEEvT1_,comdat
	.globl	_ZN7rocprim17ROCPRIM_400000_NS6detail17trampoline_kernelINS0_14default_configENS1_20scan_config_selectorIN3c107complexIfEEEEZZNS1_9scan_implILNS1_25lookback_scan_determinismE0ELb0ELb0ES3_PKS7_PS7_S7_ZZZN2at6native31launch_logcumsumexp_cuda_kernelERKNSE_10TensorBaseESI_lENKUlvE_clEvENKUlvE2_clEvEUlS7_S7_E_S7_EEDaPvRmT3_T4_T5_mT6_P12ihipStream_tbENKUlT_T0_E_clISt17integral_constantIbLb1EESY_IbLb0EEEEDaSU_SV_EUlSU_E_NS1_11comp_targetILNS1_3genE3ELNS1_11target_archE908ELNS1_3gpuE7ELNS1_3repE0EEENS1_30default_config_static_selectorELNS0_4arch9wavefront6targetE0EEEvT1_ ; -- Begin function _ZN7rocprim17ROCPRIM_400000_NS6detail17trampoline_kernelINS0_14default_configENS1_20scan_config_selectorIN3c107complexIfEEEEZZNS1_9scan_implILNS1_25lookback_scan_determinismE0ELb0ELb0ES3_PKS7_PS7_S7_ZZZN2at6native31launch_logcumsumexp_cuda_kernelERKNSE_10TensorBaseESI_lENKUlvE_clEvENKUlvE2_clEvEUlS7_S7_E_S7_EEDaPvRmT3_T4_T5_mT6_P12ihipStream_tbENKUlT_T0_E_clISt17integral_constantIbLb1EESY_IbLb0EEEEDaSU_SV_EUlSU_E_NS1_11comp_targetILNS1_3genE3ELNS1_11target_archE908ELNS1_3gpuE7ELNS1_3repE0EEENS1_30default_config_static_selectorELNS0_4arch9wavefront6targetE0EEEvT1_
	.p2align	8
	.type	_ZN7rocprim17ROCPRIM_400000_NS6detail17trampoline_kernelINS0_14default_configENS1_20scan_config_selectorIN3c107complexIfEEEEZZNS1_9scan_implILNS1_25lookback_scan_determinismE0ELb0ELb0ES3_PKS7_PS7_S7_ZZZN2at6native31launch_logcumsumexp_cuda_kernelERKNSE_10TensorBaseESI_lENKUlvE_clEvENKUlvE2_clEvEUlS7_S7_E_S7_EEDaPvRmT3_T4_T5_mT6_P12ihipStream_tbENKUlT_T0_E_clISt17integral_constantIbLb1EESY_IbLb0EEEEDaSU_SV_EUlSU_E_NS1_11comp_targetILNS1_3genE3ELNS1_11target_archE908ELNS1_3gpuE7ELNS1_3repE0EEENS1_30default_config_static_selectorELNS0_4arch9wavefront6targetE0EEEvT1_,@function
_ZN7rocprim17ROCPRIM_400000_NS6detail17trampoline_kernelINS0_14default_configENS1_20scan_config_selectorIN3c107complexIfEEEEZZNS1_9scan_implILNS1_25lookback_scan_determinismE0ELb0ELb0ES3_PKS7_PS7_S7_ZZZN2at6native31launch_logcumsumexp_cuda_kernelERKNSE_10TensorBaseESI_lENKUlvE_clEvENKUlvE2_clEvEUlS7_S7_E_S7_EEDaPvRmT3_T4_T5_mT6_P12ihipStream_tbENKUlT_T0_E_clISt17integral_constantIbLb1EESY_IbLb0EEEEDaSU_SV_EUlSU_E_NS1_11comp_targetILNS1_3genE3ELNS1_11target_archE908ELNS1_3gpuE7ELNS1_3repE0EEENS1_30default_config_static_selectorELNS0_4arch9wavefront6targetE0EEEvT1_: ; @_ZN7rocprim17ROCPRIM_400000_NS6detail17trampoline_kernelINS0_14default_configENS1_20scan_config_selectorIN3c107complexIfEEEEZZNS1_9scan_implILNS1_25lookback_scan_determinismE0ELb0ELb0ES3_PKS7_PS7_S7_ZZZN2at6native31launch_logcumsumexp_cuda_kernelERKNSE_10TensorBaseESI_lENKUlvE_clEvENKUlvE2_clEvEUlS7_S7_E_S7_EEDaPvRmT3_T4_T5_mT6_P12ihipStream_tbENKUlT_T0_E_clISt17integral_constantIbLb1EESY_IbLb0EEEEDaSU_SV_EUlSU_E_NS1_11comp_targetILNS1_3genE3ELNS1_11target_archE908ELNS1_3gpuE7ELNS1_3repE0EEENS1_30default_config_static_selectorELNS0_4arch9wavefront6targetE0EEEvT1_
; %bb.0:
	.section	.rodata,"a",@progbits
	.p2align	6, 0x0
	.amdhsa_kernel _ZN7rocprim17ROCPRIM_400000_NS6detail17trampoline_kernelINS0_14default_configENS1_20scan_config_selectorIN3c107complexIfEEEEZZNS1_9scan_implILNS1_25lookback_scan_determinismE0ELb0ELb0ES3_PKS7_PS7_S7_ZZZN2at6native31launch_logcumsumexp_cuda_kernelERKNSE_10TensorBaseESI_lENKUlvE_clEvENKUlvE2_clEvEUlS7_S7_E_S7_EEDaPvRmT3_T4_T5_mT6_P12ihipStream_tbENKUlT_T0_E_clISt17integral_constantIbLb1EESY_IbLb0EEEEDaSU_SV_EUlSU_E_NS1_11comp_targetILNS1_3genE3ELNS1_11target_archE908ELNS1_3gpuE7ELNS1_3repE0EEENS1_30default_config_static_selectorELNS0_4arch9wavefront6targetE0EEEvT1_
		.amdhsa_group_segment_fixed_size 0
		.amdhsa_private_segment_fixed_size 0
		.amdhsa_kernarg_size 104
		.amdhsa_user_sgpr_count 2
		.amdhsa_user_sgpr_dispatch_ptr 0
		.amdhsa_user_sgpr_queue_ptr 0
		.amdhsa_user_sgpr_kernarg_segment_ptr 1
		.amdhsa_user_sgpr_dispatch_id 0
		.amdhsa_user_sgpr_private_segment_size 0
		.amdhsa_wavefront_size32 1
		.amdhsa_uses_dynamic_stack 0
		.amdhsa_enable_private_segment 0
		.amdhsa_system_sgpr_workgroup_id_x 1
		.amdhsa_system_sgpr_workgroup_id_y 0
		.amdhsa_system_sgpr_workgroup_id_z 0
		.amdhsa_system_sgpr_workgroup_info 0
		.amdhsa_system_vgpr_workitem_id 0
		.amdhsa_next_free_vgpr 1
		.amdhsa_next_free_sgpr 1
		.amdhsa_reserve_vcc 0
		.amdhsa_float_round_mode_32 0
		.amdhsa_float_round_mode_16_64 0
		.amdhsa_float_denorm_mode_32 3
		.amdhsa_float_denorm_mode_16_64 3
		.amdhsa_fp16_overflow 0
		.amdhsa_workgroup_processor_mode 1
		.amdhsa_memory_ordered 1
		.amdhsa_forward_progress 1
		.amdhsa_inst_pref_size 0
		.amdhsa_round_robin_scheduling 0
		.amdhsa_exception_fp_ieee_invalid_op 0
		.amdhsa_exception_fp_denorm_src 0
		.amdhsa_exception_fp_ieee_div_zero 0
		.amdhsa_exception_fp_ieee_overflow 0
		.amdhsa_exception_fp_ieee_underflow 0
		.amdhsa_exception_fp_ieee_inexact 0
		.amdhsa_exception_int_div_zero 0
	.end_amdhsa_kernel
	.section	.text._ZN7rocprim17ROCPRIM_400000_NS6detail17trampoline_kernelINS0_14default_configENS1_20scan_config_selectorIN3c107complexIfEEEEZZNS1_9scan_implILNS1_25lookback_scan_determinismE0ELb0ELb0ES3_PKS7_PS7_S7_ZZZN2at6native31launch_logcumsumexp_cuda_kernelERKNSE_10TensorBaseESI_lENKUlvE_clEvENKUlvE2_clEvEUlS7_S7_E_S7_EEDaPvRmT3_T4_T5_mT6_P12ihipStream_tbENKUlT_T0_E_clISt17integral_constantIbLb1EESY_IbLb0EEEEDaSU_SV_EUlSU_E_NS1_11comp_targetILNS1_3genE3ELNS1_11target_archE908ELNS1_3gpuE7ELNS1_3repE0EEENS1_30default_config_static_selectorELNS0_4arch9wavefront6targetE0EEEvT1_,"axG",@progbits,_ZN7rocprim17ROCPRIM_400000_NS6detail17trampoline_kernelINS0_14default_configENS1_20scan_config_selectorIN3c107complexIfEEEEZZNS1_9scan_implILNS1_25lookback_scan_determinismE0ELb0ELb0ES3_PKS7_PS7_S7_ZZZN2at6native31launch_logcumsumexp_cuda_kernelERKNSE_10TensorBaseESI_lENKUlvE_clEvENKUlvE2_clEvEUlS7_S7_E_S7_EEDaPvRmT3_T4_T5_mT6_P12ihipStream_tbENKUlT_T0_E_clISt17integral_constantIbLb1EESY_IbLb0EEEEDaSU_SV_EUlSU_E_NS1_11comp_targetILNS1_3genE3ELNS1_11target_archE908ELNS1_3gpuE7ELNS1_3repE0EEENS1_30default_config_static_selectorELNS0_4arch9wavefront6targetE0EEEvT1_,comdat
.Lfunc_end313:
	.size	_ZN7rocprim17ROCPRIM_400000_NS6detail17trampoline_kernelINS0_14default_configENS1_20scan_config_selectorIN3c107complexIfEEEEZZNS1_9scan_implILNS1_25lookback_scan_determinismE0ELb0ELb0ES3_PKS7_PS7_S7_ZZZN2at6native31launch_logcumsumexp_cuda_kernelERKNSE_10TensorBaseESI_lENKUlvE_clEvENKUlvE2_clEvEUlS7_S7_E_S7_EEDaPvRmT3_T4_T5_mT6_P12ihipStream_tbENKUlT_T0_E_clISt17integral_constantIbLb1EESY_IbLb0EEEEDaSU_SV_EUlSU_E_NS1_11comp_targetILNS1_3genE3ELNS1_11target_archE908ELNS1_3gpuE7ELNS1_3repE0EEENS1_30default_config_static_selectorELNS0_4arch9wavefront6targetE0EEEvT1_, .Lfunc_end313-_ZN7rocprim17ROCPRIM_400000_NS6detail17trampoline_kernelINS0_14default_configENS1_20scan_config_selectorIN3c107complexIfEEEEZZNS1_9scan_implILNS1_25lookback_scan_determinismE0ELb0ELb0ES3_PKS7_PS7_S7_ZZZN2at6native31launch_logcumsumexp_cuda_kernelERKNSE_10TensorBaseESI_lENKUlvE_clEvENKUlvE2_clEvEUlS7_S7_E_S7_EEDaPvRmT3_T4_T5_mT6_P12ihipStream_tbENKUlT_T0_E_clISt17integral_constantIbLb1EESY_IbLb0EEEEDaSU_SV_EUlSU_E_NS1_11comp_targetILNS1_3genE3ELNS1_11target_archE908ELNS1_3gpuE7ELNS1_3repE0EEENS1_30default_config_static_selectorELNS0_4arch9wavefront6targetE0EEEvT1_
                                        ; -- End function
	.set _ZN7rocprim17ROCPRIM_400000_NS6detail17trampoline_kernelINS0_14default_configENS1_20scan_config_selectorIN3c107complexIfEEEEZZNS1_9scan_implILNS1_25lookback_scan_determinismE0ELb0ELb0ES3_PKS7_PS7_S7_ZZZN2at6native31launch_logcumsumexp_cuda_kernelERKNSE_10TensorBaseESI_lENKUlvE_clEvENKUlvE2_clEvEUlS7_S7_E_S7_EEDaPvRmT3_T4_T5_mT6_P12ihipStream_tbENKUlT_T0_E_clISt17integral_constantIbLb1EESY_IbLb0EEEEDaSU_SV_EUlSU_E_NS1_11comp_targetILNS1_3genE3ELNS1_11target_archE908ELNS1_3gpuE7ELNS1_3repE0EEENS1_30default_config_static_selectorELNS0_4arch9wavefront6targetE0EEEvT1_.num_vgpr, 0
	.set _ZN7rocprim17ROCPRIM_400000_NS6detail17trampoline_kernelINS0_14default_configENS1_20scan_config_selectorIN3c107complexIfEEEEZZNS1_9scan_implILNS1_25lookback_scan_determinismE0ELb0ELb0ES3_PKS7_PS7_S7_ZZZN2at6native31launch_logcumsumexp_cuda_kernelERKNSE_10TensorBaseESI_lENKUlvE_clEvENKUlvE2_clEvEUlS7_S7_E_S7_EEDaPvRmT3_T4_T5_mT6_P12ihipStream_tbENKUlT_T0_E_clISt17integral_constantIbLb1EESY_IbLb0EEEEDaSU_SV_EUlSU_E_NS1_11comp_targetILNS1_3genE3ELNS1_11target_archE908ELNS1_3gpuE7ELNS1_3repE0EEENS1_30default_config_static_selectorELNS0_4arch9wavefront6targetE0EEEvT1_.num_agpr, 0
	.set _ZN7rocprim17ROCPRIM_400000_NS6detail17trampoline_kernelINS0_14default_configENS1_20scan_config_selectorIN3c107complexIfEEEEZZNS1_9scan_implILNS1_25lookback_scan_determinismE0ELb0ELb0ES3_PKS7_PS7_S7_ZZZN2at6native31launch_logcumsumexp_cuda_kernelERKNSE_10TensorBaseESI_lENKUlvE_clEvENKUlvE2_clEvEUlS7_S7_E_S7_EEDaPvRmT3_T4_T5_mT6_P12ihipStream_tbENKUlT_T0_E_clISt17integral_constantIbLb1EESY_IbLb0EEEEDaSU_SV_EUlSU_E_NS1_11comp_targetILNS1_3genE3ELNS1_11target_archE908ELNS1_3gpuE7ELNS1_3repE0EEENS1_30default_config_static_selectorELNS0_4arch9wavefront6targetE0EEEvT1_.numbered_sgpr, 0
	.set _ZN7rocprim17ROCPRIM_400000_NS6detail17trampoline_kernelINS0_14default_configENS1_20scan_config_selectorIN3c107complexIfEEEEZZNS1_9scan_implILNS1_25lookback_scan_determinismE0ELb0ELb0ES3_PKS7_PS7_S7_ZZZN2at6native31launch_logcumsumexp_cuda_kernelERKNSE_10TensorBaseESI_lENKUlvE_clEvENKUlvE2_clEvEUlS7_S7_E_S7_EEDaPvRmT3_T4_T5_mT6_P12ihipStream_tbENKUlT_T0_E_clISt17integral_constantIbLb1EESY_IbLb0EEEEDaSU_SV_EUlSU_E_NS1_11comp_targetILNS1_3genE3ELNS1_11target_archE908ELNS1_3gpuE7ELNS1_3repE0EEENS1_30default_config_static_selectorELNS0_4arch9wavefront6targetE0EEEvT1_.num_named_barrier, 0
	.set _ZN7rocprim17ROCPRIM_400000_NS6detail17trampoline_kernelINS0_14default_configENS1_20scan_config_selectorIN3c107complexIfEEEEZZNS1_9scan_implILNS1_25lookback_scan_determinismE0ELb0ELb0ES3_PKS7_PS7_S7_ZZZN2at6native31launch_logcumsumexp_cuda_kernelERKNSE_10TensorBaseESI_lENKUlvE_clEvENKUlvE2_clEvEUlS7_S7_E_S7_EEDaPvRmT3_T4_T5_mT6_P12ihipStream_tbENKUlT_T0_E_clISt17integral_constantIbLb1EESY_IbLb0EEEEDaSU_SV_EUlSU_E_NS1_11comp_targetILNS1_3genE3ELNS1_11target_archE908ELNS1_3gpuE7ELNS1_3repE0EEENS1_30default_config_static_selectorELNS0_4arch9wavefront6targetE0EEEvT1_.private_seg_size, 0
	.set _ZN7rocprim17ROCPRIM_400000_NS6detail17trampoline_kernelINS0_14default_configENS1_20scan_config_selectorIN3c107complexIfEEEEZZNS1_9scan_implILNS1_25lookback_scan_determinismE0ELb0ELb0ES3_PKS7_PS7_S7_ZZZN2at6native31launch_logcumsumexp_cuda_kernelERKNSE_10TensorBaseESI_lENKUlvE_clEvENKUlvE2_clEvEUlS7_S7_E_S7_EEDaPvRmT3_T4_T5_mT6_P12ihipStream_tbENKUlT_T0_E_clISt17integral_constantIbLb1EESY_IbLb0EEEEDaSU_SV_EUlSU_E_NS1_11comp_targetILNS1_3genE3ELNS1_11target_archE908ELNS1_3gpuE7ELNS1_3repE0EEENS1_30default_config_static_selectorELNS0_4arch9wavefront6targetE0EEEvT1_.uses_vcc, 0
	.set _ZN7rocprim17ROCPRIM_400000_NS6detail17trampoline_kernelINS0_14default_configENS1_20scan_config_selectorIN3c107complexIfEEEEZZNS1_9scan_implILNS1_25lookback_scan_determinismE0ELb0ELb0ES3_PKS7_PS7_S7_ZZZN2at6native31launch_logcumsumexp_cuda_kernelERKNSE_10TensorBaseESI_lENKUlvE_clEvENKUlvE2_clEvEUlS7_S7_E_S7_EEDaPvRmT3_T4_T5_mT6_P12ihipStream_tbENKUlT_T0_E_clISt17integral_constantIbLb1EESY_IbLb0EEEEDaSU_SV_EUlSU_E_NS1_11comp_targetILNS1_3genE3ELNS1_11target_archE908ELNS1_3gpuE7ELNS1_3repE0EEENS1_30default_config_static_selectorELNS0_4arch9wavefront6targetE0EEEvT1_.uses_flat_scratch, 0
	.set _ZN7rocprim17ROCPRIM_400000_NS6detail17trampoline_kernelINS0_14default_configENS1_20scan_config_selectorIN3c107complexIfEEEEZZNS1_9scan_implILNS1_25lookback_scan_determinismE0ELb0ELb0ES3_PKS7_PS7_S7_ZZZN2at6native31launch_logcumsumexp_cuda_kernelERKNSE_10TensorBaseESI_lENKUlvE_clEvENKUlvE2_clEvEUlS7_S7_E_S7_EEDaPvRmT3_T4_T5_mT6_P12ihipStream_tbENKUlT_T0_E_clISt17integral_constantIbLb1EESY_IbLb0EEEEDaSU_SV_EUlSU_E_NS1_11comp_targetILNS1_3genE3ELNS1_11target_archE908ELNS1_3gpuE7ELNS1_3repE0EEENS1_30default_config_static_selectorELNS0_4arch9wavefront6targetE0EEEvT1_.has_dyn_sized_stack, 0
	.set _ZN7rocprim17ROCPRIM_400000_NS6detail17trampoline_kernelINS0_14default_configENS1_20scan_config_selectorIN3c107complexIfEEEEZZNS1_9scan_implILNS1_25lookback_scan_determinismE0ELb0ELb0ES3_PKS7_PS7_S7_ZZZN2at6native31launch_logcumsumexp_cuda_kernelERKNSE_10TensorBaseESI_lENKUlvE_clEvENKUlvE2_clEvEUlS7_S7_E_S7_EEDaPvRmT3_T4_T5_mT6_P12ihipStream_tbENKUlT_T0_E_clISt17integral_constantIbLb1EESY_IbLb0EEEEDaSU_SV_EUlSU_E_NS1_11comp_targetILNS1_3genE3ELNS1_11target_archE908ELNS1_3gpuE7ELNS1_3repE0EEENS1_30default_config_static_selectorELNS0_4arch9wavefront6targetE0EEEvT1_.has_recursion, 0
	.set _ZN7rocprim17ROCPRIM_400000_NS6detail17trampoline_kernelINS0_14default_configENS1_20scan_config_selectorIN3c107complexIfEEEEZZNS1_9scan_implILNS1_25lookback_scan_determinismE0ELb0ELb0ES3_PKS7_PS7_S7_ZZZN2at6native31launch_logcumsumexp_cuda_kernelERKNSE_10TensorBaseESI_lENKUlvE_clEvENKUlvE2_clEvEUlS7_S7_E_S7_EEDaPvRmT3_T4_T5_mT6_P12ihipStream_tbENKUlT_T0_E_clISt17integral_constantIbLb1EESY_IbLb0EEEEDaSU_SV_EUlSU_E_NS1_11comp_targetILNS1_3genE3ELNS1_11target_archE908ELNS1_3gpuE7ELNS1_3repE0EEENS1_30default_config_static_selectorELNS0_4arch9wavefront6targetE0EEEvT1_.has_indirect_call, 0
	.section	.AMDGPU.csdata,"",@progbits
; Kernel info:
; codeLenInByte = 0
; TotalNumSgprs: 0
; NumVgprs: 0
; ScratchSize: 0
; MemoryBound: 0
; FloatMode: 240
; IeeeMode: 1
; LDSByteSize: 0 bytes/workgroup (compile time only)
; SGPRBlocks: 0
; VGPRBlocks: 0
; NumSGPRsForWavesPerEU: 1
; NumVGPRsForWavesPerEU: 1
; Occupancy: 16
; WaveLimiterHint : 0
; COMPUTE_PGM_RSRC2:SCRATCH_EN: 0
; COMPUTE_PGM_RSRC2:USER_SGPR: 2
; COMPUTE_PGM_RSRC2:TRAP_HANDLER: 0
; COMPUTE_PGM_RSRC2:TGID_X_EN: 1
; COMPUTE_PGM_RSRC2:TGID_Y_EN: 0
; COMPUTE_PGM_RSRC2:TGID_Z_EN: 0
; COMPUTE_PGM_RSRC2:TIDIG_COMP_CNT: 0
	.section	.text._ZN7rocprim17ROCPRIM_400000_NS6detail17trampoline_kernelINS0_14default_configENS1_20scan_config_selectorIN3c107complexIfEEEEZZNS1_9scan_implILNS1_25lookback_scan_determinismE0ELb0ELb0ES3_PKS7_PS7_S7_ZZZN2at6native31launch_logcumsumexp_cuda_kernelERKNSE_10TensorBaseESI_lENKUlvE_clEvENKUlvE2_clEvEUlS7_S7_E_S7_EEDaPvRmT3_T4_T5_mT6_P12ihipStream_tbENKUlT_T0_E_clISt17integral_constantIbLb1EESY_IbLb0EEEEDaSU_SV_EUlSU_E_NS1_11comp_targetILNS1_3genE2ELNS1_11target_archE906ELNS1_3gpuE6ELNS1_3repE0EEENS1_30default_config_static_selectorELNS0_4arch9wavefront6targetE0EEEvT1_,"axG",@progbits,_ZN7rocprim17ROCPRIM_400000_NS6detail17trampoline_kernelINS0_14default_configENS1_20scan_config_selectorIN3c107complexIfEEEEZZNS1_9scan_implILNS1_25lookback_scan_determinismE0ELb0ELb0ES3_PKS7_PS7_S7_ZZZN2at6native31launch_logcumsumexp_cuda_kernelERKNSE_10TensorBaseESI_lENKUlvE_clEvENKUlvE2_clEvEUlS7_S7_E_S7_EEDaPvRmT3_T4_T5_mT6_P12ihipStream_tbENKUlT_T0_E_clISt17integral_constantIbLb1EESY_IbLb0EEEEDaSU_SV_EUlSU_E_NS1_11comp_targetILNS1_3genE2ELNS1_11target_archE906ELNS1_3gpuE6ELNS1_3repE0EEENS1_30default_config_static_selectorELNS0_4arch9wavefront6targetE0EEEvT1_,comdat
	.globl	_ZN7rocprim17ROCPRIM_400000_NS6detail17trampoline_kernelINS0_14default_configENS1_20scan_config_selectorIN3c107complexIfEEEEZZNS1_9scan_implILNS1_25lookback_scan_determinismE0ELb0ELb0ES3_PKS7_PS7_S7_ZZZN2at6native31launch_logcumsumexp_cuda_kernelERKNSE_10TensorBaseESI_lENKUlvE_clEvENKUlvE2_clEvEUlS7_S7_E_S7_EEDaPvRmT3_T4_T5_mT6_P12ihipStream_tbENKUlT_T0_E_clISt17integral_constantIbLb1EESY_IbLb0EEEEDaSU_SV_EUlSU_E_NS1_11comp_targetILNS1_3genE2ELNS1_11target_archE906ELNS1_3gpuE6ELNS1_3repE0EEENS1_30default_config_static_selectorELNS0_4arch9wavefront6targetE0EEEvT1_ ; -- Begin function _ZN7rocprim17ROCPRIM_400000_NS6detail17trampoline_kernelINS0_14default_configENS1_20scan_config_selectorIN3c107complexIfEEEEZZNS1_9scan_implILNS1_25lookback_scan_determinismE0ELb0ELb0ES3_PKS7_PS7_S7_ZZZN2at6native31launch_logcumsumexp_cuda_kernelERKNSE_10TensorBaseESI_lENKUlvE_clEvENKUlvE2_clEvEUlS7_S7_E_S7_EEDaPvRmT3_T4_T5_mT6_P12ihipStream_tbENKUlT_T0_E_clISt17integral_constantIbLb1EESY_IbLb0EEEEDaSU_SV_EUlSU_E_NS1_11comp_targetILNS1_3genE2ELNS1_11target_archE906ELNS1_3gpuE6ELNS1_3repE0EEENS1_30default_config_static_selectorELNS0_4arch9wavefront6targetE0EEEvT1_
	.p2align	8
	.type	_ZN7rocprim17ROCPRIM_400000_NS6detail17trampoline_kernelINS0_14default_configENS1_20scan_config_selectorIN3c107complexIfEEEEZZNS1_9scan_implILNS1_25lookback_scan_determinismE0ELb0ELb0ES3_PKS7_PS7_S7_ZZZN2at6native31launch_logcumsumexp_cuda_kernelERKNSE_10TensorBaseESI_lENKUlvE_clEvENKUlvE2_clEvEUlS7_S7_E_S7_EEDaPvRmT3_T4_T5_mT6_P12ihipStream_tbENKUlT_T0_E_clISt17integral_constantIbLb1EESY_IbLb0EEEEDaSU_SV_EUlSU_E_NS1_11comp_targetILNS1_3genE2ELNS1_11target_archE906ELNS1_3gpuE6ELNS1_3repE0EEENS1_30default_config_static_selectorELNS0_4arch9wavefront6targetE0EEEvT1_,@function
_ZN7rocprim17ROCPRIM_400000_NS6detail17trampoline_kernelINS0_14default_configENS1_20scan_config_selectorIN3c107complexIfEEEEZZNS1_9scan_implILNS1_25lookback_scan_determinismE0ELb0ELb0ES3_PKS7_PS7_S7_ZZZN2at6native31launch_logcumsumexp_cuda_kernelERKNSE_10TensorBaseESI_lENKUlvE_clEvENKUlvE2_clEvEUlS7_S7_E_S7_EEDaPvRmT3_T4_T5_mT6_P12ihipStream_tbENKUlT_T0_E_clISt17integral_constantIbLb1EESY_IbLb0EEEEDaSU_SV_EUlSU_E_NS1_11comp_targetILNS1_3genE2ELNS1_11target_archE906ELNS1_3gpuE6ELNS1_3repE0EEENS1_30default_config_static_selectorELNS0_4arch9wavefront6targetE0EEEvT1_: ; @_ZN7rocprim17ROCPRIM_400000_NS6detail17trampoline_kernelINS0_14default_configENS1_20scan_config_selectorIN3c107complexIfEEEEZZNS1_9scan_implILNS1_25lookback_scan_determinismE0ELb0ELb0ES3_PKS7_PS7_S7_ZZZN2at6native31launch_logcumsumexp_cuda_kernelERKNSE_10TensorBaseESI_lENKUlvE_clEvENKUlvE2_clEvEUlS7_S7_E_S7_EEDaPvRmT3_T4_T5_mT6_P12ihipStream_tbENKUlT_T0_E_clISt17integral_constantIbLb1EESY_IbLb0EEEEDaSU_SV_EUlSU_E_NS1_11comp_targetILNS1_3genE2ELNS1_11target_archE906ELNS1_3gpuE6ELNS1_3repE0EEENS1_30default_config_static_selectorELNS0_4arch9wavefront6targetE0EEEvT1_
; %bb.0:
	.section	.rodata,"a",@progbits
	.p2align	6, 0x0
	.amdhsa_kernel _ZN7rocprim17ROCPRIM_400000_NS6detail17trampoline_kernelINS0_14default_configENS1_20scan_config_selectorIN3c107complexIfEEEEZZNS1_9scan_implILNS1_25lookback_scan_determinismE0ELb0ELb0ES3_PKS7_PS7_S7_ZZZN2at6native31launch_logcumsumexp_cuda_kernelERKNSE_10TensorBaseESI_lENKUlvE_clEvENKUlvE2_clEvEUlS7_S7_E_S7_EEDaPvRmT3_T4_T5_mT6_P12ihipStream_tbENKUlT_T0_E_clISt17integral_constantIbLb1EESY_IbLb0EEEEDaSU_SV_EUlSU_E_NS1_11comp_targetILNS1_3genE2ELNS1_11target_archE906ELNS1_3gpuE6ELNS1_3repE0EEENS1_30default_config_static_selectorELNS0_4arch9wavefront6targetE0EEEvT1_
		.amdhsa_group_segment_fixed_size 0
		.amdhsa_private_segment_fixed_size 0
		.amdhsa_kernarg_size 104
		.amdhsa_user_sgpr_count 2
		.amdhsa_user_sgpr_dispatch_ptr 0
		.amdhsa_user_sgpr_queue_ptr 0
		.amdhsa_user_sgpr_kernarg_segment_ptr 1
		.amdhsa_user_sgpr_dispatch_id 0
		.amdhsa_user_sgpr_private_segment_size 0
		.amdhsa_wavefront_size32 1
		.amdhsa_uses_dynamic_stack 0
		.amdhsa_enable_private_segment 0
		.amdhsa_system_sgpr_workgroup_id_x 1
		.amdhsa_system_sgpr_workgroup_id_y 0
		.amdhsa_system_sgpr_workgroup_id_z 0
		.amdhsa_system_sgpr_workgroup_info 0
		.amdhsa_system_vgpr_workitem_id 0
		.amdhsa_next_free_vgpr 1
		.amdhsa_next_free_sgpr 1
		.amdhsa_reserve_vcc 0
		.amdhsa_float_round_mode_32 0
		.amdhsa_float_round_mode_16_64 0
		.amdhsa_float_denorm_mode_32 3
		.amdhsa_float_denorm_mode_16_64 3
		.amdhsa_fp16_overflow 0
		.amdhsa_workgroup_processor_mode 1
		.amdhsa_memory_ordered 1
		.amdhsa_forward_progress 1
		.amdhsa_inst_pref_size 0
		.amdhsa_round_robin_scheduling 0
		.amdhsa_exception_fp_ieee_invalid_op 0
		.amdhsa_exception_fp_denorm_src 0
		.amdhsa_exception_fp_ieee_div_zero 0
		.amdhsa_exception_fp_ieee_overflow 0
		.amdhsa_exception_fp_ieee_underflow 0
		.amdhsa_exception_fp_ieee_inexact 0
		.amdhsa_exception_int_div_zero 0
	.end_amdhsa_kernel
	.section	.text._ZN7rocprim17ROCPRIM_400000_NS6detail17trampoline_kernelINS0_14default_configENS1_20scan_config_selectorIN3c107complexIfEEEEZZNS1_9scan_implILNS1_25lookback_scan_determinismE0ELb0ELb0ES3_PKS7_PS7_S7_ZZZN2at6native31launch_logcumsumexp_cuda_kernelERKNSE_10TensorBaseESI_lENKUlvE_clEvENKUlvE2_clEvEUlS7_S7_E_S7_EEDaPvRmT3_T4_T5_mT6_P12ihipStream_tbENKUlT_T0_E_clISt17integral_constantIbLb1EESY_IbLb0EEEEDaSU_SV_EUlSU_E_NS1_11comp_targetILNS1_3genE2ELNS1_11target_archE906ELNS1_3gpuE6ELNS1_3repE0EEENS1_30default_config_static_selectorELNS0_4arch9wavefront6targetE0EEEvT1_,"axG",@progbits,_ZN7rocprim17ROCPRIM_400000_NS6detail17trampoline_kernelINS0_14default_configENS1_20scan_config_selectorIN3c107complexIfEEEEZZNS1_9scan_implILNS1_25lookback_scan_determinismE0ELb0ELb0ES3_PKS7_PS7_S7_ZZZN2at6native31launch_logcumsumexp_cuda_kernelERKNSE_10TensorBaseESI_lENKUlvE_clEvENKUlvE2_clEvEUlS7_S7_E_S7_EEDaPvRmT3_T4_T5_mT6_P12ihipStream_tbENKUlT_T0_E_clISt17integral_constantIbLb1EESY_IbLb0EEEEDaSU_SV_EUlSU_E_NS1_11comp_targetILNS1_3genE2ELNS1_11target_archE906ELNS1_3gpuE6ELNS1_3repE0EEENS1_30default_config_static_selectorELNS0_4arch9wavefront6targetE0EEEvT1_,comdat
.Lfunc_end314:
	.size	_ZN7rocprim17ROCPRIM_400000_NS6detail17trampoline_kernelINS0_14default_configENS1_20scan_config_selectorIN3c107complexIfEEEEZZNS1_9scan_implILNS1_25lookback_scan_determinismE0ELb0ELb0ES3_PKS7_PS7_S7_ZZZN2at6native31launch_logcumsumexp_cuda_kernelERKNSE_10TensorBaseESI_lENKUlvE_clEvENKUlvE2_clEvEUlS7_S7_E_S7_EEDaPvRmT3_T4_T5_mT6_P12ihipStream_tbENKUlT_T0_E_clISt17integral_constantIbLb1EESY_IbLb0EEEEDaSU_SV_EUlSU_E_NS1_11comp_targetILNS1_3genE2ELNS1_11target_archE906ELNS1_3gpuE6ELNS1_3repE0EEENS1_30default_config_static_selectorELNS0_4arch9wavefront6targetE0EEEvT1_, .Lfunc_end314-_ZN7rocprim17ROCPRIM_400000_NS6detail17trampoline_kernelINS0_14default_configENS1_20scan_config_selectorIN3c107complexIfEEEEZZNS1_9scan_implILNS1_25lookback_scan_determinismE0ELb0ELb0ES3_PKS7_PS7_S7_ZZZN2at6native31launch_logcumsumexp_cuda_kernelERKNSE_10TensorBaseESI_lENKUlvE_clEvENKUlvE2_clEvEUlS7_S7_E_S7_EEDaPvRmT3_T4_T5_mT6_P12ihipStream_tbENKUlT_T0_E_clISt17integral_constantIbLb1EESY_IbLb0EEEEDaSU_SV_EUlSU_E_NS1_11comp_targetILNS1_3genE2ELNS1_11target_archE906ELNS1_3gpuE6ELNS1_3repE0EEENS1_30default_config_static_selectorELNS0_4arch9wavefront6targetE0EEEvT1_
                                        ; -- End function
	.set _ZN7rocprim17ROCPRIM_400000_NS6detail17trampoline_kernelINS0_14default_configENS1_20scan_config_selectorIN3c107complexIfEEEEZZNS1_9scan_implILNS1_25lookback_scan_determinismE0ELb0ELb0ES3_PKS7_PS7_S7_ZZZN2at6native31launch_logcumsumexp_cuda_kernelERKNSE_10TensorBaseESI_lENKUlvE_clEvENKUlvE2_clEvEUlS7_S7_E_S7_EEDaPvRmT3_T4_T5_mT6_P12ihipStream_tbENKUlT_T0_E_clISt17integral_constantIbLb1EESY_IbLb0EEEEDaSU_SV_EUlSU_E_NS1_11comp_targetILNS1_3genE2ELNS1_11target_archE906ELNS1_3gpuE6ELNS1_3repE0EEENS1_30default_config_static_selectorELNS0_4arch9wavefront6targetE0EEEvT1_.num_vgpr, 0
	.set _ZN7rocprim17ROCPRIM_400000_NS6detail17trampoline_kernelINS0_14default_configENS1_20scan_config_selectorIN3c107complexIfEEEEZZNS1_9scan_implILNS1_25lookback_scan_determinismE0ELb0ELb0ES3_PKS7_PS7_S7_ZZZN2at6native31launch_logcumsumexp_cuda_kernelERKNSE_10TensorBaseESI_lENKUlvE_clEvENKUlvE2_clEvEUlS7_S7_E_S7_EEDaPvRmT3_T4_T5_mT6_P12ihipStream_tbENKUlT_T0_E_clISt17integral_constantIbLb1EESY_IbLb0EEEEDaSU_SV_EUlSU_E_NS1_11comp_targetILNS1_3genE2ELNS1_11target_archE906ELNS1_3gpuE6ELNS1_3repE0EEENS1_30default_config_static_selectorELNS0_4arch9wavefront6targetE0EEEvT1_.num_agpr, 0
	.set _ZN7rocprim17ROCPRIM_400000_NS6detail17trampoline_kernelINS0_14default_configENS1_20scan_config_selectorIN3c107complexIfEEEEZZNS1_9scan_implILNS1_25lookback_scan_determinismE0ELb0ELb0ES3_PKS7_PS7_S7_ZZZN2at6native31launch_logcumsumexp_cuda_kernelERKNSE_10TensorBaseESI_lENKUlvE_clEvENKUlvE2_clEvEUlS7_S7_E_S7_EEDaPvRmT3_T4_T5_mT6_P12ihipStream_tbENKUlT_T0_E_clISt17integral_constantIbLb1EESY_IbLb0EEEEDaSU_SV_EUlSU_E_NS1_11comp_targetILNS1_3genE2ELNS1_11target_archE906ELNS1_3gpuE6ELNS1_3repE0EEENS1_30default_config_static_selectorELNS0_4arch9wavefront6targetE0EEEvT1_.numbered_sgpr, 0
	.set _ZN7rocprim17ROCPRIM_400000_NS6detail17trampoline_kernelINS0_14default_configENS1_20scan_config_selectorIN3c107complexIfEEEEZZNS1_9scan_implILNS1_25lookback_scan_determinismE0ELb0ELb0ES3_PKS7_PS7_S7_ZZZN2at6native31launch_logcumsumexp_cuda_kernelERKNSE_10TensorBaseESI_lENKUlvE_clEvENKUlvE2_clEvEUlS7_S7_E_S7_EEDaPvRmT3_T4_T5_mT6_P12ihipStream_tbENKUlT_T0_E_clISt17integral_constantIbLb1EESY_IbLb0EEEEDaSU_SV_EUlSU_E_NS1_11comp_targetILNS1_3genE2ELNS1_11target_archE906ELNS1_3gpuE6ELNS1_3repE0EEENS1_30default_config_static_selectorELNS0_4arch9wavefront6targetE0EEEvT1_.num_named_barrier, 0
	.set _ZN7rocprim17ROCPRIM_400000_NS6detail17trampoline_kernelINS0_14default_configENS1_20scan_config_selectorIN3c107complexIfEEEEZZNS1_9scan_implILNS1_25lookback_scan_determinismE0ELb0ELb0ES3_PKS7_PS7_S7_ZZZN2at6native31launch_logcumsumexp_cuda_kernelERKNSE_10TensorBaseESI_lENKUlvE_clEvENKUlvE2_clEvEUlS7_S7_E_S7_EEDaPvRmT3_T4_T5_mT6_P12ihipStream_tbENKUlT_T0_E_clISt17integral_constantIbLb1EESY_IbLb0EEEEDaSU_SV_EUlSU_E_NS1_11comp_targetILNS1_3genE2ELNS1_11target_archE906ELNS1_3gpuE6ELNS1_3repE0EEENS1_30default_config_static_selectorELNS0_4arch9wavefront6targetE0EEEvT1_.private_seg_size, 0
	.set _ZN7rocprim17ROCPRIM_400000_NS6detail17trampoline_kernelINS0_14default_configENS1_20scan_config_selectorIN3c107complexIfEEEEZZNS1_9scan_implILNS1_25lookback_scan_determinismE0ELb0ELb0ES3_PKS7_PS7_S7_ZZZN2at6native31launch_logcumsumexp_cuda_kernelERKNSE_10TensorBaseESI_lENKUlvE_clEvENKUlvE2_clEvEUlS7_S7_E_S7_EEDaPvRmT3_T4_T5_mT6_P12ihipStream_tbENKUlT_T0_E_clISt17integral_constantIbLb1EESY_IbLb0EEEEDaSU_SV_EUlSU_E_NS1_11comp_targetILNS1_3genE2ELNS1_11target_archE906ELNS1_3gpuE6ELNS1_3repE0EEENS1_30default_config_static_selectorELNS0_4arch9wavefront6targetE0EEEvT1_.uses_vcc, 0
	.set _ZN7rocprim17ROCPRIM_400000_NS6detail17trampoline_kernelINS0_14default_configENS1_20scan_config_selectorIN3c107complexIfEEEEZZNS1_9scan_implILNS1_25lookback_scan_determinismE0ELb0ELb0ES3_PKS7_PS7_S7_ZZZN2at6native31launch_logcumsumexp_cuda_kernelERKNSE_10TensorBaseESI_lENKUlvE_clEvENKUlvE2_clEvEUlS7_S7_E_S7_EEDaPvRmT3_T4_T5_mT6_P12ihipStream_tbENKUlT_T0_E_clISt17integral_constantIbLb1EESY_IbLb0EEEEDaSU_SV_EUlSU_E_NS1_11comp_targetILNS1_3genE2ELNS1_11target_archE906ELNS1_3gpuE6ELNS1_3repE0EEENS1_30default_config_static_selectorELNS0_4arch9wavefront6targetE0EEEvT1_.uses_flat_scratch, 0
	.set _ZN7rocprim17ROCPRIM_400000_NS6detail17trampoline_kernelINS0_14default_configENS1_20scan_config_selectorIN3c107complexIfEEEEZZNS1_9scan_implILNS1_25lookback_scan_determinismE0ELb0ELb0ES3_PKS7_PS7_S7_ZZZN2at6native31launch_logcumsumexp_cuda_kernelERKNSE_10TensorBaseESI_lENKUlvE_clEvENKUlvE2_clEvEUlS7_S7_E_S7_EEDaPvRmT3_T4_T5_mT6_P12ihipStream_tbENKUlT_T0_E_clISt17integral_constantIbLb1EESY_IbLb0EEEEDaSU_SV_EUlSU_E_NS1_11comp_targetILNS1_3genE2ELNS1_11target_archE906ELNS1_3gpuE6ELNS1_3repE0EEENS1_30default_config_static_selectorELNS0_4arch9wavefront6targetE0EEEvT1_.has_dyn_sized_stack, 0
	.set _ZN7rocprim17ROCPRIM_400000_NS6detail17trampoline_kernelINS0_14default_configENS1_20scan_config_selectorIN3c107complexIfEEEEZZNS1_9scan_implILNS1_25lookback_scan_determinismE0ELb0ELb0ES3_PKS7_PS7_S7_ZZZN2at6native31launch_logcumsumexp_cuda_kernelERKNSE_10TensorBaseESI_lENKUlvE_clEvENKUlvE2_clEvEUlS7_S7_E_S7_EEDaPvRmT3_T4_T5_mT6_P12ihipStream_tbENKUlT_T0_E_clISt17integral_constantIbLb1EESY_IbLb0EEEEDaSU_SV_EUlSU_E_NS1_11comp_targetILNS1_3genE2ELNS1_11target_archE906ELNS1_3gpuE6ELNS1_3repE0EEENS1_30default_config_static_selectorELNS0_4arch9wavefront6targetE0EEEvT1_.has_recursion, 0
	.set _ZN7rocprim17ROCPRIM_400000_NS6detail17trampoline_kernelINS0_14default_configENS1_20scan_config_selectorIN3c107complexIfEEEEZZNS1_9scan_implILNS1_25lookback_scan_determinismE0ELb0ELb0ES3_PKS7_PS7_S7_ZZZN2at6native31launch_logcumsumexp_cuda_kernelERKNSE_10TensorBaseESI_lENKUlvE_clEvENKUlvE2_clEvEUlS7_S7_E_S7_EEDaPvRmT3_T4_T5_mT6_P12ihipStream_tbENKUlT_T0_E_clISt17integral_constantIbLb1EESY_IbLb0EEEEDaSU_SV_EUlSU_E_NS1_11comp_targetILNS1_3genE2ELNS1_11target_archE906ELNS1_3gpuE6ELNS1_3repE0EEENS1_30default_config_static_selectorELNS0_4arch9wavefront6targetE0EEEvT1_.has_indirect_call, 0
	.section	.AMDGPU.csdata,"",@progbits
; Kernel info:
; codeLenInByte = 0
; TotalNumSgprs: 0
; NumVgprs: 0
; ScratchSize: 0
; MemoryBound: 0
; FloatMode: 240
; IeeeMode: 1
; LDSByteSize: 0 bytes/workgroup (compile time only)
; SGPRBlocks: 0
; VGPRBlocks: 0
; NumSGPRsForWavesPerEU: 1
; NumVGPRsForWavesPerEU: 1
; Occupancy: 16
; WaveLimiterHint : 0
; COMPUTE_PGM_RSRC2:SCRATCH_EN: 0
; COMPUTE_PGM_RSRC2:USER_SGPR: 2
; COMPUTE_PGM_RSRC2:TRAP_HANDLER: 0
; COMPUTE_PGM_RSRC2:TGID_X_EN: 1
; COMPUTE_PGM_RSRC2:TGID_Y_EN: 0
; COMPUTE_PGM_RSRC2:TGID_Z_EN: 0
; COMPUTE_PGM_RSRC2:TIDIG_COMP_CNT: 0
	.section	.text._ZN7rocprim17ROCPRIM_400000_NS6detail17trampoline_kernelINS0_14default_configENS1_20scan_config_selectorIN3c107complexIfEEEEZZNS1_9scan_implILNS1_25lookback_scan_determinismE0ELb0ELb0ES3_PKS7_PS7_S7_ZZZN2at6native31launch_logcumsumexp_cuda_kernelERKNSE_10TensorBaseESI_lENKUlvE_clEvENKUlvE2_clEvEUlS7_S7_E_S7_EEDaPvRmT3_T4_T5_mT6_P12ihipStream_tbENKUlT_T0_E_clISt17integral_constantIbLb1EESY_IbLb0EEEEDaSU_SV_EUlSU_E_NS1_11comp_targetILNS1_3genE10ELNS1_11target_archE1201ELNS1_3gpuE5ELNS1_3repE0EEENS1_30default_config_static_selectorELNS0_4arch9wavefront6targetE0EEEvT1_,"axG",@progbits,_ZN7rocprim17ROCPRIM_400000_NS6detail17trampoline_kernelINS0_14default_configENS1_20scan_config_selectorIN3c107complexIfEEEEZZNS1_9scan_implILNS1_25lookback_scan_determinismE0ELb0ELb0ES3_PKS7_PS7_S7_ZZZN2at6native31launch_logcumsumexp_cuda_kernelERKNSE_10TensorBaseESI_lENKUlvE_clEvENKUlvE2_clEvEUlS7_S7_E_S7_EEDaPvRmT3_T4_T5_mT6_P12ihipStream_tbENKUlT_T0_E_clISt17integral_constantIbLb1EESY_IbLb0EEEEDaSU_SV_EUlSU_E_NS1_11comp_targetILNS1_3genE10ELNS1_11target_archE1201ELNS1_3gpuE5ELNS1_3repE0EEENS1_30default_config_static_selectorELNS0_4arch9wavefront6targetE0EEEvT1_,comdat
	.globl	_ZN7rocprim17ROCPRIM_400000_NS6detail17trampoline_kernelINS0_14default_configENS1_20scan_config_selectorIN3c107complexIfEEEEZZNS1_9scan_implILNS1_25lookback_scan_determinismE0ELb0ELb0ES3_PKS7_PS7_S7_ZZZN2at6native31launch_logcumsumexp_cuda_kernelERKNSE_10TensorBaseESI_lENKUlvE_clEvENKUlvE2_clEvEUlS7_S7_E_S7_EEDaPvRmT3_T4_T5_mT6_P12ihipStream_tbENKUlT_T0_E_clISt17integral_constantIbLb1EESY_IbLb0EEEEDaSU_SV_EUlSU_E_NS1_11comp_targetILNS1_3genE10ELNS1_11target_archE1201ELNS1_3gpuE5ELNS1_3repE0EEENS1_30default_config_static_selectorELNS0_4arch9wavefront6targetE0EEEvT1_ ; -- Begin function _ZN7rocprim17ROCPRIM_400000_NS6detail17trampoline_kernelINS0_14default_configENS1_20scan_config_selectorIN3c107complexIfEEEEZZNS1_9scan_implILNS1_25lookback_scan_determinismE0ELb0ELb0ES3_PKS7_PS7_S7_ZZZN2at6native31launch_logcumsumexp_cuda_kernelERKNSE_10TensorBaseESI_lENKUlvE_clEvENKUlvE2_clEvEUlS7_S7_E_S7_EEDaPvRmT3_T4_T5_mT6_P12ihipStream_tbENKUlT_T0_E_clISt17integral_constantIbLb1EESY_IbLb0EEEEDaSU_SV_EUlSU_E_NS1_11comp_targetILNS1_3genE10ELNS1_11target_archE1201ELNS1_3gpuE5ELNS1_3repE0EEENS1_30default_config_static_selectorELNS0_4arch9wavefront6targetE0EEEvT1_
	.p2align	8
	.type	_ZN7rocprim17ROCPRIM_400000_NS6detail17trampoline_kernelINS0_14default_configENS1_20scan_config_selectorIN3c107complexIfEEEEZZNS1_9scan_implILNS1_25lookback_scan_determinismE0ELb0ELb0ES3_PKS7_PS7_S7_ZZZN2at6native31launch_logcumsumexp_cuda_kernelERKNSE_10TensorBaseESI_lENKUlvE_clEvENKUlvE2_clEvEUlS7_S7_E_S7_EEDaPvRmT3_T4_T5_mT6_P12ihipStream_tbENKUlT_T0_E_clISt17integral_constantIbLb1EESY_IbLb0EEEEDaSU_SV_EUlSU_E_NS1_11comp_targetILNS1_3genE10ELNS1_11target_archE1201ELNS1_3gpuE5ELNS1_3repE0EEENS1_30default_config_static_selectorELNS0_4arch9wavefront6targetE0EEEvT1_,@function
_ZN7rocprim17ROCPRIM_400000_NS6detail17trampoline_kernelINS0_14default_configENS1_20scan_config_selectorIN3c107complexIfEEEEZZNS1_9scan_implILNS1_25lookback_scan_determinismE0ELb0ELb0ES3_PKS7_PS7_S7_ZZZN2at6native31launch_logcumsumexp_cuda_kernelERKNSE_10TensorBaseESI_lENKUlvE_clEvENKUlvE2_clEvEUlS7_S7_E_S7_EEDaPvRmT3_T4_T5_mT6_P12ihipStream_tbENKUlT_T0_E_clISt17integral_constantIbLb1EESY_IbLb0EEEEDaSU_SV_EUlSU_E_NS1_11comp_targetILNS1_3genE10ELNS1_11target_archE1201ELNS1_3gpuE5ELNS1_3repE0EEENS1_30default_config_static_selectorELNS0_4arch9wavefront6targetE0EEEvT1_: ; @_ZN7rocprim17ROCPRIM_400000_NS6detail17trampoline_kernelINS0_14default_configENS1_20scan_config_selectorIN3c107complexIfEEEEZZNS1_9scan_implILNS1_25lookback_scan_determinismE0ELb0ELb0ES3_PKS7_PS7_S7_ZZZN2at6native31launch_logcumsumexp_cuda_kernelERKNSE_10TensorBaseESI_lENKUlvE_clEvENKUlvE2_clEvEUlS7_S7_E_S7_EEDaPvRmT3_T4_T5_mT6_P12ihipStream_tbENKUlT_T0_E_clISt17integral_constantIbLb1EESY_IbLb0EEEEDaSU_SV_EUlSU_E_NS1_11comp_targetILNS1_3genE10ELNS1_11target_archE1201ELNS1_3gpuE5ELNS1_3repE0EEENS1_30default_config_static_selectorELNS0_4arch9wavefront6targetE0EEEvT1_
; %bb.0:
	s_endpgm
	.section	.rodata,"a",@progbits
	.p2align	6, 0x0
	.amdhsa_kernel _ZN7rocprim17ROCPRIM_400000_NS6detail17trampoline_kernelINS0_14default_configENS1_20scan_config_selectorIN3c107complexIfEEEEZZNS1_9scan_implILNS1_25lookback_scan_determinismE0ELb0ELb0ES3_PKS7_PS7_S7_ZZZN2at6native31launch_logcumsumexp_cuda_kernelERKNSE_10TensorBaseESI_lENKUlvE_clEvENKUlvE2_clEvEUlS7_S7_E_S7_EEDaPvRmT3_T4_T5_mT6_P12ihipStream_tbENKUlT_T0_E_clISt17integral_constantIbLb1EESY_IbLb0EEEEDaSU_SV_EUlSU_E_NS1_11comp_targetILNS1_3genE10ELNS1_11target_archE1201ELNS1_3gpuE5ELNS1_3repE0EEENS1_30default_config_static_selectorELNS0_4arch9wavefront6targetE0EEEvT1_
		.amdhsa_group_segment_fixed_size 0
		.amdhsa_private_segment_fixed_size 0
		.amdhsa_kernarg_size 104
		.amdhsa_user_sgpr_count 2
		.amdhsa_user_sgpr_dispatch_ptr 0
		.amdhsa_user_sgpr_queue_ptr 0
		.amdhsa_user_sgpr_kernarg_segment_ptr 1
		.amdhsa_user_sgpr_dispatch_id 0
		.amdhsa_user_sgpr_private_segment_size 0
		.amdhsa_wavefront_size32 1
		.amdhsa_uses_dynamic_stack 0
		.amdhsa_enable_private_segment 0
		.amdhsa_system_sgpr_workgroup_id_x 1
		.amdhsa_system_sgpr_workgroup_id_y 0
		.amdhsa_system_sgpr_workgroup_id_z 0
		.amdhsa_system_sgpr_workgroup_info 0
		.amdhsa_system_vgpr_workitem_id 0
		.amdhsa_next_free_vgpr 1
		.amdhsa_next_free_sgpr 1
		.amdhsa_reserve_vcc 0
		.amdhsa_float_round_mode_32 0
		.amdhsa_float_round_mode_16_64 0
		.amdhsa_float_denorm_mode_32 3
		.amdhsa_float_denorm_mode_16_64 3
		.amdhsa_fp16_overflow 0
		.amdhsa_workgroup_processor_mode 1
		.amdhsa_memory_ordered 1
		.amdhsa_forward_progress 1
		.amdhsa_inst_pref_size 1
		.amdhsa_round_robin_scheduling 0
		.amdhsa_exception_fp_ieee_invalid_op 0
		.amdhsa_exception_fp_denorm_src 0
		.amdhsa_exception_fp_ieee_div_zero 0
		.amdhsa_exception_fp_ieee_overflow 0
		.amdhsa_exception_fp_ieee_underflow 0
		.amdhsa_exception_fp_ieee_inexact 0
		.amdhsa_exception_int_div_zero 0
	.end_amdhsa_kernel
	.section	.text._ZN7rocprim17ROCPRIM_400000_NS6detail17trampoline_kernelINS0_14default_configENS1_20scan_config_selectorIN3c107complexIfEEEEZZNS1_9scan_implILNS1_25lookback_scan_determinismE0ELb0ELb0ES3_PKS7_PS7_S7_ZZZN2at6native31launch_logcumsumexp_cuda_kernelERKNSE_10TensorBaseESI_lENKUlvE_clEvENKUlvE2_clEvEUlS7_S7_E_S7_EEDaPvRmT3_T4_T5_mT6_P12ihipStream_tbENKUlT_T0_E_clISt17integral_constantIbLb1EESY_IbLb0EEEEDaSU_SV_EUlSU_E_NS1_11comp_targetILNS1_3genE10ELNS1_11target_archE1201ELNS1_3gpuE5ELNS1_3repE0EEENS1_30default_config_static_selectorELNS0_4arch9wavefront6targetE0EEEvT1_,"axG",@progbits,_ZN7rocprim17ROCPRIM_400000_NS6detail17trampoline_kernelINS0_14default_configENS1_20scan_config_selectorIN3c107complexIfEEEEZZNS1_9scan_implILNS1_25lookback_scan_determinismE0ELb0ELb0ES3_PKS7_PS7_S7_ZZZN2at6native31launch_logcumsumexp_cuda_kernelERKNSE_10TensorBaseESI_lENKUlvE_clEvENKUlvE2_clEvEUlS7_S7_E_S7_EEDaPvRmT3_T4_T5_mT6_P12ihipStream_tbENKUlT_T0_E_clISt17integral_constantIbLb1EESY_IbLb0EEEEDaSU_SV_EUlSU_E_NS1_11comp_targetILNS1_3genE10ELNS1_11target_archE1201ELNS1_3gpuE5ELNS1_3repE0EEENS1_30default_config_static_selectorELNS0_4arch9wavefront6targetE0EEEvT1_,comdat
.Lfunc_end315:
	.size	_ZN7rocprim17ROCPRIM_400000_NS6detail17trampoline_kernelINS0_14default_configENS1_20scan_config_selectorIN3c107complexIfEEEEZZNS1_9scan_implILNS1_25lookback_scan_determinismE0ELb0ELb0ES3_PKS7_PS7_S7_ZZZN2at6native31launch_logcumsumexp_cuda_kernelERKNSE_10TensorBaseESI_lENKUlvE_clEvENKUlvE2_clEvEUlS7_S7_E_S7_EEDaPvRmT3_T4_T5_mT6_P12ihipStream_tbENKUlT_T0_E_clISt17integral_constantIbLb1EESY_IbLb0EEEEDaSU_SV_EUlSU_E_NS1_11comp_targetILNS1_3genE10ELNS1_11target_archE1201ELNS1_3gpuE5ELNS1_3repE0EEENS1_30default_config_static_selectorELNS0_4arch9wavefront6targetE0EEEvT1_, .Lfunc_end315-_ZN7rocprim17ROCPRIM_400000_NS6detail17trampoline_kernelINS0_14default_configENS1_20scan_config_selectorIN3c107complexIfEEEEZZNS1_9scan_implILNS1_25lookback_scan_determinismE0ELb0ELb0ES3_PKS7_PS7_S7_ZZZN2at6native31launch_logcumsumexp_cuda_kernelERKNSE_10TensorBaseESI_lENKUlvE_clEvENKUlvE2_clEvEUlS7_S7_E_S7_EEDaPvRmT3_T4_T5_mT6_P12ihipStream_tbENKUlT_T0_E_clISt17integral_constantIbLb1EESY_IbLb0EEEEDaSU_SV_EUlSU_E_NS1_11comp_targetILNS1_3genE10ELNS1_11target_archE1201ELNS1_3gpuE5ELNS1_3repE0EEENS1_30default_config_static_selectorELNS0_4arch9wavefront6targetE0EEEvT1_
                                        ; -- End function
	.set _ZN7rocprim17ROCPRIM_400000_NS6detail17trampoline_kernelINS0_14default_configENS1_20scan_config_selectorIN3c107complexIfEEEEZZNS1_9scan_implILNS1_25lookback_scan_determinismE0ELb0ELb0ES3_PKS7_PS7_S7_ZZZN2at6native31launch_logcumsumexp_cuda_kernelERKNSE_10TensorBaseESI_lENKUlvE_clEvENKUlvE2_clEvEUlS7_S7_E_S7_EEDaPvRmT3_T4_T5_mT6_P12ihipStream_tbENKUlT_T0_E_clISt17integral_constantIbLb1EESY_IbLb0EEEEDaSU_SV_EUlSU_E_NS1_11comp_targetILNS1_3genE10ELNS1_11target_archE1201ELNS1_3gpuE5ELNS1_3repE0EEENS1_30default_config_static_selectorELNS0_4arch9wavefront6targetE0EEEvT1_.num_vgpr, 0
	.set _ZN7rocprim17ROCPRIM_400000_NS6detail17trampoline_kernelINS0_14default_configENS1_20scan_config_selectorIN3c107complexIfEEEEZZNS1_9scan_implILNS1_25lookback_scan_determinismE0ELb0ELb0ES3_PKS7_PS7_S7_ZZZN2at6native31launch_logcumsumexp_cuda_kernelERKNSE_10TensorBaseESI_lENKUlvE_clEvENKUlvE2_clEvEUlS7_S7_E_S7_EEDaPvRmT3_T4_T5_mT6_P12ihipStream_tbENKUlT_T0_E_clISt17integral_constantIbLb1EESY_IbLb0EEEEDaSU_SV_EUlSU_E_NS1_11comp_targetILNS1_3genE10ELNS1_11target_archE1201ELNS1_3gpuE5ELNS1_3repE0EEENS1_30default_config_static_selectorELNS0_4arch9wavefront6targetE0EEEvT1_.num_agpr, 0
	.set _ZN7rocprim17ROCPRIM_400000_NS6detail17trampoline_kernelINS0_14default_configENS1_20scan_config_selectorIN3c107complexIfEEEEZZNS1_9scan_implILNS1_25lookback_scan_determinismE0ELb0ELb0ES3_PKS7_PS7_S7_ZZZN2at6native31launch_logcumsumexp_cuda_kernelERKNSE_10TensorBaseESI_lENKUlvE_clEvENKUlvE2_clEvEUlS7_S7_E_S7_EEDaPvRmT3_T4_T5_mT6_P12ihipStream_tbENKUlT_T0_E_clISt17integral_constantIbLb1EESY_IbLb0EEEEDaSU_SV_EUlSU_E_NS1_11comp_targetILNS1_3genE10ELNS1_11target_archE1201ELNS1_3gpuE5ELNS1_3repE0EEENS1_30default_config_static_selectorELNS0_4arch9wavefront6targetE0EEEvT1_.numbered_sgpr, 0
	.set _ZN7rocprim17ROCPRIM_400000_NS6detail17trampoline_kernelINS0_14default_configENS1_20scan_config_selectorIN3c107complexIfEEEEZZNS1_9scan_implILNS1_25lookback_scan_determinismE0ELb0ELb0ES3_PKS7_PS7_S7_ZZZN2at6native31launch_logcumsumexp_cuda_kernelERKNSE_10TensorBaseESI_lENKUlvE_clEvENKUlvE2_clEvEUlS7_S7_E_S7_EEDaPvRmT3_T4_T5_mT6_P12ihipStream_tbENKUlT_T0_E_clISt17integral_constantIbLb1EESY_IbLb0EEEEDaSU_SV_EUlSU_E_NS1_11comp_targetILNS1_3genE10ELNS1_11target_archE1201ELNS1_3gpuE5ELNS1_3repE0EEENS1_30default_config_static_selectorELNS0_4arch9wavefront6targetE0EEEvT1_.num_named_barrier, 0
	.set _ZN7rocprim17ROCPRIM_400000_NS6detail17trampoline_kernelINS0_14default_configENS1_20scan_config_selectorIN3c107complexIfEEEEZZNS1_9scan_implILNS1_25lookback_scan_determinismE0ELb0ELb0ES3_PKS7_PS7_S7_ZZZN2at6native31launch_logcumsumexp_cuda_kernelERKNSE_10TensorBaseESI_lENKUlvE_clEvENKUlvE2_clEvEUlS7_S7_E_S7_EEDaPvRmT3_T4_T5_mT6_P12ihipStream_tbENKUlT_T0_E_clISt17integral_constantIbLb1EESY_IbLb0EEEEDaSU_SV_EUlSU_E_NS1_11comp_targetILNS1_3genE10ELNS1_11target_archE1201ELNS1_3gpuE5ELNS1_3repE0EEENS1_30default_config_static_selectorELNS0_4arch9wavefront6targetE0EEEvT1_.private_seg_size, 0
	.set _ZN7rocprim17ROCPRIM_400000_NS6detail17trampoline_kernelINS0_14default_configENS1_20scan_config_selectorIN3c107complexIfEEEEZZNS1_9scan_implILNS1_25lookback_scan_determinismE0ELb0ELb0ES3_PKS7_PS7_S7_ZZZN2at6native31launch_logcumsumexp_cuda_kernelERKNSE_10TensorBaseESI_lENKUlvE_clEvENKUlvE2_clEvEUlS7_S7_E_S7_EEDaPvRmT3_T4_T5_mT6_P12ihipStream_tbENKUlT_T0_E_clISt17integral_constantIbLb1EESY_IbLb0EEEEDaSU_SV_EUlSU_E_NS1_11comp_targetILNS1_3genE10ELNS1_11target_archE1201ELNS1_3gpuE5ELNS1_3repE0EEENS1_30default_config_static_selectorELNS0_4arch9wavefront6targetE0EEEvT1_.uses_vcc, 0
	.set _ZN7rocprim17ROCPRIM_400000_NS6detail17trampoline_kernelINS0_14default_configENS1_20scan_config_selectorIN3c107complexIfEEEEZZNS1_9scan_implILNS1_25lookback_scan_determinismE0ELb0ELb0ES3_PKS7_PS7_S7_ZZZN2at6native31launch_logcumsumexp_cuda_kernelERKNSE_10TensorBaseESI_lENKUlvE_clEvENKUlvE2_clEvEUlS7_S7_E_S7_EEDaPvRmT3_T4_T5_mT6_P12ihipStream_tbENKUlT_T0_E_clISt17integral_constantIbLb1EESY_IbLb0EEEEDaSU_SV_EUlSU_E_NS1_11comp_targetILNS1_3genE10ELNS1_11target_archE1201ELNS1_3gpuE5ELNS1_3repE0EEENS1_30default_config_static_selectorELNS0_4arch9wavefront6targetE0EEEvT1_.uses_flat_scratch, 0
	.set _ZN7rocprim17ROCPRIM_400000_NS6detail17trampoline_kernelINS0_14default_configENS1_20scan_config_selectorIN3c107complexIfEEEEZZNS1_9scan_implILNS1_25lookback_scan_determinismE0ELb0ELb0ES3_PKS7_PS7_S7_ZZZN2at6native31launch_logcumsumexp_cuda_kernelERKNSE_10TensorBaseESI_lENKUlvE_clEvENKUlvE2_clEvEUlS7_S7_E_S7_EEDaPvRmT3_T4_T5_mT6_P12ihipStream_tbENKUlT_T0_E_clISt17integral_constantIbLb1EESY_IbLb0EEEEDaSU_SV_EUlSU_E_NS1_11comp_targetILNS1_3genE10ELNS1_11target_archE1201ELNS1_3gpuE5ELNS1_3repE0EEENS1_30default_config_static_selectorELNS0_4arch9wavefront6targetE0EEEvT1_.has_dyn_sized_stack, 0
	.set _ZN7rocprim17ROCPRIM_400000_NS6detail17trampoline_kernelINS0_14default_configENS1_20scan_config_selectorIN3c107complexIfEEEEZZNS1_9scan_implILNS1_25lookback_scan_determinismE0ELb0ELb0ES3_PKS7_PS7_S7_ZZZN2at6native31launch_logcumsumexp_cuda_kernelERKNSE_10TensorBaseESI_lENKUlvE_clEvENKUlvE2_clEvEUlS7_S7_E_S7_EEDaPvRmT3_T4_T5_mT6_P12ihipStream_tbENKUlT_T0_E_clISt17integral_constantIbLb1EESY_IbLb0EEEEDaSU_SV_EUlSU_E_NS1_11comp_targetILNS1_3genE10ELNS1_11target_archE1201ELNS1_3gpuE5ELNS1_3repE0EEENS1_30default_config_static_selectorELNS0_4arch9wavefront6targetE0EEEvT1_.has_recursion, 0
	.set _ZN7rocprim17ROCPRIM_400000_NS6detail17trampoline_kernelINS0_14default_configENS1_20scan_config_selectorIN3c107complexIfEEEEZZNS1_9scan_implILNS1_25lookback_scan_determinismE0ELb0ELb0ES3_PKS7_PS7_S7_ZZZN2at6native31launch_logcumsumexp_cuda_kernelERKNSE_10TensorBaseESI_lENKUlvE_clEvENKUlvE2_clEvEUlS7_S7_E_S7_EEDaPvRmT3_T4_T5_mT6_P12ihipStream_tbENKUlT_T0_E_clISt17integral_constantIbLb1EESY_IbLb0EEEEDaSU_SV_EUlSU_E_NS1_11comp_targetILNS1_3genE10ELNS1_11target_archE1201ELNS1_3gpuE5ELNS1_3repE0EEENS1_30default_config_static_selectorELNS0_4arch9wavefront6targetE0EEEvT1_.has_indirect_call, 0
	.section	.AMDGPU.csdata,"",@progbits
; Kernel info:
; codeLenInByte = 4
; TotalNumSgprs: 0
; NumVgprs: 0
; ScratchSize: 0
; MemoryBound: 0
; FloatMode: 240
; IeeeMode: 1
; LDSByteSize: 0 bytes/workgroup (compile time only)
; SGPRBlocks: 0
; VGPRBlocks: 0
; NumSGPRsForWavesPerEU: 1
; NumVGPRsForWavesPerEU: 1
; Occupancy: 16
; WaveLimiterHint : 0
; COMPUTE_PGM_RSRC2:SCRATCH_EN: 0
; COMPUTE_PGM_RSRC2:USER_SGPR: 2
; COMPUTE_PGM_RSRC2:TRAP_HANDLER: 0
; COMPUTE_PGM_RSRC2:TGID_X_EN: 1
; COMPUTE_PGM_RSRC2:TGID_Y_EN: 0
; COMPUTE_PGM_RSRC2:TGID_Z_EN: 0
; COMPUTE_PGM_RSRC2:TIDIG_COMP_CNT: 0
	.section	.text._ZN7rocprim17ROCPRIM_400000_NS6detail17trampoline_kernelINS0_14default_configENS1_20scan_config_selectorIN3c107complexIfEEEEZZNS1_9scan_implILNS1_25lookback_scan_determinismE0ELb0ELb0ES3_PKS7_PS7_S7_ZZZN2at6native31launch_logcumsumexp_cuda_kernelERKNSE_10TensorBaseESI_lENKUlvE_clEvENKUlvE2_clEvEUlS7_S7_E_S7_EEDaPvRmT3_T4_T5_mT6_P12ihipStream_tbENKUlT_T0_E_clISt17integral_constantIbLb1EESY_IbLb0EEEEDaSU_SV_EUlSU_E_NS1_11comp_targetILNS1_3genE10ELNS1_11target_archE1200ELNS1_3gpuE4ELNS1_3repE0EEENS1_30default_config_static_selectorELNS0_4arch9wavefront6targetE0EEEvT1_,"axG",@progbits,_ZN7rocprim17ROCPRIM_400000_NS6detail17trampoline_kernelINS0_14default_configENS1_20scan_config_selectorIN3c107complexIfEEEEZZNS1_9scan_implILNS1_25lookback_scan_determinismE0ELb0ELb0ES3_PKS7_PS7_S7_ZZZN2at6native31launch_logcumsumexp_cuda_kernelERKNSE_10TensorBaseESI_lENKUlvE_clEvENKUlvE2_clEvEUlS7_S7_E_S7_EEDaPvRmT3_T4_T5_mT6_P12ihipStream_tbENKUlT_T0_E_clISt17integral_constantIbLb1EESY_IbLb0EEEEDaSU_SV_EUlSU_E_NS1_11comp_targetILNS1_3genE10ELNS1_11target_archE1200ELNS1_3gpuE4ELNS1_3repE0EEENS1_30default_config_static_selectorELNS0_4arch9wavefront6targetE0EEEvT1_,comdat
	.globl	_ZN7rocprim17ROCPRIM_400000_NS6detail17trampoline_kernelINS0_14default_configENS1_20scan_config_selectorIN3c107complexIfEEEEZZNS1_9scan_implILNS1_25lookback_scan_determinismE0ELb0ELb0ES3_PKS7_PS7_S7_ZZZN2at6native31launch_logcumsumexp_cuda_kernelERKNSE_10TensorBaseESI_lENKUlvE_clEvENKUlvE2_clEvEUlS7_S7_E_S7_EEDaPvRmT3_T4_T5_mT6_P12ihipStream_tbENKUlT_T0_E_clISt17integral_constantIbLb1EESY_IbLb0EEEEDaSU_SV_EUlSU_E_NS1_11comp_targetILNS1_3genE10ELNS1_11target_archE1200ELNS1_3gpuE4ELNS1_3repE0EEENS1_30default_config_static_selectorELNS0_4arch9wavefront6targetE0EEEvT1_ ; -- Begin function _ZN7rocprim17ROCPRIM_400000_NS6detail17trampoline_kernelINS0_14default_configENS1_20scan_config_selectorIN3c107complexIfEEEEZZNS1_9scan_implILNS1_25lookback_scan_determinismE0ELb0ELb0ES3_PKS7_PS7_S7_ZZZN2at6native31launch_logcumsumexp_cuda_kernelERKNSE_10TensorBaseESI_lENKUlvE_clEvENKUlvE2_clEvEUlS7_S7_E_S7_EEDaPvRmT3_T4_T5_mT6_P12ihipStream_tbENKUlT_T0_E_clISt17integral_constantIbLb1EESY_IbLb0EEEEDaSU_SV_EUlSU_E_NS1_11comp_targetILNS1_3genE10ELNS1_11target_archE1200ELNS1_3gpuE4ELNS1_3repE0EEENS1_30default_config_static_selectorELNS0_4arch9wavefront6targetE0EEEvT1_
	.p2align	8
	.type	_ZN7rocprim17ROCPRIM_400000_NS6detail17trampoline_kernelINS0_14default_configENS1_20scan_config_selectorIN3c107complexIfEEEEZZNS1_9scan_implILNS1_25lookback_scan_determinismE0ELb0ELb0ES3_PKS7_PS7_S7_ZZZN2at6native31launch_logcumsumexp_cuda_kernelERKNSE_10TensorBaseESI_lENKUlvE_clEvENKUlvE2_clEvEUlS7_S7_E_S7_EEDaPvRmT3_T4_T5_mT6_P12ihipStream_tbENKUlT_T0_E_clISt17integral_constantIbLb1EESY_IbLb0EEEEDaSU_SV_EUlSU_E_NS1_11comp_targetILNS1_3genE10ELNS1_11target_archE1200ELNS1_3gpuE4ELNS1_3repE0EEENS1_30default_config_static_selectorELNS0_4arch9wavefront6targetE0EEEvT1_,@function
_ZN7rocprim17ROCPRIM_400000_NS6detail17trampoline_kernelINS0_14default_configENS1_20scan_config_selectorIN3c107complexIfEEEEZZNS1_9scan_implILNS1_25lookback_scan_determinismE0ELb0ELb0ES3_PKS7_PS7_S7_ZZZN2at6native31launch_logcumsumexp_cuda_kernelERKNSE_10TensorBaseESI_lENKUlvE_clEvENKUlvE2_clEvEUlS7_S7_E_S7_EEDaPvRmT3_T4_T5_mT6_P12ihipStream_tbENKUlT_T0_E_clISt17integral_constantIbLb1EESY_IbLb0EEEEDaSU_SV_EUlSU_E_NS1_11comp_targetILNS1_3genE10ELNS1_11target_archE1200ELNS1_3gpuE4ELNS1_3repE0EEENS1_30default_config_static_selectorELNS0_4arch9wavefront6targetE0EEEvT1_: ; @_ZN7rocprim17ROCPRIM_400000_NS6detail17trampoline_kernelINS0_14default_configENS1_20scan_config_selectorIN3c107complexIfEEEEZZNS1_9scan_implILNS1_25lookback_scan_determinismE0ELb0ELb0ES3_PKS7_PS7_S7_ZZZN2at6native31launch_logcumsumexp_cuda_kernelERKNSE_10TensorBaseESI_lENKUlvE_clEvENKUlvE2_clEvEUlS7_S7_E_S7_EEDaPvRmT3_T4_T5_mT6_P12ihipStream_tbENKUlT_T0_E_clISt17integral_constantIbLb1EESY_IbLb0EEEEDaSU_SV_EUlSU_E_NS1_11comp_targetILNS1_3genE10ELNS1_11target_archE1200ELNS1_3gpuE4ELNS1_3repE0EEENS1_30default_config_static_selectorELNS0_4arch9wavefront6targetE0EEEvT1_
; %bb.0:
	.section	.rodata,"a",@progbits
	.p2align	6, 0x0
	.amdhsa_kernel _ZN7rocprim17ROCPRIM_400000_NS6detail17trampoline_kernelINS0_14default_configENS1_20scan_config_selectorIN3c107complexIfEEEEZZNS1_9scan_implILNS1_25lookback_scan_determinismE0ELb0ELb0ES3_PKS7_PS7_S7_ZZZN2at6native31launch_logcumsumexp_cuda_kernelERKNSE_10TensorBaseESI_lENKUlvE_clEvENKUlvE2_clEvEUlS7_S7_E_S7_EEDaPvRmT3_T4_T5_mT6_P12ihipStream_tbENKUlT_T0_E_clISt17integral_constantIbLb1EESY_IbLb0EEEEDaSU_SV_EUlSU_E_NS1_11comp_targetILNS1_3genE10ELNS1_11target_archE1200ELNS1_3gpuE4ELNS1_3repE0EEENS1_30default_config_static_selectorELNS0_4arch9wavefront6targetE0EEEvT1_
		.amdhsa_group_segment_fixed_size 0
		.amdhsa_private_segment_fixed_size 0
		.amdhsa_kernarg_size 104
		.amdhsa_user_sgpr_count 2
		.amdhsa_user_sgpr_dispatch_ptr 0
		.amdhsa_user_sgpr_queue_ptr 0
		.amdhsa_user_sgpr_kernarg_segment_ptr 1
		.amdhsa_user_sgpr_dispatch_id 0
		.amdhsa_user_sgpr_private_segment_size 0
		.amdhsa_wavefront_size32 1
		.amdhsa_uses_dynamic_stack 0
		.amdhsa_enable_private_segment 0
		.amdhsa_system_sgpr_workgroup_id_x 1
		.amdhsa_system_sgpr_workgroup_id_y 0
		.amdhsa_system_sgpr_workgroup_id_z 0
		.amdhsa_system_sgpr_workgroup_info 0
		.amdhsa_system_vgpr_workitem_id 0
		.amdhsa_next_free_vgpr 1
		.amdhsa_next_free_sgpr 1
		.amdhsa_reserve_vcc 0
		.amdhsa_float_round_mode_32 0
		.amdhsa_float_round_mode_16_64 0
		.amdhsa_float_denorm_mode_32 3
		.amdhsa_float_denorm_mode_16_64 3
		.amdhsa_fp16_overflow 0
		.amdhsa_workgroup_processor_mode 1
		.amdhsa_memory_ordered 1
		.amdhsa_forward_progress 1
		.amdhsa_inst_pref_size 0
		.amdhsa_round_robin_scheduling 0
		.amdhsa_exception_fp_ieee_invalid_op 0
		.amdhsa_exception_fp_denorm_src 0
		.amdhsa_exception_fp_ieee_div_zero 0
		.amdhsa_exception_fp_ieee_overflow 0
		.amdhsa_exception_fp_ieee_underflow 0
		.amdhsa_exception_fp_ieee_inexact 0
		.amdhsa_exception_int_div_zero 0
	.end_amdhsa_kernel
	.section	.text._ZN7rocprim17ROCPRIM_400000_NS6detail17trampoline_kernelINS0_14default_configENS1_20scan_config_selectorIN3c107complexIfEEEEZZNS1_9scan_implILNS1_25lookback_scan_determinismE0ELb0ELb0ES3_PKS7_PS7_S7_ZZZN2at6native31launch_logcumsumexp_cuda_kernelERKNSE_10TensorBaseESI_lENKUlvE_clEvENKUlvE2_clEvEUlS7_S7_E_S7_EEDaPvRmT3_T4_T5_mT6_P12ihipStream_tbENKUlT_T0_E_clISt17integral_constantIbLb1EESY_IbLb0EEEEDaSU_SV_EUlSU_E_NS1_11comp_targetILNS1_3genE10ELNS1_11target_archE1200ELNS1_3gpuE4ELNS1_3repE0EEENS1_30default_config_static_selectorELNS0_4arch9wavefront6targetE0EEEvT1_,"axG",@progbits,_ZN7rocprim17ROCPRIM_400000_NS6detail17trampoline_kernelINS0_14default_configENS1_20scan_config_selectorIN3c107complexIfEEEEZZNS1_9scan_implILNS1_25lookback_scan_determinismE0ELb0ELb0ES3_PKS7_PS7_S7_ZZZN2at6native31launch_logcumsumexp_cuda_kernelERKNSE_10TensorBaseESI_lENKUlvE_clEvENKUlvE2_clEvEUlS7_S7_E_S7_EEDaPvRmT3_T4_T5_mT6_P12ihipStream_tbENKUlT_T0_E_clISt17integral_constantIbLb1EESY_IbLb0EEEEDaSU_SV_EUlSU_E_NS1_11comp_targetILNS1_3genE10ELNS1_11target_archE1200ELNS1_3gpuE4ELNS1_3repE0EEENS1_30default_config_static_selectorELNS0_4arch9wavefront6targetE0EEEvT1_,comdat
.Lfunc_end316:
	.size	_ZN7rocprim17ROCPRIM_400000_NS6detail17trampoline_kernelINS0_14default_configENS1_20scan_config_selectorIN3c107complexIfEEEEZZNS1_9scan_implILNS1_25lookback_scan_determinismE0ELb0ELb0ES3_PKS7_PS7_S7_ZZZN2at6native31launch_logcumsumexp_cuda_kernelERKNSE_10TensorBaseESI_lENKUlvE_clEvENKUlvE2_clEvEUlS7_S7_E_S7_EEDaPvRmT3_T4_T5_mT6_P12ihipStream_tbENKUlT_T0_E_clISt17integral_constantIbLb1EESY_IbLb0EEEEDaSU_SV_EUlSU_E_NS1_11comp_targetILNS1_3genE10ELNS1_11target_archE1200ELNS1_3gpuE4ELNS1_3repE0EEENS1_30default_config_static_selectorELNS0_4arch9wavefront6targetE0EEEvT1_, .Lfunc_end316-_ZN7rocprim17ROCPRIM_400000_NS6detail17trampoline_kernelINS0_14default_configENS1_20scan_config_selectorIN3c107complexIfEEEEZZNS1_9scan_implILNS1_25lookback_scan_determinismE0ELb0ELb0ES3_PKS7_PS7_S7_ZZZN2at6native31launch_logcumsumexp_cuda_kernelERKNSE_10TensorBaseESI_lENKUlvE_clEvENKUlvE2_clEvEUlS7_S7_E_S7_EEDaPvRmT3_T4_T5_mT6_P12ihipStream_tbENKUlT_T0_E_clISt17integral_constantIbLb1EESY_IbLb0EEEEDaSU_SV_EUlSU_E_NS1_11comp_targetILNS1_3genE10ELNS1_11target_archE1200ELNS1_3gpuE4ELNS1_3repE0EEENS1_30default_config_static_selectorELNS0_4arch9wavefront6targetE0EEEvT1_
                                        ; -- End function
	.set _ZN7rocprim17ROCPRIM_400000_NS6detail17trampoline_kernelINS0_14default_configENS1_20scan_config_selectorIN3c107complexIfEEEEZZNS1_9scan_implILNS1_25lookback_scan_determinismE0ELb0ELb0ES3_PKS7_PS7_S7_ZZZN2at6native31launch_logcumsumexp_cuda_kernelERKNSE_10TensorBaseESI_lENKUlvE_clEvENKUlvE2_clEvEUlS7_S7_E_S7_EEDaPvRmT3_T4_T5_mT6_P12ihipStream_tbENKUlT_T0_E_clISt17integral_constantIbLb1EESY_IbLb0EEEEDaSU_SV_EUlSU_E_NS1_11comp_targetILNS1_3genE10ELNS1_11target_archE1200ELNS1_3gpuE4ELNS1_3repE0EEENS1_30default_config_static_selectorELNS0_4arch9wavefront6targetE0EEEvT1_.num_vgpr, 0
	.set _ZN7rocprim17ROCPRIM_400000_NS6detail17trampoline_kernelINS0_14default_configENS1_20scan_config_selectorIN3c107complexIfEEEEZZNS1_9scan_implILNS1_25lookback_scan_determinismE0ELb0ELb0ES3_PKS7_PS7_S7_ZZZN2at6native31launch_logcumsumexp_cuda_kernelERKNSE_10TensorBaseESI_lENKUlvE_clEvENKUlvE2_clEvEUlS7_S7_E_S7_EEDaPvRmT3_T4_T5_mT6_P12ihipStream_tbENKUlT_T0_E_clISt17integral_constantIbLb1EESY_IbLb0EEEEDaSU_SV_EUlSU_E_NS1_11comp_targetILNS1_3genE10ELNS1_11target_archE1200ELNS1_3gpuE4ELNS1_3repE0EEENS1_30default_config_static_selectorELNS0_4arch9wavefront6targetE0EEEvT1_.num_agpr, 0
	.set _ZN7rocprim17ROCPRIM_400000_NS6detail17trampoline_kernelINS0_14default_configENS1_20scan_config_selectorIN3c107complexIfEEEEZZNS1_9scan_implILNS1_25lookback_scan_determinismE0ELb0ELb0ES3_PKS7_PS7_S7_ZZZN2at6native31launch_logcumsumexp_cuda_kernelERKNSE_10TensorBaseESI_lENKUlvE_clEvENKUlvE2_clEvEUlS7_S7_E_S7_EEDaPvRmT3_T4_T5_mT6_P12ihipStream_tbENKUlT_T0_E_clISt17integral_constantIbLb1EESY_IbLb0EEEEDaSU_SV_EUlSU_E_NS1_11comp_targetILNS1_3genE10ELNS1_11target_archE1200ELNS1_3gpuE4ELNS1_3repE0EEENS1_30default_config_static_selectorELNS0_4arch9wavefront6targetE0EEEvT1_.numbered_sgpr, 0
	.set _ZN7rocprim17ROCPRIM_400000_NS6detail17trampoline_kernelINS0_14default_configENS1_20scan_config_selectorIN3c107complexIfEEEEZZNS1_9scan_implILNS1_25lookback_scan_determinismE0ELb0ELb0ES3_PKS7_PS7_S7_ZZZN2at6native31launch_logcumsumexp_cuda_kernelERKNSE_10TensorBaseESI_lENKUlvE_clEvENKUlvE2_clEvEUlS7_S7_E_S7_EEDaPvRmT3_T4_T5_mT6_P12ihipStream_tbENKUlT_T0_E_clISt17integral_constantIbLb1EESY_IbLb0EEEEDaSU_SV_EUlSU_E_NS1_11comp_targetILNS1_3genE10ELNS1_11target_archE1200ELNS1_3gpuE4ELNS1_3repE0EEENS1_30default_config_static_selectorELNS0_4arch9wavefront6targetE0EEEvT1_.num_named_barrier, 0
	.set _ZN7rocprim17ROCPRIM_400000_NS6detail17trampoline_kernelINS0_14default_configENS1_20scan_config_selectorIN3c107complexIfEEEEZZNS1_9scan_implILNS1_25lookback_scan_determinismE0ELb0ELb0ES3_PKS7_PS7_S7_ZZZN2at6native31launch_logcumsumexp_cuda_kernelERKNSE_10TensorBaseESI_lENKUlvE_clEvENKUlvE2_clEvEUlS7_S7_E_S7_EEDaPvRmT3_T4_T5_mT6_P12ihipStream_tbENKUlT_T0_E_clISt17integral_constantIbLb1EESY_IbLb0EEEEDaSU_SV_EUlSU_E_NS1_11comp_targetILNS1_3genE10ELNS1_11target_archE1200ELNS1_3gpuE4ELNS1_3repE0EEENS1_30default_config_static_selectorELNS0_4arch9wavefront6targetE0EEEvT1_.private_seg_size, 0
	.set _ZN7rocprim17ROCPRIM_400000_NS6detail17trampoline_kernelINS0_14default_configENS1_20scan_config_selectorIN3c107complexIfEEEEZZNS1_9scan_implILNS1_25lookback_scan_determinismE0ELb0ELb0ES3_PKS7_PS7_S7_ZZZN2at6native31launch_logcumsumexp_cuda_kernelERKNSE_10TensorBaseESI_lENKUlvE_clEvENKUlvE2_clEvEUlS7_S7_E_S7_EEDaPvRmT3_T4_T5_mT6_P12ihipStream_tbENKUlT_T0_E_clISt17integral_constantIbLb1EESY_IbLb0EEEEDaSU_SV_EUlSU_E_NS1_11comp_targetILNS1_3genE10ELNS1_11target_archE1200ELNS1_3gpuE4ELNS1_3repE0EEENS1_30default_config_static_selectorELNS0_4arch9wavefront6targetE0EEEvT1_.uses_vcc, 0
	.set _ZN7rocprim17ROCPRIM_400000_NS6detail17trampoline_kernelINS0_14default_configENS1_20scan_config_selectorIN3c107complexIfEEEEZZNS1_9scan_implILNS1_25lookback_scan_determinismE0ELb0ELb0ES3_PKS7_PS7_S7_ZZZN2at6native31launch_logcumsumexp_cuda_kernelERKNSE_10TensorBaseESI_lENKUlvE_clEvENKUlvE2_clEvEUlS7_S7_E_S7_EEDaPvRmT3_T4_T5_mT6_P12ihipStream_tbENKUlT_T0_E_clISt17integral_constantIbLb1EESY_IbLb0EEEEDaSU_SV_EUlSU_E_NS1_11comp_targetILNS1_3genE10ELNS1_11target_archE1200ELNS1_3gpuE4ELNS1_3repE0EEENS1_30default_config_static_selectorELNS0_4arch9wavefront6targetE0EEEvT1_.uses_flat_scratch, 0
	.set _ZN7rocprim17ROCPRIM_400000_NS6detail17trampoline_kernelINS0_14default_configENS1_20scan_config_selectorIN3c107complexIfEEEEZZNS1_9scan_implILNS1_25lookback_scan_determinismE0ELb0ELb0ES3_PKS7_PS7_S7_ZZZN2at6native31launch_logcumsumexp_cuda_kernelERKNSE_10TensorBaseESI_lENKUlvE_clEvENKUlvE2_clEvEUlS7_S7_E_S7_EEDaPvRmT3_T4_T5_mT6_P12ihipStream_tbENKUlT_T0_E_clISt17integral_constantIbLb1EESY_IbLb0EEEEDaSU_SV_EUlSU_E_NS1_11comp_targetILNS1_3genE10ELNS1_11target_archE1200ELNS1_3gpuE4ELNS1_3repE0EEENS1_30default_config_static_selectorELNS0_4arch9wavefront6targetE0EEEvT1_.has_dyn_sized_stack, 0
	.set _ZN7rocprim17ROCPRIM_400000_NS6detail17trampoline_kernelINS0_14default_configENS1_20scan_config_selectorIN3c107complexIfEEEEZZNS1_9scan_implILNS1_25lookback_scan_determinismE0ELb0ELb0ES3_PKS7_PS7_S7_ZZZN2at6native31launch_logcumsumexp_cuda_kernelERKNSE_10TensorBaseESI_lENKUlvE_clEvENKUlvE2_clEvEUlS7_S7_E_S7_EEDaPvRmT3_T4_T5_mT6_P12ihipStream_tbENKUlT_T0_E_clISt17integral_constantIbLb1EESY_IbLb0EEEEDaSU_SV_EUlSU_E_NS1_11comp_targetILNS1_3genE10ELNS1_11target_archE1200ELNS1_3gpuE4ELNS1_3repE0EEENS1_30default_config_static_selectorELNS0_4arch9wavefront6targetE0EEEvT1_.has_recursion, 0
	.set _ZN7rocprim17ROCPRIM_400000_NS6detail17trampoline_kernelINS0_14default_configENS1_20scan_config_selectorIN3c107complexIfEEEEZZNS1_9scan_implILNS1_25lookback_scan_determinismE0ELb0ELb0ES3_PKS7_PS7_S7_ZZZN2at6native31launch_logcumsumexp_cuda_kernelERKNSE_10TensorBaseESI_lENKUlvE_clEvENKUlvE2_clEvEUlS7_S7_E_S7_EEDaPvRmT3_T4_T5_mT6_P12ihipStream_tbENKUlT_T0_E_clISt17integral_constantIbLb1EESY_IbLb0EEEEDaSU_SV_EUlSU_E_NS1_11comp_targetILNS1_3genE10ELNS1_11target_archE1200ELNS1_3gpuE4ELNS1_3repE0EEENS1_30default_config_static_selectorELNS0_4arch9wavefront6targetE0EEEvT1_.has_indirect_call, 0
	.section	.AMDGPU.csdata,"",@progbits
; Kernel info:
; codeLenInByte = 0
; TotalNumSgprs: 0
; NumVgprs: 0
; ScratchSize: 0
; MemoryBound: 0
; FloatMode: 240
; IeeeMode: 1
; LDSByteSize: 0 bytes/workgroup (compile time only)
; SGPRBlocks: 0
; VGPRBlocks: 0
; NumSGPRsForWavesPerEU: 1
; NumVGPRsForWavesPerEU: 1
; Occupancy: 16
; WaveLimiterHint : 0
; COMPUTE_PGM_RSRC2:SCRATCH_EN: 0
; COMPUTE_PGM_RSRC2:USER_SGPR: 2
; COMPUTE_PGM_RSRC2:TRAP_HANDLER: 0
; COMPUTE_PGM_RSRC2:TGID_X_EN: 1
; COMPUTE_PGM_RSRC2:TGID_Y_EN: 0
; COMPUTE_PGM_RSRC2:TGID_Z_EN: 0
; COMPUTE_PGM_RSRC2:TIDIG_COMP_CNT: 0
	.section	.text._ZN7rocprim17ROCPRIM_400000_NS6detail17trampoline_kernelINS0_14default_configENS1_20scan_config_selectorIN3c107complexIfEEEEZZNS1_9scan_implILNS1_25lookback_scan_determinismE0ELb0ELb0ES3_PKS7_PS7_S7_ZZZN2at6native31launch_logcumsumexp_cuda_kernelERKNSE_10TensorBaseESI_lENKUlvE_clEvENKUlvE2_clEvEUlS7_S7_E_S7_EEDaPvRmT3_T4_T5_mT6_P12ihipStream_tbENKUlT_T0_E_clISt17integral_constantIbLb1EESY_IbLb0EEEEDaSU_SV_EUlSU_E_NS1_11comp_targetILNS1_3genE9ELNS1_11target_archE1100ELNS1_3gpuE3ELNS1_3repE0EEENS1_30default_config_static_selectorELNS0_4arch9wavefront6targetE0EEEvT1_,"axG",@progbits,_ZN7rocprim17ROCPRIM_400000_NS6detail17trampoline_kernelINS0_14default_configENS1_20scan_config_selectorIN3c107complexIfEEEEZZNS1_9scan_implILNS1_25lookback_scan_determinismE0ELb0ELb0ES3_PKS7_PS7_S7_ZZZN2at6native31launch_logcumsumexp_cuda_kernelERKNSE_10TensorBaseESI_lENKUlvE_clEvENKUlvE2_clEvEUlS7_S7_E_S7_EEDaPvRmT3_T4_T5_mT6_P12ihipStream_tbENKUlT_T0_E_clISt17integral_constantIbLb1EESY_IbLb0EEEEDaSU_SV_EUlSU_E_NS1_11comp_targetILNS1_3genE9ELNS1_11target_archE1100ELNS1_3gpuE3ELNS1_3repE0EEENS1_30default_config_static_selectorELNS0_4arch9wavefront6targetE0EEEvT1_,comdat
	.globl	_ZN7rocprim17ROCPRIM_400000_NS6detail17trampoline_kernelINS0_14default_configENS1_20scan_config_selectorIN3c107complexIfEEEEZZNS1_9scan_implILNS1_25lookback_scan_determinismE0ELb0ELb0ES3_PKS7_PS7_S7_ZZZN2at6native31launch_logcumsumexp_cuda_kernelERKNSE_10TensorBaseESI_lENKUlvE_clEvENKUlvE2_clEvEUlS7_S7_E_S7_EEDaPvRmT3_T4_T5_mT6_P12ihipStream_tbENKUlT_T0_E_clISt17integral_constantIbLb1EESY_IbLb0EEEEDaSU_SV_EUlSU_E_NS1_11comp_targetILNS1_3genE9ELNS1_11target_archE1100ELNS1_3gpuE3ELNS1_3repE0EEENS1_30default_config_static_selectorELNS0_4arch9wavefront6targetE0EEEvT1_ ; -- Begin function _ZN7rocprim17ROCPRIM_400000_NS6detail17trampoline_kernelINS0_14default_configENS1_20scan_config_selectorIN3c107complexIfEEEEZZNS1_9scan_implILNS1_25lookback_scan_determinismE0ELb0ELb0ES3_PKS7_PS7_S7_ZZZN2at6native31launch_logcumsumexp_cuda_kernelERKNSE_10TensorBaseESI_lENKUlvE_clEvENKUlvE2_clEvEUlS7_S7_E_S7_EEDaPvRmT3_T4_T5_mT6_P12ihipStream_tbENKUlT_T0_E_clISt17integral_constantIbLb1EESY_IbLb0EEEEDaSU_SV_EUlSU_E_NS1_11comp_targetILNS1_3genE9ELNS1_11target_archE1100ELNS1_3gpuE3ELNS1_3repE0EEENS1_30default_config_static_selectorELNS0_4arch9wavefront6targetE0EEEvT1_
	.p2align	8
	.type	_ZN7rocprim17ROCPRIM_400000_NS6detail17trampoline_kernelINS0_14default_configENS1_20scan_config_selectorIN3c107complexIfEEEEZZNS1_9scan_implILNS1_25lookback_scan_determinismE0ELb0ELb0ES3_PKS7_PS7_S7_ZZZN2at6native31launch_logcumsumexp_cuda_kernelERKNSE_10TensorBaseESI_lENKUlvE_clEvENKUlvE2_clEvEUlS7_S7_E_S7_EEDaPvRmT3_T4_T5_mT6_P12ihipStream_tbENKUlT_T0_E_clISt17integral_constantIbLb1EESY_IbLb0EEEEDaSU_SV_EUlSU_E_NS1_11comp_targetILNS1_3genE9ELNS1_11target_archE1100ELNS1_3gpuE3ELNS1_3repE0EEENS1_30default_config_static_selectorELNS0_4arch9wavefront6targetE0EEEvT1_,@function
_ZN7rocprim17ROCPRIM_400000_NS6detail17trampoline_kernelINS0_14default_configENS1_20scan_config_selectorIN3c107complexIfEEEEZZNS1_9scan_implILNS1_25lookback_scan_determinismE0ELb0ELb0ES3_PKS7_PS7_S7_ZZZN2at6native31launch_logcumsumexp_cuda_kernelERKNSE_10TensorBaseESI_lENKUlvE_clEvENKUlvE2_clEvEUlS7_S7_E_S7_EEDaPvRmT3_T4_T5_mT6_P12ihipStream_tbENKUlT_T0_E_clISt17integral_constantIbLb1EESY_IbLb0EEEEDaSU_SV_EUlSU_E_NS1_11comp_targetILNS1_3genE9ELNS1_11target_archE1100ELNS1_3gpuE3ELNS1_3repE0EEENS1_30default_config_static_selectorELNS0_4arch9wavefront6targetE0EEEvT1_: ; @_ZN7rocprim17ROCPRIM_400000_NS6detail17trampoline_kernelINS0_14default_configENS1_20scan_config_selectorIN3c107complexIfEEEEZZNS1_9scan_implILNS1_25lookback_scan_determinismE0ELb0ELb0ES3_PKS7_PS7_S7_ZZZN2at6native31launch_logcumsumexp_cuda_kernelERKNSE_10TensorBaseESI_lENKUlvE_clEvENKUlvE2_clEvEUlS7_S7_E_S7_EEDaPvRmT3_T4_T5_mT6_P12ihipStream_tbENKUlT_T0_E_clISt17integral_constantIbLb1EESY_IbLb0EEEEDaSU_SV_EUlSU_E_NS1_11comp_targetILNS1_3genE9ELNS1_11target_archE1100ELNS1_3gpuE3ELNS1_3repE0EEENS1_30default_config_static_selectorELNS0_4arch9wavefront6targetE0EEEvT1_
; %bb.0:
	.section	.rodata,"a",@progbits
	.p2align	6, 0x0
	.amdhsa_kernel _ZN7rocprim17ROCPRIM_400000_NS6detail17trampoline_kernelINS0_14default_configENS1_20scan_config_selectorIN3c107complexIfEEEEZZNS1_9scan_implILNS1_25lookback_scan_determinismE0ELb0ELb0ES3_PKS7_PS7_S7_ZZZN2at6native31launch_logcumsumexp_cuda_kernelERKNSE_10TensorBaseESI_lENKUlvE_clEvENKUlvE2_clEvEUlS7_S7_E_S7_EEDaPvRmT3_T4_T5_mT6_P12ihipStream_tbENKUlT_T0_E_clISt17integral_constantIbLb1EESY_IbLb0EEEEDaSU_SV_EUlSU_E_NS1_11comp_targetILNS1_3genE9ELNS1_11target_archE1100ELNS1_3gpuE3ELNS1_3repE0EEENS1_30default_config_static_selectorELNS0_4arch9wavefront6targetE0EEEvT1_
		.amdhsa_group_segment_fixed_size 0
		.amdhsa_private_segment_fixed_size 0
		.amdhsa_kernarg_size 104
		.amdhsa_user_sgpr_count 2
		.amdhsa_user_sgpr_dispatch_ptr 0
		.amdhsa_user_sgpr_queue_ptr 0
		.amdhsa_user_sgpr_kernarg_segment_ptr 1
		.amdhsa_user_sgpr_dispatch_id 0
		.amdhsa_user_sgpr_private_segment_size 0
		.amdhsa_wavefront_size32 1
		.amdhsa_uses_dynamic_stack 0
		.amdhsa_enable_private_segment 0
		.amdhsa_system_sgpr_workgroup_id_x 1
		.amdhsa_system_sgpr_workgroup_id_y 0
		.amdhsa_system_sgpr_workgroup_id_z 0
		.amdhsa_system_sgpr_workgroup_info 0
		.amdhsa_system_vgpr_workitem_id 0
		.amdhsa_next_free_vgpr 1
		.amdhsa_next_free_sgpr 1
		.amdhsa_reserve_vcc 0
		.amdhsa_float_round_mode_32 0
		.amdhsa_float_round_mode_16_64 0
		.amdhsa_float_denorm_mode_32 3
		.amdhsa_float_denorm_mode_16_64 3
		.amdhsa_fp16_overflow 0
		.amdhsa_workgroup_processor_mode 1
		.amdhsa_memory_ordered 1
		.amdhsa_forward_progress 1
		.amdhsa_inst_pref_size 0
		.amdhsa_round_robin_scheduling 0
		.amdhsa_exception_fp_ieee_invalid_op 0
		.amdhsa_exception_fp_denorm_src 0
		.amdhsa_exception_fp_ieee_div_zero 0
		.amdhsa_exception_fp_ieee_overflow 0
		.amdhsa_exception_fp_ieee_underflow 0
		.amdhsa_exception_fp_ieee_inexact 0
		.amdhsa_exception_int_div_zero 0
	.end_amdhsa_kernel
	.section	.text._ZN7rocprim17ROCPRIM_400000_NS6detail17trampoline_kernelINS0_14default_configENS1_20scan_config_selectorIN3c107complexIfEEEEZZNS1_9scan_implILNS1_25lookback_scan_determinismE0ELb0ELb0ES3_PKS7_PS7_S7_ZZZN2at6native31launch_logcumsumexp_cuda_kernelERKNSE_10TensorBaseESI_lENKUlvE_clEvENKUlvE2_clEvEUlS7_S7_E_S7_EEDaPvRmT3_T4_T5_mT6_P12ihipStream_tbENKUlT_T0_E_clISt17integral_constantIbLb1EESY_IbLb0EEEEDaSU_SV_EUlSU_E_NS1_11comp_targetILNS1_3genE9ELNS1_11target_archE1100ELNS1_3gpuE3ELNS1_3repE0EEENS1_30default_config_static_selectorELNS0_4arch9wavefront6targetE0EEEvT1_,"axG",@progbits,_ZN7rocprim17ROCPRIM_400000_NS6detail17trampoline_kernelINS0_14default_configENS1_20scan_config_selectorIN3c107complexIfEEEEZZNS1_9scan_implILNS1_25lookback_scan_determinismE0ELb0ELb0ES3_PKS7_PS7_S7_ZZZN2at6native31launch_logcumsumexp_cuda_kernelERKNSE_10TensorBaseESI_lENKUlvE_clEvENKUlvE2_clEvEUlS7_S7_E_S7_EEDaPvRmT3_T4_T5_mT6_P12ihipStream_tbENKUlT_T0_E_clISt17integral_constantIbLb1EESY_IbLb0EEEEDaSU_SV_EUlSU_E_NS1_11comp_targetILNS1_3genE9ELNS1_11target_archE1100ELNS1_3gpuE3ELNS1_3repE0EEENS1_30default_config_static_selectorELNS0_4arch9wavefront6targetE0EEEvT1_,comdat
.Lfunc_end317:
	.size	_ZN7rocprim17ROCPRIM_400000_NS6detail17trampoline_kernelINS0_14default_configENS1_20scan_config_selectorIN3c107complexIfEEEEZZNS1_9scan_implILNS1_25lookback_scan_determinismE0ELb0ELb0ES3_PKS7_PS7_S7_ZZZN2at6native31launch_logcumsumexp_cuda_kernelERKNSE_10TensorBaseESI_lENKUlvE_clEvENKUlvE2_clEvEUlS7_S7_E_S7_EEDaPvRmT3_T4_T5_mT6_P12ihipStream_tbENKUlT_T0_E_clISt17integral_constantIbLb1EESY_IbLb0EEEEDaSU_SV_EUlSU_E_NS1_11comp_targetILNS1_3genE9ELNS1_11target_archE1100ELNS1_3gpuE3ELNS1_3repE0EEENS1_30default_config_static_selectorELNS0_4arch9wavefront6targetE0EEEvT1_, .Lfunc_end317-_ZN7rocprim17ROCPRIM_400000_NS6detail17trampoline_kernelINS0_14default_configENS1_20scan_config_selectorIN3c107complexIfEEEEZZNS1_9scan_implILNS1_25lookback_scan_determinismE0ELb0ELb0ES3_PKS7_PS7_S7_ZZZN2at6native31launch_logcumsumexp_cuda_kernelERKNSE_10TensorBaseESI_lENKUlvE_clEvENKUlvE2_clEvEUlS7_S7_E_S7_EEDaPvRmT3_T4_T5_mT6_P12ihipStream_tbENKUlT_T0_E_clISt17integral_constantIbLb1EESY_IbLb0EEEEDaSU_SV_EUlSU_E_NS1_11comp_targetILNS1_3genE9ELNS1_11target_archE1100ELNS1_3gpuE3ELNS1_3repE0EEENS1_30default_config_static_selectorELNS0_4arch9wavefront6targetE0EEEvT1_
                                        ; -- End function
	.set _ZN7rocprim17ROCPRIM_400000_NS6detail17trampoline_kernelINS0_14default_configENS1_20scan_config_selectorIN3c107complexIfEEEEZZNS1_9scan_implILNS1_25lookback_scan_determinismE0ELb0ELb0ES3_PKS7_PS7_S7_ZZZN2at6native31launch_logcumsumexp_cuda_kernelERKNSE_10TensorBaseESI_lENKUlvE_clEvENKUlvE2_clEvEUlS7_S7_E_S7_EEDaPvRmT3_T4_T5_mT6_P12ihipStream_tbENKUlT_T0_E_clISt17integral_constantIbLb1EESY_IbLb0EEEEDaSU_SV_EUlSU_E_NS1_11comp_targetILNS1_3genE9ELNS1_11target_archE1100ELNS1_3gpuE3ELNS1_3repE0EEENS1_30default_config_static_selectorELNS0_4arch9wavefront6targetE0EEEvT1_.num_vgpr, 0
	.set _ZN7rocprim17ROCPRIM_400000_NS6detail17trampoline_kernelINS0_14default_configENS1_20scan_config_selectorIN3c107complexIfEEEEZZNS1_9scan_implILNS1_25lookback_scan_determinismE0ELb0ELb0ES3_PKS7_PS7_S7_ZZZN2at6native31launch_logcumsumexp_cuda_kernelERKNSE_10TensorBaseESI_lENKUlvE_clEvENKUlvE2_clEvEUlS7_S7_E_S7_EEDaPvRmT3_T4_T5_mT6_P12ihipStream_tbENKUlT_T0_E_clISt17integral_constantIbLb1EESY_IbLb0EEEEDaSU_SV_EUlSU_E_NS1_11comp_targetILNS1_3genE9ELNS1_11target_archE1100ELNS1_3gpuE3ELNS1_3repE0EEENS1_30default_config_static_selectorELNS0_4arch9wavefront6targetE0EEEvT1_.num_agpr, 0
	.set _ZN7rocprim17ROCPRIM_400000_NS6detail17trampoline_kernelINS0_14default_configENS1_20scan_config_selectorIN3c107complexIfEEEEZZNS1_9scan_implILNS1_25lookback_scan_determinismE0ELb0ELb0ES3_PKS7_PS7_S7_ZZZN2at6native31launch_logcumsumexp_cuda_kernelERKNSE_10TensorBaseESI_lENKUlvE_clEvENKUlvE2_clEvEUlS7_S7_E_S7_EEDaPvRmT3_T4_T5_mT6_P12ihipStream_tbENKUlT_T0_E_clISt17integral_constantIbLb1EESY_IbLb0EEEEDaSU_SV_EUlSU_E_NS1_11comp_targetILNS1_3genE9ELNS1_11target_archE1100ELNS1_3gpuE3ELNS1_3repE0EEENS1_30default_config_static_selectorELNS0_4arch9wavefront6targetE0EEEvT1_.numbered_sgpr, 0
	.set _ZN7rocprim17ROCPRIM_400000_NS6detail17trampoline_kernelINS0_14default_configENS1_20scan_config_selectorIN3c107complexIfEEEEZZNS1_9scan_implILNS1_25lookback_scan_determinismE0ELb0ELb0ES3_PKS7_PS7_S7_ZZZN2at6native31launch_logcumsumexp_cuda_kernelERKNSE_10TensorBaseESI_lENKUlvE_clEvENKUlvE2_clEvEUlS7_S7_E_S7_EEDaPvRmT3_T4_T5_mT6_P12ihipStream_tbENKUlT_T0_E_clISt17integral_constantIbLb1EESY_IbLb0EEEEDaSU_SV_EUlSU_E_NS1_11comp_targetILNS1_3genE9ELNS1_11target_archE1100ELNS1_3gpuE3ELNS1_3repE0EEENS1_30default_config_static_selectorELNS0_4arch9wavefront6targetE0EEEvT1_.num_named_barrier, 0
	.set _ZN7rocprim17ROCPRIM_400000_NS6detail17trampoline_kernelINS0_14default_configENS1_20scan_config_selectorIN3c107complexIfEEEEZZNS1_9scan_implILNS1_25lookback_scan_determinismE0ELb0ELb0ES3_PKS7_PS7_S7_ZZZN2at6native31launch_logcumsumexp_cuda_kernelERKNSE_10TensorBaseESI_lENKUlvE_clEvENKUlvE2_clEvEUlS7_S7_E_S7_EEDaPvRmT3_T4_T5_mT6_P12ihipStream_tbENKUlT_T0_E_clISt17integral_constantIbLb1EESY_IbLb0EEEEDaSU_SV_EUlSU_E_NS1_11comp_targetILNS1_3genE9ELNS1_11target_archE1100ELNS1_3gpuE3ELNS1_3repE0EEENS1_30default_config_static_selectorELNS0_4arch9wavefront6targetE0EEEvT1_.private_seg_size, 0
	.set _ZN7rocprim17ROCPRIM_400000_NS6detail17trampoline_kernelINS0_14default_configENS1_20scan_config_selectorIN3c107complexIfEEEEZZNS1_9scan_implILNS1_25lookback_scan_determinismE0ELb0ELb0ES3_PKS7_PS7_S7_ZZZN2at6native31launch_logcumsumexp_cuda_kernelERKNSE_10TensorBaseESI_lENKUlvE_clEvENKUlvE2_clEvEUlS7_S7_E_S7_EEDaPvRmT3_T4_T5_mT6_P12ihipStream_tbENKUlT_T0_E_clISt17integral_constantIbLb1EESY_IbLb0EEEEDaSU_SV_EUlSU_E_NS1_11comp_targetILNS1_3genE9ELNS1_11target_archE1100ELNS1_3gpuE3ELNS1_3repE0EEENS1_30default_config_static_selectorELNS0_4arch9wavefront6targetE0EEEvT1_.uses_vcc, 0
	.set _ZN7rocprim17ROCPRIM_400000_NS6detail17trampoline_kernelINS0_14default_configENS1_20scan_config_selectorIN3c107complexIfEEEEZZNS1_9scan_implILNS1_25lookback_scan_determinismE0ELb0ELb0ES3_PKS7_PS7_S7_ZZZN2at6native31launch_logcumsumexp_cuda_kernelERKNSE_10TensorBaseESI_lENKUlvE_clEvENKUlvE2_clEvEUlS7_S7_E_S7_EEDaPvRmT3_T4_T5_mT6_P12ihipStream_tbENKUlT_T0_E_clISt17integral_constantIbLb1EESY_IbLb0EEEEDaSU_SV_EUlSU_E_NS1_11comp_targetILNS1_3genE9ELNS1_11target_archE1100ELNS1_3gpuE3ELNS1_3repE0EEENS1_30default_config_static_selectorELNS0_4arch9wavefront6targetE0EEEvT1_.uses_flat_scratch, 0
	.set _ZN7rocprim17ROCPRIM_400000_NS6detail17trampoline_kernelINS0_14default_configENS1_20scan_config_selectorIN3c107complexIfEEEEZZNS1_9scan_implILNS1_25lookback_scan_determinismE0ELb0ELb0ES3_PKS7_PS7_S7_ZZZN2at6native31launch_logcumsumexp_cuda_kernelERKNSE_10TensorBaseESI_lENKUlvE_clEvENKUlvE2_clEvEUlS7_S7_E_S7_EEDaPvRmT3_T4_T5_mT6_P12ihipStream_tbENKUlT_T0_E_clISt17integral_constantIbLb1EESY_IbLb0EEEEDaSU_SV_EUlSU_E_NS1_11comp_targetILNS1_3genE9ELNS1_11target_archE1100ELNS1_3gpuE3ELNS1_3repE0EEENS1_30default_config_static_selectorELNS0_4arch9wavefront6targetE0EEEvT1_.has_dyn_sized_stack, 0
	.set _ZN7rocprim17ROCPRIM_400000_NS6detail17trampoline_kernelINS0_14default_configENS1_20scan_config_selectorIN3c107complexIfEEEEZZNS1_9scan_implILNS1_25lookback_scan_determinismE0ELb0ELb0ES3_PKS7_PS7_S7_ZZZN2at6native31launch_logcumsumexp_cuda_kernelERKNSE_10TensorBaseESI_lENKUlvE_clEvENKUlvE2_clEvEUlS7_S7_E_S7_EEDaPvRmT3_T4_T5_mT6_P12ihipStream_tbENKUlT_T0_E_clISt17integral_constantIbLb1EESY_IbLb0EEEEDaSU_SV_EUlSU_E_NS1_11comp_targetILNS1_3genE9ELNS1_11target_archE1100ELNS1_3gpuE3ELNS1_3repE0EEENS1_30default_config_static_selectorELNS0_4arch9wavefront6targetE0EEEvT1_.has_recursion, 0
	.set _ZN7rocprim17ROCPRIM_400000_NS6detail17trampoline_kernelINS0_14default_configENS1_20scan_config_selectorIN3c107complexIfEEEEZZNS1_9scan_implILNS1_25lookback_scan_determinismE0ELb0ELb0ES3_PKS7_PS7_S7_ZZZN2at6native31launch_logcumsumexp_cuda_kernelERKNSE_10TensorBaseESI_lENKUlvE_clEvENKUlvE2_clEvEUlS7_S7_E_S7_EEDaPvRmT3_T4_T5_mT6_P12ihipStream_tbENKUlT_T0_E_clISt17integral_constantIbLb1EESY_IbLb0EEEEDaSU_SV_EUlSU_E_NS1_11comp_targetILNS1_3genE9ELNS1_11target_archE1100ELNS1_3gpuE3ELNS1_3repE0EEENS1_30default_config_static_selectorELNS0_4arch9wavefront6targetE0EEEvT1_.has_indirect_call, 0
	.section	.AMDGPU.csdata,"",@progbits
; Kernel info:
; codeLenInByte = 0
; TotalNumSgprs: 0
; NumVgprs: 0
; ScratchSize: 0
; MemoryBound: 0
; FloatMode: 240
; IeeeMode: 1
; LDSByteSize: 0 bytes/workgroup (compile time only)
; SGPRBlocks: 0
; VGPRBlocks: 0
; NumSGPRsForWavesPerEU: 1
; NumVGPRsForWavesPerEU: 1
; Occupancy: 16
; WaveLimiterHint : 0
; COMPUTE_PGM_RSRC2:SCRATCH_EN: 0
; COMPUTE_PGM_RSRC2:USER_SGPR: 2
; COMPUTE_PGM_RSRC2:TRAP_HANDLER: 0
; COMPUTE_PGM_RSRC2:TGID_X_EN: 1
; COMPUTE_PGM_RSRC2:TGID_Y_EN: 0
; COMPUTE_PGM_RSRC2:TGID_Z_EN: 0
; COMPUTE_PGM_RSRC2:TIDIG_COMP_CNT: 0
	.section	.text._ZN7rocprim17ROCPRIM_400000_NS6detail17trampoline_kernelINS0_14default_configENS1_20scan_config_selectorIN3c107complexIfEEEEZZNS1_9scan_implILNS1_25lookback_scan_determinismE0ELb0ELb0ES3_PKS7_PS7_S7_ZZZN2at6native31launch_logcumsumexp_cuda_kernelERKNSE_10TensorBaseESI_lENKUlvE_clEvENKUlvE2_clEvEUlS7_S7_E_S7_EEDaPvRmT3_T4_T5_mT6_P12ihipStream_tbENKUlT_T0_E_clISt17integral_constantIbLb1EESY_IbLb0EEEEDaSU_SV_EUlSU_E_NS1_11comp_targetILNS1_3genE8ELNS1_11target_archE1030ELNS1_3gpuE2ELNS1_3repE0EEENS1_30default_config_static_selectorELNS0_4arch9wavefront6targetE0EEEvT1_,"axG",@progbits,_ZN7rocprim17ROCPRIM_400000_NS6detail17trampoline_kernelINS0_14default_configENS1_20scan_config_selectorIN3c107complexIfEEEEZZNS1_9scan_implILNS1_25lookback_scan_determinismE0ELb0ELb0ES3_PKS7_PS7_S7_ZZZN2at6native31launch_logcumsumexp_cuda_kernelERKNSE_10TensorBaseESI_lENKUlvE_clEvENKUlvE2_clEvEUlS7_S7_E_S7_EEDaPvRmT3_T4_T5_mT6_P12ihipStream_tbENKUlT_T0_E_clISt17integral_constantIbLb1EESY_IbLb0EEEEDaSU_SV_EUlSU_E_NS1_11comp_targetILNS1_3genE8ELNS1_11target_archE1030ELNS1_3gpuE2ELNS1_3repE0EEENS1_30default_config_static_selectorELNS0_4arch9wavefront6targetE0EEEvT1_,comdat
	.globl	_ZN7rocprim17ROCPRIM_400000_NS6detail17trampoline_kernelINS0_14default_configENS1_20scan_config_selectorIN3c107complexIfEEEEZZNS1_9scan_implILNS1_25lookback_scan_determinismE0ELb0ELb0ES3_PKS7_PS7_S7_ZZZN2at6native31launch_logcumsumexp_cuda_kernelERKNSE_10TensorBaseESI_lENKUlvE_clEvENKUlvE2_clEvEUlS7_S7_E_S7_EEDaPvRmT3_T4_T5_mT6_P12ihipStream_tbENKUlT_T0_E_clISt17integral_constantIbLb1EESY_IbLb0EEEEDaSU_SV_EUlSU_E_NS1_11comp_targetILNS1_3genE8ELNS1_11target_archE1030ELNS1_3gpuE2ELNS1_3repE0EEENS1_30default_config_static_selectorELNS0_4arch9wavefront6targetE0EEEvT1_ ; -- Begin function _ZN7rocprim17ROCPRIM_400000_NS6detail17trampoline_kernelINS0_14default_configENS1_20scan_config_selectorIN3c107complexIfEEEEZZNS1_9scan_implILNS1_25lookback_scan_determinismE0ELb0ELb0ES3_PKS7_PS7_S7_ZZZN2at6native31launch_logcumsumexp_cuda_kernelERKNSE_10TensorBaseESI_lENKUlvE_clEvENKUlvE2_clEvEUlS7_S7_E_S7_EEDaPvRmT3_T4_T5_mT6_P12ihipStream_tbENKUlT_T0_E_clISt17integral_constantIbLb1EESY_IbLb0EEEEDaSU_SV_EUlSU_E_NS1_11comp_targetILNS1_3genE8ELNS1_11target_archE1030ELNS1_3gpuE2ELNS1_3repE0EEENS1_30default_config_static_selectorELNS0_4arch9wavefront6targetE0EEEvT1_
	.p2align	8
	.type	_ZN7rocprim17ROCPRIM_400000_NS6detail17trampoline_kernelINS0_14default_configENS1_20scan_config_selectorIN3c107complexIfEEEEZZNS1_9scan_implILNS1_25lookback_scan_determinismE0ELb0ELb0ES3_PKS7_PS7_S7_ZZZN2at6native31launch_logcumsumexp_cuda_kernelERKNSE_10TensorBaseESI_lENKUlvE_clEvENKUlvE2_clEvEUlS7_S7_E_S7_EEDaPvRmT3_T4_T5_mT6_P12ihipStream_tbENKUlT_T0_E_clISt17integral_constantIbLb1EESY_IbLb0EEEEDaSU_SV_EUlSU_E_NS1_11comp_targetILNS1_3genE8ELNS1_11target_archE1030ELNS1_3gpuE2ELNS1_3repE0EEENS1_30default_config_static_selectorELNS0_4arch9wavefront6targetE0EEEvT1_,@function
_ZN7rocprim17ROCPRIM_400000_NS6detail17trampoline_kernelINS0_14default_configENS1_20scan_config_selectorIN3c107complexIfEEEEZZNS1_9scan_implILNS1_25lookback_scan_determinismE0ELb0ELb0ES3_PKS7_PS7_S7_ZZZN2at6native31launch_logcumsumexp_cuda_kernelERKNSE_10TensorBaseESI_lENKUlvE_clEvENKUlvE2_clEvEUlS7_S7_E_S7_EEDaPvRmT3_T4_T5_mT6_P12ihipStream_tbENKUlT_T0_E_clISt17integral_constantIbLb1EESY_IbLb0EEEEDaSU_SV_EUlSU_E_NS1_11comp_targetILNS1_3genE8ELNS1_11target_archE1030ELNS1_3gpuE2ELNS1_3repE0EEENS1_30default_config_static_selectorELNS0_4arch9wavefront6targetE0EEEvT1_: ; @_ZN7rocprim17ROCPRIM_400000_NS6detail17trampoline_kernelINS0_14default_configENS1_20scan_config_selectorIN3c107complexIfEEEEZZNS1_9scan_implILNS1_25lookback_scan_determinismE0ELb0ELb0ES3_PKS7_PS7_S7_ZZZN2at6native31launch_logcumsumexp_cuda_kernelERKNSE_10TensorBaseESI_lENKUlvE_clEvENKUlvE2_clEvEUlS7_S7_E_S7_EEDaPvRmT3_T4_T5_mT6_P12ihipStream_tbENKUlT_T0_E_clISt17integral_constantIbLb1EESY_IbLb0EEEEDaSU_SV_EUlSU_E_NS1_11comp_targetILNS1_3genE8ELNS1_11target_archE1030ELNS1_3gpuE2ELNS1_3repE0EEENS1_30default_config_static_selectorELNS0_4arch9wavefront6targetE0EEEvT1_
; %bb.0:
	.section	.rodata,"a",@progbits
	.p2align	6, 0x0
	.amdhsa_kernel _ZN7rocprim17ROCPRIM_400000_NS6detail17trampoline_kernelINS0_14default_configENS1_20scan_config_selectorIN3c107complexIfEEEEZZNS1_9scan_implILNS1_25lookback_scan_determinismE0ELb0ELb0ES3_PKS7_PS7_S7_ZZZN2at6native31launch_logcumsumexp_cuda_kernelERKNSE_10TensorBaseESI_lENKUlvE_clEvENKUlvE2_clEvEUlS7_S7_E_S7_EEDaPvRmT3_T4_T5_mT6_P12ihipStream_tbENKUlT_T0_E_clISt17integral_constantIbLb1EESY_IbLb0EEEEDaSU_SV_EUlSU_E_NS1_11comp_targetILNS1_3genE8ELNS1_11target_archE1030ELNS1_3gpuE2ELNS1_3repE0EEENS1_30default_config_static_selectorELNS0_4arch9wavefront6targetE0EEEvT1_
		.amdhsa_group_segment_fixed_size 0
		.amdhsa_private_segment_fixed_size 0
		.amdhsa_kernarg_size 104
		.amdhsa_user_sgpr_count 2
		.amdhsa_user_sgpr_dispatch_ptr 0
		.amdhsa_user_sgpr_queue_ptr 0
		.amdhsa_user_sgpr_kernarg_segment_ptr 1
		.amdhsa_user_sgpr_dispatch_id 0
		.amdhsa_user_sgpr_private_segment_size 0
		.amdhsa_wavefront_size32 1
		.amdhsa_uses_dynamic_stack 0
		.amdhsa_enable_private_segment 0
		.amdhsa_system_sgpr_workgroup_id_x 1
		.amdhsa_system_sgpr_workgroup_id_y 0
		.amdhsa_system_sgpr_workgroup_id_z 0
		.amdhsa_system_sgpr_workgroup_info 0
		.amdhsa_system_vgpr_workitem_id 0
		.amdhsa_next_free_vgpr 1
		.amdhsa_next_free_sgpr 1
		.amdhsa_reserve_vcc 0
		.amdhsa_float_round_mode_32 0
		.amdhsa_float_round_mode_16_64 0
		.amdhsa_float_denorm_mode_32 3
		.amdhsa_float_denorm_mode_16_64 3
		.amdhsa_fp16_overflow 0
		.amdhsa_workgroup_processor_mode 1
		.amdhsa_memory_ordered 1
		.amdhsa_forward_progress 1
		.amdhsa_inst_pref_size 0
		.amdhsa_round_robin_scheduling 0
		.amdhsa_exception_fp_ieee_invalid_op 0
		.amdhsa_exception_fp_denorm_src 0
		.amdhsa_exception_fp_ieee_div_zero 0
		.amdhsa_exception_fp_ieee_overflow 0
		.amdhsa_exception_fp_ieee_underflow 0
		.amdhsa_exception_fp_ieee_inexact 0
		.amdhsa_exception_int_div_zero 0
	.end_amdhsa_kernel
	.section	.text._ZN7rocprim17ROCPRIM_400000_NS6detail17trampoline_kernelINS0_14default_configENS1_20scan_config_selectorIN3c107complexIfEEEEZZNS1_9scan_implILNS1_25lookback_scan_determinismE0ELb0ELb0ES3_PKS7_PS7_S7_ZZZN2at6native31launch_logcumsumexp_cuda_kernelERKNSE_10TensorBaseESI_lENKUlvE_clEvENKUlvE2_clEvEUlS7_S7_E_S7_EEDaPvRmT3_T4_T5_mT6_P12ihipStream_tbENKUlT_T0_E_clISt17integral_constantIbLb1EESY_IbLb0EEEEDaSU_SV_EUlSU_E_NS1_11comp_targetILNS1_3genE8ELNS1_11target_archE1030ELNS1_3gpuE2ELNS1_3repE0EEENS1_30default_config_static_selectorELNS0_4arch9wavefront6targetE0EEEvT1_,"axG",@progbits,_ZN7rocprim17ROCPRIM_400000_NS6detail17trampoline_kernelINS0_14default_configENS1_20scan_config_selectorIN3c107complexIfEEEEZZNS1_9scan_implILNS1_25lookback_scan_determinismE0ELb0ELb0ES3_PKS7_PS7_S7_ZZZN2at6native31launch_logcumsumexp_cuda_kernelERKNSE_10TensorBaseESI_lENKUlvE_clEvENKUlvE2_clEvEUlS7_S7_E_S7_EEDaPvRmT3_T4_T5_mT6_P12ihipStream_tbENKUlT_T0_E_clISt17integral_constantIbLb1EESY_IbLb0EEEEDaSU_SV_EUlSU_E_NS1_11comp_targetILNS1_3genE8ELNS1_11target_archE1030ELNS1_3gpuE2ELNS1_3repE0EEENS1_30default_config_static_selectorELNS0_4arch9wavefront6targetE0EEEvT1_,comdat
.Lfunc_end318:
	.size	_ZN7rocprim17ROCPRIM_400000_NS6detail17trampoline_kernelINS0_14default_configENS1_20scan_config_selectorIN3c107complexIfEEEEZZNS1_9scan_implILNS1_25lookback_scan_determinismE0ELb0ELb0ES3_PKS7_PS7_S7_ZZZN2at6native31launch_logcumsumexp_cuda_kernelERKNSE_10TensorBaseESI_lENKUlvE_clEvENKUlvE2_clEvEUlS7_S7_E_S7_EEDaPvRmT3_T4_T5_mT6_P12ihipStream_tbENKUlT_T0_E_clISt17integral_constantIbLb1EESY_IbLb0EEEEDaSU_SV_EUlSU_E_NS1_11comp_targetILNS1_3genE8ELNS1_11target_archE1030ELNS1_3gpuE2ELNS1_3repE0EEENS1_30default_config_static_selectorELNS0_4arch9wavefront6targetE0EEEvT1_, .Lfunc_end318-_ZN7rocprim17ROCPRIM_400000_NS6detail17trampoline_kernelINS0_14default_configENS1_20scan_config_selectorIN3c107complexIfEEEEZZNS1_9scan_implILNS1_25lookback_scan_determinismE0ELb0ELb0ES3_PKS7_PS7_S7_ZZZN2at6native31launch_logcumsumexp_cuda_kernelERKNSE_10TensorBaseESI_lENKUlvE_clEvENKUlvE2_clEvEUlS7_S7_E_S7_EEDaPvRmT3_T4_T5_mT6_P12ihipStream_tbENKUlT_T0_E_clISt17integral_constantIbLb1EESY_IbLb0EEEEDaSU_SV_EUlSU_E_NS1_11comp_targetILNS1_3genE8ELNS1_11target_archE1030ELNS1_3gpuE2ELNS1_3repE0EEENS1_30default_config_static_selectorELNS0_4arch9wavefront6targetE0EEEvT1_
                                        ; -- End function
	.set _ZN7rocprim17ROCPRIM_400000_NS6detail17trampoline_kernelINS0_14default_configENS1_20scan_config_selectorIN3c107complexIfEEEEZZNS1_9scan_implILNS1_25lookback_scan_determinismE0ELb0ELb0ES3_PKS7_PS7_S7_ZZZN2at6native31launch_logcumsumexp_cuda_kernelERKNSE_10TensorBaseESI_lENKUlvE_clEvENKUlvE2_clEvEUlS7_S7_E_S7_EEDaPvRmT3_T4_T5_mT6_P12ihipStream_tbENKUlT_T0_E_clISt17integral_constantIbLb1EESY_IbLb0EEEEDaSU_SV_EUlSU_E_NS1_11comp_targetILNS1_3genE8ELNS1_11target_archE1030ELNS1_3gpuE2ELNS1_3repE0EEENS1_30default_config_static_selectorELNS0_4arch9wavefront6targetE0EEEvT1_.num_vgpr, 0
	.set _ZN7rocprim17ROCPRIM_400000_NS6detail17trampoline_kernelINS0_14default_configENS1_20scan_config_selectorIN3c107complexIfEEEEZZNS1_9scan_implILNS1_25lookback_scan_determinismE0ELb0ELb0ES3_PKS7_PS7_S7_ZZZN2at6native31launch_logcumsumexp_cuda_kernelERKNSE_10TensorBaseESI_lENKUlvE_clEvENKUlvE2_clEvEUlS7_S7_E_S7_EEDaPvRmT3_T4_T5_mT6_P12ihipStream_tbENKUlT_T0_E_clISt17integral_constantIbLb1EESY_IbLb0EEEEDaSU_SV_EUlSU_E_NS1_11comp_targetILNS1_3genE8ELNS1_11target_archE1030ELNS1_3gpuE2ELNS1_3repE0EEENS1_30default_config_static_selectorELNS0_4arch9wavefront6targetE0EEEvT1_.num_agpr, 0
	.set _ZN7rocprim17ROCPRIM_400000_NS6detail17trampoline_kernelINS0_14default_configENS1_20scan_config_selectorIN3c107complexIfEEEEZZNS1_9scan_implILNS1_25lookback_scan_determinismE0ELb0ELb0ES3_PKS7_PS7_S7_ZZZN2at6native31launch_logcumsumexp_cuda_kernelERKNSE_10TensorBaseESI_lENKUlvE_clEvENKUlvE2_clEvEUlS7_S7_E_S7_EEDaPvRmT3_T4_T5_mT6_P12ihipStream_tbENKUlT_T0_E_clISt17integral_constantIbLb1EESY_IbLb0EEEEDaSU_SV_EUlSU_E_NS1_11comp_targetILNS1_3genE8ELNS1_11target_archE1030ELNS1_3gpuE2ELNS1_3repE0EEENS1_30default_config_static_selectorELNS0_4arch9wavefront6targetE0EEEvT1_.numbered_sgpr, 0
	.set _ZN7rocprim17ROCPRIM_400000_NS6detail17trampoline_kernelINS0_14default_configENS1_20scan_config_selectorIN3c107complexIfEEEEZZNS1_9scan_implILNS1_25lookback_scan_determinismE0ELb0ELb0ES3_PKS7_PS7_S7_ZZZN2at6native31launch_logcumsumexp_cuda_kernelERKNSE_10TensorBaseESI_lENKUlvE_clEvENKUlvE2_clEvEUlS7_S7_E_S7_EEDaPvRmT3_T4_T5_mT6_P12ihipStream_tbENKUlT_T0_E_clISt17integral_constantIbLb1EESY_IbLb0EEEEDaSU_SV_EUlSU_E_NS1_11comp_targetILNS1_3genE8ELNS1_11target_archE1030ELNS1_3gpuE2ELNS1_3repE0EEENS1_30default_config_static_selectorELNS0_4arch9wavefront6targetE0EEEvT1_.num_named_barrier, 0
	.set _ZN7rocprim17ROCPRIM_400000_NS6detail17trampoline_kernelINS0_14default_configENS1_20scan_config_selectorIN3c107complexIfEEEEZZNS1_9scan_implILNS1_25lookback_scan_determinismE0ELb0ELb0ES3_PKS7_PS7_S7_ZZZN2at6native31launch_logcumsumexp_cuda_kernelERKNSE_10TensorBaseESI_lENKUlvE_clEvENKUlvE2_clEvEUlS7_S7_E_S7_EEDaPvRmT3_T4_T5_mT6_P12ihipStream_tbENKUlT_T0_E_clISt17integral_constantIbLb1EESY_IbLb0EEEEDaSU_SV_EUlSU_E_NS1_11comp_targetILNS1_3genE8ELNS1_11target_archE1030ELNS1_3gpuE2ELNS1_3repE0EEENS1_30default_config_static_selectorELNS0_4arch9wavefront6targetE0EEEvT1_.private_seg_size, 0
	.set _ZN7rocprim17ROCPRIM_400000_NS6detail17trampoline_kernelINS0_14default_configENS1_20scan_config_selectorIN3c107complexIfEEEEZZNS1_9scan_implILNS1_25lookback_scan_determinismE0ELb0ELb0ES3_PKS7_PS7_S7_ZZZN2at6native31launch_logcumsumexp_cuda_kernelERKNSE_10TensorBaseESI_lENKUlvE_clEvENKUlvE2_clEvEUlS7_S7_E_S7_EEDaPvRmT3_T4_T5_mT6_P12ihipStream_tbENKUlT_T0_E_clISt17integral_constantIbLb1EESY_IbLb0EEEEDaSU_SV_EUlSU_E_NS1_11comp_targetILNS1_3genE8ELNS1_11target_archE1030ELNS1_3gpuE2ELNS1_3repE0EEENS1_30default_config_static_selectorELNS0_4arch9wavefront6targetE0EEEvT1_.uses_vcc, 0
	.set _ZN7rocprim17ROCPRIM_400000_NS6detail17trampoline_kernelINS0_14default_configENS1_20scan_config_selectorIN3c107complexIfEEEEZZNS1_9scan_implILNS1_25lookback_scan_determinismE0ELb0ELb0ES3_PKS7_PS7_S7_ZZZN2at6native31launch_logcumsumexp_cuda_kernelERKNSE_10TensorBaseESI_lENKUlvE_clEvENKUlvE2_clEvEUlS7_S7_E_S7_EEDaPvRmT3_T4_T5_mT6_P12ihipStream_tbENKUlT_T0_E_clISt17integral_constantIbLb1EESY_IbLb0EEEEDaSU_SV_EUlSU_E_NS1_11comp_targetILNS1_3genE8ELNS1_11target_archE1030ELNS1_3gpuE2ELNS1_3repE0EEENS1_30default_config_static_selectorELNS0_4arch9wavefront6targetE0EEEvT1_.uses_flat_scratch, 0
	.set _ZN7rocprim17ROCPRIM_400000_NS6detail17trampoline_kernelINS0_14default_configENS1_20scan_config_selectorIN3c107complexIfEEEEZZNS1_9scan_implILNS1_25lookback_scan_determinismE0ELb0ELb0ES3_PKS7_PS7_S7_ZZZN2at6native31launch_logcumsumexp_cuda_kernelERKNSE_10TensorBaseESI_lENKUlvE_clEvENKUlvE2_clEvEUlS7_S7_E_S7_EEDaPvRmT3_T4_T5_mT6_P12ihipStream_tbENKUlT_T0_E_clISt17integral_constantIbLb1EESY_IbLb0EEEEDaSU_SV_EUlSU_E_NS1_11comp_targetILNS1_3genE8ELNS1_11target_archE1030ELNS1_3gpuE2ELNS1_3repE0EEENS1_30default_config_static_selectorELNS0_4arch9wavefront6targetE0EEEvT1_.has_dyn_sized_stack, 0
	.set _ZN7rocprim17ROCPRIM_400000_NS6detail17trampoline_kernelINS0_14default_configENS1_20scan_config_selectorIN3c107complexIfEEEEZZNS1_9scan_implILNS1_25lookback_scan_determinismE0ELb0ELb0ES3_PKS7_PS7_S7_ZZZN2at6native31launch_logcumsumexp_cuda_kernelERKNSE_10TensorBaseESI_lENKUlvE_clEvENKUlvE2_clEvEUlS7_S7_E_S7_EEDaPvRmT3_T4_T5_mT6_P12ihipStream_tbENKUlT_T0_E_clISt17integral_constantIbLb1EESY_IbLb0EEEEDaSU_SV_EUlSU_E_NS1_11comp_targetILNS1_3genE8ELNS1_11target_archE1030ELNS1_3gpuE2ELNS1_3repE0EEENS1_30default_config_static_selectorELNS0_4arch9wavefront6targetE0EEEvT1_.has_recursion, 0
	.set _ZN7rocprim17ROCPRIM_400000_NS6detail17trampoline_kernelINS0_14default_configENS1_20scan_config_selectorIN3c107complexIfEEEEZZNS1_9scan_implILNS1_25lookback_scan_determinismE0ELb0ELb0ES3_PKS7_PS7_S7_ZZZN2at6native31launch_logcumsumexp_cuda_kernelERKNSE_10TensorBaseESI_lENKUlvE_clEvENKUlvE2_clEvEUlS7_S7_E_S7_EEDaPvRmT3_T4_T5_mT6_P12ihipStream_tbENKUlT_T0_E_clISt17integral_constantIbLb1EESY_IbLb0EEEEDaSU_SV_EUlSU_E_NS1_11comp_targetILNS1_3genE8ELNS1_11target_archE1030ELNS1_3gpuE2ELNS1_3repE0EEENS1_30default_config_static_selectorELNS0_4arch9wavefront6targetE0EEEvT1_.has_indirect_call, 0
	.section	.AMDGPU.csdata,"",@progbits
; Kernel info:
; codeLenInByte = 0
; TotalNumSgprs: 0
; NumVgprs: 0
; ScratchSize: 0
; MemoryBound: 0
; FloatMode: 240
; IeeeMode: 1
; LDSByteSize: 0 bytes/workgroup (compile time only)
; SGPRBlocks: 0
; VGPRBlocks: 0
; NumSGPRsForWavesPerEU: 1
; NumVGPRsForWavesPerEU: 1
; Occupancy: 16
; WaveLimiterHint : 0
; COMPUTE_PGM_RSRC2:SCRATCH_EN: 0
; COMPUTE_PGM_RSRC2:USER_SGPR: 2
; COMPUTE_PGM_RSRC2:TRAP_HANDLER: 0
; COMPUTE_PGM_RSRC2:TGID_X_EN: 1
; COMPUTE_PGM_RSRC2:TGID_Y_EN: 0
; COMPUTE_PGM_RSRC2:TGID_Z_EN: 0
; COMPUTE_PGM_RSRC2:TIDIG_COMP_CNT: 0
	.section	.text._ZN7rocprim17ROCPRIM_400000_NS6detail17trampoline_kernelINS0_14default_configENS1_20scan_config_selectorIN3c107complexIfEEEEZZNS1_9scan_implILNS1_25lookback_scan_determinismE0ELb0ELb0ES3_PKS7_PS7_S7_ZZZN2at6native31launch_logcumsumexp_cuda_kernelERKNSE_10TensorBaseESI_lENKUlvE_clEvENKUlvE2_clEvEUlS7_S7_E_S7_EEDaPvRmT3_T4_T5_mT6_P12ihipStream_tbENKUlT_T0_E_clISt17integral_constantIbLb1EESY_IbLb0EEEEDaSU_SV_EUlSU_E0_NS1_11comp_targetILNS1_3genE0ELNS1_11target_archE4294967295ELNS1_3gpuE0ELNS1_3repE0EEENS1_30default_config_static_selectorELNS0_4arch9wavefront6targetE0EEEvT1_,"axG",@progbits,_ZN7rocprim17ROCPRIM_400000_NS6detail17trampoline_kernelINS0_14default_configENS1_20scan_config_selectorIN3c107complexIfEEEEZZNS1_9scan_implILNS1_25lookback_scan_determinismE0ELb0ELb0ES3_PKS7_PS7_S7_ZZZN2at6native31launch_logcumsumexp_cuda_kernelERKNSE_10TensorBaseESI_lENKUlvE_clEvENKUlvE2_clEvEUlS7_S7_E_S7_EEDaPvRmT3_T4_T5_mT6_P12ihipStream_tbENKUlT_T0_E_clISt17integral_constantIbLb1EESY_IbLb0EEEEDaSU_SV_EUlSU_E0_NS1_11comp_targetILNS1_3genE0ELNS1_11target_archE4294967295ELNS1_3gpuE0ELNS1_3repE0EEENS1_30default_config_static_selectorELNS0_4arch9wavefront6targetE0EEEvT1_,comdat
	.globl	_ZN7rocprim17ROCPRIM_400000_NS6detail17trampoline_kernelINS0_14default_configENS1_20scan_config_selectorIN3c107complexIfEEEEZZNS1_9scan_implILNS1_25lookback_scan_determinismE0ELb0ELb0ES3_PKS7_PS7_S7_ZZZN2at6native31launch_logcumsumexp_cuda_kernelERKNSE_10TensorBaseESI_lENKUlvE_clEvENKUlvE2_clEvEUlS7_S7_E_S7_EEDaPvRmT3_T4_T5_mT6_P12ihipStream_tbENKUlT_T0_E_clISt17integral_constantIbLb1EESY_IbLb0EEEEDaSU_SV_EUlSU_E0_NS1_11comp_targetILNS1_3genE0ELNS1_11target_archE4294967295ELNS1_3gpuE0ELNS1_3repE0EEENS1_30default_config_static_selectorELNS0_4arch9wavefront6targetE0EEEvT1_ ; -- Begin function _ZN7rocprim17ROCPRIM_400000_NS6detail17trampoline_kernelINS0_14default_configENS1_20scan_config_selectorIN3c107complexIfEEEEZZNS1_9scan_implILNS1_25lookback_scan_determinismE0ELb0ELb0ES3_PKS7_PS7_S7_ZZZN2at6native31launch_logcumsumexp_cuda_kernelERKNSE_10TensorBaseESI_lENKUlvE_clEvENKUlvE2_clEvEUlS7_S7_E_S7_EEDaPvRmT3_T4_T5_mT6_P12ihipStream_tbENKUlT_T0_E_clISt17integral_constantIbLb1EESY_IbLb0EEEEDaSU_SV_EUlSU_E0_NS1_11comp_targetILNS1_3genE0ELNS1_11target_archE4294967295ELNS1_3gpuE0ELNS1_3repE0EEENS1_30default_config_static_selectorELNS0_4arch9wavefront6targetE0EEEvT1_
	.p2align	8
	.type	_ZN7rocprim17ROCPRIM_400000_NS6detail17trampoline_kernelINS0_14default_configENS1_20scan_config_selectorIN3c107complexIfEEEEZZNS1_9scan_implILNS1_25lookback_scan_determinismE0ELb0ELb0ES3_PKS7_PS7_S7_ZZZN2at6native31launch_logcumsumexp_cuda_kernelERKNSE_10TensorBaseESI_lENKUlvE_clEvENKUlvE2_clEvEUlS7_S7_E_S7_EEDaPvRmT3_T4_T5_mT6_P12ihipStream_tbENKUlT_T0_E_clISt17integral_constantIbLb1EESY_IbLb0EEEEDaSU_SV_EUlSU_E0_NS1_11comp_targetILNS1_3genE0ELNS1_11target_archE4294967295ELNS1_3gpuE0ELNS1_3repE0EEENS1_30default_config_static_selectorELNS0_4arch9wavefront6targetE0EEEvT1_,@function
_ZN7rocprim17ROCPRIM_400000_NS6detail17trampoline_kernelINS0_14default_configENS1_20scan_config_selectorIN3c107complexIfEEEEZZNS1_9scan_implILNS1_25lookback_scan_determinismE0ELb0ELb0ES3_PKS7_PS7_S7_ZZZN2at6native31launch_logcumsumexp_cuda_kernelERKNSE_10TensorBaseESI_lENKUlvE_clEvENKUlvE2_clEvEUlS7_S7_E_S7_EEDaPvRmT3_T4_T5_mT6_P12ihipStream_tbENKUlT_T0_E_clISt17integral_constantIbLb1EESY_IbLb0EEEEDaSU_SV_EUlSU_E0_NS1_11comp_targetILNS1_3genE0ELNS1_11target_archE4294967295ELNS1_3gpuE0ELNS1_3repE0EEENS1_30default_config_static_selectorELNS0_4arch9wavefront6targetE0EEEvT1_: ; @_ZN7rocprim17ROCPRIM_400000_NS6detail17trampoline_kernelINS0_14default_configENS1_20scan_config_selectorIN3c107complexIfEEEEZZNS1_9scan_implILNS1_25lookback_scan_determinismE0ELb0ELb0ES3_PKS7_PS7_S7_ZZZN2at6native31launch_logcumsumexp_cuda_kernelERKNSE_10TensorBaseESI_lENKUlvE_clEvENKUlvE2_clEvEUlS7_S7_E_S7_EEDaPvRmT3_T4_T5_mT6_P12ihipStream_tbENKUlT_T0_E_clISt17integral_constantIbLb1EESY_IbLb0EEEEDaSU_SV_EUlSU_E0_NS1_11comp_targetILNS1_3genE0ELNS1_11target_archE4294967295ELNS1_3gpuE0ELNS1_3repE0EEENS1_30default_config_static_selectorELNS0_4arch9wavefront6targetE0EEEvT1_
; %bb.0:
	.section	.rodata,"a",@progbits
	.p2align	6, 0x0
	.amdhsa_kernel _ZN7rocprim17ROCPRIM_400000_NS6detail17trampoline_kernelINS0_14default_configENS1_20scan_config_selectorIN3c107complexIfEEEEZZNS1_9scan_implILNS1_25lookback_scan_determinismE0ELb0ELb0ES3_PKS7_PS7_S7_ZZZN2at6native31launch_logcumsumexp_cuda_kernelERKNSE_10TensorBaseESI_lENKUlvE_clEvENKUlvE2_clEvEUlS7_S7_E_S7_EEDaPvRmT3_T4_T5_mT6_P12ihipStream_tbENKUlT_T0_E_clISt17integral_constantIbLb1EESY_IbLb0EEEEDaSU_SV_EUlSU_E0_NS1_11comp_targetILNS1_3genE0ELNS1_11target_archE4294967295ELNS1_3gpuE0ELNS1_3repE0EEENS1_30default_config_static_selectorELNS0_4arch9wavefront6targetE0EEEvT1_
		.amdhsa_group_segment_fixed_size 0
		.amdhsa_private_segment_fixed_size 0
		.amdhsa_kernarg_size 40
		.amdhsa_user_sgpr_count 2
		.amdhsa_user_sgpr_dispatch_ptr 0
		.amdhsa_user_sgpr_queue_ptr 0
		.amdhsa_user_sgpr_kernarg_segment_ptr 1
		.amdhsa_user_sgpr_dispatch_id 0
		.amdhsa_user_sgpr_private_segment_size 0
		.amdhsa_wavefront_size32 1
		.amdhsa_uses_dynamic_stack 0
		.amdhsa_enable_private_segment 0
		.amdhsa_system_sgpr_workgroup_id_x 1
		.amdhsa_system_sgpr_workgroup_id_y 0
		.amdhsa_system_sgpr_workgroup_id_z 0
		.amdhsa_system_sgpr_workgroup_info 0
		.amdhsa_system_vgpr_workitem_id 0
		.amdhsa_next_free_vgpr 1
		.amdhsa_next_free_sgpr 1
		.amdhsa_reserve_vcc 0
		.amdhsa_float_round_mode_32 0
		.amdhsa_float_round_mode_16_64 0
		.amdhsa_float_denorm_mode_32 3
		.amdhsa_float_denorm_mode_16_64 3
		.amdhsa_fp16_overflow 0
		.amdhsa_workgroup_processor_mode 1
		.amdhsa_memory_ordered 1
		.amdhsa_forward_progress 1
		.amdhsa_inst_pref_size 0
		.amdhsa_round_robin_scheduling 0
		.amdhsa_exception_fp_ieee_invalid_op 0
		.amdhsa_exception_fp_denorm_src 0
		.amdhsa_exception_fp_ieee_div_zero 0
		.amdhsa_exception_fp_ieee_overflow 0
		.amdhsa_exception_fp_ieee_underflow 0
		.amdhsa_exception_fp_ieee_inexact 0
		.amdhsa_exception_int_div_zero 0
	.end_amdhsa_kernel
	.section	.text._ZN7rocprim17ROCPRIM_400000_NS6detail17trampoline_kernelINS0_14default_configENS1_20scan_config_selectorIN3c107complexIfEEEEZZNS1_9scan_implILNS1_25lookback_scan_determinismE0ELb0ELb0ES3_PKS7_PS7_S7_ZZZN2at6native31launch_logcumsumexp_cuda_kernelERKNSE_10TensorBaseESI_lENKUlvE_clEvENKUlvE2_clEvEUlS7_S7_E_S7_EEDaPvRmT3_T4_T5_mT6_P12ihipStream_tbENKUlT_T0_E_clISt17integral_constantIbLb1EESY_IbLb0EEEEDaSU_SV_EUlSU_E0_NS1_11comp_targetILNS1_3genE0ELNS1_11target_archE4294967295ELNS1_3gpuE0ELNS1_3repE0EEENS1_30default_config_static_selectorELNS0_4arch9wavefront6targetE0EEEvT1_,"axG",@progbits,_ZN7rocprim17ROCPRIM_400000_NS6detail17trampoline_kernelINS0_14default_configENS1_20scan_config_selectorIN3c107complexIfEEEEZZNS1_9scan_implILNS1_25lookback_scan_determinismE0ELb0ELb0ES3_PKS7_PS7_S7_ZZZN2at6native31launch_logcumsumexp_cuda_kernelERKNSE_10TensorBaseESI_lENKUlvE_clEvENKUlvE2_clEvEUlS7_S7_E_S7_EEDaPvRmT3_T4_T5_mT6_P12ihipStream_tbENKUlT_T0_E_clISt17integral_constantIbLb1EESY_IbLb0EEEEDaSU_SV_EUlSU_E0_NS1_11comp_targetILNS1_3genE0ELNS1_11target_archE4294967295ELNS1_3gpuE0ELNS1_3repE0EEENS1_30default_config_static_selectorELNS0_4arch9wavefront6targetE0EEEvT1_,comdat
.Lfunc_end319:
	.size	_ZN7rocprim17ROCPRIM_400000_NS6detail17trampoline_kernelINS0_14default_configENS1_20scan_config_selectorIN3c107complexIfEEEEZZNS1_9scan_implILNS1_25lookback_scan_determinismE0ELb0ELb0ES3_PKS7_PS7_S7_ZZZN2at6native31launch_logcumsumexp_cuda_kernelERKNSE_10TensorBaseESI_lENKUlvE_clEvENKUlvE2_clEvEUlS7_S7_E_S7_EEDaPvRmT3_T4_T5_mT6_P12ihipStream_tbENKUlT_T0_E_clISt17integral_constantIbLb1EESY_IbLb0EEEEDaSU_SV_EUlSU_E0_NS1_11comp_targetILNS1_3genE0ELNS1_11target_archE4294967295ELNS1_3gpuE0ELNS1_3repE0EEENS1_30default_config_static_selectorELNS0_4arch9wavefront6targetE0EEEvT1_, .Lfunc_end319-_ZN7rocprim17ROCPRIM_400000_NS6detail17trampoline_kernelINS0_14default_configENS1_20scan_config_selectorIN3c107complexIfEEEEZZNS1_9scan_implILNS1_25lookback_scan_determinismE0ELb0ELb0ES3_PKS7_PS7_S7_ZZZN2at6native31launch_logcumsumexp_cuda_kernelERKNSE_10TensorBaseESI_lENKUlvE_clEvENKUlvE2_clEvEUlS7_S7_E_S7_EEDaPvRmT3_T4_T5_mT6_P12ihipStream_tbENKUlT_T0_E_clISt17integral_constantIbLb1EESY_IbLb0EEEEDaSU_SV_EUlSU_E0_NS1_11comp_targetILNS1_3genE0ELNS1_11target_archE4294967295ELNS1_3gpuE0ELNS1_3repE0EEENS1_30default_config_static_selectorELNS0_4arch9wavefront6targetE0EEEvT1_
                                        ; -- End function
	.set _ZN7rocprim17ROCPRIM_400000_NS6detail17trampoline_kernelINS0_14default_configENS1_20scan_config_selectorIN3c107complexIfEEEEZZNS1_9scan_implILNS1_25lookback_scan_determinismE0ELb0ELb0ES3_PKS7_PS7_S7_ZZZN2at6native31launch_logcumsumexp_cuda_kernelERKNSE_10TensorBaseESI_lENKUlvE_clEvENKUlvE2_clEvEUlS7_S7_E_S7_EEDaPvRmT3_T4_T5_mT6_P12ihipStream_tbENKUlT_T0_E_clISt17integral_constantIbLb1EESY_IbLb0EEEEDaSU_SV_EUlSU_E0_NS1_11comp_targetILNS1_3genE0ELNS1_11target_archE4294967295ELNS1_3gpuE0ELNS1_3repE0EEENS1_30default_config_static_selectorELNS0_4arch9wavefront6targetE0EEEvT1_.num_vgpr, 0
	.set _ZN7rocprim17ROCPRIM_400000_NS6detail17trampoline_kernelINS0_14default_configENS1_20scan_config_selectorIN3c107complexIfEEEEZZNS1_9scan_implILNS1_25lookback_scan_determinismE0ELb0ELb0ES3_PKS7_PS7_S7_ZZZN2at6native31launch_logcumsumexp_cuda_kernelERKNSE_10TensorBaseESI_lENKUlvE_clEvENKUlvE2_clEvEUlS7_S7_E_S7_EEDaPvRmT3_T4_T5_mT6_P12ihipStream_tbENKUlT_T0_E_clISt17integral_constantIbLb1EESY_IbLb0EEEEDaSU_SV_EUlSU_E0_NS1_11comp_targetILNS1_3genE0ELNS1_11target_archE4294967295ELNS1_3gpuE0ELNS1_3repE0EEENS1_30default_config_static_selectorELNS0_4arch9wavefront6targetE0EEEvT1_.num_agpr, 0
	.set _ZN7rocprim17ROCPRIM_400000_NS6detail17trampoline_kernelINS0_14default_configENS1_20scan_config_selectorIN3c107complexIfEEEEZZNS1_9scan_implILNS1_25lookback_scan_determinismE0ELb0ELb0ES3_PKS7_PS7_S7_ZZZN2at6native31launch_logcumsumexp_cuda_kernelERKNSE_10TensorBaseESI_lENKUlvE_clEvENKUlvE2_clEvEUlS7_S7_E_S7_EEDaPvRmT3_T4_T5_mT6_P12ihipStream_tbENKUlT_T0_E_clISt17integral_constantIbLb1EESY_IbLb0EEEEDaSU_SV_EUlSU_E0_NS1_11comp_targetILNS1_3genE0ELNS1_11target_archE4294967295ELNS1_3gpuE0ELNS1_3repE0EEENS1_30default_config_static_selectorELNS0_4arch9wavefront6targetE0EEEvT1_.numbered_sgpr, 0
	.set _ZN7rocprim17ROCPRIM_400000_NS6detail17trampoline_kernelINS0_14default_configENS1_20scan_config_selectorIN3c107complexIfEEEEZZNS1_9scan_implILNS1_25lookback_scan_determinismE0ELb0ELb0ES3_PKS7_PS7_S7_ZZZN2at6native31launch_logcumsumexp_cuda_kernelERKNSE_10TensorBaseESI_lENKUlvE_clEvENKUlvE2_clEvEUlS7_S7_E_S7_EEDaPvRmT3_T4_T5_mT6_P12ihipStream_tbENKUlT_T0_E_clISt17integral_constantIbLb1EESY_IbLb0EEEEDaSU_SV_EUlSU_E0_NS1_11comp_targetILNS1_3genE0ELNS1_11target_archE4294967295ELNS1_3gpuE0ELNS1_3repE0EEENS1_30default_config_static_selectorELNS0_4arch9wavefront6targetE0EEEvT1_.num_named_barrier, 0
	.set _ZN7rocprim17ROCPRIM_400000_NS6detail17trampoline_kernelINS0_14default_configENS1_20scan_config_selectorIN3c107complexIfEEEEZZNS1_9scan_implILNS1_25lookback_scan_determinismE0ELb0ELb0ES3_PKS7_PS7_S7_ZZZN2at6native31launch_logcumsumexp_cuda_kernelERKNSE_10TensorBaseESI_lENKUlvE_clEvENKUlvE2_clEvEUlS7_S7_E_S7_EEDaPvRmT3_T4_T5_mT6_P12ihipStream_tbENKUlT_T0_E_clISt17integral_constantIbLb1EESY_IbLb0EEEEDaSU_SV_EUlSU_E0_NS1_11comp_targetILNS1_3genE0ELNS1_11target_archE4294967295ELNS1_3gpuE0ELNS1_3repE0EEENS1_30default_config_static_selectorELNS0_4arch9wavefront6targetE0EEEvT1_.private_seg_size, 0
	.set _ZN7rocprim17ROCPRIM_400000_NS6detail17trampoline_kernelINS0_14default_configENS1_20scan_config_selectorIN3c107complexIfEEEEZZNS1_9scan_implILNS1_25lookback_scan_determinismE0ELb0ELb0ES3_PKS7_PS7_S7_ZZZN2at6native31launch_logcumsumexp_cuda_kernelERKNSE_10TensorBaseESI_lENKUlvE_clEvENKUlvE2_clEvEUlS7_S7_E_S7_EEDaPvRmT3_T4_T5_mT6_P12ihipStream_tbENKUlT_T0_E_clISt17integral_constantIbLb1EESY_IbLb0EEEEDaSU_SV_EUlSU_E0_NS1_11comp_targetILNS1_3genE0ELNS1_11target_archE4294967295ELNS1_3gpuE0ELNS1_3repE0EEENS1_30default_config_static_selectorELNS0_4arch9wavefront6targetE0EEEvT1_.uses_vcc, 0
	.set _ZN7rocprim17ROCPRIM_400000_NS6detail17trampoline_kernelINS0_14default_configENS1_20scan_config_selectorIN3c107complexIfEEEEZZNS1_9scan_implILNS1_25lookback_scan_determinismE0ELb0ELb0ES3_PKS7_PS7_S7_ZZZN2at6native31launch_logcumsumexp_cuda_kernelERKNSE_10TensorBaseESI_lENKUlvE_clEvENKUlvE2_clEvEUlS7_S7_E_S7_EEDaPvRmT3_T4_T5_mT6_P12ihipStream_tbENKUlT_T0_E_clISt17integral_constantIbLb1EESY_IbLb0EEEEDaSU_SV_EUlSU_E0_NS1_11comp_targetILNS1_3genE0ELNS1_11target_archE4294967295ELNS1_3gpuE0ELNS1_3repE0EEENS1_30default_config_static_selectorELNS0_4arch9wavefront6targetE0EEEvT1_.uses_flat_scratch, 0
	.set _ZN7rocprim17ROCPRIM_400000_NS6detail17trampoline_kernelINS0_14default_configENS1_20scan_config_selectorIN3c107complexIfEEEEZZNS1_9scan_implILNS1_25lookback_scan_determinismE0ELb0ELb0ES3_PKS7_PS7_S7_ZZZN2at6native31launch_logcumsumexp_cuda_kernelERKNSE_10TensorBaseESI_lENKUlvE_clEvENKUlvE2_clEvEUlS7_S7_E_S7_EEDaPvRmT3_T4_T5_mT6_P12ihipStream_tbENKUlT_T0_E_clISt17integral_constantIbLb1EESY_IbLb0EEEEDaSU_SV_EUlSU_E0_NS1_11comp_targetILNS1_3genE0ELNS1_11target_archE4294967295ELNS1_3gpuE0ELNS1_3repE0EEENS1_30default_config_static_selectorELNS0_4arch9wavefront6targetE0EEEvT1_.has_dyn_sized_stack, 0
	.set _ZN7rocprim17ROCPRIM_400000_NS6detail17trampoline_kernelINS0_14default_configENS1_20scan_config_selectorIN3c107complexIfEEEEZZNS1_9scan_implILNS1_25lookback_scan_determinismE0ELb0ELb0ES3_PKS7_PS7_S7_ZZZN2at6native31launch_logcumsumexp_cuda_kernelERKNSE_10TensorBaseESI_lENKUlvE_clEvENKUlvE2_clEvEUlS7_S7_E_S7_EEDaPvRmT3_T4_T5_mT6_P12ihipStream_tbENKUlT_T0_E_clISt17integral_constantIbLb1EESY_IbLb0EEEEDaSU_SV_EUlSU_E0_NS1_11comp_targetILNS1_3genE0ELNS1_11target_archE4294967295ELNS1_3gpuE0ELNS1_3repE0EEENS1_30default_config_static_selectorELNS0_4arch9wavefront6targetE0EEEvT1_.has_recursion, 0
	.set _ZN7rocprim17ROCPRIM_400000_NS6detail17trampoline_kernelINS0_14default_configENS1_20scan_config_selectorIN3c107complexIfEEEEZZNS1_9scan_implILNS1_25lookback_scan_determinismE0ELb0ELb0ES3_PKS7_PS7_S7_ZZZN2at6native31launch_logcumsumexp_cuda_kernelERKNSE_10TensorBaseESI_lENKUlvE_clEvENKUlvE2_clEvEUlS7_S7_E_S7_EEDaPvRmT3_T4_T5_mT6_P12ihipStream_tbENKUlT_T0_E_clISt17integral_constantIbLb1EESY_IbLb0EEEEDaSU_SV_EUlSU_E0_NS1_11comp_targetILNS1_3genE0ELNS1_11target_archE4294967295ELNS1_3gpuE0ELNS1_3repE0EEENS1_30default_config_static_selectorELNS0_4arch9wavefront6targetE0EEEvT1_.has_indirect_call, 0
	.section	.AMDGPU.csdata,"",@progbits
; Kernel info:
; codeLenInByte = 0
; TotalNumSgprs: 0
; NumVgprs: 0
; ScratchSize: 0
; MemoryBound: 0
; FloatMode: 240
; IeeeMode: 1
; LDSByteSize: 0 bytes/workgroup (compile time only)
; SGPRBlocks: 0
; VGPRBlocks: 0
; NumSGPRsForWavesPerEU: 1
; NumVGPRsForWavesPerEU: 1
; Occupancy: 16
; WaveLimiterHint : 0
; COMPUTE_PGM_RSRC2:SCRATCH_EN: 0
; COMPUTE_PGM_RSRC2:USER_SGPR: 2
; COMPUTE_PGM_RSRC2:TRAP_HANDLER: 0
; COMPUTE_PGM_RSRC2:TGID_X_EN: 1
; COMPUTE_PGM_RSRC2:TGID_Y_EN: 0
; COMPUTE_PGM_RSRC2:TGID_Z_EN: 0
; COMPUTE_PGM_RSRC2:TIDIG_COMP_CNT: 0
	.section	.text._ZN7rocprim17ROCPRIM_400000_NS6detail17trampoline_kernelINS0_14default_configENS1_20scan_config_selectorIN3c107complexIfEEEEZZNS1_9scan_implILNS1_25lookback_scan_determinismE0ELb0ELb0ES3_PKS7_PS7_S7_ZZZN2at6native31launch_logcumsumexp_cuda_kernelERKNSE_10TensorBaseESI_lENKUlvE_clEvENKUlvE2_clEvEUlS7_S7_E_S7_EEDaPvRmT3_T4_T5_mT6_P12ihipStream_tbENKUlT_T0_E_clISt17integral_constantIbLb1EESY_IbLb0EEEEDaSU_SV_EUlSU_E0_NS1_11comp_targetILNS1_3genE5ELNS1_11target_archE942ELNS1_3gpuE9ELNS1_3repE0EEENS1_30default_config_static_selectorELNS0_4arch9wavefront6targetE0EEEvT1_,"axG",@progbits,_ZN7rocprim17ROCPRIM_400000_NS6detail17trampoline_kernelINS0_14default_configENS1_20scan_config_selectorIN3c107complexIfEEEEZZNS1_9scan_implILNS1_25lookback_scan_determinismE0ELb0ELb0ES3_PKS7_PS7_S7_ZZZN2at6native31launch_logcumsumexp_cuda_kernelERKNSE_10TensorBaseESI_lENKUlvE_clEvENKUlvE2_clEvEUlS7_S7_E_S7_EEDaPvRmT3_T4_T5_mT6_P12ihipStream_tbENKUlT_T0_E_clISt17integral_constantIbLb1EESY_IbLb0EEEEDaSU_SV_EUlSU_E0_NS1_11comp_targetILNS1_3genE5ELNS1_11target_archE942ELNS1_3gpuE9ELNS1_3repE0EEENS1_30default_config_static_selectorELNS0_4arch9wavefront6targetE0EEEvT1_,comdat
	.globl	_ZN7rocprim17ROCPRIM_400000_NS6detail17trampoline_kernelINS0_14default_configENS1_20scan_config_selectorIN3c107complexIfEEEEZZNS1_9scan_implILNS1_25lookback_scan_determinismE0ELb0ELb0ES3_PKS7_PS7_S7_ZZZN2at6native31launch_logcumsumexp_cuda_kernelERKNSE_10TensorBaseESI_lENKUlvE_clEvENKUlvE2_clEvEUlS7_S7_E_S7_EEDaPvRmT3_T4_T5_mT6_P12ihipStream_tbENKUlT_T0_E_clISt17integral_constantIbLb1EESY_IbLb0EEEEDaSU_SV_EUlSU_E0_NS1_11comp_targetILNS1_3genE5ELNS1_11target_archE942ELNS1_3gpuE9ELNS1_3repE0EEENS1_30default_config_static_selectorELNS0_4arch9wavefront6targetE0EEEvT1_ ; -- Begin function _ZN7rocprim17ROCPRIM_400000_NS6detail17trampoline_kernelINS0_14default_configENS1_20scan_config_selectorIN3c107complexIfEEEEZZNS1_9scan_implILNS1_25lookback_scan_determinismE0ELb0ELb0ES3_PKS7_PS7_S7_ZZZN2at6native31launch_logcumsumexp_cuda_kernelERKNSE_10TensorBaseESI_lENKUlvE_clEvENKUlvE2_clEvEUlS7_S7_E_S7_EEDaPvRmT3_T4_T5_mT6_P12ihipStream_tbENKUlT_T0_E_clISt17integral_constantIbLb1EESY_IbLb0EEEEDaSU_SV_EUlSU_E0_NS1_11comp_targetILNS1_3genE5ELNS1_11target_archE942ELNS1_3gpuE9ELNS1_3repE0EEENS1_30default_config_static_selectorELNS0_4arch9wavefront6targetE0EEEvT1_
	.p2align	8
	.type	_ZN7rocprim17ROCPRIM_400000_NS6detail17trampoline_kernelINS0_14default_configENS1_20scan_config_selectorIN3c107complexIfEEEEZZNS1_9scan_implILNS1_25lookback_scan_determinismE0ELb0ELb0ES3_PKS7_PS7_S7_ZZZN2at6native31launch_logcumsumexp_cuda_kernelERKNSE_10TensorBaseESI_lENKUlvE_clEvENKUlvE2_clEvEUlS7_S7_E_S7_EEDaPvRmT3_T4_T5_mT6_P12ihipStream_tbENKUlT_T0_E_clISt17integral_constantIbLb1EESY_IbLb0EEEEDaSU_SV_EUlSU_E0_NS1_11comp_targetILNS1_3genE5ELNS1_11target_archE942ELNS1_3gpuE9ELNS1_3repE0EEENS1_30default_config_static_selectorELNS0_4arch9wavefront6targetE0EEEvT1_,@function
_ZN7rocprim17ROCPRIM_400000_NS6detail17trampoline_kernelINS0_14default_configENS1_20scan_config_selectorIN3c107complexIfEEEEZZNS1_9scan_implILNS1_25lookback_scan_determinismE0ELb0ELb0ES3_PKS7_PS7_S7_ZZZN2at6native31launch_logcumsumexp_cuda_kernelERKNSE_10TensorBaseESI_lENKUlvE_clEvENKUlvE2_clEvEUlS7_S7_E_S7_EEDaPvRmT3_T4_T5_mT6_P12ihipStream_tbENKUlT_T0_E_clISt17integral_constantIbLb1EESY_IbLb0EEEEDaSU_SV_EUlSU_E0_NS1_11comp_targetILNS1_3genE5ELNS1_11target_archE942ELNS1_3gpuE9ELNS1_3repE0EEENS1_30default_config_static_selectorELNS0_4arch9wavefront6targetE0EEEvT1_: ; @_ZN7rocprim17ROCPRIM_400000_NS6detail17trampoline_kernelINS0_14default_configENS1_20scan_config_selectorIN3c107complexIfEEEEZZNS1_9scan_implILNS1_25lookback_scan_determinismE0ELb0ELb0ES3_PKS7_PS7_S7_ZZZN2at6native31launch_logcumsumexp_cuda_kernelERKNSE_10TensorBaseESI_lENKUlvE_clEvENKUlvE2_clEvEUlS7_S7_E_S7_EEDaPvRmT3_T4_T5_mT6_P12ihipStream_tbENKUlT_T0_E_clISt17integral_constantIbLb1EESY_IbLb0EEEEDaSU_SV_EUlSU_E0_NS1_11comp_targetILNS1_3genE5ELNS1_11target_archE942ELNS1_3gpuE9ELNS1_3repE0EEENS1_30default_config_static_selectorELNS0_4arch9wavefront6targetE0EEEvT1_
; %bb.0:
	.section	.rodata,"a",@progbits
	.p2align	6, 0x0
	.amdhsa_kernel _ZN7rocprim17ROCPRIM_400000_NS6detail17trampoline_kernelINS0_14default_configENS1_20scan_config_selectorIN3c107complexIfEEEEZZNS1_9scan_implILNS1_25lookback_scan_determinismE0ELb0ELb0ES3_PKS7_PS7_S7_ZZZN2at6native31launch_logcumsumexp_cuda_kernelERKNSE_10TensorBaseESI_lENKUlvE_clEvENKUlvE2_clEvEUlS7_S7_E_S7_EEDaPvRmT3_T4_T5_mT6_P12ihipStream_tbENKUlT_T0_E_clISt17integral_constantIbLb1EESY_IbLb0EEEEDaSU_SV_EUlSU_E0_NS1_11comp_targetILNS1_3genE5ELNS1_11target_archE942ELNS1_3gpuE9ELNS1_3repE0EEENS1_30default_config_static_selectorELNS0_4arch9wavefront6targetE0EEEvT1_
		.amdhsa_group_segment_fixed_size 0
		.amdhsa_private_segment_fixed_size 0
		.amdhsa_kernarg_size 40
		.amdhsa_user_sgpr_count 2
		.amdhsa_user_sgpr_dispatch_ptr 0
		.amdhsa_user_sgpr_queue_ptr 0
		.amdhsa_user_sgpr_kernarg_segment_ptr 1
		.amdhsa_user_sgpr_dispatch_id 0
		.amdhsa_user_sgpr_private_segment_size 0
		.amdhsa_wavefront_size32 1
		.amdhsa_uses_dynamic_stack 0
		.amdhsa_enable_private_segment 0
		.amdhsa_system_sgpr_workgroup_id_x 1
		.amdhsa_system_sgpr_workgroup_id_y 0
		.amdhsa_system_sgpr_workgroup_id_z 0
		.amdhsa_system_sgpr_workgroup_info 0
		.amdhsa_system_vgpr_workitem_id 0
		.amdhsa_next_free_vgpr 1
		.amdhsa_next_free_sgpr 1
		.amdhsa_reserve_vcc 0
		.amdhsa_float_round_mode_32 0
		.amdhsa_float_round_mode_16_64 0
		.amdhsa_float_denorm_mode_32 3
		.amdhsa_float_denorm_mode_16_64 3
		.amdhsa_fp16_overflow 0
		.amdhsa_workgroup_processor_mode 1
		.amdhsa_memory_ordered 1
		.amdhsa_forward_progress 1
		.amdhsa_inst_pref_size 0
		.amdhsa_round_robin_scheduling 0
		.amdhsa_exception_fp_ieee_invalid_op 0
		.amdhsa_exception_fp_denorm_src 0
		.amdhsa_exception_fp_ieee_div_zero 0
		.amdhsa_exception_fp_ieee_overflow 0
		.amdhsa_exception_fp_ieee_underflow 0
		.amdhsa_exception_fp_ieee_inexact 0
		.amdhsa_exception_int_div_zero 0
	.end_amdhsa_kernel
	.section	.text._ZN7rocprim17ROCPRIM_400000_NS6detail17trampoline_kernelINS0_14default_configENS1_20scan_config_selectorIN3c107complexIfEEEEZZNS1_9scan_implILNS1_25lookback_scan_determinismE0ELb0ELb0ES3_PKS7_PS7_S7_ZZZN2at6native31launch_logcumsumexp_cuda_kernelERKNSE_10TensorBaseESI_lENKUlvE_clEvENKUlvE2_clEvEUlS7_S7_E_S7_EEDaPvRmT3_T4_T5_mT6_P12ihipStream_tbENKUlT_T0_E_clISt17integral_constantIbLb1EESY_IbLb0EEEEDaSU_SV_EUlSU_E0_NS1_11comp_targetILNS1_3genE5ELNS1_11target_archE942ELNS1_3gpuE9ELNS1_3repE0EEENS1_30default_config_static_selectorELNS0_4arch9wavefront6targetE0EEEvT1_,"axG",@progbits,_ZN7rocprim17ROCPRIM_400000_NS6detail17trampoline_kernelINS0_14default_configENS1_20scan_config_selectorIN3c107complexIfEEEEZZNS1_9scan_implILNS1_25lookback_scan_determinismE0ELb0ELb0ES3_PKS7_PS7_S7_ZZZN2at6native31launch_logcumsumexp_cuda_kernelERKNSE_10TensorBaseESI_lENKUlvE_clEvENKUlvE2_clEvEUlS7_S7_E_S7_EEDaPvRmT3_T4_T5_mT6_P12ihipStream_tbENKUlT_T0_E_clISt17integral_constantIbLb1EESY_IbLb0EEEEDaSU_SV_EUlSU_E0_NS1_11comp_targetILNS1_3genE5ELNS1_11target_archE942ELNS1_3gpuE9ELNS1_3repE0EEENS1_30default_config_static_selectorELNS0_4arch9wavefront6targetE0EEEvT1_,comdat
.Lfunc_end320:
	.size	_ZN7rocprim17ROCPRIM_400000_NS6detail17trampoline_kernelINS0_14default_configENS1_20scan_config_selectorIN3c107complexIfEEEEZZNS1_9scan_implILNS1_25lookback_scan_determinismE0ELb0ELb0ES3_PKS7_PS7_S7_ZZZN2at6native31launch_logcumsumexp_cuda_kernelERKNSE_10TensorBaseESI_lENKUlvE_clEvENKUlvE2_clEvEUlS7_S7_E_S7_EEDaPvRmT3_T4_T5_mT6_P12ihipStream_tbENKUlT_T0_E_clISt17integral_constantIbLb1EESY_IbLb0EEEEDaSU_SV_EUlSU_E0_NS1_11comp_targetILNS1_3genE5ELNS1_11target_archE942ELNS1_3gpuE9ELNS1_3repE0EEENS1_30default_config_static_selectorELNS0_4arch9wavefront6targetE0EEEvT1_, .Lfunc_end320-_ZN7rocprim17ROCPRIM_400000_NS6detail17trampoline_kernelINS0_14default_configENS1_20scan_config_selectorIN3c107complexIfEEEEZZNS1_9scan_implILNS1_25lookback_scan_determinismE0ELb0ELb0ES3_PKS7_PS7_S7_ZZZN2at6native31launch_logcumsumexp_cuda_kernelERKNSE_10TensorBaseESI_lENKUlvE_clEvENKUlvE2_clEvEUlS7_S7_E_S7_EEDaPvRmT3_T4_T5_mT6_P12ihipStream_tbENKUlT_T0_E_clISt17integral_constantIbLb1EESY_IbLb0EEEEDaSU_SV_EUlSU_E0_NS1_11comp_targetILNS1_3genE5ELNS1_11target_archE942ELNS1_3gpuE9ELNS1_3repE0EEENS1_30default_config_static_selectorELNS0_4arch9wavefront6targetE0EEEvT1_
                                        ; -- End function
	.set _ZN7rocprim17ROCPRIM_400000_NS6detail17trampoline_kernelINS0_14default_configENS1_20scan_config_selectorIN3c107complexIfEEEEZZNS1_9scan_implILNS1_25lookback_scan_determinismE0ELb0ELb0ES3_PKS7_PS7_S7_ZZZN2at6native31launch_logcumsumexp_cuda_kernelERKNSE_10TensorBaseESI_lENKUlvE_clEvENKUlvE2_clEvEUlS7_S7_E_S7_EEDaPvRmT3_T4_T5_mT6_P12ihipStream_tbENKUlT_T0_E_clISt17integral_constantIbLb1EESY_IbLb0EEEEDaSU_SV_EUlSU_E0_NS1_11comp_targetILNS1_3genE5ELNS1_11target_archE942ELNS1_3gpuE9ELNS1_3repE0EEENS1_30default_config_static_selectorELNS0_4arch9wavefront6targetE0EEEvT1_.num_vgpr, 0
	.set _ZN7rocprim17ROCPRIM_400000_NS6detail17trampoline_kernelINS0_14default_configENS1_20scan_config_selectorIN3c107complexIfEEEEZZNS1_9scan_implILNS1_25lookback_scan_determinismE0ELb0ELb0ES3_PKS7_PS7_S7_ZZZN2at6native31launch_logcumsumexp_cuda_kernelERKNSE_10TensorBaseESI_lENKUlvE_clEvENKUlvE2_clEvEUlS7_S7_E_S7_EEDaPvRmT3_T4_T5_mT6_P12ihipStream_tbENKUlT_T0_E_clISt17integral_constantIbLb1EESY_IbLb0EEEEDaSU_SV_EUlSU_E0_NS1_11comp_targetILNS1_3genE5ELNS1_11target_archE942ELNS1_3gpuE9ELNS1_3repE0EEENS1_30default_config_static_selectorELNS0_4arch9wavefront6targetE0EEEvT1_.num_agpr, 0
	.set _ZN7rocprim17ROCPRIM_400000_NS6detail17trampoline_kernelINS0_14default_configENS1_20scan_config_selectorIN3c107complexIfEEEEZZNS1_9scan_implILNS1_25lookback_scan_determinismE0ELb0ELb0ES3_PKS7_PS7_S7_ZZZN2at6native31launch_logcumsumexp_cuda_kernelERKNSE_10TensorBaseESI_lENKUlvE_clEvENKUlvE2_clEvEUlS7_S7_E_S7_EEDaPvRmT3_T4_T5_mT6_P12ihipStream_tbENKUlT_T0_E_clISt17integral_constantIbLb1EESY_IbLb0EEEEDaSU_SV_EUlSU_E0_NS1_11comp_targetILNS1_3genE5ELNS1_11target_archE942ELNS1_3gpuE9ELNS1_3repE0EEENS1_30default_config_static_selectorELNS0_4arch9wavefront6targetE0EEEvT1_.numbered_sgpr, 0
	.set _ZN7rocprim17ROCPRIM_400000_NS6detail17trampoline_kernelINS0_14default_configENS1_20scan_config_selectorIN3c107complexIfEEEEZZNS1_9scan_implILNS1_25lookback_scan_determinismE0ELb0ELb0ES3_PKS7_PS7_S7_ZZZN2at6native31launch_logcumsumexp_cuda_kernelERKNSE_10TensorBaseESI_lENKUlvE_clEvENKUlvE2_clEvEUlS7_S7_E_S7_EEDaPvRmT3_T4_T5_mT6_P12ihipStream_tbENKUlT_T0_E_clISt17integral_constantIbLb1EESY_IbLb0EEEEDaSU_SV_EUlSU_E0_NS1_11comp_targetILNS1_3genE5ELNS1_11target_archE942ELNS1_3gpuE9ELNS1_3repE0EEENS1_30default_config_static_selectorELNS0_4arch9wavefront6targetE0EEEvT1_.num_named_barrier, 0
	.set _ZN7rocprim17ROCPRIM_400000_NS6detail17trampoline_kernelINS0_14default_configENS1_20scan_config_selectorIN3c107complexIfEEEEZZNS1_9scan_implILNS1_25lookback_scan_determinismE0ELb0ELb0ES3_PKS7_PS7_S7_ZZZN2at6native31launch_logcumsumexp_cuda_kernelERKNSE_10TensorBaseESI_lENKUlvE_clEvENKUlvE2_clEvEUlS7_S7_E_S7_EEDaPvRmT3_T4_T5_mT6_P12ihipStream_tbENKUlT_T0_E_clISt17integral_constantIbLb1EESY_IbLb0EEEEDaSU_SV_EUlSU_E0_NS1_11comp_targetILNS1_3genE5ELNS1_11target_archE942ELNS1_3gpuE9ELNS1_3repE0EEENS1_30default_config_static_selectorELNS0_4arch9wavefront6targetE0EEEvT1_.private_seg_size, 0
	.set _ZN7rocprim17ROCPRIM_400000_NS6detail17trampoline_kernelINS0_14default_configENS1_20scan_config_selectorIN3c107complexIfEEEEZZNS1_9scan_implILNS1_25lookback_scan_determinismE0ELb0ELb0ES3_PKS7_PS7_S7_ZZZN2at6native31launch_logcumsumexp_cuda_kernelERKNSE_10TensorBaseESI_lENKUlvE_clEvENKUlvE2_clEvEUlS7_S7_E_S7_EEDaPvRmT3_T4_T5_mT6_P12ihipStream_tbENKUlT_T0_E_clISt17integral_constantIbLb1EESY_IbLb0EEEEDaSU_SV_EUlSU_E0_NS1_11comp_targetILNS1_3genE5ELNS1_11target_archE942ELNS1_3gpuE9ELNS1_3repE0EEENS1_30default_config_static_selectorELNS0_4arch9wavefront6targetE0EEEvT1_.uses_vcc, 0
	.set _ZN7rocprim17ROCPRIM_400000_NS6detail17trampoline_kernelINS0_14default_configENS1_20scan_config_selectorIN3c107complexIfEEEEZZNS1_9scan_implILNS1_25lookback_scan_determinismE0ELb0ELb0ES3_PKS7_PS7_S7_ZZZN2at6native31launch_logcumsumexp_cuda_kernelERKNSE_10TensorBaseESI_lENKUlvE_clEvENKUlvE2_clEvEUlS7_S7_E_S7_EEDaPvRmT3_T4_T5_mT6_P12ihipStream_tbENKUlT_T0_E_clISt17integral_constantIbLb1EESY_IbLb0EEEEDaSU_SV_EUlSU_E0_NS1_11comp_targetILNS1_3genE5ELNS1_11target_archE942ELNS1_3gpuE9ELNS1_3repE0EEENS1_30default_config_static_selectorELNS0_4arch9wavefront6targetE0EEEvT1_.uses_flat_scratch, 0
	.set _ZN7rocprim17ROCPRIM_400000_NS6detail17trampoline_kernelINS0_14default_configENS1_20scan_config_selectorIN3c107complexIfEEEEZZNS1_9scan_implILNS1_25lookback_scan_determinismE0ELb0ELb0ES3_PKS7_PS7_S7_ZZZN2at6native31launch_logcumsumexp_cuda_kernelERKNSE_10TensorBaseESI_lENKUlvE_clEvENKUlvE2_clEvEUlS7_S7_E_S7_EEDaPvRmT3_T4_T5_mT6_P12ihipStream_tbENKUlT_T0_E_clISt17integral_constantIbLb1EESY_IbLb0EEEEDaSU_SV_EUlSU_E0_NS1_11comp_targetILNS1_3genE5ELNS1_11target_archE942ELNS1_3gpuE9ELNS1_3repE0EEENS1_30default_config_static_selectorELNS0_4arch9wavefront6targetE0EEEvT1_.has_dyn_sized_stack, 0
	.set _ZN7rocprim17ROCPRIM_400000_NS6detail17trampoline_kernelINS0_14default_configENS1_20scan_config_selectorIN3c107complexIfEEEEZZNS1_9scan_implILNS1_25lookback_scan_determinismE0ELb0ELb0ES3_PKS7_PS7_S7_ZZZN2at6native31launch_logcumsumexp_cuda_kernelERKNSE_10TensorBaseESI_lENKUlvE_clEvENKUlvE2_clEvEUlS7_S7_E_S7_EEDaPvRmT3_T4_T5_mT6_P12ihipStream_tbENKUlT_T0_E_clISt17integral_constantIbLb1EESY_IbLb0EEEEDaSU_SV_EUlSU_E0_NS1_11comp_targetILNS1_3genE5ELNS1_11target_archE942ELNS1_3gpuE9ELNS1_3repE0EEENS1_30default_config_static_selectorELNS0_4arch9wavefront6targetE0EEEvT1_.has_recursion, 0
	.set _ZN7rocprim17ROCPRIM_400000_NS6detail17trampoline_kernelINS0_14default_configENS1_20scan_config_selectorIN3c107complexIfEEEEZZNS1_9scan_implILNS1_25lookback_scan_determinismE0ELb0ELb0ES3_PKS7_PS7_S7_ZZZN2at6native31launch_logcumsumexp_cuda_kernelERKNSE_10TensorBaseESI_lENKUlvE_clEvENKUlvE2_clEvEUlS7_S7_E_S7_EEDaPvRmT3_T4_T5_mT6_P12ihipStream_tbENKUlT_T0_E_clISt17integral_constantIbLb1EESY_IbLb0EEEEDaSU_SV_EUlSU_E0_NS1_11comp_targetILNS1_3genE5ELNS1_11target_archE942ELNS1_3gpuE9ELNS1_3repE0EEENS1_30default_config_static_selectorELNS0_4arch9wavefront6targetE0EEEvT1_.has_indirect_call, 0
	.section	.AMDGPU.csdata,"",@progbits
; Kernel info:
; codeLenInByte = 0
; TotalNumSgprs: 0
; NumVgprs: 0
; ScratchSize: 0
; MemoryBound: 0
; FloatMode: 240
; IeeeMode: 1
; LDSByteSize: 0 bytes/workgroup (compile time only)
; SGPRBlocks: 0
; VGPRBlocks: 0
; NumSGPRsForWavesPerEU: 1
; NumVGPRsForWavesPerEU: 1
; Occupancy: 16
; WaveLimiterHint : 0
; COMPUTE_PGM_RSRC2:SCRATCH_EN: 0
; COMPUTE_PGM_RSRC2:USER_SGPR: 2
; COMPUTE_PGM_RSRC2:TRAP_HANDLER: 0
; COMPUTE_PGM_RSRC2:TGID_X_EN: 1
; COMPUTE_PGM_RSRC2:TGID_Y_EN: 0
; COMPUTE_PGM_RSRC2:TGID_Z_EN: 0
; COMPUTE_PGM_RSRC2:TIDIG_COMP_CNT: 0
	.section	.text._ZN7rocprim17ROCPRIM_400000_NS6detail17trampoline_kernelINS0_14default_configENS1_20scan_config_selectorIN3c107complexIfEEEEZZNS1_9scan_implILNS1_25lookback_scan_determinismE0ELb0ELb0ES3_PKS7_PS7_S7_ZZZN2at6native31launch_logcumsumexp_cuda_kernelERKNSE_10TensorBaseESI_lENKUlvE_clEvENKUlvE2_clEvEUlS7_S7_E_S7_EEDaPvRmT3_T4_T5_mT6_P12ihipStream_tbENKUlT_T0_E_clISt17integral_constantIbLb1EESY_IbLb0EEEEDaSU_SV_EUlSU_E0_NS1_11comp_targetILNS1_3genE4ELNS1_11target_archE910ELNS1_3gpuE8ELNS1_3repE0EEENS1_30default_config_static_selectorELNS0_4arch9wavefront6targetE0EEEvT1_,"axG",@progbits,_ZN7rocprim17ROCPRIM_400000_NS6detail17trampoline_kernelINS0_14default_configENS1_20scan_config_selectorIN3c107complexIfEEEEZZNS1_9scan_implILNS1_25lookback_scan_determinismE0ELb0ELb0ES3_PKS7_PS7_S7_ZZZN2at6native31launch_logcumsumexp_cuda_kernelERKNSE_10TensorBaseESI_lENKUlvE_clEvENKUlvE2_clEvEUlS7_S7_E_S7_EEDaPvRmT3_T4_T5_mT6_P12ihipStream_tbENKUlT_T0_E_clISt17integral_constantIbLb1EESY_IbLb0EEEEDaSU_SV_EUlSU_E0_NS1_11comp_targetILNS1_3genE4ELNS1_11target_archE910ELNS1_3gpuE8ELNS1_3repE0EEENS1_30default_config_static_selectorELNS0_4arch9wavefront6targetE0EEEvT1_,comdat
	.globl	_ZN7rocprim17ROCPRIM_400000_NS6detail17trampoline_kernelINS0_14default_configENS1_20scan_config_selectorIN3c107complexIfEEEEZZNS1_9scan_implILNS1_25lookback_scan_determinismE0ELb0ELb0ES3_PKS7_PS7_S7_ZZZN2at6native31launch_logcumsumexp_cuda_kernelERKNSE_10TensorBaseESI_lENKUlvE_clEvENKUlvE2_clEvEUlS7_S7_E_S7_EEDaPvRmT3_T4_T5_mT6_P12ihipStream_tbENKUlT_T0_E_clISt17integral_constantIbLb1EESY_IbLb0EEEEDaSU_SV_EUlSU_E0_NS1_11comp_targetILNS1_3genE4ELNS1_11target_archE910ELNS1_3gpuE8ELNS1_3repE0EEENS1_30default_config_static_selectorELNS0_4arch9wavefront6targetE0EEEvT1_ ; -- Begin function _ZN7rocprim17ROCPRIM_400000_NS6detail17trampoline_kernelINS0_14default_configENS1_20scan_config_selectorIN3c107complexIfEEEEZZNS1_9scan_implILNS1_25lookback_scan_determinismE0ELb0ELb0ES3_PKS7_PS7_S7_ZZZN2at6native31launch_logcumsumexp_cuda_kernelERKNSE_10TensorBaseESI_lENKUlvE_clEvENKUlvE2_clEvEUlS7_S7_E_S7_EEDaPvRmT3_T4_T5_mT6_P12ihipStream_tbENKUlT_T0_E_clISt17integral_constantIbLb1EESY_IbLb0EEEEDaSU_SV_EUlSU_E0_NS1_11comp_targetILNS1_3genE4ELNS1_11target_archE910ELNS1_3gpuE8ELNS1_3repE0EEENS1_30default_config_static_selectorELNS0_4arch9wavefront6targetE0EEEvT1_
	.p2align	8
	.type	_ZN7rocprim17ROCPRIM_400000_NS6detail17trampoline_kernelINS0_14default_configENS1_20scan_config_selectorIN3c107complexIfEEEEZZNS1_9scan_implILNS1_25lookback_scan_determinismE0ELb0ELb0ES3_PKS7_PS7_S7_ZZZN2at6native31launch_logcumsumexp_cuda_kernelERKNSE_10TensorBaseESI_lENKUlvE_clEvENKUlvE2_clEvEUlS7_S7_E_S7_EEDaPvRmT3_T4_T5_mT6_P12ihipStream_tbENKUlT_T0_E_clISt17integral_constantIbLb1EESY_IbLb0EEEEDaSU_SV_EUlSU_E0_NS1_11comp_targetILNS1_3genE4ELNS1_11target_archE910ELNS1_3gpuE8ELNS1_3repE0EEENS1_30default_config_static_selectorELNS0_4arch9wavefront6targetE0EEEvT1_,@function
_ZN7rocprim17ROCPRIM_400000_NS6detail17trampoline_kernelINS0_14default_configENS1_20scan_config_selectorIN3c107complexIfEEEEZZNS1_9scan_implILNS1_25lookback_scan_determinismE0ELb0ELb0ES3_PKS7_PS7_S7_ZZZN2at6native31launch_logcumsumexp_cuda_kernelERKNSE_10TensorBaseESI_lENKUlvE_clEvENKUlvE2_clEvEUlS7_S7_E_S7_EEDaPvRmT3_T4_T5_mT6_P12ihipStream_tbENKUlT_T0_E_clISt17integral_constantIbLb1EESY_IbLb0EEEEDaSU_SV_EUlSU_E0_NS1_11comp_targetILNS1_3genE4ELNS1_11target_archE910ELNS1_3gpuE8ELNS1_3repE0EEENS1_30default_config_static_selectorELNS0_4arch9wavefront6targetE0EEEvT1_: ; @_ZN7rocprim17ROCPRIM_400000_NS6detail17trampoline_kernelINS0_14default_configENS1_20scan_config_selectorIN3c107complexIfEEEEZZNS1_9scan_implILNS1_25lookback_scan_determinismE0ELb0ELb0ES3_PKS7_PS7_S7_ZZZN2at6native31launch_logcumsumexp_cuda_kernelERKNSE_10TensorBaseESI_lENKUlvE_clEvENKUlvE2_clEvEUlS7_S7_E_S7_EEDaPvRmT3_T4_T5_mT6_P12ihipStream_tbENKUlT_T0_E_clISt17integral_constantIbLb1EESY_IbLb0EEEEDaSU_SV_EUlSU_E0_NS1_11comp_targetILNS1_3genE4ELNS1_11target_archE910ELNS1_3gpuE8ELNS1_3repE0EEENS1_30default_config_static_selectorELNS0_4arch9wavefront6targetE0EEEvT1_
; %bb.0:
	.section	.rodata,"a",@progbits
	.p2align	6, 0x0
	.amdhsa_kernel _ZN7rocprim17ROCPRIM_400000_NS6detail17trampoline_kernelINS0_14default_configENS1_20scan_config_selectorIN3c107complexIfEEEEZZNS1_9scan_implILNS1_25lookback_scan_determinismE0ELb0ELb0ES3_PKS7_PS7_S7_ZZZN2at6native31launch_logcumsumexp_cuda_kernelERKNSE_10TensorBaseESI_lENKUlvE_clEvENKUlvE2_clEvEUlS7_S7_E_S7_EEDaPvRmT3_T4_T5_mT6_P12ihipStream_tbENKUlT_T0_E_clISt17integral_constantIbLb1EESY_IbLb0EEEEDaSU_SV_EUlSU_E0_NS1_11comp_targetILNS1_3genE4ELNS1_11target_archE910ELNS1_3gpuE8ELNS1_3repE0EEENS1_30default_config_static_selectorELNS0_4arch9wavefront6targetE0EEEvT1_
		.amdhsa_group_segment_fixed_size 0
		.amdhsa_private_segment_fixed_size 0
		.amdhsa_kernarg_size 40
		.amdhsa_user_sgpr_count 2
		.amdhsa_user_sgpr_dispatch_ptr 0
		.amdhsa_user_sgpr_queue_ptr 0
		.amdhsa_user_sgpr_kernarg_segment_ptr 1
		.amdhsa_user_sgpr_dispatch_id 0
		.amdhsa_user_sgpr_private_segment_size 0
		.amdhsa_wavefront_size32 1
		.amdhsa_uses_dynamic_stack 0
		.amdhsa_enable_private_segment 0
		.amdhsa_system_sgpr_workgroup_id_x 1
		.amdhsa_system_sgpr_workgroup_id_y 0
		.amdhsa_system_sgpr_workgroup_id_z 0
		.amdhsa_system_sgpr_workgroup_info 0
		.amdhsa_system_vgpr_workitem_id 0
		.amdhsa_next_free_vgpr 1
		.amdhsa_next_free_sgpr 1
		.amdhsa_reserve_vcc 0
		.amdhsa_float_round_mode_32 0
		.amdhsa_float_round_mode_16_64 0
		.amdhsa_float_denorm_mode_32 3
		.amdhsa_float_denorm_mode_16_64 3
		.amdhsa_fp16_overflow 0
		.amdhsa_workgroup_processor_mode 1
		.amdhsa_memory_ordered 1
		.amdhsa_forward_progress 1
		.amdhsa_inst_pref_size 0
		.amdhsa_round_robin_scheduling 0
		.amdhsa_exception_fp_ieee_invalid_op 0
		.amdhsa_exception_fp_denorm_src 0
		.amdhsa_exception_fp_ieee_div_zero 0
		.amdhsa_exception_fp_ieee_overflow 0
		.amdhsa_exception_fp_ieee_underflow 0
		.amdhsa_exception_fp_ieee_inexact 0
		.amdhsa_exception_int_div_zero 0
	.end_amdhsa_kernel
	.section	.text._ZN7rocprim17ROCPRIM_400000_NS6detail17trampoline_kernelINS0_14default_configENS1_20scan_config_selectorIN3c107complexIfEEEEZZNS1_9scan_implILNS1_25lookback_scan_determinismE0ELb0ELb0ES3_PKS7_PS7_S7_ZZZN2at6native31launch_logcumsumexp_cuda_kernelERKNSE_10TensorBaseESI_lENKUlvE_clEvENKUlvE2_clEvEUlS7_S7_E_S7_EEDaPvRmT3_T4_T5_mT6_P12ihipStream_tbENKUlT_T0_E_clISt17integral_constantIbLb1EESY_IbLb0EEEEDaSU_SV_EUlSU_E0_NS1_11comp_targetILNS1_3genE4ELNS1_11target_archE910ELNS1_3gpuE8ELNS1_3repE0EEENS1_30default_config_static_selectorELNS0_4arch9wavefront6targetE0EEEvT1_,"axG",@progbits,_ZN7rocprim17ROCPRIM_400000_NS6detail17trampoline_kernelINS0_14default_configENS1_20scan_config_selectorIN3c107complexIfEEEEZZNS1_9scan_implILNS1_25lookback_scan_determinismE0ELb0ELb0ES3_PKS7_PS7_S7_ZZZN2at6native31launch_logcumsumexp_cuda_kernelERKNSE_10TensorBaseESI_lENKUlvE_clEvENKUlvE2_clEvEUlS7_S7_E_S7_EEDaPvRmT3_T4_T5_mT6_P12ihipStream_tbENKUlT_T0_E_clISt17integral_constantIbLb1EESY_IbLb0EEEEDaSU_SV_EUlSU_E0_NS1_11comp_targetILNS1_3genE4ELNS1_11target_archE910ELNS1_3gpuE8ELNS1_3repE0EEENS1_30default_config_static_selectorELNS0_4arch9wavefront6targetE0EEEvT1_,comdat
.Lfunc_end321:
	.size	_ZN7rocprim17ROCPRIM_400000_NS6detail17trampoline_kernelINS0_14default_configENS1_20scan_config_selectorIN3c107complexIfEEEEZZNS1_9scan_implILNS1_25lookback_scan_determinismE0ELb0ELb0ES3_PKS7_PS7_S7_ZZZN2at6native31launch_logcumsumexp_cuda_kernelERKNSE_10TensorBaseESI_lENKUlvE_clEvENKUlvE2_clEvEUlS7_S7_E_S7_EEDaPvRmT3_T4_T5_mT6_P12ihipStream_tbENKUlT_T0_E_clISt17integral_constantIbLb1EESY_IbLb0EEEEDaSU_SV_EUlSU_E0_NS1_11comp_targetILNS1_3genE4ELNS1_11target_archE910ELNS1_3gpuE8ELNS1_3repE0EEENS1_30default_config_static_selectorELNS0_4arch9wavefront6targetE0EEEvT1_, .Lfunc_end321-_ZN7rocprim17ROCPRIM_400000_NS6detail17trampoline_kernelINS0_14default_configENS1_20scan_config_selectorIN3c107complexIfEEEEZZNS1_9scan_implILNS1_25lookback_scan_determinismE0ELb0ELb0ES3_PKS7_PS7_S7_ZZZN2at6native31launch_logcumsumexp_cuda_kernelERKNSE_10TensorBaseESI_lENKUlvE_clEvENKUlvE2_clEvEUlS7_S7_E_S7_EEDaPvRmT3_T4_T5_mT6_P12ihipStream_tbENKUlT_T0_E_clISt17integral_constantIbLb1EESY_IbLb0EEEEDaSU_SV_EUlSU_E0_NS1_11comp_targetILNS1_3genE4ELNS1_11target_archE910ELNS1_3gpuE8ELNS1_3repE0EEENS1_30default_config_static_selectorELNS0_4arch9wavefront6targetE0EEEvT1_
                                        ; -- End function
	.set _ZN7rocprim17ROCPRIM_400000_NS6detail17trampoline_kernelINS0_14default_configENS1_20scan_config_selectorIN3c107complexIfEEEEZZNS1_9scan_implILNS1_25lookback_scan_determinismE0ELb0ELb0ES3_PKS7_PS7_S7_ZZZN2at6native31launch_logcumsumexp_cuda_kernelERKNSE_10TensorBaseESI_lENKUlvE_clEvENKUlvE2_clEvEUlS7_S7_E_S7_EEDaPvRmT3_T4_T5_mT6_P12ihipStream_tbENKUlT_T0_E_clISt17integral_constantIbLb1EESY_IbLb0EEEEDaSU_SV_EUlSU_E0_NS1_11comp_targetILNS1_3genE4ELNS1_11target_archE910ELNS1_3gpuE8ELNS1_3repE0EEENS1_30default_config_static_selectorELNS0_4arch9wavefront6targetE0EEEvT1_.num_vgpr, 0
	.set _ZN7rocprim17ROCPRIM_400000_NS6detail17trampoline_kernelINS0_14default_configENS1_20scan_config_selectorIN3c107complexIfEEEEZZNS1_9scan_implILNS1_25lookback_scan_determinismE0ELb0ELb0ES3_PKS7_PS7_S7_ZZZN2at6native31launch_logcumsumexp_cuda_kernelERKNSE_10TensorBaseESI_lENKUlvE_clEvENKUlvE2_clEvEUlS7_S7_E_S7_EEDaPvRmT3_T4_T5_mT6_P12ihipStream_tbENKUlT_T0_E_clISt17integral_constantIbLb1EESY_IbLb0EEEEDaSU_SV_EUlSU_E0_NS1_11comp_targetILNS1_3genE4ELNS1_11target_archE910ELNS1_3gpuE8ELNS1_3repE0EEENS1_30default_config_static_selectorELNS0_4arch9wavefront6targetE0EEEvT1_.num_agpr, 0
	.set _ZN7rocprim17ROCPRIM_400000_NS6detail17trampoline_kernelINS0_14default_configENS1_20scan_config_selectorIN3c107complexIfEEEEZZNS1_9scan_implILNS1_25lookback_scan_determinismE0ELb0ELb0ES3_PKS7_PS7_S7_ZZZN2at6native31launch_logcumsumexp_cuda_kernelERKNSE_10TensorBaseESI_lENKUlvE_clEvENKUlvE2_clEvEUlS7_S7_E_S7_EEDaPvRmT3_T4_T5_mT6_P12ihipStream_tbENKUlT_T0_E_clISt17integral_constantIbLb1EESY_IbLb0EEEEDaSU_SV_EUlSU_E0_NS1_11comp_targetILNS1_3genE4ELNS1_11target_archE910ELNS1_3gpuE8ELNS1_3repE0EEENS1_30default_config_static_selectorELNS0_4arch9wavefront6targetE0EEEvT1_.numbered_sgpr, 0
	.set _ZN7rocprim17ROCPRIM_400000_NS6detail17trampoline_kernelINS0_14default_configENS1_20scan_config_selectorIN3c107complexIfEEEEZZNS1_9scan_implILNS1_25lookback_scan_determinismE0ELb0ELb0ES3_PKS7_PS7_S7_ZZZN2at6native31launch_logcumsumexp_cuda_kernelERKNSE_10TensorBaseESI_lENKUlvE_clEvENKUlvE2_clEvEUlS7_S7_E_S7_EEDaPvRmT3_T4_T5_mT6_P12ihipStream_tbENKUlT_T0_E_clISt17integral_constantIbLb1EESY_IbLb0EEEEDaSU_SV_EUlSU_E0_NS1_11comp_targetILNS1_3genE4ELNS1_11target_archE910ELNS1_3gpuE8ELNS1_3repE0EEENS1_30default_config_static_selectorELNS0_4arch9wavefront6targetE0EEEvT1_.num_named_barrier, 0
	.set _ZN7rocprim17ROCPRIM_400000_NS6detail17trampoline_kernelINS0_14default_configENS1_20scan_config_selectorIN3c107complexIfEEEEZZNS1_9scan_implILNS1_25lookback_scan_determinismE0ELb0ELb0ES3_PKS7_PS7_S7_ZZZN2at6native31launch_logcumsumexp_cuda_kernelERKNSE_10TensorBaseESI_lENKUlvE_clEvENKUlvE2_clEvEUlS7_S7_E_S7_EEDaPvRmT3_T4_T5_mT6_P12ihipStream_tbENKUlT_T0_E_clISt17integral_constantIbLb1EESY_IbLb0EEEEDaSU_SV_EUlSU_E0_NS1_11comp_targetILNS1_3genE4ELNS1_11target_archE910ELNS1_3gpuE8ELNS1_3repE0EEENS1_30default_config_static_selectorELNS0_4arch9wavefront6targetE0EEEvT1_.private_seg_size, 0
	.set _ZN7rocprim17ROCPRIM_400000_NS6detail17trampoline_kernelINS0_14default_configENS1_20scan_config_selectorIN3c107complexIfEEEEZZNS1_9scan_implILNS1_25lookback_scan_determinismE0ELb0ELb0ES3_PKS7_PS7_S7_ZZZN2at6native31launch_logcumsumexp_cuda_kernelERKNSE_10TensorBaseESI_lENKUlvE_clEvENKUlvE2_clEvEUlS7_S7_E_S7_EEDaPvRmT3_T4_T5_mT6_P12ihipStream_tbENKUlT_T0_E_clISt17integral_constantIbLb1EESY_IbLb0EEEEDaSU_SV_EUlSU_E0_NS1_11comp_targetILNS1_3genE4ELNS1_11target_archE910ELNS1_3gpuE8ELNS1_3repE0EEENS1_30default_config_static_selectorELNS0_4arch9wavefront6targetE0EEEvT1_.uses_vcc, 0
	.set _ZN7rocprim17ROCPRIM_400000_NS6detail17trampoline_kernelINS0_14default_configENS1_20scan_config_selectorIN3c107complexIfEEEEZZNS1_9scan_implILNS1_25lookback_scan_determinismE0ELb0ELb0ES3_PKS7_PS7_S7_ZZZN2at6native31launch_logcumsumexp_cuda_kernelERKNSE_10TensorBaseESI_lENKUlvE_clEvENKUlvE2_clEvEUlS7_S7_E_S7_EEDaPvRmT3_T4_T5_mT6_P12ihipStream_tbENKUlT_T0_E_clISt17integral_constantIbLb1EESY_IbLb0EEEEDaSU_SV_EUlSU_E0_NS1_11comp_targetILNS1_3genE4ELNS1_11target_archE910ELNS1_3gpuE8ELNS1_3repE0EEENS1_30default_config_static_selectorELNS0_4arch9wavefront6targetE0EEEvT1_.uses_flat_scratch, 0
	.set _ZN7rocprim17ROCPRIM_400000_NS6detail17trampoline_kernelINS0_14default_configENS1_20scan_config_selectorIN3c107complexIfEEEEZZNS1_9scan_implILNS1_25lookback_scan_determinismE0ELb0ELb0ES3_PKS7_PS7_S7_ZZZN2at6native31launch_logcumsumexp_cuda_kernelERKNSE_10TensorBaseESI_lENKUlvE_clEvENKUlvE2_clEvEUlS7_S7_E_S7_EEDaPvRmT3_T4_T5_mT6_P12ihipStream_tbENKUlT_T0_E_clISt17integral_constantIbLb1EESY_IbLb0EEEEDaSU_SV_EUlSU_E0_NS1_11comp_targetILNS1_3genE4ELNS1_11target_archE910ELNS1_3gpuE8ELNS1_3repE0EEENS1_30default_config_static_selectorELNS0_4arch9wavefront6targetE0EEEvT1_.has_dyn_sized_stack, 0
	.set _ZN7rocprim17ROCPRIM_400000_NS6detail17trampoline_kernelINS0_14default_configENS1_20scan_config_selectorIN3c107complexIfEEEEZZNS1_9scan_implILNS1_25lookback_scan_determinismE0ELb0ELb0ES3_PKS7_PS7_S7_ZZZN2at6native31launch_logcumsumexp_cuda_kernelERKNSE_10TensorBaseESI_lENKUlvE_clEvENKUlvE2_clEvEUlS7_S7_E_S7_EEDaPvRmT3_T4_T5_mT6_P12ihipStream_tbENKUlT_T0_E_clISt17integral_constantIbLb1EESY_IbLb0EEEEDaSU_SV_EUlSU_E0_NS1_11comp_targetILNS1_3genE4ELNS1_11target_archE910ELNS1_3gpuE8ELNS1_3repE0EEENS1_30default_config_static_selectorELNS0_4arch9wavefront6targetE0EEEvT1_.has_recursion, 0
	.set _ZN7rocprim17ROCPRIM_400000_NS6detail17trampoline_kernelINS0_14default_configENS1_20scan_config_selectorIN3c107complexIfEEEEZZNS1_9scan_implILNS1_25lookback_scan_determinismE0ELb0ELb0ES3_PKS7_PS7_S7_ZZZN2at6native31launch_logcumsumexp_cuda_kernelERKNSE_10TensorBaseESI_lENKUlvE_clEvENKUlvE2_clEvEUlS7_S7_E_S7_EEDaPvRmT3_T4_T5_mT6_P12ihipStream_tbENKUlT_T0_E_clISt17integral_constantIbLb1EESY_IbLb0EEEEDaSU_SV_EUlSU_E0_NS1_11comp_targetILNS1_3genE4ELNS1_11target_archE910ELNS1_3gpuE8ELNS1_3repE0EEENS1_30default_config_static_selectorELNS0_4arch9wavefront6targetE0EEEvT1_.has_indirect_call, 0
	.section	.AMDGPU.csdata,"",@progbits
; Kernel info:
; codeLenInByte = 0
; TotalNumSgprs: 0
; NumVgprs: 0
; ScratchSize: 0
; MemoryBound: 0
; FloatMode: 240
; IeeeMode: 1
; LDSByteSize: 0 bytes/workgroup (compile time only)
; SGPRBlocks: 0
; VGPRBlocks: 0
; NumSGPRsForWavesPerEU: 1
; NumVGPRsForWavesPerEU: 1
; Occupancy: 16
; WaveLimiterHint : 0
; COMPUTE_PGM_RSRC2:SCRATCH_EN: 0
; COMPUTE_PGM_RSRC2:USER_SGPR: 2
; COMPUTE_PGM_RSRC2:TRAP_HANDLER: 0
; COMPUTE_PGM_RSRC2:TGID_X_EN: 1
; COMPUTE_PGM_RSRC2:TGID_Y_EN: 0
; COMPUTE_PGM_RSRC2:TGID_Z_EN: 0
; COMPUTE_PGM_RSRC2:TIDIG_COMP_CNT: 0
	.section	.text._ZN7rocprim17ROCPRIM_400000_NS6detail17trampoline_kernelINS0_14default_configENS1_20scan_config_selectorIN3c107complexIfEEEEZZNS1_9scan_implILNS1_25lookback_scan_determinismE0ELb0ELb0ES3_PKS7_PS7_S7_ZZZN2at6native31launch_logcumsumexp_cuda_kernelERKNSE_10TensorBaseESI_lENKUlvE_clEvENKUlvE2_clEvEUlS7_S7_E_S7_EEDaPvRmT3_T4_T5_mT6_P12ihipStream_tbENKUlT_T0_E_clISt17integral_constantIbLb1EESY_IbLb0EEEEDaSU_SV_EUlSU_E0_NS1_11comp_targetILNS1_3genE3ELNS1_11target_archE908ELNS1_3gpuE7ELNS1_3repE0EEENS1_30default_config_static_selectorELNS0_4arch9wavefront6targetE0EEEvT1_,"axG",@progbits,_ZN7rocprim17ROCPRIM_400000_NS6detail17trampoline_kernelINS0_14default_configENS1_20scan_config_selectorIN3c107complexIfEEEEZZNS1_9scan_implILNS1_25lookback_scan_determinismE0ELb0ELb0ES3_PKS7_PS7_S7_ZZZN2at6native31launch_logcumsumexp_cuda_kernelERKNSE_10TensorBaseESI_lENKUlvE_clEvENKUlvE2_clEvEUlS7_S7_E_S7_EEDaPvRmT3_T4_T5_mT6_P12ihipStream_tbENKUlT_T0_E_clISt17integral_constantIbLb1EESY_IbLb0EEEEDaSU_SV_EUlSU_E0_NS1_11comp_targetILNS1_3genE3ELNS1_11target_archE908ELNS1_3gpuE7ELNS1_3repE0EEENS1_30default_config_static_selectorELNS0_4arch9wavefront6targetE0EEEvT1_,comdat
	.globl	_ZN7rocprim17ROCPRIM_400000_NS6detail17trampoline_kernelINS0_14default_configENS1_20scan_config_selectorIN3c107complexIfEEEEZZNS1_9scan_implILNS1_25lookback_scan_determinismE0ELb0ELb0ES3_PKS7_PS7_S7_ZZZN2at6native31launch_logcumsumexp_cuda_kernelERKNSE_10TensorBaseESI_lENKUlvE_clEvENKUlvE2_clEvEUlS7_S7_E_S7_EEDaPvRmT3_T4_T5_mT6_P12ihipStream_tbENKUlT_T0_E_clISt17integral_constantIbLb1EESY_IbLb0EEEEDaSU_SV_EUlSU_E0_NS1_11comp_targetILNS1_3genE3ELNS1_11target_archE908ELNS1_3gpuE7ELNS1_3repE0EEENS1_30default_config_static_selectorELNS0_4arch9wavefront6targetE0EEEvT1_ ; -- Begin function _ZN7rocprim17ROCPRIM_400000_NS6detail17trampoline_kernelINS0_14default_configENS1_20scan_config_selectorIN3c107complexIfEEEEZZNS1_9scan_implILNS1_25lookback_scan_determinismE0ELb0ELb0ES3_PKS7_PS7_S7_ZZZN2at6native31launch_logcumsumexp_cuda_kernelERKNSE_10TensorBaseESI_lENKUlvE_clEvENKUlvE2_clEvEUlS7_S7_E_S7_EEDaPvRmT3_T4_T5_mT6_P12ihipStream_tbENKUlT_T0_E_clISt17integral_constantIbLb1EESY_IbLb0EEEEDaSU_SV_EUlSU_E0_NS1_11comp_targetILNS1_3genE3ELNS1_11target_archE908ELNS1_3gpuE7ELNS1_3repE0EEENS1_30default_config_static_selectorELNS0_4arch9wavefront6targetE0EEEvT1_
	.p2align	8
	.type	_ZN7rocprim17ROCPRIM_400000_NS6detail17trampoline_kernelINS0_14default_configENS1_20scan_config_selectorIN3c107complexIfEEEEZZNS1_9scan_implILNS1_25lookback_scan_determinismE0ELb0ELb0ES3_PKS7_PS7_S7_ZZZN2at6native31launch_logcumsumexp_cuda_kernelERKNSE_10TensorBaseESI_lENKUlvE_clEvENKUlvE2_clEvEUlS7_S7_E_S7_EEDaPvRmT3_T4_T5_mT6_P12ihipStream_tbENKUlT_T0_E_clISt17integral_constantIbLb1EESY_IbLb0EEEEDaSU_SV_EUlSU_E0_NS1_11comp_targetILNS1_3genE3ELNS1_11target_archE908ELNS1_3gpuE7ELNS1_3repE0EEENS1_30default_config_static_selectorELNS0_4arch9wavefront6targetE0EEEvT1_,@function
_ZN7rocprim17ROCPRIM_400000_NS6detail17trampoline_kernelINS0_14default_configENS1_20scan_config_selectorIN3c107complexIfEEEEZZNS1_9scan_implILNS1_25lookback_scan_determinismE0ELb0ELb0ES3_PKS7_PS7_S7_ZZZN2at6native31launch_logcumsumexp_cuda_kernelERKNSE_10TensorBaseESI_lENKUlvE_clEvENKUlvE2_clEvEUlS7_S7_E_S7_EEDaPvRmT3_T4_T5_mT6_P12ihipStream_tbENKUlT_T0_E_clISt17integral_constantIbLb1EESY_IbLb0EEEEDaSU_SV_EUlSU_E0_NS1_11comp_targetILNS1_3genE3ELNS1_11target_archE908ELNS1_3gpuE7ELNS1_3repE0EEENS1_30default_config_static_selectorELNS0_4arch9wavefront6targetE0EEEvT1_: ; @_ZN7rocprim17ROCPRIM_400000_NS6detail17trampoline_kernelINS0_14default_configENS1_20scan_config_selectorIN3c107complexIfEEEEZZNS1_9scan_implILNS1_25lookback_scan_determinismE0ELb0ELb0ES3_PKS7_PS7_S7_ZZZN2at6native31launch_logcumsumexp_cuda_kernelERKNSE_10TensorBaseESI_lENKUlvE_clEvENKUlvE2_clEvEUlS7_S7_E_S7_EEDaPvRmT3_T4_T5_mT6_P12ihipStream_tbENKUlT_T0_E_clISt17integral_constantIbLb1EESY_IbLb0EEEEDaSU_SV_EUlSU_E0_NS1_11comp_targetILNS1_3genE3ELNS1_11target_archE908ELNS1_3gpuE7ELNS1_3repE0EEENS1_30default_config_static_selectorELNS0_4arch9wavefront6targetE0EEEvT1_
; %bb.0:
	.section	.rodata,"a",@progbits
	.p2align	6, 0x0
	.amdhsa_kernel _ZN7rocprim17ROCPRIM_400000_NS6detail17trampoline_kernelINS0_14default_configENS1_20scan_config_selectorIN3c107complexIfEEEEZZNS1_9scan_implILNS1_25lookback_scan_determinismE0ELb0ELb0ES3_PKS7_PS7_S7_ZZZN2at6native31launch_logcumsumexp_cuda_kernelERKNSE_10TensorBaseESI_lENKUlvE_clEvENKUlvE2_clEvEUlS7_S7_E_S7_EEDaPvRmT3_T4_T5_mT6_P12ihipStream_tbENKUlT_T0_E_clISt17integral_constantIbLb1EESY_IbLb0EEEEDaSU_SV_EUlSU_E0_NS1_11comp_targetILNS1_3genE3ELNS1_11target_archE908ELNS1_3gpuE7ELNS1_3repE0EEENS1_30default_config_static_selectorELNS0_4arch9wavefront6targetE0EEEvT1_
		.amdhsa_group_segment_fixed_size 0
		.amdhsa_private_segment_fixed_size 0
		.amdhsa_kernarg_size 40
		.amdhsa_user_sgpr_count 2
		.amdhsa_user_sgpr_dispatch_ptr 0
		.amdhsa_user_sgpr_queue_ptr 0
		.amdhsa_user_sgpr_kernarg_segment_ptr 1
		.amdhsa_user_sgpr_dispatch_id 0
		.amdhsa_user_sgpr_private_segment_size 0
		.amdhsa_wavefront_size32 1
		.amdhsa_uses_dynamic_stack 0
		.amdhsa_enable_private_segment 0
		.amdhsa_system_sgpr_workgroup_id_x 1
		.amdhsa_system_sgpr_workgroup_id_y 0
		.amdhsa_system_sgpr_workgroup_id_z 0
		.amdhsa_system_sgpr_workgroup_info 0
		.amdhsa_system_vgpr_workitem_id 0
		.amdhsa_next_free_vgpr 1
		.amdhsa_next_free_sgpr 1
		.amdhsa_reserve_vcc 0
		.amdhsa_float_round_mode_32 0
		.amdhsa_float_round_mode_16_64 0
		.amdhsa_float_denorm_mode_32 3
		.amdhsa_float_denorm_mode_16_64 3
		.amdhsa_fp16_overflow 0
		.amdhsa_workgroup_processor_mode 1
		.amdhsa_memory_ordered 1
		.amdhsa_forward_progress 1
		.amdhsa_inst_pref_size 0
		.amdhsa_round_robin_scheduling 0
		.amdhsa_exception_fp_ieee_invalid_op 0
		.amdhsa_exception_fp_denorm_src 0
		.amdhsa_exception_fp_ieee_div_zero 0
		.amdhsa_exception_fp_ieee_overflow 0
		.amdhsa_exception_fp_ieee_underflow 0
		.amdhsa_exception_fp_ieee_inexact 0
		.amdhsa_exception_int_div_zero 0
	.end_amdhsa_kernel
	.section	.text._ZN7rocprim17ROCPRIM_400000_NS6detail17trampoline_kernelINS0_14default_configENS1_20scan_config_selectorIN3c107complexIfEEEEZZNS1_9scan_implILNS1_25lookback_scan_determinismE0ELb0ELb0ES3_PKS7_PS7_S7_ZZZN2at6native31launch_logcumsumexp_cuda_kernelERKNSE_10TensorBaseESI_lENKUlvE_clEvENKUlvE2_clEvEUlS7_S7_E_S7_EEDaPvRmT3_T4_T5_mT6_P12ihipStream_tbENKUlT_T0_E_clISt17integral_constantIbLb1EESY_IbLb0EEEEDaSU_SV_EUlSU_E0_NS1_11comp_targetILNS1_3genE3ELNS1_11target_archE908ELNS1_3gpuE7ELNS1_3repE0EEENS1_30default_config_static_selectorELNS0_4arch9wavefront6targetE0EEEvT1_,"axG",@progbits,_ZN7rocprim17ROCPRIM_400000_NS6detail17trampoline_kernelINS0_14default_configENS1_20scan_config_selectorIN3c107complexIfEEEEZZNS1_9scan_implILNS1_25lookback_scan_determinismE0ELb0ELb0ES3_PKS7_PS7_S7_ZZZN2at6native31launch_logcumsumexp_cuda_kernelERKNSE_10TensorBaseESI_lENKUlvE_clEvENKUlvE2_clEvEUlS7_S7_E_S7_EEDaPvRmT3_T4_T5_mT6_P12ihipStream_tbENKUlT_T0_E_clISt17integral_constantIbLb1EESY_IbLb0EEEEDaSU_SV_EUlSU_E0_NS1_11comp_targetILNS1_3genE3ELNS1_11target_archE908ELNS1_3gpuE7ELNS1_3repE0EEENS1_30default_config_static_selectorELNS0_4arch9wavefront6targetE0EEEvT1_,comdat
.Lfunc_end322:
	.size	_ZN7rocprim17ROCPRIM_400000_NS6detail17trampoline_kernelINS0_14default_configENS1_20scan_config_selectorIN3c107complexIfEEEEZZNS1_9scan_implILNS1_25lookback_scan_determinismE0ELb0ELb0ES3_PKS7_PS7_S7_ZZZN2at6native31launch_logcumsumexp_cuda_kernelERKNSE_10TensorBaseESI_lENKUlvE_clEvENKUlvE2_clEvEUlS7_S7_E_S7_EEDaPvRmT3_T4_T5_mT6_P12ihipStream_tbENKUlT_T0_E_clISt17integral_constantIbLb1EESY_IbLb0EEEEDaSU_SV_EUlSU_E0_NS1_11comp_targetILNS1_3genE3ELNS1_11target_archE908ELNS1_3gpuE7ELNS1_3repE0EEENS1_30default_config_static_selectorELNS0_4arch9wavefront6targetE0EEEvT1_, .Lfunc_end322-_ZN7rocprim17ROCPRIM_400000_NS6detail17trampoline_kernelINS0_14default_configENS1_20scan_config_selectorIN3c107complexIfEEEEZZNS1_9scan_implILNS1_25lookback_scan_determinismE0ELb0ELb0ES3_PKS7_PS7_S7_ZZZN2at6native31launch_logcumsumexp_cuda_kernelERKNSE_10TensorBaseESI_lENKUlvE_clEvENKUlvE2_clEvEUlS7_S7_E_S7_EEDaPvRmT3_T4_T5_mT6_P12ihipStream_tbENKUlT_T0_E_clISt17integral_constantIbLb1EESY_IbLb0EEEEDaSU_SV_EUlSU_E0_NS1_11comp_targetILNS1_3genE3ELNS1_11target_archE908ELNS1_3gpuE7ELNS1_3repE0EEENS1_30default_config_static_selectorELNS0_4arch9wavefront6targetE0EEEvT1_
                                        ; -- End function
	.set _ZN7rocprim17ROCPRIM_400000_NS6detail17trampoline_kernelINS0_14default_configENS1_20scan_config_selectorIN3c107complexIfEEEEZZNS1_9scan_implILNS1_25lookback_scan_determinismE0ELb0ELb0ES3_PKS7_PS7_S7_ZZZN2at6native31launch_logcumsumexp_cuda_kernelERKNSE_10TensorBaseESI_lENKUlvE_clEvENKUlvE2_clEvEUlS7_S7_E_S7_EEDaPvRmT3_T4_T5_mT6_P12ihipStream_tbENKUlT_T0_E_clISt17integral_constantIbLb1EESY_IbLb0EEEEDaSU_SV_EUlSU_E0_NS1_11comp_targetILNS1_3genE3ELNS1_11target_archE908ELNS1_3gpuE7ELNS1_3repE0EEENS1_30default_config_static_selectorELNS0_4arch9wavefront6targetE0EEEvT1_.num_vgpr, 0
	.set _ZN7rocprim17ROCPRIM_400000_NS6detail17trampoline_kernelINS0_14default_configENS1_20scan_config_selectorIN3c107complexIfEEEEZZNS1_9scan_implILNS1_25lookback_scan_determinismE0ELb0ELb0ES3_PKS7_PS7_S7_ZZZN2at6native31launch_logcumsumexp_cuda_kernelERKNSE_10TensorBaseESI_lENKUlvE_clEvENKUlvE2_clEvEUlS7_S7_E_S7_EEDaPvRmT3_T4_T5_mT6_P12ihipStream_tbENKUlT_T0_E_clISt17integral_constantIbLb1EESY_IbLb0EEEEDaSU_SV_EUlSU_E0_NS1_11comp_targetILNS1_3genE3ELNS1_11target_archE908ELNS1_3gpuE7ELNS1_3repE0EEENS1_30default_config_static_selectorELNS0_4arch9wavefront6targetE0EEEvT1_.num_agpr, 0
	.set _ZN7rocprim17ROCPRIM_400000_NS6detail17trampoline_kernelINS0_14default_configENS1_20scan_config_selectorIN3c107complexIfEEEEZZNS1_9scan_implILNS1_25lookback_scan_determinismE0ELb0ELb0ES3_PKS7_PS7_S7_ZZZN2at6native31launch_logcumsumexp_cuda_kernelERKNSE_10TensorBaseESI_lENKUlvE_clEvENKUlvE2_clEvEUlS7_S7_E_S7_EEDaPvRmT3_T4_T5_mT6_P12ihipStream_tbENKUlT_T0_E_clISt17integral_constantIbLb1EESY_IbLb0EEEEDaSU_SV_EUlSU_E0_NS1_11comp_targetILNS1_3genE3ELNS1_11target_archE908ELNS1_3gpuE7ELNS1_3repE0EEENS1_30default_config_static_selectorELNS0_4arch9wavefront6targetE0EEEvT1_.numbered_sgpr, 0
	.set _ZN7rocprim17ROCPRIM_400000_NS6detail17trampoline_kernelINS0_14default_configENS1_20scan_config_selectorIN3c107complexIfEEEEZZNS1_9scan_implILNS1_25lookback_scan_determinismE0ELb0ELb0ES3_PKS7_PS7_S7_ZZZN2at6native31launch_logcumsumexp_cuda_kernelERKNSE_10TensorBaseESI_lENKUlvE_clEvENKUlvE2_clEvEUlS7_S7_E_S7_EEDaPvRmT3_T4_T5_mT6_P12ihipStream_tbENKUlT_T0_E_clISt17integral_constantIbLb1EESY_IbLb0EEEEDaSU_SV_EUlSU_E0_NS1_11comp_targetILNS1_3genE3ELNS1_11target_archE908ELNS1_3gpuE7ELNS1_3repE0EEENS1_30default_config_static_selectorELNS0_4arch9wavefront6targetE0EEEvT1_.num_named_barrier, 0
	.set _ZN7rocprim17ROCPRIM_400000_NS6detail17trampoline_kernelINS0_14default_configENS1_20scan_config_selectorIN3c107complexIfEEEEZZNS1_9scan_implILNS1_25lookback_scan_determinismE0ELb0ELb0ES3_PKS7_PS7_S7_ZZZN2at6native31launch_logcumsumexp_cuda_kernelERKNSE_10TensorBaseESI_lENKUlvE_clEvENKUlvE2_clEvEUlS7_S7_E_S7_EEDaPvRmT3_T4_T5_mT6_P12ihipStream_tbENKUlT_T0_E_clISt17integral_constantIbLb1EESY_IbLb0EEEEDaSU_SV_EUlSU_E0_NS1_11comp_targetILNS1_3genE3ELNS1_11target_archE908ELNS1_3gpuE7ELNS1_3repE0EEENS1_30default_config_static_selectorELNS0_4arch9wavefront6targetE0EEEvT1_.private_seg_size, 0
	.set _ZN7rocprim17ROCPRIM_400000_NS6detail17trampoline_kernelINS0_14default_configENS1_20scan_config_selectorIN3c107complexIfEEEEZZNS1_9scan_implILNS1_25lookback_scan_determinismE0ELb0ELb0ES3_PKS7_PS7_S7_ZZZN2at6native31launch_logcumsumexp_cuda_kernelERKNSE_10TensorBaseESI_lENKUlvE_clEvENKUlvE2_clEvEUlS7_S7_E_S7_EEDaPvRmT3_T4_T5_mT6_P12ihipStream_tbENKUlT_T0_E_clISt17integral_constantIbLb1EESY_IbLb0EEEEDaSU_SV_EUlSU_E0_NS1_11comp_targetILNS1_3genE3ELNS1_11target_archE908ELNS1_3gpuE7ELNS1_3repE0EEENS1_30default_config_static_selectorELNS0_4arch9wavefront6targetE0EEEvT1_.uses_vcc, 0
	.set _ZN7rocprim17ROCPRIM_400000_NS6detail17trampoline_kernelINS0_14default_configENS1_20scan_config_selectorIN3c107complexIfEEEEZZNS1_9scan_implILNS1_25lookback_scan_determinismE0ELb0ELb0ES3_PKS7_PS7_S7_ZZZN2at6native31launch_logcumsumexp_cuda_kernelERKNSE_10TensorBaseESI_lENKUlvE_clEvENKUlvE2_clEvEUlS7_S7_E_S7_EEDaPvRmT3_T4_T5_mT6_P12ihipStream_tbENKUlT_T0_E_clISt17integral_constantIbLb1EESY_IbLb0EEEEDaSU_SV_EUlSU_E0_NS1_11comp_targetILNS1_3genE3ELNS1_11target_archE908ELNS1_3gpuE7ELNS1_3repE0EEENS1_30default_config_static_selectorELNS0_4arch9wavefront6targetE0EEEvT1_.uses_flat_scratch, 0
	.set _ZN7rocprim17ROCPRIM_400000_NS6detail17trampoline_kernelINS0_14default_configENS1_20scan_config_selectorIN3c107complexIfEEEEZZNS1_9scan_implILNS1_25lookback_scan_determinismE0ELb0ELb0ES3_PKS7_PS7_S7_ZZZN2at6native31launch_logcumsumexp_cuda_kernelERKNSE_10TensorBaseESI_lENKUlvE_clEvENKUlvE2_clEvEUlS7_S7_E_S7_EEDaPvRmT3_T4_T5_mT6_P12ihipStream_tbENKUlT_T0_E_clISt17integral_constantIbLb1EESY_IbLb0EEEEDaSU_SV_EUlSU_E0_NS1_11comp_targetILNS1_3genE3ELNS1_11target_archE908ELNS1_3gpuE7ELNS1_3repE0EEENS1_30default_config_static_selectorELNS0_4arch9wavefront6targetE0EEEvT1_.has_dyn_sized_stack, 0
	.set _ZN7rocprim17ROCPRIM_400000_NS6detail17trampoline_kernelINS0_14default_configENS1_20scan_config_selectorIN3c107complexIfEEEEZZNS1_9scan_implILNS1_25lookback_scan_determinismE0ELb0ELb0ES3_PKS7_PS7_S7_ZZZN2at6native31launch_logcumsumexp_cuda_kernelERKNSE_10TensorBaseESI_lENKUlvE_clEvENKUlvE2_clEvEUlS7_S7_E_S7_EEDaPvRmT3_T4_T5_mT6_P12ihipStream_tbENKUlT_T0_E_clISt17integral_constantIbLb1EESY_IbLb0EEEEDaSU_SV_EUlSU_E0_NS1_11comp_targetILNS1_3genE3ELNS1_11target_archE908ELNS1_3gpuE7ELNS1_3repE0EEENS1_30default_config_static_selectorELNS0_4arch9wavefront6targetE0EEEvT1_.has_recursion, 0
	.set _ZN7rocprim17ROCPRIM_400000_NS6detail17trampoline_kernelINS0_14default_configENS1_20scan_config_selectorIN3c107complexIfEEEEZZNS1_9scan_implILNS1_25lookback_scan_determinismE0ELb0ELb0ES3_PKS7_PS7_S7_ZZZN2at6native31launch_logcumsumexp_cuda_kernelERKNSE_10TensorBaseESI_lENKUlvE_clEvENKUlvE2_clEvEUlS7_S7_E_S7_EEDaPvRmT3_T4_T5_mT6_P12ihipStream_tbENKUlT_T0_E_clISt17integral_constantIbLb1EESY_IbLb0EEEEDaSU_SV_EUlSU_E0_NS1_11comp_targetILNS1_3genE3ELNS1_11target_archE908ELNS1_3gpuE7ELNS1_3repE0EEENS1_30default_config_static_selectorELNS0_4arch9wavefront6targetE0EEEvT1_.has_indirect_call, 0
	.section	.AMDGPU.csdata,"",@progbits
; Kernel info:
; codeLenInByte = 0
; TotalNumSgprs: 0
; NumVgprs: 0
; ScratchSize: 0
; MemoryBound: 0
; FloatMode: 240
; IeeeMode: 1
; LDSByteSize: 0 bytes/workgroup (compile time only)
; SGPRBlocks: 0
; VGPRBlocks: 0
; NumSGPRsForWavesPerEU: 1
; NumVGPRsForWavesPerEU: 1
; Occupancy: 16
; WaveLimiterHint : 0
; COMPUTE_PGM_RSRC2:SCRATCH_EN: 0
; COMPUTE_PGM_RSRC2:USER_SGPR: 2
; COMPUTE_PGM_RSRC2:TRAP_HANDLER: 0
; COMPUTE_PGM_RSRC2:TGID_X_EN: 1
; COMPUTE_PGM_RSRC2:TGID_Y_EN: 0
; COMPUTE_PGM_RSRC2:TGID_Z_EN: 0
; COMPUTE_PGM_RSRC2:TIDIG_COMP_CNT: 0
	.section	.text._ZN7rocprim17ROCPRIM_400000_NS6detail17trampoline_kernelINS0_14default_configENS1_20scan_config_selectorIN3c107complexIfEEEEZZNS1_9scan_implILNS1_25lookback_scan_determinismE0ELb0ELb0ES3_PKS7_PS7_S7_ZZZN2at6native31launch_logcumsumexp_cuda_kernelERKNSE_10TensorBaseESI_lENKUlvE_clEvENKUlvE2_clEvEUlS7_S7_E_S7_EEDaPvRmT3_T4_T5_mT6_P12ihipStream_tbENKUlT_T0_E_clISt17integral_constantIbLb1EESY_IbLb0EEEEDaSU_SV_EUlSU_E0_NS1_11comp_targetILNS1_3genE2ELNS1_11target_archE906ELNS1_3gpuE6ELNS1_3repE0EEENS1_30default_config_static_selectorELNS0_4arch9wavefront6targetE0EEEvT1_,"axG",@progbits,_ZN7rocprim17ROCPRIM_400000_NS6detail17trampoline_kernelINS0_14default_configENS1_20scan_config_selectorIN3c107complexIfEEEEZZNS1_9scan_implILNS1_25lookback_scan_determinismE0ELb0ELb0ES3_PKS7_PS7_S7_ZZZN2at6native31launch_logcumsumexp_cuda_kernelERKNSE_10TensorBaseESI_lENKUlvE_clEvENKUlvE2_clEvEUlS7_S7_E_S7_EEDaPvRmT3_T4_T5_mT6_P12ihipStream_tbENKUlT_T0_E_clISt17integral_constantIbLb1EESY_IbLb0EEEEDaSU_SV_EUlSU_E0_NS1_11comp_targetILNS1_3genE2ELNS1_11target_archE906ELNS1_3gpuE6ELNS1_3repE0EEENS1_30default_config_static_selectorELNS0_4arch9wavefront6targetE0EEEvT1_,comdat
	.globl	_ZN7rocprim17ROCPRIM_400000_NS6detail17trampoline_kernelINS0_14default_configENS1_20scan_config_selectorIN3c107complexIfEEEEZZNS1_9scan_implILNS1_25lookback_scan_determinismE0ELb0ELb0ES3_PKS7_PS7_S7_ZZZN2at6native31launch_logcumsumexp_cuda_kernelERKNSE_10TensorBaseESI_lENKUlvE_clEvENKUlvE2_clEvEUlS7_S7_E_S7_EEDaPvRmT3_T4_T5_mT6_P12ihipStream_tbENKUlT_T0_E_clISt17integral_constantIbLb1EESY_IbLb0EEEEDaSU_SV_EUlSU_E0_NS1_11comp_targetILNS1_3genE2ELNS1_11target_archE906ELNS1_3gpuE6ELNS1_3repE0EEENS1_30default_config_static_selectorELNS0_4arch9wavefront6targetE0EEEvT1_ ; -- Begin function _ZN7rocprim17ROCPRIM_400000_NS6detail17trampoline_kernelINS0_14default_configENS1_20scan_config_selectorIN3c107complexIfEEEEZZNS1_9scan_implILNS1_25lookback_scan_determinismE0ELb0ELb0ES3_PKS7_PS7_S7_ZZZN2at6native31launch_logcumsumexp_cuda_kernelERKNSE_10TensorBaseESI_lENKUlvE_clEvENKUlvE2_clEvEUlS7_S7_E_S7_EEDaPvRmT3_T4_T5_mT6_P12ihipStream_tbENKUlT_T0_E_clISt17integral_constantIbLb1EESY_IbLb0EEEEDaSU_SV_EUlSU_E0_NS1_11comp_targetILNS1_3genE2ELNS1_11target_archE906ELNS1_3gpuE6ELNS1_3repE0EEENS1_30default_config_static_selectorELNS0_4arch9wavefront6targetE0EEEvT1_
	.p2align	8
	.type	_ZN7rocprim17ROCPRIM_400000_NS6detail17trampoline_kernelINS0_14default_configENS1_20scan_config_selectorIN3c107complexIfEEEEZZNS1_9scan_implILNS1_25lookback_scan_determinismE0ELb0ELb0ES3_PKS7_PS7_S7_ZZZN2at6native31launch_logcumsumexp_cuda_kernelERKNSE_10TensorBaseESI_lENKUlvE_clEvENKUlvE2_clEvEUlS7_S7_E_S7_EEDaPvRmT3_T4_T5_mT6_P12ihipStream_tbENKUlT_T0_E_clISt17integral_constantIbLb1EESY_IbLb0EEEEDaSU_SV_EUlSU_E0_NS1_11comp_targetILNS1_3genE2ELNS1_11target_archE906ELNS1_3gpuE6ELNS1_3repE0EEENS1_30default_config_static_selectorELNS0_4arch9wavefront6targetE0EEEvT1_,@function
_ZN7rocprim17ROCPRIM_400000_NS6detail17trampoline_kernelINS0_14default_configENS1_20scan_config_selectorIN3c107complexIfEEEEZZNS1_9scan_implILNS1_25lookback_scan_determinismE0ELb0ELb0ES3_PKS7_PS7_S7_ZZZN2at6native31launch_logcumsumexp_cuda_kernelERKNSE_10TensorBaseESI_lENKUlvE_clEvENKUlvE2_clEvEUlS7_S7_E_S7_EEDaPvRmT3_T4_T5_mT6_P12ihipStream_tbENKUlT_T0_E_clISt17integral_constantIbLb1EESY_IbLb0EEEEDaSU_SV_EUlSU_E0_NS1_11comp_targetILNS1_3genE2ELNS1_11target_archE906ELNS1_3gpuE6ELNS1_3repE0EEENS1_30default_config_static_selectorELNS0_4arch9wavefront6targetE0EEEvT1_: ; @_ZN7rocprim17ROCPRIM_400000_NS6detail17trampoline_kernelINS0_14default_configENS1_20scan_config_selectorIN3c107complexIfEEEEZZNS1_9scan_implILNS1_25lookback_scan_determinismE0ELb0ELb0ES3_PKS7_PS7_S7_ZZZN2at6native31launch_logcumsumexp_cuda_kernelERKNSE_10TensorBaseESI_lENKUlvE_clEvENKUlvE2_clEvEUlS7_S7_E_S7_EEDaPvRmT3_T4_T5_mT6_P12ihipStream_tbENKUlT_T0_E_clISt17integral_constantIbLb1EESY_IbLb0EEEEDaSU_SV_EUlSU_E0_NS1_11comp_targetILNS1_3genE2ELNS1_11target_archE906ELNS1_3gpuE6ELNS1_3repE0EEENS1_30default_config_static_selectorELNS0_4arch9wavefront6targetE0EEEvT1_
; %bb.0:
	.section	.rodata,"a",@progbits
	.p2align	6, 0x0
	.amdhsa_kernel _ZN7rocprim17ROCPRIM_400000_NS6detail17trampoline_kernelINS0_14default_configENS1_20scan_config_selectorIN3c107complexIfEEEEZZNS1_9scan_implILNS1_25lookback_scan_determinismE0ELb0ELb0ES3_PKS7_PS7_S7_ZZZN2at6native31launch_logcumsumexp_cuda_kernelERKNSE_10TensorBaseESI_lENKUlvE_clEvENKUlvE2_clEvEUlS7_S7_E_S7_EEDaPvRmT3_T4_T5_mT6_P12ihipStream_tbENKUlT_T0_E_clISt17integral_constantIbLb1EESY_IbLb0EEEEDaSU_SV_EUlSU_E0_NS1_11comp_targetILNS1_3genE2ELNS1_11target_archE906ELNS1_3gpuE6ELNS1_3repE0EEENS1_30default_config_static_selectorELNS0_4arch9wavefront6targetE0EEEvT1_
		.amdhsa_group_segment_fixed_size 0
		.amdhsa_private_segment_fixed_size 0
		.amdhsa_kernarg_size 40
		.amdhsa_user_sgpr_count 2
		.amdhsa_user_sgpr_dispatch_ptr 0
		.amdhsa_user_sgpr_queue_ptr 0
		.amdhsa_user_sgpr_kernarg_segment_ptr 1
		.amdhsa_user_sgpr_dispatch_id 0
		.amdhsa_user_sgpr_private_segment_size 0
		.amdhsa_wavefront_size32 1
		.amdhsa_uses_dynamic_stack 0
		.amdhsa_enable_private_segment 0
		.amdhsa_system_sgpr_workgroup_id_x 1
		.amdhsa_system_sgpr_workgroup_id_y 0
		.amdhsa_system_sgpr_workgroup_id_z 0
		.amdhsa_system_sgpr_workgroup_info 0
		.amdhsa_system_vgpr_workitem_id 0
		.amdhsa_next_free_vgpr 1
		.amdhsa_next_free_sgpr 1
		.amdhsa_reserve_vcc 0
		.amdhsa_float_round_mode_32 0
		.amdhsa_float_round_mode_16_64 0
		.amdhsa_float_denorm_mode_32 3
		.amdhsa_float_denorm_mode_16_64 3
		.amdhsa_fp16_overflow 0
		.amdhsa_workgroup_processor_mode 1
		.amdhsa_memory_ordered 1
		.amdhsa_forward_progress 1
		.amdhsa_inst_pref_size 0
		.amdhsa_round_robin_scheduling 0
		.amdhsa_exception_fp_ieee_invalid_op 0
		.amdhsa_exception_fp_denorm_src 0
		.amdhsa_exception_fp_ieee_div_zero 0
		.amdhsa_exception_fp_ieee_overflow 0
		.amdhsa_exception_fp_ieee_underflow 0
		.amdhsa_exception_fp_ieee_inexact 0
		.amdhsa_exception_int_div_zero 0
	.end_amdhsa_kernel
	.section	.text._ZN7rocprim17ROCPRIM_400000_NS6detail17trampoline_kernelINS0_14default_configENS1_20scan_config_selectorIN3c107complexIfEEEEZZNS1_9scan_implILNS1_25lookback_scan_determinismE0ELb0ELb0ES3_PKS7_PS7_S7_ZZZN2at6native31launch_logcumsumexp_cuda_kernelERKNSE_10TensorBaseESI_lENKUlvE_clEvENKUlvE2_clEvEUlS7_S7_E_S7_EEDaPvRmT3_T4_T5_mT6_P12ihipStream_tbENKUlT_T0_E_clISt17integral_constantIbLb1EESY_IbLb0EEEEDaSU_SV_EUlSU_E0_NS1_11comp_targetILNS1_3genE2ELNS1_11target_archE906ELNS1_3gpuE6ELNS1_3repE0EEENS1_30default_config_static_selectorELNS0_4arch9wavefront6targetE0EEEvT1_,"axG",@progbits,_ZN7rocprim17ROCPRIM_400000_NS6detail17trampoline_kernelINS0_14default_configENS1_20scan_config_selectorIN3c107complexIfEEEEZZNS1_9scan_implILNS1_25lookback_scan_determinismE0ELb0ELb0ES3_PKS7_PS7_S7_ZZZN2at6native31launch_logcumsumexp_cuda_kernelERKNSE_10TensorBaseESI_lENKUlvE_clEvENKUlvE2_clEvEUlS7_S7_E_S7_EEDaPvRmT3_T4_T5_mT6_P12ihipStream_tbENKUlT_T0_E_clISt17integral_constantIbLb1EESY_IbLb0EEEEDaSU_SV_EUlSU_E0_NS1_11comp_targetILNS1_3genE2ELNS1_11target_archE906ELNS1_3gpuE6ELNS1_3repE0EEENS1_30default_config_static_selectorELNS0_4arch9wavefront6targetE0EEEvT1_,comdat
.Lfunc_end323:
	.size	_ZN7rocprim17ROCPRIM_400000_NS6detail17trampoline_kernelINS0_14default_configENS1_20scan_config_selectorIN3c107complexIfEEEEZZNS1_9scan_implILNS1_25lookback_scan_determinismE0ELb0ELb0ES3_PKS7_PS7_S7_ZZZN2at6native31launch_logcumsumexp_cuda_kernelERKNSE_10TensorBaseESI_lENKUlvE_clEvENKUlvE2_clEvEUlS7_S7_E_S7_EEDaPvRmT3_T4_T5_mT6_P12ihipStream_tbENKUlT_T0_E_clISt17integral_constantIbLb1EESY_IbLb0EEEEDaSU_SV_EUlSU_E0_NS1_11comp_targetILNS1_3genE2ELNS1_11target_archE906ELNS1_3gpuE6ELNS1_3repE0EEENS1_30default_config_static_selectorELNS0_4arch9wavefront6targetE0EEEvT1_, .Lfunc_end323-_ZN7rocprim17ROCPRIM_400000_NS6detail17trampoline_kernelINS0_14default_configENS1_20scan_config_selectorIN3c107complexIfEEEEZZNS1_9scan_implILNS1_25lookback_scan_determinismE0ELb0ELb0ES3_PKS7_PS7_S7_ZZZN2at6native31launch_logcumsumexp_cuda_kernelERKNSE_10TensorBaseESI_lENKUlvE_clEvENKUlvE2_clEvEUlS7_S7_E_S7_EEDaPvRmT3_T4_T5_mT6_P12ihipStream_tbENKUlT_T0_E_clISt17integral_constantIbLb1EESY_IbLb0EEEEDaSU_SV_EUlSU_E0_NS1_11comp_targetILNS1_3genE2ELNS1_11target_archE906ELNS1_3gpuE6ELNS1_3repE0EEENS1_30default_config_static_selectorELNS0_4arch9wavefront6targetE0EEEvT1_
                                        ; -- End function
	.set _ZN7rocprim17ROCPRIM_400000_NS6detail17trampoline_kernelINS0_14default_configENS1_20scan_config_selectorIN3c107complexIfEEEEZZNS1_9scan_implILNS1_25lookback_scan_determinismE0ELb0ELb0ES3_PKS7_PS7_S7_ZZZN2at6native31launch_logcumsumexp_cuda_kernelERKNSE_10TensorBaseESI_lENKUlvE_clEvENKUlvE2_clEvEUlS7_S7_E_S7_EEDaPvRmT3_T4_T5_mT6_P12ihipStream_tbENKUlT_T0_E_clISt17integral_constantIbLb1EESY_IbLb0EEEEDaSU_SV_EUlSU_E0_NS1_11comp_targetILNS1_3genE2ELNS1_11target_archE906ELNS1_3gpuE6ELNS1_3repE0EEENS1_30default_config_static_selectorELNS0_4arch9wavefront6targetE0EEEvT1_.num_vgpr, 0
	.set _ZN7rocprim17ROCPRIM_400000_NS6detail17trampoline_kernelINS0_14default_configENS1_20scan_config_selectorIN3c107complexIfEEEEZZNS1_9scan_implILNS1_25lookback_scan_determinismE0ELb0ELb0ES3_PKS7_PS7_S7_ZZZN2at6native31launch_logcumsumexp_cuda_kernelERKNSE_10TensorBaseESI_lENKUlvE_clEvENKUlvE2_clEvEUlS7_S7_E_S7_EEDaPvRmT3_T4_T5_mT6_P12ihipStream_tbENKUlT_T0_E_clISt17integral_constantIbLb1EESY_IbLb0EEEEDaSU_SV_EUlSU_E0_NS1_11comp_targetILNS1_3genE2ELNS1_11target_archE906ELNS1_3gpuE6ELNS1_3repE0EEENS1_30default_config_static_selectorELNS0_4arch9wavefront6targetE0EEEvT1_.num_agpr, 0
	.set _ZN7rocprim17ROCPRIM_400000_NS6detail17trampoline_kernelINS0_14default_configENS1_20scan_config_selectorIN3c107complexIfEEEEZZNS1_9scan_implILNS1_25lookback_scan_determinismE0ELb0ELb0ES3_PKS7_PS7_S7_ZZZN2at6native31launch_logcumsumexp_cuda_kernelERKNSE_10TensorBaseESI_lENKUlvE_clEvENKUlvE2_clEvEUlS7_S7_E_S7_EEDaPvRmT3_T4_T5_mT6_P12ihipStream_tbENKUlT_T0_E_clISt17integral_constantIbLb1EESY_IbLb0EEEEDaSU_SV_EUlSU_E0_NS1_11comp_targetILNS1_3genE2ELNS1_11target_archE906ELNS1_3gpuE6ELNS1_3repE0EEENS1_30default_config_static_selectorELNS0_4arch9wavefront6targetE0EEEvT1_.numbered_sgpr, 0
	.set _ZN7rocprim17ROCPRIM_400000_NS6detail17trampoline_kernelINS0_14default_configENS1_20scan_config_selectorIN3c107complexIfEEEEZZNS1_9scan_implILNS1_25lookback_scan_determinismE0ELb0ELb0ES3_PKS7_PS7_S7_ZZZN2at6native31launch_logcumsumexp_cuda_kernelERKNSE_10TensorBaseESI_lENKUlvE_clEvENKUlvE2_clEvEUlS7_S7_E_S7_EEDaPvRmT3_T4_T5_mT6_P12ihipStream_tbENKUlT_T0_E_clISt17integral_constantIbLb1EESY_IbLb0EEEEDaSU_SV_EUlSU_E0_NS1_11comp_targetILNS1_3genE2ELNS1_11target_archE906ELNS1_3gpuE6ELNS1_3repE0EEENS1_30default_config_static_selectorELNS0_4arch9wavefront6targetE0EEEvT1_.num_named_barrier, 0
	.set _ZN7rocprim17ROCPRIM_400000_NS6detail17trampoline_kernelINS0_14default_configENS1_20scan_config_selectorIN3c107complexIfEEEEZZNS1_9scan_implILNS1_25lookback_scan_determinismE0ELb0ELb0ES3_PKS7_PS7_S7_ZZZN2at6native31launch_logcumsumexp_cuda_kernelERKNSE_10TensorBaseESI_lENKUlvE_clEvENKUlvE2_clEvEUlS7_S7_E_S7_EEDaPvRmT3_T4_T5_mT6_P12ihipStream_tbENKUlT_T0_E_clISt17integral_constantIbLb1EESY_IbLb0EEEEDaSU_SV_EUlSU_E0_NS1_11comp_targetILNS1_3genE2ELNS1_11target_archE906ELNS1_3gpuE6ELNS1_3repE0EEENS1_30default_config_static_selectorELNS0_4arch9wavefront6targetE0EEEvT1_.private_seg_size, 0
	.set _ZN7rocprim17ROCPRIM_400000_NS6detail17trampoline_kernelINS0_14default_configENS1_20scan_config_selectorIN3c107complexIfEEEEZZNS1_9scan_implILNS1_25lookback_scan_determinismE0ELb0ELb0ES3_PKS7_PS7_S7_ZZZN2at6native31launch_logcumsumexp_cuda_kernelERKNSE_10TensorBaseESI_lENKUlvE_clEvENKUlvE2_clEvEUlS7_S7_E_S7_EEDaPvRmT3_T4_T5_mT6_P12ihipStream_tbENKUlT_T0_E_clISt17integral_constantIbLb1EESY_IbLb0EEEEDaSU_SV_EUlSU_E0_NS1_11comp_targetILNS1_3genE2ELNS1_11target_archE906ELNS1_3gpuE6ELNS1_3repE0EEENS1_30default_config_static_selectorELNS0_4arch9wavefront6targetE0EEEvT1_.uses_vcc, 0
	.set _ZN7rocprim17ROCPRIM_400000_NS6detail17trampoline_kernelINS0_14default_configENS1_20scan_config_selectorIN3c107complexIfEEEEZZNS1_9scan_implILNS1_25lookback_scan_determinismE0ELb0ELb0ES3_PKS7_PS7_S7_ZZZN2at6native31launch_logcumsumexp_cuda_kernelERKNSE_10TensorBaseESI_lENKUlvE_clEvENKUlvE2_clEvEUlS7_S7_E_S7_EEDaPvRmT3_T4_T5_mT6_P12ihipStream_tbENKUlT_T0_E_clISt17integral_constantIbLb1EESY_IbLb0EEEEDaSU_SV_EUlSU_E0_NS1_11comp_targetILNS1_3genE2ELNS1_11target_archE906ELNS1_3gpuE6ELNS1_3repE0EEENS1_30default_config_static_selectorELNS0_4arch9wavefront6targetE0EEEvT1_.uses_flat_scratch, 0
	.set _ZN7rocprim17ROCPRIM_400000_NS6detail17trampoline_kernelINS0_14default_configENS1_20scan_config_selectorIN3c107complexIfEEEEZZNS1_9scan_implILNS1_25lookback_scan_determinismE0ELb0ELb0ES3_PKS7_PS7_S7_ZZZN2at6native31launch_logcumsumexp_cuda_kernelERKNSE_10TensorBaseESI_lENKUlvE_clEvENKUlvE2_clEvEUlS7_S7_E_S7_EEDaPvRmT3_T4_T5_mT6_P12ihipStream_tbENKUlT_T0_E_clISt17integral_constantIbLb1EESY_IbLb0EEEEDaSU_SV_EUlSU_E0_NS1_11comp_targetILNS1_3genE2ELNS1_11target_archE906ELNS1_3gpuE6ELNS1_3repE0EEENS1_30default_config_static_selectorELNS0_4arch9wavefront6targetE0EEEvT1_.has_dyn_sized_stack, 0
	.set _ZN7rocprim17ROCPRIM_400000_NS6detail17trampoline_kernelINS0_14default_configENS1_20scan_config_selectorIN3c107complexIfEEEEZZNS1_9scan_implILNS1_25lookback_scan_determinismE0ELb0ELb0ES3_PKS7_PS7_S7_ZZZN2at6native31launch_logcumsumexp_cuda_kernelERKNSE_10TensorBaseESI_lENKUlvE_clEvENKUlvE2_clEvEUlS7_S7_E_S7_EEDaPvRmT3_T4_T5_mT6_P12ihipStream_tbENKUlT_T0_E_clISt17integral_constantIbLb1EESY_IbLb0EEEEDaSU_SV_EUlSU_E0_NS1_11comp_targetILNS1_3genE2ELNS1_11target_archE906ELNS1_3gpuE6ELNS1_3repE0EEENS1_30default_config_static_selectorELNS0_4arch9wavefront6targetE0EEEvT1_.has_recursion, 0
	.set _ZN7rocprim17ROCPRIM_400000_NS6detail17trampoline_kernelINS0_14default_configENS1_20scan_config_selectorIN3c107complexIfEEEEZZNS1_9scan_implILNS1_25lookback_scan_determinismE0ELb0ELb0ES3_PKS7_PS7_S7_ZZZN2at6native31launch_logcumsumexp_cuda_kernelERKNSE_10TensorBaseESI_lENKUlvE_clEvENKUlvE2_clEvEUlS7_S7_E_S7_EEDaPvRmT3_T4_T5_mT6_P12ihipStream_tbENKUlT_T0_E_clISt17integral_constantIbLb1EESY_IbLb0EEEEDaSU_SV_EUlSU_E0_NS1_11comp_targetILNS1_3genE2ELNS1_11target_archE906ELNS1_3gpuE6ELNS1_3repE0EEENS1_30default_config_static_selectorELNS0_4arch9wavefront6targetE0EEEvT1_.has_indirect_call, 0
	.section	.AMDGPU.csdata,"",@progbits
; Kernel info:
; codeLenInByte = 0
; TotalNumSgprs: 0
; NumVgprs: 0
; ScratchSize: 0
; MemoryBound: 0
; FloatMode: 240
; IeeeMode: 1
; LDSByteSize: 0 bytes/workgroup (compile time only)
; SGPRBlocks: 0
; VGPRBlocks: 0
; NumSGPRsForWavesPerEU: 1
; NumVGPRsForWavesPerEU: 1
; Occupancy: 16
; WaveLimiterHint : 0
; COMPUTE_PGM_RSRC2:SCRATCH_EN: 0
; COMPUTE_PGM_RSRC2:USER_SGPR: 2
; COMPUTE_PGM_RSRC2:TRAP_HANDLER: 0
; COMPUTE_PGM_RSRC2:TGID_X_EN: 1
; COMPUTE_PGM_RSRC2:TGID_Y_EN: 0
; COMPUTE_PGM_RSRC2:TGID_Z_EN: 0
; COMPUTE_PGM_RSRC2:TIDIG_COMP_CNT: 0
	.section	.text._ZN7rocprim17ROCPRIM_400000_NS6detail17trampoline_kernelINS0_14default_configENS1_20scan_config_selectorIN3c107complexIfEEEEZZNS1_9scan_implILNS1_25lookback_scan_determinismE0ELb0ELb0ES3_PKS7_PS7_S7_ZZZN2at6native31launch_logcumsumexp_cuda_kernelERKNSE_10TensorBaseESI_lENKUlvE_clEvENKUlvE2_clEvEUlS7_S7_E_S7_EEDaPvRmT3_T4_T5_mT6_P12ihipStream_tbENKUlT_T0_E_clISt17integral_constantIbLb1EESY_IbLb0EEEEDaSU_SV_EUlSU_E0_NS1_11comp_targetILNS1_3genE10ELNS1_11target_archE1201ELNS1_3gpuE5ELNS1_3repE0EEENS1_30default_config_static_selectorELNS0_4arch9wavefront6targetE0EEEvT1_,"axG",@progbits,_ZN7rocprim17ROCPRIM_400000_NS6detail17trampoline_kernelINS0_14default_configENS1_20scan_config_selectorIN3c107complexIfEEEEZZNS1_9scan_implILNS1_25lookback_scan_determinismE0ELb0ELb0ES3_PKS7_PS7_S7_ZZZN2at6native31launch_logcumsumexp_cuda_kernelERKNSE_10TensorBaseESI_lENKUlvE_clEvENKUlvE2_clEvEUlS7_S7_E_S7_EEDaPvRmT3_T4_T5_mT6_P12ihipStream_tbENKUlT_T0_E_clISt17integral_constantIbLb1EESY_IbLb0EEEEDaSU_SV_EUlSU_E0_NS1_11comp_targetILNS1_3genE10ELNS1_11target_archE1201ELNS1_3gpuE5ELNS1_3repE0EEENS1_30default_config_static_selectorELNS0_4arch9wavefront6targetE0EEEvT1_,comdat
	.globl	_ZN7rocprim17ROCPRIM_400000_NS6detail17trampoline_kernelINS0_14default_configENS1_20scan_config_selectorIN3c107complexIfEEEEZZNS1_9scan_implILNS1_25lookback_scan_determinismE0ELb0ELb0ES3_PKS7_PS7_S7_ZZZN2at6native31launch_logcumsumexp_cuda_kernelERKNSE_10TensorBaseESI_lENKUlvE_clEvENKUlvE2_clEvEUlS7_S7_E_S7_EEDaPvRmT3_T4_T5_mT6_P12ihipStream_tbENKUlT_T0_E_clISt17integral_constantIbLb1EESY_IbLb0EEEEDaSU_SV_EUlSU_E0_NS1_11comp_targetILNS1_3genE10ELNS1_11target_archE1201ELNS1_3gpuE5ELNS1_3repE0EEENS1_30default_config_static_selectorELNS0_4arch9wavefront6targetE0EEEvT1_ ; -- Begin function _ZN7rocprim17ROCPRIM_400000_NS6detail17trampoline_kernelINS0_14default_configENS1_20scan_config_selectorIN3c107complexIfEEEEZZNS1_9scan_implILNS1_25lookback_scan_determinismE0ELb0ELb0ES3_PKS7_PS7_S7_ZZZN2at6native31launch_logcumsumexp_cuda_kernelERKNSE_10TensorBaseESI_lENKUlvE_clEvENKUlvE2_clEvEUlS7_S7_E_S7_EEDaPvRmT3_T4_T5_mT6_P12ihipStream_tbENKUlT_T0_E_clISt17integral_constantIbLb1EESY_IbLb0EEEEDaSU_SV_EUlSU_E0_NS1_11comp_targetILNS1_3genE10ELNS1_11target_archE1201ELNS1_3gpuE5ELNS1_3repE0EEENS1_30default_config_static_selectorELNS0_4arch9wavefront6targetE0EEEvT1_
	.p2align	8
	.type	_ZN7rocprim17ROCPRIM_400000_NS6detail17trampoline_kernelINS0_14default_configENS1_20scan_config_selectorIN3c107complexIfEEEEZZNS1_9scan_implILNS1_25lookback_scan_determinismE0ELb0ELb0ES3_PKS7_PS7_S7_ZZZN2at6native31launch_logcumsumexp_cuda_kernelERKNSE_10TensorBaseESI_lENKUlvE_clEvENKUlvE2_clEvEUlS7_S7_E_S7_EEDaPvRmT3_T4_T5_mT6_P12ihipStream_tbENKUlT_T0_E_clISt17integral_constantIbLb1EESY_IbLb0EEEEDaSU_SV_EUlSU_E0_NS1_11comp_targetILNS1_3genE10ELNS1_11target_archE1201ELNS1_3gpuE5ELNS1_3repE0EEENS1_30default_config_static_selectorELNS0_4arch9wavefront6targetE0EEEvT1_,@function
_ZN7rocprim17ROCPRIM_400000_NS6detail17trampoline_kernelINS0_14default_configENS1_20scan_config_selectorIN3c107complexIfEEEEZZNS1_9scan_implILNS1_25lookback_scan_determinismE0ELb0ELb0ES3_PKS7_PS7_S7_ZZZN2at6native31launch_logcumsumexp_cuda_kernelERKNSE_10TensorBaseESI_lENKUlvE_clEvENKUlvE2_clEvEUlS7_S7_E_S7_EEDaPvRmT3_T4_T5_mT6_P12ihipStream_tbENKUlT_T0_E_clISt17integral_constantIbLb1EESY_IbLb0EEEEDaSU_SV_EUlSU_E0_NS1_11comp_targetILNS1_3genE10ELNS1_11target_archE1201ELNS1_3gpuE5ELNS1_3repE0EEENS1_30default_config_static_selectorELNS0_4arch9wavefront6targetE0EEEvT1_: ; @_ZN7rocprim17ROCPRIM_400000_NS6detail17trampoline_kernelINS0_14default_configENS1_20scan_config_selectorIN3c107complexIfEEEEZZNS1_9scan_implILNS1_25lookback_scan_determinismE0ELb0ELb0ES3_PKS7_PS7_S7_ZZZN2at6native31launch_logcumsumexp_cuda_kernelERKNSE_10TensorBaseESI_lENKUlvE_clEvENKUlvE2_clEvEUlS7_S7_E_S7_EEDaPvRmT3_T4_T5_mT6_P12ihipStream_tbENKUlT_T0_E_clISt17integral_constantIbLb1EESY_IbLb0EEEEDaSU_SV_EUlSU_E0_NS1_11comp_targetILNS1_3genE10ELNS1_11target_archE1201ELNS1_3gpuE5ELNS1_3repE0EEENS1_30default_config_static_selectorELNS0_4arch9wavefront6targetE0EEEvT1_
; %bb.0:
	s_load_b128 s[4:7], s[0:1], 0x0
	s_mov_b32 s32, 0
	s_wait_kmcnt 0x0
	s_load_b64 s[2:3], s[4:5], 0x0
	s_wait_kmcnt 0x0
	v_dual_mov_b32 v84, v0 :: v_dual_mov_b32 v1, s3
	s_delay_alu instid0(VALU_DEP_1)
	v_cmp_gt_u32_e64 s7, s6, v84
	v_dual_mov_b32 v0, s2 :: v_dual_lshlrev_b32 v91, 3, v84
	s_and_saveexec_b32 s8, s7
	s_cbranch_execz .LBB324_2
; %bb.1:
	global_load_b64 v[0:1], v91, s[4:5]
.LBB324_2:
	s_or_b32 exec_lo, exec_lo, s8
	v_or_b32_e32 v32, 0x100, v84
	v_dual_mov_b32 v3, s3 :: v_dual_mov_b32 v2, s2
	s_delay_alu instid0(VALU_DEP_2)
	v_cmp_gt_u32_e64 s8, s6, v32
	s_and_saveexec_b32 s9, s8
	s_cbranch_execz .LBB324_4
; %bb.3:
	global_load_b64 v[2:3], v91, s[4:5] offset:2048
.LBB324_4:
	s_or_b32 exec_lo, exec_lo, s9
	v_or_b32_e32 v33, 0x200, v84
	v_dual_mov_b32 v5, s3 :: v_dual_mov_b32 v4, s2
	s_delay_alu instid0(VALU_DEP_2)
	v_cmp_gt_u32_e64 s9, s6, v33
	s_and_saveexec_b32 s10, s9
	s_cbranch_execz .LBB324_6
; %bb.5:
	global_load_b64 v[4:5], v91, s[4:5] offset:4096
.LBB324_6:
	;; [unrolled: 10-line block ×15, first 2 shown]
	s_wait_alu 0xfffe
	s_or_b32 exec_lo, exec_lo, s2
	v_lshrrev_b32_e32 v47, 2, v84
	v_lshrrev_b32_e32 v33, 2, v33
	;; [unrolled: 1-line block ×5, first 2 shown]
	v_and_b32_e32 v47, 56, v47
	v_and_b32_e32 v33, 0xf8, v33
	;; [unrolled: 1-line block ×4, first 2 shown]
	s_load_b64 s[24:25], s[0:1], 0x20
	v_add_nc_u32_e32 v92, v47, v91
	v_add_nc_u32_e32 v94, v33, v91
	v_and_b32_e32 v33, 0x1f8, v35
	v_lshrrev_b32_e32 v35, 2, v38
	v_add_nc_u32_e32 v93, v32, v91
	v_add_nc_u32_e32 v95, v34, v91
	s_wait_loadcnt 0x0
	ds_store_b64 v92, v[0:1]
	ds_store_b64 v93, v[2:3] offset:2048
	ds_store_b64 v94, v[4:5] offset:4096
	;; [unrolled: 1-line block ×3, first 2 shown]
	v_and_b32_e32 v0, 0x1f8, v35
	v_lshrrev_b32_e32 v1, 2, v39
	v_lshrrev_b32_e32 v2, 2, v40
	;; [unrolled: 1-line block ×4, first 2 shown]
	v_add_nc_u32_e32 v99, v0, v91
	v_and_b32_e32 v0, 0x3f8, v1
	v_and_b32_e32 v1, 0x3f8, v2
	;; [unrolled: 1-line block ×4, first 2 shown]
	v_lshlrev_b32_e32 v4, 2, v84
	v_add_nc_u32_e32 v100, v0, v91
	v_add_nc_u32_e32 v101, v1, v91
	v_lshrrev_b32_e32 v0, 2, v43
	v_lshrrev_b32_e32 v1, 2, v44
	;; [unrolled: 1-line block ×4, first 2 shown]
	v_add_nc_u32_e32 v102, v2, v91
	v_and_b32_e32 v0, 0x3f8, v0
	v_and_b32_e32 v1, 0x3f8, v1
	v_lshrrev_b32_e32 v2, 2, v45
	v_add_nc_u32_e32 v103, v3, v91
	v_lshrrev_b32_e32 v3, 2, v46
	v_add_nc_u32_e32 v104, v0, v91
	v_add_nc_u32_e32 v105, v1, v91
	v_and_b32_e32 v0, 0x3f8, v4
	v_lshlrev_b32_e32 v1, 7, v84
	v_and_b32_e32 v32, 0x1f8, v32
	v_and_b32_e32 v34, 0x1f8, v36
	;; [unrolled: 1-line block ×4, first 2 shown]
	v_add_nc_u32_e32 v96, v33, v91
	v_add_nc_u32_e32 v108, v0, v1
	;; [unrolled: 1-line block ×6, first 2 shown]
	ds_store_b64 v96, v[6:7] offset:8192
	ds_store_b64 v97, v[10:11] offset:10240
	;; [unrolled: 1-line block ×12, first 2 shown]
	s_wait_dscnt 0x0
	s_barrier_signal -1
	s_barrier_wait -1
	global_inv scope:SCOPE_SE
	ds_load_2addr_b64 v[22:25], v108 offset1:1
	ds_load_2addr_b64 v[50:53], v108 offset0:2 offset1:3
	ds_load_2addr_b64 v[46:49], v108 offset0:4 offset1:5
	;; [unrolled: 1-line block ×7, first 2 shown]
	s_getpc_b64 s[26:27]
	s_sext_i32_i16 s27, s27
	s_add_co_u32 s26, s26, _ZZZZN2at6native31launch_logcumsumexp_cuda_kernelERKNS_10TensorBaseES3_lENKUlvE_clEvENKUlvE2_clEvENKUlN3c107complexIfEES8_E_clES8_S8_@rel32@lo+8
	s_add_co_ci_u32 s27, s27, _ZZZZN2at6native31launch_logcumsumexp_cuda_kernelERKNS_10TensorBaseES3_lENKUlvE_clEvENKUlvE2_clEvENKUlN3c107complexIfEES8_E_clES8_S8_@rel32@hi+16
	s_wait_loadcnt_dscnt 0x0
	s_barrier_signal -1
	s_barrier_wait -1
	global_inv scope:SCOPE_SE
	v_dual_mov_b32 v0, v22 :: v_dual_mov_b32 v1, v23
	v_dual_mov_b32 v2, v24 :: v_dual_mov_b32 v3, v25
	s_swappc_b64 s[30:31], s[26:27]
	v_dual_mov_b32 v2, v50 :: v_dual_mov_b32 v3, v51
	s_delay_alu instid0(VALU_DEP_3)
	v_dual_mov_b32 v85, v0 :: v_dual_mov_b32 v86, v1
	s_wait_alu 0xfffe
	s_swappc_b64 s[30:31], s[26:27]
	v_dual_mov_b32 v2, v52 :: v_dual_mov_b32 v3, v53
	v_dual_mov_b32 v54, v0 :: v_dual_mov_b32 v55, v1
	s_wait_alu 0xfffe
	s_swappc_b64 s[30:31], s[26:27]
	v_dual_mov_b32 v2, v46 :: v_dual_mov_b32 v3, v47
	;; [unrolled: 4-line block ×14, first 2 shown]
	s_mov_b32 s23, exec_lo
	ds_store_b64 v92, v[80:81]
	s_wait_storecnt_dscnt 0x0
	s_barrier_signal -1
	s_barrier_wait -1
	global_inv scope:SCOPE_SE
	v_cmpx_gt_u32_e32 32, v84
	s_cbranch_execz .LBB324_44
; %bb.33:
	v_lshlrev_b32_e32 v0, 1, v84
	v_lshlrev_b32_e32 v1, 6, v84
	s_delay_alu instid0(VALU_DEP_2) | instskip(NEXT) | instid1(VALU_DEP_1)
	v_and_b32_e32 v0, 0x1f8, v0
	v_add_nc_u32_e32 v109, v0, v1
	ds_load_b64 v[82:83], v109
	ds_load_2addr_b64 v[87:90], v109 offset0:1 offset1:2
	s_wait_dscnt 0x1
	v_dual_mov_b32 v0, v82 :: v_dual_mov_b32 v1, v83
	s_wait_dscnt 0x0
	v_dual_mov_b32 v2, v87 :: v_dual_mov_b32 v3, v88
	s_wait_alu 0xfffe
	s_swappc_b64 s[30:31], s[26:27]
	v_dual_mov_b32 v2, v89 :: v_dual_mov_b32 v3, v90
	s_wait_alu 0xfffe
	s_swappc_b64 s[30:31], s[26:27]
	ds_load_2addr_b64 v[87:90], v109 offset0:3 offset1:4
	s_wait_dscnt 0x0
	v_dual_mov_b32 v2, v87 :: v_dual_mov_b32 v3, v88
	s_wait_alu 0xfffe
	s_swappc_b64 s[30:31], s[26:27]
	v_dual_mov_b32 v2, v89 :: v_dual_mov_b32 v3, v90
	s_wait_alu 0xfffe
	s_swappc_b64 s[30:31], s[26:27]
	ds_load_2addr_b64 v[87:90], v109 offset0:5 offset1:6
	s_wait_dscnt 0x0
	v_dual_mov_b32 v2, v87 :: v_dual_mov_b32 v3, v88
	s_wait_alu 0xfffe
	s_swappc_b64 s[30:31], s[26:27]
	v_dual_mov_b32 v2, v89 :: v_dual_mov_b32 v3, v90
	s_wait_alu 0xfffe
	s_swappc_b64 s[30:31], s[26:27]
	ds_load_b64 v[2:3], v109 offset:56
	s_wait_alu 0xfffe
	s_swappc_b64 s[30:31], s[26:27]
	v_dual_mov_b32 v2, v0 :: v_dual_mov_b32 v3, v1
	v_mbcnt_lo_u32_b32 v87, -1, 0
	s_mov_b32 s26, exec_lo
	s_delay_alu instid0(VALU_DEP_2) | instskip(NEXT) | instid1(VALU_DEP_3)
	v_mov_b32_dpp v0, v2 row_shr:1 row_mask:0xf bank_mask:0xf
	v_mov_b32_dpp v1, v3 row_shr:1 row_mask:0xf bank_mask:0xf
	s_delay_alu instid0(VALU_DEP_3) | instskip(NEXT) | instid1(VALU_DEP_1)
	v_and_b32_e32 v88, 15, v87
	v_cmpx_ne_u32_e32 0, v88
	s_cbranch_execz .LBB324_35
; %bb.34:
	s_getpc_b64 s[0:1]
	s_wait_alu 0xfffe
	s_sext_i32_i16 s1, s1
	s_add_co_u32 s0, s0, _ZZZZN2at6native31launch_logcumsumexp_cuda_kernelERKNS_10TensorBaseES3_lENKUlvE_clEvENKUlvE2_clEvENKUlN3c107complexIfEES8_E_clES8_S8_@rel32@lo+12
	s_wait_alu 0xfffe
	s_add_co_ci_u32 s1, s1, _ZZZZN2at6native31launch_logcumsumexp_cuda_kernelERKNS_10TensorBaseES3_lENKUlvE_clEvENKUlvE2_clEvENKUlN3c107complexIfEES8_E_clES8_S8_@rel32@hi+24
	s_wait_alu 0xfffe
	s_swappc_b64 s[30:31], s[0:1]
	v_dual_mov_b32 v2, v0 :: v_dual_mov_b32 v3, v1
.LBB324_35:
	s_wait_alu 0xfffe
	s_or_b32 exec_lo, exec_lo, s26
	s_delay_alu instid0(VALU_DEP_1) | instskip(NEXT) | instid1(VALU_DEP_2)
	v_mov_b32_dpp v0, v2 row_shr:2 row_mask:0xf bank_mask:0xf
	v_mov_b32_dpp v1, v3 row_shr:2 row_mask:0xf bank_mask:0xf
	s_mov_b32 s26, exec_lo
	v_cmpx_lt_u32_e32 1, v88
	s_cbranch_execz .LBB324_37
; %bb.36:
	s_getpc_b64 s[0:1]
	s_wait_alu 0xfffe
	s_sext_i32_i16 s1, s1
	s_add_co_u32 s0, s0, _ZZZZN2at6native31launch_logcumsumexp_cuda_kernelERKNS_10TensorBaseES3_lENKUlvE_clEvENKUlvE2_clEvENKUlN3c107complexIfEES8_E_clES8_S8_@rel32@lo+12
	s_wait_alu 0xfffe
	s_add_co_ci_u32 s1, s1, _ZZZZN2at6native31launch_logcumsumexp_cuda_kernelERKNS_10TensorBaseES3_lENKUlvE_clEvENKUlvE2_clEvENKUlN3c107complexIfEES8_E_clES8_S8_@rel32@hi+24
	s_wait_alu 0xfffe
	s_swappc_b64 s[30:31], s[0:1]
	v_dual_mov_b32 v2, v0 :: v_dual_mov_b32 v3, v1
.LBB324_37:
	s_wait_alu 0xfffe
	s_or_b32 exec_lo, exec_lo, s26
	s_delay_alu instid0(VALU_DEP_1) | instskip(NEXT) | instid1(VALU_DEP_2)
	v_mov_b32_dpp v0, v2 row_shr:4 row_mask:0xf bank_mask:0xf
	v_mov_b32_dpp v1, v3 row_shr:4 row_mask:0xf bank_mask:0xf
	s_mov_b32 s26, exec_lo
	v_cmpx_lt_u32_e32 3, v88
	;; [unrolled: 19-line block ×3, first 2 shown]
	s_cbranch_execz .LBB324_41
; %bb.40:
	s_getpc_b64 s[0:1]
	s_wait_alu 0xfffe
	s_sext_i32_i16 s1, s1
	s_add_co_u32 s0, s0, _ZZZZN2at6native31launch_logcumsumexp_cuda_kernelERKNS_10TensorBaseES3_lENKUlvE_clEvENKUlvE2_clEvENKUlN3c107complexIfEES8_E_clES8_S8_@rel32@lo+12
	s_wait_alu 0xfffe
	s_add_co_ci_u32 s1, s1, _ZZZZN2at6native31launch_logcumsumexp_cuda_kernelERKNS_10TensorBaseES3_lENKUlvE_clEvENKUlvE2_clEvENKUlN3c107complexIfEES8_E_clES8_S8_@rel32@hi+24
	s_wait_alu 0xfffe
	s_swappc_b64 s[30:31], s[0:1]
	v_dual_mov_b32 v2, v0 :: v_dual_mov_b32 v3, v1
.LBB324_41:
	s_wait_alu 0xfffe
	s_or_b32 exec_lo, exec_lo, s26
	ds_swizzle_b32 v0, v2 offset:swizzle(BROADCAST,32,15)
	ds_swizzle_b32 v1, v3 offset:swizzle(BROADCAST,32,15)
	v_and_b32_e32 v4, 16, v87
	s_mov_b32 s26, exec_lo
	s_delay_alu instid0(VALU_DEP_1)
	v_cmpx_ne_u32_e32 0, v4
	s_cbranch_execz .LBB324_43
; %bb.42:
	s_getpc_b64 s[0:1]
	s_wait_alu 0xfffe
	s_sext_i32_i16 s1, s1
	s_add_co_u32 s0, s0, _ZZZZN2at6native31launch_logcumsumexp_cuda_kernelERKNS_10TensorBaseES3_lENKUlvE_clEvENKUlvE2_clEvENKUlN3c107complexIfEES8_E_clES8_S8_@rel32@lo+12
	s_wait_alu 0xfffe
	s_add_co_ci_u32 s1, s1, _ZZZZN2at6native31launch_logcumsumexp_cuda_kernelERKNS_10TensorBaseES3_lENKUlvE_clEvENKUlvE2_clEvENKUlN3c107complexIfEES8_E_clES8_S8_@rel32@hi+24
	s_wait_alu 0xfffe
	s_swappc_b64 s[30:31], s[0:1]
	v_dual_mov_b32 v2, v0 :: v_dual_mov_b32 v3, v1
.LBB324_43:
	s_wait_alu 0xfffe
	s_or_b32 exec_lo, exec_lo, s26
	s_wait_dscnt 0x1
	v_add_nc_u32_e32 v0, -1, v87
	s_getpc_b64 s[26:27]
	s_wait_alu 0xfffe
	s_sext_i32_i16 s27, s27
	s_add_co_u32 s26, s26, _ZZZZN2at6native31launch_logcumsumexp_cuda_kernelERKNS_10TensorBaseES3_lENKUlvE_clEvENKUlvE2_clEvENKUlN3c107complexIfEES8_E_clES8_S8_@rel32@lo+12
	s_wait_alu 0xfffe
	s_add_co_ci_u32 s27, s27, _ZZZZN2at6native31launch_logcumsumexp_cuda_kernelERKNS_10TensorBaseES3_lENKUlvE_clEvENKUlvE2_clEvENKUlN3c107complexIfEES8_E_clES8_S8_@rel32@hi+24
	v_cmp_gt_i32_e32 vcc_lo, 0, v0
	s_wait_alu 0xfffd
	v_cndmask_b32_e32 v0, v0, v87, vcc_lo
	s_wait_dscnt 0x0
	s_delay_alu instid0(VALU_DEP_1)
	v_lshlrev_b32_e32 v1, 2, v0
	ds_bpermute_b32 v0, v1, v2
	v_mov_b32_e32 v2, v82
	ds_bpermute_b32 v1, v1, v3
	v_mov_b32_e32 v3, v83
	s_wait_alu 0xfffe
	s_swappc_b64 s[30:31], s[26:27]
	v_cmp_eq_u32_e32 vcc_lo, 0, v84
	; wave barrier
	s_wait_alu 0xfffd
	v_dual_cndmask_b32 v0, v0, v80 :: v_dual_cndmask_b32 v1, v1, v81
	ds_store_b64 v109, v[0:1]
	; wave barrier
	ds_load_2addr_b64 v[87:90], v109 offset0:1 offset1:2
	s_wait_dscnt 0x0
	v_dual_mov_b32 v2, v87 :: v_dual_mov_b32 v3, v88
	s_wait_alu 0xfffe
	s_swappc_b64 s[30:31], s[26:27]
	v_dual_mov_b32 v2, v89 :: v_dual_mov_b32 v3, v90
	v_dual_mov_b32 v82, v0 :: v_dual_mov_b32 v83, v1
	s_wait_alu 0xfffe
	s_swappc_b64 s[30:31], s[26:27]
	ds_load_2addr_b64 v[87:90], v109 offset0:3 offset1:4
	ds_store_2addr_b64 v109, v[82:83], v[0:1] offset0:1 offset1:2
	s_wait_dscnt 0x1
	v_dual_mov_b32 v2, v87 :: v_dual_mov_b32 v3, v88
	s_wait_alu 0xfffe
	s_swappc_b64 s[30:31], s[26:27]
	v_dual_mov_b32 v2, v89 :: v_dual_mov_b32 v3, v90
	v_dual_mov_b32 v82, v0 :: v_dual_mov_b32 v83, v1
	s_wait_alu 0xfffe
	s_swappc_b64 s[30:31], s[26:27]
	ds_load_2addr_b64 v[87:90], v109 offset0:5 offset1:6
	ds_store_2addr_b64 v109, v[82:83], v[0:1] offset0:3 offset1:4
	s_wait_dscnt 0x1
	v_dual_mov_b32 v2, v87 :: v_dual_mov_b32 v3, v88
	s_wait_alu 0xfffe
	s_swappc_b64 s[30:31], s[26:27]
	v_dual_mov_b32 v2, v89 :: v_dual_mov_b32 v3, v90
	v_dual_mov_b32 v82, v0 :: v_dual_mov_b32 v83, v1
	s_wait_alu 0xfffe
	s_swappc_b64 s[30:31], s[26:27]
	ds_load_b64 v[2:3], v109 offset:56
	ds_store_2addr_b64 v109, v[82:83], v[0:1] offset0:5 offset1:6
	s_wait_alu 0xfffe
	s_swappc_b64 s[30:31], s[26:27]
	ds_store_b64 v109, v[0:1] offset:56
.LBB324_44:
	s_wait_alu 0xfffe
	s_or_b32 exec_lo, exec_lo, s23
	s_delay_alu instid0(SALU_CYCLE_1)
	s_mov_b32 s23, exec_lo
	s_wait_storecnt 0x0
	s_wait_loadcnt_dscnt 0x0
	s_barrier_signal -1
	s_barrier_wait -1
	global_inv scope:SCOPE_SE
	v_cmpx_ne_u32_e32 0, v84
	s_cbranch_execz .LBB324_46
; %bb.45:
	v_dual_mov_b32 v3, v23 :: v_dual_add_nc_u32 v0, -1, v84
	s_getpc_b64 s[26:27]
	s_wait_alu 0xfffe
	s_sext_i32_i16 s27, s27
	s_add_co_u32 s26, s26, _ZZZZN2at6native31launch_logcumsumexp_cuda_kernelERKNS_10TensorBaseES3_lENKUlvE_clEvENKUlvE2_clEvENKUlN3c107complexIfEES8_E_clES8_S8_@rel32@lo+12
	s_wait_alu 0xfffe
	s_add_co_ci_u32 s27, s27, _ZZZZN2at6native31launch_logcumsumexp_cuda_kernelERKNS_10TensorBaseES3_lENKUlvE_clEvENKUlvE2_clEvENKUlN3c107complexIfEES8_E_clES8_S8_@rel32@hi+24
	v_mov_b32_e32 v2, v22
	v_lshrrev_b32_e32 v1, 2, v0
	s_delay_alu instid0(VALU_DEP_1) | instskip(NEXT) | instid1(VALU_DEP_1)
	v_and_b32_e32 v1, 0x3ffffff8, v1
	v_lshl_add_u32 v0, v0, 3, v1
	ds_load_b64 v[0:1], v0
	s_wait_alu 0xfffe
	s_swappc_b64 s[30:31], s[26:27]
	v_dual_mov_b32 v2, v24 :: v_dual_mov_b32 v3, v25
	v_dual_mov_b32 v22, v0 :: v_dual_mov_b32 v23, v1
	;;#ASMSTART
	;;#ASMEND
	s_wait_alu 0xfffe
	s_swappc_b64 s[30:31], s[26:27]
	v_dual_mov_b32 v2, v50 :: v_dual_mov_b32 v3, v51
	v_dual_mov_b32 v85, v0 :: v_dual_mov_b32 v86, v1
	s_wait_alu 0xfffe
	s_swappc_b64 s[30:31], s[26:27]
	v_dual_mov_b32 v2, v52 :: v_dual_mov_b32 v3, v53
	v_dual_mov_b32 v54, v0 :: v_dual_mov_b32 v55, v1
	;; [unrolled: 4-line block ×14, first 2 shown]
	s_wait_alu 0xfffe
	s_swappc_b64 s[30:31], s[26:27]
	v_dual_mov_b32 v80, v0 :: v_dual_mov_b32 v81, v1
.LBB324_46:
	s_wait_alu 0xfffe
	s_or_b32 exec_lo, exec_lo, s23
	v_dual_mov_b32 v0, v85 :: v_dual_mov_b32 v1, v86
	s_wait_loadcnt 0x0
	s_wait_storecnt 0x0
	s_barrier_signal -1
	s_barrier_wait -1
	global_inv scope:SCOPE_SE
	ds_store_2addr_b64 v108, v[22:23], v[0:1] offset1:1
	ds_store_2addr_b64 v108, v[54:55], v[56:57] offset0:2 offset1:3
	ds_store_2addr_b64 v108, v[58:59], v[60:61] offset0:4 offset1:5
	;; [unrolled: 1-line block ×7, first 2 shown]
	s_wait_loadcnt_dscnt 0x0
	s_barrier_signal -1
	s_barrier_wait -1
	global_inv scope:SCOPE_SE
	ds_load_b64 v[30:31], v93 offset:2048
	ds_load_b64 v[28:29], v94 offset:4096
	;; [unrolled: 1-line block ×15, first 2 shown]
	v_add_co_u32 v2, s0, s24, v91
	s_wait_alu 0xf1ff
	v_add_co_ci_u32_e64 v3, null, s25, 0, s0
	s_and_saveexec_b32 s0, s7
	s_cbranch_execnz .LBB324_63
; %bb.47:
	s_wait_alu 0xfffe
	s_or_b32 exec_lo, exec_lo, s0
	s_and_saveexec_b32 s0, s8
	s_cbranch_execnz .LBB324_64
.LBB324_48:
	s_wait_alu 0xfffe
	s_or_b32 exec_lo, exec_lo, s0
	s_and_saveexec_b32 s0, s9
	s_cbranch_execnz .LBB324_65
.LBB324_49:
	s_wait_alu 0xfffe
	s_or_b32 exec_lo, exec_lo, s0
	s_and_saveexec_b32 s0, s10
	s_cbranch_execnz .LBB324_66
.LBB324_50:
	s_wait_alu 0xfffe
	s_or_b32 exec_lo, exec_lo, s0
	s_and_saveexec_b32 s0, s11
	s_cbranch_execnz .LBB324_67
.LBB324_51:
	s_wait_alu 0xfffe
	s_or_b32 exec_lo, exec_lo, s0
	s_and_saveexec_b32 s0, s12
	s_cbranch_execnz .LBB324_68
.LBB324_52:
	s_wait_alu 0xfffe
	s_or_b32 exec_lo, exec_lo, s0
	s_and_saveexec_b32 s0, s13
	s_cbranch_execnz .LBB324_69
.LBB324_53:
	s_wait_alu 0xfffe
	s_or_b32 exec_lo, exec_lo, s0
	s_and_saveexec_b32 s0, s14
	s_cbranch_execnz .LBB324_70
.LBB324_54:
	s_wait_alu 0xfffe
	s_or_b32 exec_lo, exec_lo, s0
	s_and_saveexec_b32 s0, s15
	s_cbranch_execnz .LBB324_71
.LBB324_55:
	s_wait_alu 0xfffe
	s_or_b32 exec_lo, exec_lo, s0
	s_and_saveexec_b32 s0, s16
	s_cbranch_execnz .LBB324_72
.LBB324_56:
	s_wait_alu 0xfffe
	s_or_b32 exec_lo, exec_lo, s0
	s_and_saveexec_b32 s0, s17
	s_cbranch_execnz .LBB324_73
.LBB324_57:
	s_wait_alu 0xfffe
	s_or_b32 exec_lo, exec_lo, s0
	s_and_saveexec_b32 s0, s18
	s_cbranch_execnz .LBB324_74
.LBB324_58:
	s_wait_alu 0xfffe
	s_or_b32 exec_lo, exec_lo, s0
	s_and_saveexec_b32 s0, s19
	s_cbranch_execnz .LBB324_75
.LBB324_59:
	s_wait_alu 0xfffe
	s_or_b32 exec_lo, exec_lo, s0
	s_and_saveexec_b32 s0, s20
	s_cbranch_execnz .LBB324_76
.LBB324_60:
	s_wait_alu 0xfffe
	s_or_b32 exec_lo, exec_lo, s0
	s_and_saveexec_b32 s0, s21
	s_cbranch_execnz .LBB324_77
.LBB324_61:
	s_wait_alu 0xfffe
	s_or_b32 exec_lo, exec_lo, s0
	s_and_saveexec_b32 s0, s22
	s_cbranch_execnz .LBB324_78
.LBB324_62:
	s_nop 0
	s_sendmsg sendmsg(MSG_DEALLOC_VGPRS)
	s_endpgm
.LBB324_63:
	ds_load_b64 v[32:33], v92
	s_wait_dscnt 0x0
	global_store_b64 v[2:3], v[32:33], off
	s_wait_alu 0xfffe
	s_or_b32 exec_lo, exec_lo, s0
	s_and_saveexec_b32 s0, s8
	s_cbranch_execz .LBB324_48
.LBB324_64:
	s_wait_dscnt 0xe
	global_store_b64 v[2:3], v[30:31], off offset:2048
	s_wait_alu 0xfffe
	s_or_b32 exec_lo, exec_lo, s0
	s_and_saveexec_b32 s0, s9
	s_cbranch_execz .LBB324_49
.LBB324_65:
	s_wait_dscnt 0xd
	global_store_b64 v[2:3], v[28:29], off offset:4096
	s_wait_alu 0xfffe
	s_or_b32 exec_lo, exec_lo, s0
	s_and_saveexec_b32 s0, s10
	s_cbranch_execz .LBB324_50
.LBB324_66:
	s_wait_dscnt 0xc
	global_store_b64 v[2:3], v[26:27], off offset:6144
	s_wait_alu 0xfffe
	s_or_b32 exec_lo, exec_lo, s0
	s_and_saveexec_b32 s0, s11
	s_cbranch_execz .LBB324_51
.LBB324_67:
	s_wait_dscnt 0xb
	global_store_b64 v[2:3], v[24:25], off offset:8192
	s_wait_alu 0xfffe
	s_or_b32 exec_lo, exec_lo, s0
	s_and_saveexec_b32 s0, s12
	s_cbranch_execz .LBB324_52
.LBB324_68:
	s_wait_dscnt 0xa
	global_store_b64 v[2:3], v[22:23], off offset:10240
	s_wait_alu 0xfffe
	s_or_b32 exec_lo, exec_lo, s0
	s_and_saveexec_b32 s0, s13
	s_cbranch_execz .LBB324_53
.LBB324_69:
	s_wait_dscnt 0x9
	global_store_b64 v[2:3], v[20:21], off offset:12288
	s_wait_alu 0xfffe
	s_or_b32 exec_lo, exec_lo, s0
	s_and_saveexec_b32 s0, s14
	s_cbranch_execz .LBB324_54
.LBB324_70:
	s_wait_dscnt 0x8
	global_store_b64 v[2:3], v[18:19], off offset:14336
	s_wait_alu 0xfffe
	s_or_b32 exec_lo, exec_lo, s0
	s_and_saveexec_b32 s0, s15
	s_cbranch_execz .LBB324_55
.LBB324_71:
	s_wait_dscnt 0x7
	global_store_b64 v[2:3], v[16:17], off offset:16384
	s_wait_alu 0xfffe
	s_or_b32 exec_lo, exec_lo, s0
	s_and_saveexec_b32 s0, s16
	s_cbranch_execz .LBB324_56
.LBB324_72:
	s_wait_dscnt 0x6
	global_store_b64 v[2:3], v[14:15], off offset:18432
	s_wait_alu 0xfffe
	s_or_b32 exec_lo, exec_lo, s0
	s_and_saveexec_b32 s0, s17
	s_cbranch_execz .LBB324_57
.LBB324_73:
	s_wait_dscnt 0x5
	global_store_b64 v[2:3], v[12:13], off offset:20480
	s_wait_alu 0xfffe
	s_or_b32 exec_lo, exec_lo, s0
	s_and_saveexec_b32 s0, s18
	s_cbranch_execz .LBB324_58
.LBB324_74:
	s_wait_dscnt 0x4
	global_store_b64 v[2:3], v[10:11], off offset:22528
	s_wait_alu 0xfffe
	s_or_b32 exec_lo, exec_lo, s0
	s_and_saveexec_b32 s0, s19
	s_cbranch_execz .LBB324_59
.LBB324_75:
	s_wait_dscnt 0x3
	global_store_b64 v[2:3], v[8:9], off offset:24576
	s_wait_alu 0xfffe
	s_or_b32 exec_lo, exec_lo, s0
	s_and_saveexec_b32 s0, s20
	s_cbranch_execz .LBB324_60
.LBB324_76:
	s_wait_dscnt 0x2
	global_store_b64 v[2:3], v[6:7], off offset:26624
	s_wait_alu 0xfffe
	s_or_b32 exec_lo, exec_lo, s0
	s_and_saveexec_b32 s0, s21
	s_cbranch_execz .LBB324_61
.LBB324_77:
	s_wait_dscnt 0x1
	global_store_b64 v[2:3], v[4:5], off offset:28672
	s_wait_alu 0xfffe
	s_or_b32 exec_lo, exec_lo, s0
	s_and_saveexec_b32 s0, s22
	s_cbranch_execz .LBB324_62
.LBB324_78:
	s_wait_dscnt 0x0
	global_store_b64 v[2:3], v[0:1], off offset:30720
	s_nop 0
	s_sendmsg sendmsg(MSG_DEALLOC_VGPRS)
	s_endpgm
	.section	.rodata,"a",@progbits
	.p2align	6, 0x0
	.amdhsa_kernel _ZN7rocprim17ROCPRIM_400000_NS6detail17trampoline_kernelINS0_14default_configENS1_20scan_config_selectorIN3c107complexIfEEEEZZNS1_9scan_implILNS1_25lookback_scan_determinismE0ELb0ELb0ES3_PKS7_PS7_S7_ZZZN2at6native31launch_logcumsumexp_cuda_kernelERKNSE_10TensorBaseESI_lENKUlvE_clEvENKUlvE2_clEvEUlS7_S7_E_S7_EEDaPvRmT3_T4_T5_mT6_P12ihipStream_tbENKUlT_T0_E_clISt17integral_constantIbLb1EESY_IbLb0EEEEDaSU_SV_EUlSU_E0_NS1_11comp_targetILNS1_3genE10ELNS1_11target_archE1201ELNS1_3gpuE5ELNS1_3repE0EEENS1_30default_config_static_selectorELNS0_4arch9wavefront6targetE0EEEvT1_
		.amdhsa_group_segment_fixed_size 33792
		.amdhsa_private_segment_fixed_size 0
		.amdhsa_kernarg_size 40
		.amdhsa_user_sgpr_count 2
		.amdhsa_user_sgpr_dispatch_ptr 0
		.amdhsa_user_sgpr_queue_ptr 0
		.amdhsa_user_sgpr_kernarg_segment_ptr 1
		.amdhsa_user_sgpr_dispatch_id 0
		.amdhsa_user_sgpr_private_segment_size 0
		.amdhsa_wavefront_size32 1
		.amdhsa_uses_dynamic_stack 0
		.amdhsa_enable_private_segment 0
		.amdhsa_system_sgpr_workgroup_id_x 1
		.amdhsa_system_sgpr_workgroup_id_y 0
		.amdhsa_system_sgpr_workgroup_id_z 0
		.amdhsa_system_sgpr_workgroup_info 0
		.amdhsa_system_vgpr_workitem_id 0
		.amdhsa_next_free_vgpr 217
		.amdhsa_next_free_sgpr 33
		.amdhsa_reserve_vcc 1
		.amdhsa_float_round_mode_32 0
		.amdhsa_float_round_mode_16_64 0
		.amdhsa_float_denorm_mode_32 3
		.amdhsa_float_denorm_mode_16_64 3
		.amdhsa_fp16_overflow 0
		.amdhsa_workgroup_processor_mode 1
		.amdhsa_memory_ordered 1
		.amdhsa_forward_progress 1
		.amdhsa_inst_pref_size 35
		.amdhsa_round_robin_scheduling 0
		.amdhsa_exception_fp_ieee_invalid_op 0
		.amdhsa_exception_fp_denorm_src 0
		.amdhsa_exception_fp_ieee_div_zero 0
		.amdhsa_exception_fp_ieee_overflow 0
		.amdhsa_exception_fp_ieee_underflow 0
		.amdhsa_exception_fp_ieee_inexact 0
		.amdhsa_exception_int_div_zero 0
	.end_amdhsa_kernel
	.section	.text._ZN7rocprim17ROCPRIM_400000_NS6detail17trampoline_kernelINS0_14default_configENS1_20scan_config_selectorIN3c107complexIfEEEEZZNS1_9scan_implILNS1_25lookback_scan_determinismE0ELb0ELb0ES3_PKS7_PS7_S7_ZZZN2at6native31launch_logcumsumexp_cuda_kernelERKNSE_10TensorBaseESI_lENKUlvE_clEvENKUlvE2_clEvEUlS7_S7_E_S7_EEDaPvRmT3_T4_T5_mT6_P12ihipStream_tbENKUlT_T0_E_clISt17integral_constantIbLb1EESY_IbLb0EEEEDaSU_SV_EUlSU_E0_NS1_11comp_targetILNS1_3genE10ELNS1_11target_archE1201ELNS1_3gpuE5ELNS1_3repE0EEENS1_30default_config_static_selectorELNS0_4arch9wavefront6targetE0EEEvT1_,"axG",@progbits,_ZN7rocprim17ROCPRIM_400000_NS6detail17trampoline_kernelINS0_14default_configENS1_20scan_config_selectorIN3c107complexIfEEEEZZNS1_9scan_implILNS1_25lookback_scan_determinismE0ELb0ELb0ES3_PKS7_PS7_S7_ZZZN2at6native31launch_logcumsumexp_cuda_kernelERKNSE_10TensorBaseESI_lENKUlvE_clEvENKUlvE2_clEvEUlS7_S7_E_S7_EEDaPvRmT3_T4_T5_mT6_P12ihipStream_tbENKUlT_T0_E_clISt17integral_constantIbLb1EESY_IbLb0EEEEDaSU_SV_EUlSU_E0_NS1_11comp_targetILNS1_3genE10ELNS1_11target_archE1201ELNS1_3gpuE5ELNS1_3repE0EEENS1_30default_config_static_selectorELNS0_4arch9wavefront6targetE0EEEvT1_,comdat
.Lfunc_end324:
	.size	_ZN7rocprim17ROCPRIM_400000_NS6detail17trampoline_kernelINS0_14default_configENS1_20scan_config_selectorIN3c107complexIfEEEEZZNS1_9scan_implILNS1_25lookback_scan_determinismE0ELb0ELb0ES3_PKS7_PS7_S7_ZZZN2at6native31launch_logcumsumexp_cuda_kernelERKNSE_10TensorBaseESI_lENKUlvE_clEvENKUlvE2_clEvEUlS7_S7_E_S7_EEDaPvRmT3_T4_T5_mT6_P12ihipStream_tbENKUlT_T0_E_clISt17integral_constantIbLb1EESY_IbLb0EEEEDaSU_SV_EUlSU_E0_NS1_11comp_targetILNS1_3genE10ELNS1_11target_archE1201ELNS1_3gpuE5ELNS1_3repE0EEENS1_30default_config_static_selectorELNS0_4arch9wavefront6targetE0EEEvT1_, .Lfunc_end324-_ZN7rocprim17ROCPRIM_400000_NS6detail17trampoline_kernelINS0_14default_configENS1_20scan_config_selectorIN3c107complexIfEEEEZZNS1_9scan_implILNS1_25lookback_scan_determinismE0ELb0ELb0ES3_PKS7_PS7_S7_ZZZN2at6native31launch_logcumsumexp_cuda_kernelERKNSE_10TensorBaseESI_lENKUlvE_clEvENKUlvE2_clEvEUlS7_S7_E_S7_EEDaPvRmT3_T4_T5_mT6_P12ihipStream_tbENKUlT_T0_E_clISt17integral_constantIbLb1EESY_IbLb0EEEEDaSU_SV_EUlSU_E0_NS1_11comp_targetILNS1_3genE10ELNS1_11target_archE1201ELNS1_3gpuE5ELNS1_3repE0EEENS1_30default_config_static_selectorELNS0_4arch9wavefront6targetE0EEEvT1_
                                        ; -- End function
	.set _ZN7rocprim17ROCPRIM_400000_NS6detail17trampoline_kernelINS0_14default_configENS1_20scan_config_selectorIN3c107complexIfEEEEZZNS1_9scan_implILNS1_25lookback_scan_determinismE0ELb0ELb0ES3_PKS7_PS7_S7_ZZZN2at6native31launch_logcumsumexp_cuda_kernelERKNSE_10TensorBaseESI_lENKUlvE_clEvENKUlvE2_clEvEUlS7_S7_E_S7_EEDaPvRmT3_T4_T5_mT6_P12ihipStream_tbENKUlT_T0_E_clISt17integral_constantIbLb1EESY_IbLb0EEEEDaSU_SV_EUlSU_E0_NS1_11comp_targetILNS1_3genE10ELNS1_11target_archE1201ELNS1_3gpuE5ELNS1_3repE0EEENS1_30default_config_static_selectorELNS0_4arch9wavefront6targetE0EEEvT1_.num_vgpr, max(110, .L_ZZZZN2at6native31launch_logcumsumexp_cuda_kernelERKNS_10TensorBaseES3_lENKUlvE_clEvENKUlvE2_clEvENKUlN3c107complexIfEES8_E_clES8_S8_.num_vgpr)
	.set _ZN7rocprim17ROCPRIM_400000_NS6detail17trampoline_kernelINS0_14default_configENS1_20scan_config_selectorIN3c107complexIfEEEEZZNS1_9scan_implILNS1_25lookback_scan_determinismE0ELb0ELb0ES3_PKS7_PS7_S7_ZZZN2at6native31launch_logcumsumexp_cuda_kernelERKNSE_10TensorBaseESI_lENKUlvE_clEvENKUlvE2_clEvEUlS7_S7_E_S7_EEDaPvRmT3_T4_T5_mT6_P12ihipStream_tbENKUlT_T0_E_clISt17integral_constantIbLb1EESY_IbLb0EEEEDaSU_SV_EUlSU_E0_NS1_11comp_targetILNS1_3genE10ELNS1_11target_archE1201ELNS1_3gpuE5ELNS1_3repE0EEENS1_30default_config_static_selectorELNS0_4arch9wavefront6targetE0EEEvT1_.num_agpr, max(0, .L_ZZZZN2at6native31launch_logcumsumexp_cuda_kernelERKNS_10TensorBaseES3_lENKUlvE_clEvENKUlvE2_clEvENKUlN3c107complexIfEES8_E_clES8_S8_.num_agpr)
	.set _ZN7rocprim17ROCPRIM_400000_NS6detail17trampoline_kernelINS0_14default_configENS1_20scan_config_selectorIN3c107complexIfEEEEZZNS1_9scan_implILNS1_25lookback_scan_determinismE0ELb0ELb0ES3_PKS7_PS7_S7_ZZZN2at6native31launch_logcumsumexp_cuda_kernelERKNSE_10TensorBaseESI_lENKUlvE_clEvENKUlvE2_clEvEUlS7_S7_E_S7_EEDaPvRmT3_T4_T5_mT6_P12ihipStream_tbENKUlT_T0_E_clISt17integral_constantIbLb1EESY_IbLb0EEEEDaSU_SV_EUlSU_E0_NS1_11comp_targetILNS1_3genE10ELNS1_11target_archE1201ELNS1_3gpuE5ELNS1_3repE0EEENS1_30default_config_static_selectorELNS0_4arch9wavefront6targetE0EEEvT1_.numbered_sgpr, max(33, .L_ZZZZN2at6native31launch_logcumsumexp_cuda_kernelERKNS_10TensorBaseES3_lENKUlvE_clEvENKUlvE2_clEvENKUlN3c107complexIfEES8_E_clES8_S8_.numbered_sgpr)
	.set _ZN7rocprim17ROCPRIM_400000_NS6detail17trampoline_kernelINS0_14default_configENS1_20scan_config_selectorIN3c107complexIfEEEEZZNS1_9scan_implILNS1_25lookback_scan_determinismE0ELb0ELb0ES3_PKS7_PS7_S7_ZZZN2at6native31launch_logcumsumexp_cuda_kernelERKNSE_10TensorBaseESI_lENKUlvE_clEvENKUlvE2_clEvEUlS7_S7_E_S7_EEDaPvRmT3_T4_T5_mT6_P12ihipStream_tbENKUlT_T0_E_clISt17integral_constantIbLb1EESY_IbLb0EEEEDaSU_SV_EUlSU_E0_NS1_11comp_targetILNS1_3genE10ELNS1_11target_archE1201ELNS1_3gpuE5ELNS1_3repE0EEENS1_30default_config_static_selectorELNS0_4arch9wavefront6targetE0EEEvT1_.num_named_barrier, max(0, .L_ZZZZN2at6native31launch_logcumsumexp_cuda_kernelERKNS_10TensorBaseES3_lENKUlvE_clEvENKUlvE2_clEvENKUlN3c107complexIfEES8_E_clES8_S8_.num_named_barrier)
	.set _ZN7rocprim17ROCPRIM_400000_NS6detail17trampoline_kernelINS0_14default_configENS1_20scan_config_selectorIN3c107complexIfEEEEZZNS1_9scan_implILNS1_25lookback_scan_determinismE0ELb0ELb0ES3_PKS7_PS7_S7_ZZZN2at6native31launch_logcumsumexp_cuda_kernelERKNSE_10TensorBaseESI_lENKUlvE_clEvENKUlvE2_clEvEUlS7_S7_E_S7_EEDaPvRmT3_T4_T5_mT6_P12ihipStream_tbENKUlT_T0_E_clISt17integral_constantIbLb1EESY_IbLb0EEEEDaSU_SV_EUlSU_E0_NS1_11comp_targetILNS1_3genE10ELNS1_11target_archE1201ELNS1_3gpuE5ELNS1_3repE0EEENS1_30default_config_static_selectorELNS0_4arch9wavefront6targetE0EEEvT1_.private_seg_size, 0+max(.L_ZZZZN2at6native31launch_logcumsumexp_cuda_kernelERKNS_10TensorBaseES3_lENKUlvE_clEvENKUlvE2_clEvENKUlN3c107complexIfEES8_E_clES8_S8_.private_seg_size)
	.set _ZN7rocprim17ROCPRIM_400000_NS6detail17trampoline_kernelINS0_14default_configENS1_20scan_config_selectorIN3c107complexIfEEEEZZNS1_9scan_implILNS1_25lookback_scan_determinismE0ELb0ELb0ES3_PKS7_PS7_S7_ZZZN2at6native31launch_logcumsumexp_cuda_kernelERKNSE_10TensorBaseESI_lENKUlvE_clEvENKUlvE2_clEvEUlS7_S7_E_S7_EEDaPvRmT3_T4_T5_mT6_P12ihipStream_tbENKUlT_T0_E_clISt17integral_constantIbLb1EESY_IbLb0EEEEDaSU_SV_EUlSU_E0_NS1_11comp_targetILNS1_3genE10ELNS1_11target_archE1201ELNS1_3gpuE5ELNS1_3repE0EEENS1_30default_config_static_selectorELNS0_4arch9wavefront6targetE0EEEvT1_.uses_vcc, or(1, .L_ZZZZN2at6native31launch_logcumsumexp_cuda_kernelERKNS_10TensorBaseES3_lENKUlvE_clEvENKUlvE2_clEvENKUlN3c107complexIfEES8_E_clES8_S8_.uses_vcc)
	.set _ZN7rocprim17ROCPRIM_400000_NS6detail17trampoline_kernelINS0_14default_configENS1_20scan_config_selectorIN3c107complexIfEEEEZZNS1_9scan_implILNS1_25lookback_scan_determinismE0ELb0ELb0ES3_PKS7_PS7_S7_ZZZN2at6native31launch_logcumsumexp_cuda_kernelERKNSE_10TensorBaseESI_lENKUlvE_clEvENKUlvE2_clEvEUlS7_S7_E_S7_EEDaPvRmT3_T4_T5_mT6_P12ihipStream_tbENKUlT_T0_E_clISt17integral_constantIbLb1EESY_IbLb0EEEEDaSU_SV_EUlSU_E0_NS1_11comp_targetILNS1_3genE10ELNS1_11target_archE1201ELNS1_3gpuE5ELNS1_3repE0EEENS1_30default_config_static_selectorELNS0_4arch9wavefront6targetE0EEEvT1_.uses_flat_scratch, or(0, .L_ZZZZN2at6native31launch_logcumsumexp_cuda_kernelERKNS_10TensorBaseES3_lENKUlvE_clEvENKUlvE2_clEvENKUlN3c107complexIfEES8_E_clES8_S8_.uses_flat_scratch)
	.set _ZN7rocprim17ROCPRIM_400000_NS6detail17trampoline_kernelINS0_14default_configENS1_20scan_config_selectorIN3c107complexIfEEEEZZNS1_9scan_implILNS1_25lookback_scan_determinismE0ELb0ELb0ES3_PKS7_PS7_S7_ZZZN2at6native31launch_logcumsumexp_cuda_kernelERKNSE_10TensorBaseESI_lENKUlvE_clEvENKUlvE2_clEvEUlS7_S7_E_S7_EEDaPvRmT3_T4_T5_mT6_P12ihipStream_tbENKUlT_T0_E_clISt17integral_constantIbLb1EESY_IbLb0EEEEDaSU_SV_EUlSU_E0_NS1_11comp_targetILNS1_3genE10ELNS1_11target_archE1201ELNS1_3gpuE5ELNS1_3repE0EEENS1_30default_config_static_selectorELNS0_4arch9wavefront6targetE0EEEvT1_.has_dyn_sized_stack, or(0, .L_ZZZZN2at6native31launch_logcumsumexp_cuda_kernelERKNS_10TensorBaseES3_lENKUlvE_clEvENKUlvE2_clEvENKUlN3c107complexIfEES8_E_clES8_S8_.has_dyn_sized_stack)
	.set _ZN7rocprim17ROCPRIM_400000_NS6detail17trampoline_kernelINS0_14default_configENS1_20scan_config_selectorIN3c107complexIfEEEEZZNS1_9scan_implILNS1_25lookback_scan_determinismE0ELb0ELb0ES3_PKS7_PS7_S7_ZZZN2at6native31launch_logcumsumexp_cuda_kernelERKNSE_10TensorBaseESI_lENKUlvE_clEvENKUlvE2_clEvEUlS7_S7_E_S7_EEDaPvRmT3_T4_T5_mT6_P12ihipStream_tbENKUlT_T0_E_clISt17integral_constantIbLb1EESY_IbLb0EEEEDaSU_SV_EUlSU_E0_NS1_11comp_targetILNS1_3genE10ELNS1_11target_archE1201ELNS1_3gpuE5ELNS1_3repE0EEENS1_30default_config_static_selectorELNS0_4arch9wavefront6targetE0EEEvT1_.has_recursion, or(0, .L_ZZZZN2at6native31launch_logcumsumexp_cuda_kernelERKNS_10TensorBaseES3_lENKUlvE_clEvENKUlvE2_clEvENKUlN3c107complexIfEES8_E_clES8_S8_.has_recursion)
	.set _ZN7rocprim17ROCPRIM_400000_NS6detail17trampoline_kernelINS0_14default_configENS1_20scan_config_selectorIN3c107complexIfEEEEZZNS1_9scan_implILNS1_25lookback_scan_determinismE0ELb0ELb0ES3_PKS7_PS7_S7_ZZZN2at6native31launch_logcumsumexp_cuda_kernelERKNSE_10TensorBaseESI_lENKUlvE_clEvENKUlvE2_clEvEUlS7_S7_E_S7_EEDaPvRmT3_T4_T5_mT6_P12ihipStream_tbENKUlT_T0_E_clISt17integral_constantIbLb1EESY_IbLb0EEEEDaSU_SV_EUlSU_E0_NS1_11comp_targetILNS1_3genE10ELNS1_11target_archE1201ELNS1_3gpuE5ELNS1_3repE0EEENS1_30default_config_static_selectorELNS0_4arch9wavefront6targetE0EEEvT1_.has_indirect_call, or(0, .L_ZZZZN2at6native31launch_logcumsumexp_cuda_kernelERKNS_10TensorBaseES3_lENKUlvE_clEvENKUlvE2_clEvENKUlN3c107complexIfEES8_E_clES8_S8_.has_indirect_call)
	.section	.AMDGPU.csdata,"",@progbits
; Kernel info:
; codeLenInByte = 4360
; TotalNumSgprs: 35
; NumVgprs: 110
; ScratchSize: 0
; MemoryBound: 0
; FloatMode: 240
; IeeeMode: 1
; LDSByteSize: 33792 bytes/workgroup (compile time only)
; SGPRBlocks: 0
; VGPRBlocks: 27
; NumSGPRsForWavesPerEU: 35
; NumVGPRsForWavesPerEU: 217
; Occupancy: 6
; WaveLimiterHint : 0
; COMPUTE_PGM_RSRC2:SCRATCH_EN: 0
; COMPUTE_PGM_RSRC2:USER_SGPR: 2
; COMPUTE_PGM_RSRC2:TRAP_HANDLER: 0
; COMPUTE_PGM_RSRC2:TGID_X_EN: 1
; COMPUTE_PGM_RSRC2:TGID_Y_EN: 0
; COMPUTE_PGM_RSRC2:TGID_Z_EN: 0
; COMPUTE_PGM_RSRC2:TIDIG_COMP_CNT: 0
	.section	.text._ZN7rocprim17ROCPRIM_400000_NS6detail17trampoline_kernelINS0_14default_configENS1_20scan_config_selectorIN3c107complexIfEEEEZZNS1_9scan_implILNS1_25lookback_scan_determinismE0ELb0ELb0ES3_PKS7_PS7_S7_ZZZN2at6native31launch_logcumsumexp_cuda_kernelERKNSE_10TensorBaseESI_lENKUlvE_clEvENKUlvE2_clEvEUlS7_S7_E_S7_EEDaPvRmT3_T4_T5_mT6_P12ihipStream_tbENKUlT_T0_E_clISt17integral_constantIbLb1EESY_IbLb0EEEEDaSU_SV_EUlSU_E0_NS1_11comp_targetILNS1_3genE10ELNS1_11target_archE1200ELNS1_3gpuE4ELNS1_3repE0EEENS1_30default_config_static_selectorELNS0_4arch9wavefront6targetE0EEEvT1_,"axG",@progbits,_ZN7rocprim17ROCPRIM_400000_NS6detail17trampoline_kernelINS0_14default_configENS1_20scan_config_selectorIN3c107complexIfEEEEZZNS1_9scan_implILNS1_25lookback_scan_determinismE0ELb0ELb0ES3_PKS7_PS7_S7_ZZZN2at6native31launch_logcumsumexp_cuda_kernelERKNSE_10TensorBaseESI_lENKUlvE_clEvENKUlvE2_clEvEUlS7_S7_E_S7_EEDaPvRmT3_T4_T5_mT6_P12ihipStream_tbENKUlT_T0_E_clISt17integral_constantIbLb1EESY_IbLb0EEEEDaSU_SV_EUlSU_E0_NS1_11comp_targetILNS1_3genE10ELNS1_11target_archE1200ELNS1_3gpuE4ELNS1_3repE0EEENS1_30default_config_static_selectorELNS0_4arch9wavefront6targetE0EEEvT1_,comdat
	.globl	_ZN7rocprim17ROCPRIM_400000_NS6detail17trampoline_kernelINS0_14default_configENS1_20scan_config_selectorIN3c107complexIfEEEEZZNS1_9scan_implILNS1_25lookback_scan_determinismE0ELb0ELb0ES3_PKS7_PS7_S7_ZZZN2at6native31launch_logcumsumexp_cuda_kernelERKNSE_10TensorBaseESI_lENKUlvE_clEvENKUlvE2_clEvEUlS7_S7_E_S7_EEDaPvRmT3_T4_T5_mT6_P12ihipStream_tbENKUlT_T0_E_clISt17integral_constantIbLb1EESY_IbLb0EEEEDaSU_SV_EUlSU_E0_NS1_11comp_targetILNS1_3genE10ELNS1_11target_archE1200ELNS1_3gpuE4ELNS1_3repE0EEENS1_30default_config_static_selectorELNS0_4arch9wavefront6targetE0EEEvT1_ ; -- Begin function _ZN7rocprim17ROCPRIM_400000_NS6detail17trampoline_kernelINS0_14default_configENS1_20scan_config_selectorIN3c107complexIfEEEEZZNS1_9scan_implILNS1_25lookback_scan_determinismE0ELb0ELb0ES3_PKS7_PS7_S7_ZZZN2at6native31launch_logcumsumexp_cuda_kernelERKNSE_10TensorBaseESI_lENKUlvE_clEvENKUlvE2_clEvEUlS7_S7_E_S7_EEDaPvRmT3_T4_T5_mT6_P12ihipStream_tbENKUlT_T0_E_clISt17integral_constantIbLb1EESY_IbLb0EEEEDaSU_SV_EUlSU_E0_NS1_11comp_targetILNS1_3genE10ELNS1_11target_archE1200ELNS1_3gpuE4ELNS1_3repE0EEENS1_30default_config_static_selectorELNS0_4arch9wavefront6targetE0EEEvT1_
	.p2align	8
	.type	_ZN7rocprim17ROCPRIM_400000_NS6detail17trampoline_kernelINS0_14default_configENS1_20scan_config_selectorIN3c107complexIfEEEEZZNS1_9scan_implILNS1_25lookback_scan_determinismE0ELb0ELb0ES3_PKS7_PS7_S7_ZZZN2at6native31launch_logcumsumexp_cuda_kernelERKNSE_10TensorBaseESI_lENKUlvE_clEvENKUlvE2_clEvEUlS7_S7_E_S7_EEDaPvRmT3_T4_T5_mT6_P12ihipStream_tbENKUlT_T0_E_clISt17integral_constantIbLb1EESY_IbLb0EEEEDaSU_SV_EUlSU_E0_NS1_11comp_targetILNS1_3genE10ELNS1_11target_archE1200ELNS1_3gpuE4ELNS1_3repE0EEENS1_30default_config_static_selectorELNS0_4arch9wavefront6targetE0EEEvT1_,@function
_ZN7rocprim17ROCPRIM_400000_NS6detail17trampoline_kernelINS0_14default_configENS1_20scan_config_selectorIN3c107complexIfEEEEZZNS1_9scan_implILNS1_25lookback_scan_determinismE0ELb0ELb0ES3_PKS7_PS7_S7_ZZZN2at6native31launch_logcumsumexp_cuda_kernelERKNSE_10TensorBaseESI_lENKUlvE_clEvENKUlvE2_clEvEUlS7_S7_E_S7_EEDaPvRmT3_T4_T5_mT6_P12ihipStream_tbENKUlT_T0_E_clISt17integral_constantIbLb1EESY_IbLb0EEEEDaSU_SV_EUlSU_E0_NS1_11comp_targetILNS1_3genE10ELNS1_11target_archE1200ELNS1_3gpuE4ELNS1_3repE0EEENS1_30default_config_static_selectorELNS0_4arch9wavefront6targetE0EEEvT1_: ; @_ZN7rocprim17ROCPRIM_400000_NS6detail17trampoline_kernelINS0_14default_configENS1_20scan_config_selectorIN3c107complexIfEEEEZZNS1_9scan_implILNS1_25lookback_scan_determinismE0ELb0ELb0ES3_PKS7_PS7_S7_ZZZN2at6native31launch_logcumsumexp_cuda_kernelERKNSE_10TensorBaseESI_lENKUlvE_clEvENKUlvE2_clEvEUlS7_S7_E_S7_EEDaPvRmT3_T4_T5_mT6_P12ihipStream_tbENKUlT_T0_E_clISt17integral_constantIbLb1EESY_IbLb0EEEEDaSU_SV_EUlSU_E0_NS1_11comp_targetILNS1_3genE10ELNS1_11target_archE1200ELNS1_3gpuE4ELNS1_3repE0EEENS1_30default_config_static_selectorELNS0_4arch9wavefront6targetE0EEEvT1_
; %bb.0:
	.section	.rodata,"a",@progbits
	.p2align	6, 0x0
	.amdhsa_kernel _ZN7rocprim17ROCPRIM_400000_NS6detail17trampoline_kernelINS0_14default_configENS1_20scan_config_selectorIN3c107complexIfEEEEZZNS1_9scan_implILNS1_25lookback_scan_determinismE0ELb0ELb0ES3_PKS7_PS7_S7_ZZZN2at6native31launch_logcumsumexp_cuda_kernelERKNSE_10TensorBaseESI_lENKUlvE_clEvENKUlvE2_clEvEUlS7_S7_E_S7_EEDaPvRmT3_T4_T5_mT6_P12ihipStream_tbENKUlT_T0_E_clISt17integral_constantIbLb1EESY_IbLb0EEEEDaSU_SV_EUlSU_E0_NS1_11comp_targetILNS1_3genE10ELNS1_11target_archE1200ELNS1_3gpuE4ELNS1_3repE0EEENS1_30default_config_static_selectorELNS0_4arch9wavefront6targetE0EEEvT1_
		.amdhsa_group_segment_fixed_size 0
		.amdhsa_private_segment_fixed_size 0
		.amdhsa_kernarg_size 40
		.amdhsa_user_sgpr_count 2
		.amdhsa_user_sgpr_dispatch_ptr 0
		.amdhsa_user_sgpr_queue_ptr 0
		.amdhsa_user_sgpr_kernarg_segment_ptr 1
		.amdhsa_user_sgpr_dispatch_id 0
		.amdhsa_user_sgpr_private_segment_size 0
		.amdhsa_wavefront_size32 1
		.amdhsa_uses_dynamic_stack 0
		.amdhsa_enable_private_segment 0
		.amdhsa_system_sgpr_workgroup_id_x 1
		.amdhsa_system_sgpr_workgroup_id_y 0
		.amdhsa_system_sgpr_workgroup_id_z 0
		.amdhsa_system_sgpr_workgroup_info 0
		.amdhsa_system_vgpr_workitem_id 0
		.amdhsa_next_free_vgpr 1
		.amdhsa_next_free_sgpr 1
		.amdhsa_reserve_vcc 0
		.amdhsa_float_round_mode_32 0
		.amdhsa_float_round_mode_16_64 0
		.amdhsa_float_denorm_mode_32 3
		.amdhsa_float_denorm_mode_16_64 3
		.amdhsa_fp16_overflow 0
		.amdhsa_workgroup_processor_mode 1
		.amdhsa_memory_ordered 1
		.amdhsa_forward_progress 1
		.amdhsa_inst_pref_size 0
		.amdhsa_round_robin_scheduling 0
		.amdhsa_exception_fp_ieee_invalid_op 0
		.amdhsa_exception_fp_denorm_src 0
		.amdhsa_exception_fp_ieee_div_zero 0
		.amdhsa_exception_fp_ieee_overflow 0
		.amdhsa_exception_fp_ieee_underflow 0
		.amdhsa_exception_fp_ieee_inexact 0
		.amdhsa_exception_int_div_zero 0
	.end_amdhsa_kernel
	.section	.text._ZN7rocprim17ROCPRIM_400000_NS6detail17trampoline_kernelINS0_14default_configENS1_20scan_config_selectorIN3c107complexIfEEEEZZNS1_9scan_implILNS1_25lookback_scan_determinismE0ELb0ELb0ES3_PKS7_PS7_S7_ZZZN2at6native31launch_logcumsumexp_cuda_kernelERKNSE_10TensorBaseESI_lENKUlvE_clEvENKUlvE2_clEvEUlS7_S7_E_S7_EEDaPvRmT3_T4_T5_mT6_P12ihipStream_tbENKUlT_T0_E_clISt17integral_constantIbLb1EESY_IbLb0EEEEDaSU_SV_EUlSU_E0_NS1_11comp_targetILNS1_3genE10ELNS1_11target_archE1200ELNS1_3gpuE4ELNS1_3repE0EEENS1_30default_config_static_selectorELNS0_4arch9wavefront6targetE0EEEvT1_,"axG",@progbits,_ZN7rocprim17ROCPRIM_400000_NS6detail17trampoline_kernelINS0_14default_configENS1_20scan_config_selectorIN3c107complexIfEEEEZZNS1_9scan_implILNS1_25lookback_scan_determinismE0ELb0ELb0ES3_PKS7_PS7_S7_ZZZN2at6native31launch_logcumsumexp_cuda_kernelERKNSE_10TensorBaseESI_lENKUlvE_clEvENKUlvE2_clEvEUlS7_S7_E_S7_EEDaPvRmT3_T4_T5_mT6_P12ihipStream_tbENKUlT_T0_E_clISt17integral_constantIbLb1EESY_IbLb0EEEEDaSU_SV_EUlSU_E0_NS1_11comp_targetILNS1_3genE10ELNS1_11target_archE1200ELNS1_3gpuE4ELNS1_3repE0EEENS1_30default_config_static_selectorELNS0_4arch9wavefront6targetE0EEEvT1_,comdat
.Lfunc_end325:
	.size	_ZN7rocprim17ROCPRIM_400000_NS6detail17trampoline_kernelINS0_14default_configENS1_20scan_config_selectorIN3c107complexIfEEEEZZNS1_9scan_implILNS1_25lookback_scan_determinismE0ELb0ELb0ES3_PKS7_PS7_S7_ZZZN2at6native31launch_logcumsumexp_cuda_kernelERKNSE_10TensorBaseESI_lENKUlvE_clEvENKUlvE2_clEvEUlS7_S7_E_S7_EEDaPvRmT3_T4_T5_mT6_P12ihipStream_tbENKUlT_T0_E_clISt17integral_constantIbLb1EESY_IbLb0EEEEDaSU_SV_EUlSU_E0_NS1_11comp_targetILNS1_3genE10ELNS1_11target_archE1200ELNS1_3gpuE4ELNS1_3repE0EEENS1_30default_config_static_selectorELNS0_4arch9wavefront6targetE0EEEvT1_, .Lfunc_end325-_ZN7rocprim17ROCPRIM_400000_NS6detail17trampoline_kernelINS0_14default_configENS1_20scan_config_selectorIN3c107complexIfEEEEZZNS1_9scan_implILNS1_25lookback_scan_determinismE0ELb0ELb0ES3_PKS7_PS7_S7_ZZZN2at6native31launch_logcumsumexp_cuda_kernelERKNSE_10TensorBaseESI_lENKUlvE_clEvENKUlvE2_clEvEUlS7_S7_E_S7_EEDaPvRmT3_T4_T5_mT6_P12ihipStream_tbENKUlT_T0_E_clISt17integral_constantIbLb1EESY_IbLb0EEEEDaSU_SV_EUlSU_E0_NS1_11comp_targetILNS1_3genE10ELNS1_11target_archE1200ELNS1_3gpuE4ELNS1_3repE0EEENS1_30default_config_static_selectorELNS0_4arch9wavefront6targetE0EEEvT1_
                                        ; -- End function
	.set _ZN7rocprim17ROCPRIM_400000_NS6detail17trampoline_kernelINS0_14default_configENS1_20scan_config_selectorIN3c107complexIfEEEEZZNS1_9scan_implILNS1_25lookback_scan_determinismE0ELb0ELb0ES3_PKS7_PS7_S7_ZZZN2at6native31launch_logcumsumexp_cuda_kernelERKNSE_10TensorBaseESI_lENKUlvE_clEvENKUlvE2_clEvEUlS7_S7_E_S7_EEDaPvRmT3_T4_T5_mT6_P12ihipStream_tbENKUlT_T0_E_clISt17integral_constantIbLb1EESY_IbLb0EEEEDaSU_SV_EUlSU_E0_NS1_11comp_targetILNS1_3genE10ELNS1_11target_archE1200ELNS1_3gpuE4ELNS1_3repE0EEENS1_30default_config_static_selectorELNS0_4arch9wavefront6targetE0EEEvT1_.num_vgpr, 0
	.set _ZN7rocprim17ROCPRIM_400000_NS6detail17trampoline_kernelINS0_14default_configENS1_20scan_config_selectorIN3c107complexIfEEEEZZNS1_9scan_implILNS1_25lookback_scan_determinismE0ELb0ELb0ES3_PKS7_PS7_S7_ZZZN2at6native31launch_logcumsumexp_cuda_kernelERKNSE_10TensorBaseESI_lENKUlvE_clEvENKUlvE2_clEvEUlS7_S7_E_S7_EEDaPvRmT3_T4_T5_mT6_P12ihipStream_tbENKUlT_T0_E_clISt17integral_constantIbLb1EESY_IbLb0EEEEDaSU_SV_EUlSU_E0_NS1_11comp_targetILNS1_3genE10ELNS1_11target_archE1200ELNS1_3gpuE4ELNS1_3repE0EEENS1_30default_config_static_selectorELNS0_4arch9wavefront6targetE0EEEvT1_.num_agpr, 0
	.set _ZN7rocprim17ROCPRIM_400000_NS6detail17trampoline_kernelINS0_14default_configENS1_20scan_config_selectorIN3c107complexIfEEEEZZNS1_9scan_implILNS1_25lookback_scan_determinismE0ELb0ELb0ES3_PKS7_PS7_S7_ZZZN2at6native31launch_logcumsumexp_cuda_kernelERKNSE_10TensorBaseESI_lENKUlvE_clEvENKUlvE2_clEvEUlS7_S7_E_S7_EEDaPvRmT3_T4_T5_mT6_P12ihipStream_tbENKUlT_T0_E_clISt17integral_constantIbLb1EESY_IbLb0EEEEDaSU_SV_EUlSU_E0_NS1_11comp_targetILNS1_3genE10ELNS1_11target_archE1200ELNS1_3gpuE4ELNS1_3repE0EEENS1_30default_config_static_selectorELNS0_4arch9wavefront6targetE0EEEvT1_.numbered_sgpr, 0
	.set _ZN7rocprim17ROCPRIM_400000_NS6detail17trampoline_kernelINS0_14default_configENS1_20scan_config_selectorIN3c107complexIfEEEEZZNS1_9scan_implILNS1_25lookback_scan_determinismE0ELb0ELb0ES3_PKS7_PS7_S7_ZZZN2at6native31launch_logcumsumexp_cuda_kernelERKNSE_10TensorBaseESI_lENKUlvE_clEvENKUlvE2_clEvEUlS7_S7_E_S7_EEDaPvRmT3_T4_T5_mT6_P12ihipStream_tbENKUlT_T0_E_clISt17integral_constantIbLb1EESY_IbLb0EEEEDaSU_SV_EUlSU_E0_NS1_11comp_targetILNS1_3genE10ELNS1_11target_archE1200ELNS1_3gpuE4ELNS1_3repE0EEENS1_30default_config_static_selectorELNS0_4arch9wavefront6targetE0EEEvT1_.num_named_barrier, 0
	.set _ZN7rocprim17ROCPRIM_400000_NS6detail17trampoline_kernelINS0_14default_configENS1_20scan_config_selectorIN3c107complexIfEEEEZZNS1_9scan_implILNS1_25lookback_scan_determinismE0ELb0ELb0ES3_PKS7_PS7_S7_ZZZN2at6native31launch_logcumsumexp_cuda_kernelERKNSE_10TensorBaseESI_lENKUlvE_clEvENKUlvE2_clEvEUlS7_S7_E_S7_EEDaPvRmT3_T4_T5_mT6_P12ihipStream_tbENKUlT_T0_E_clISt17integral_constantIbLb1EESY_IbLb0EEEEDaSU_SV_EUlSU_E0_NS1_11comp_targetILNS1_3genE10ELNS1_11target_archE1200ELNS1_3gpuE4ELNS1_3repE0EEENS1_30default_config_static_selectorELNS0_4arch9wavefront6targetE0EEEvT1_.private_seg_size, 0
	.set _ZN7rocprim17ROCPRIM_400000_NS6detail17trampoline_kernelINS0_14default_configENS1_20scan_config_selectorIN3c107complexIfEEEEZZNS1_9scan_implILNS1_25lookback_scan_determinismE0ELb0ELb0ES3_PKS7_PS7_S7_ZZZN2at6native31launch_logcumsumexp_cuda_kernelERKNSE_10TensorBaseESI_lENKUlvE_clEvENKUlvE2_clEvEUlS7_S7_E_S7_EEDaPvRmT3_T4_T5_mT6_P12ihipStream_tbENKUlT_T0_E_clISt17integral_constantIbLb1EESY_IbLb0EEEEDaSU_SV_EUlSU_E0_NS1_11comp_targetILNS1_3genE10ELNS1_11target_archE1200ELNS1_3gpuE4ELNS1_3repE0EEENS1_30default_config_static_selectorELNS0_4arch9wavefront6targetE0EEEvT1_.uses_vcc, 0
	.set _ZN7rocprim17ROCPRIM_400000_NS6detail17trampoline_kernelINS0_14default_configENS1_20scan_config_selectorIN3c107complexIfEEEEZZNS1_9scan_implILNS1_25lookback_scan_determinismE0ELb0ELb0ES3_PKS7_PS7_S7_ZZZN2at6native31launch_logcumsumexp_cuda_kernelERKNSE_10TensorBaseESI_lENKUlvE_clEvENKUlvE2_clEvEUlS7_S7_E_S7_EEDaPvRmT3_T4_T5_mT6_P12ihipStream_tbENKUlT_T0_E_clISt17integral_constantIbLb1EESY_IbLb0EEEEDaSU_SV_EUlSU_E0_NS1_11comp_targetILNS1_3genE10ELNS1_11target_archE1200ELNS1_3gpuE4ELNS1_3repE0EEENS1_30default_config_static_selectorELNS0_4arch9wavefront6targetE0EEEvT1_.uses_flat_scratch, 0
	.set _ZN7rocprim17ROCPRIM_400000_NS6detail17trampoline_kernelINS0_14default_configENS1_20scan_config_selectorIN3c107complexIfEEEEZZNS1_9scan_implILNS1_25lookback_scan_determinismE0ELb0ELb0ES3_PKS7_PS7_S7_ZZZN2at6native31launch_logcumsumexp_cuda_kernelERKNSE_10TensorBaseESI_lENKUlvE_clEvENKUlvE2_clEvEUlS7_S7_E_S7_EEDaPvRmT3_T4_T5_mT6_P12ihipStream_tbENKUlT_T0_E_clISt17integral_constantIbLb1EESY_IbLb0EEEEDaSU_SV_EUlSU_E0_NS1_11comp_targetILNS1_3genE10ELNS1_11target_archE1200ELNS1_3gpuE4ELNS1_3repE0EEENS1_30default_config_static_selectorELNS0_4arch9wavefront6targetE0EEEvT1_.has_dyn_sized_stack, 0
	.set _ZN7rocprim17ROCPRIM_400000_NS6detail17trampoline_kernelINS0_14default_configENS1_20scan_config_selectorIN3c107complexIfEEEEZZNS1_9scan_implILNS1_25lookback_scan_determinismE0ELb0ELb0ES3_PKS7_PS7_S7_ZZZN2at6native31launch_logcumsumexp_cuda_kernelERKNSE_10TensorBaseESI_lENKUlvE_clEvENKUlvE2_clEvEUlS7_S7_E_S7_EEDaPvRmT3_T4_T5_mT6_P12ihipStream_tbENKUlT_T0_E_clISt17integral_constantIbLb1EESY_IbLb0EEEEDaSU_SV_EUlSU_E0_NS1_11comp_targetILNS1_3genE10ELNS1_11target_archE1200ELNS1_3gpuE4ELNS1_3repE0EEENS1_30default_config_static_selectorELNS0_4arch9wavefront6targetE0EEEvT1_.has_recursion, 0
	.set _ZN7rocprim17ROCPRIM_400000_NS6detail17trampoline_kernelINS0_14default_configENS1_20scan_config_selectorIN3c107complexIfEEEEZZNS1_9scan_implILNS1_25lookback_scan_determinismE0ELb0ELb0ES3_PKS7_PS7_S7_ZZZN2at6native31launch_logcumsumexp_cuda_kernelERKNSE_10TensorBaseESI_lENKUlvE_clEvENKUlvE2_clEvEUlS7_S7_E_S7_EEDaPvRmT3_T4_T5_mT6_P12ihipStream_tbENKUlT_T0_E_clISt17integral_constantIbLb1EESY_IbLb0EEEEDaSU_SV_EUlSU_E0_NS1_11comp_targetILNS1_3genE10ELNS1_11target_archE1200ELNS1_3gpuE4ELNS1_3repE0EEENS1_30default_config_static_selectorELNS0_4arch9wavefront6targetE0EEEvT1_.has_indirect_call, 0
	.section	.AMDGPU.csdata,"",@progbits
; Kernel info:
; codeLenInByte = 0
; TotalNumSgprs: 0
; NumVgprs: 0
; ScratchSize: 0
; MemoryBound: 0
; FloatMode: 240
; IeeeMode: 1
; LDSByteSize: 0 bytes/workgroup (compile time only)
; SGPRBlocks: 0
; VGPRBlocks: 0
; NumSGPRsForWavesPerEU: 1
; NumVGPRsForWavesPerEU: 1
; Occupancy: 16
; WaveLimiterHint : 0
; COMPUTE_PGM_RSRC2:SCRATCH_EN: 0
; COMPUTE_PGM_RSRC2:USER_SGPR: 2
; COMPUTE_PGM_RSRC2:TRAP_HANDLER: 0
; COMPUTE_PGM_RSRC2:TGID_X_EN: 1
; COMPUTE_PGM_RSRC2:TGID_Y_EN: 0
; COMPUTE_PGM_RSRC2:TGID_Z_EN: 0
; COMPUTE_PGM_RSRC2:TIDIG_COMP_CNT: 0
	.section	.text._ZN7rocprim17ROCPRIM_400000_NS6detail17trampoline_kernelINS0_14default_configENS1_20scan_config_selectorIN3c107complexIfEEEEZZNS1_9scan_implILNS1_25lookback_scan_determinismE0ELb0ELb0ES3_PKS7_PS7_S7_ZZZN2at6native31launch_logcumsumexp_cuda_kernelERKNSE_10TensorBaseESI_lENKUlvE_clEvENKUlvE2_clEvEUlS7_S7_E_S7_EEDaPvRmT3_T4_T5_mT6_P12ihipStream_tbENKUlT_T0_E_clISt17integral_constantIbLb1EESY_IbLb0EEEEDaSU_SV_EUlSU_E0_NS1_11comp_targetILNS1_3genE9ELNS1_11target_archE1100ELNS1_3gpuE3ELNS1_3repE0EEENS1_30default_config_static_selectorELNS0_4arch9wavefront6targetE0EEEvT1_,"axG",@progbits,_ZN7rocprim17ROCPRIM_400000_NS6detail17trampoline_kernelINS0_14default_configENS1_20scan_config_selectorIN3c107complexIfEEEEZZNS1_9scan_implILNS1_25lookback_scan_determinismE0ELb0ELb0ES3_PKS7_PS7_S7_ZZZN2at6native31launch_logcumsumexp_cuda_kernelERKNSE_10TensorBaseESI_lENKUlvE_clEvENKUlvE2_clEvEUlS7_S7_E_S7_EEDaPvRmT3_T4_T5_mT6_P12ihipStream_tbENKUlT_T0_E_clISt17integral_constantIbLb1EESY_IbLb0EEEEDaSU_SV_EUlSU_E0_NS1_11comp_targetILNS1_3genE9ELNS1_11target_archE1100ELNS1_3gpuE3ELNS1_3repE0EEENS1_30default_config_static_selectorELNS0_4arch9wavefront6targetE0EEEvT1_,comdat
	.globl	_ZN7rocprim17ROCPRIM_400000_NS6detail17trampoline_kernelINS0_14default_configENS1_20scan_config_selectorIN3c107complexIfEEEEZZNS1_9scan_implILNS1_25lookback_scan_determinismE0ELb0ELb0ES3_PKS7_PS7_S7_ZZZN2at6native31launch_logcumsumexp_cuda_kernelERKNSE_10TensorBaseESI_lENKUlvE_clEvENKUlvE2_clEvEUlS7_S7_E_S7_EEDaPvRmT3_T4_T5_mT6_P12ihipStream_tbENKUlT_T0_E_clISt17integral_constantIbLb1EESY_IbLb0EEEEDaSU_SV_EUlSU_E0_NS1_11comp_targetILNS1_3genE9ELNS1_11target_archE1100ELNS1_3gpuE3ELNS1_3repE0EEENS1_30default_config_static_selectorELNS0_4arch9wavefront6targetE0EEEvT1_ ; -- Begin function _ZN7rocprim17ROCPRIM_400000_NS6detail17trampoline_kernelINS0_14default_configENS1_20scan_config_selectorIN3c107complexIfEEEEZZNS1_9scan_implILNS1_25lookback_scan_determinismE0ELb0ELb0ES3_PKS7_PS7_S7_ZZZN2at6native31launch_logcumsumexp_cuda_kernelERKNSE_10TensorBaseESI_lENKUlvE_clEvENKUlvE2_clEvEUlS7_S7_E_S7_EEDaPvRmT3_T4_T5_mT6_P12ihipStream_tbENKUlT_T0_E_clISt17integral_constantIbLb1EESY_IbLb0EEEEDaSU_SV_EUlSU_E0_NS1_11comp_targetILNS1_3genE9ELNS1_11target_archE1100ELNS1_3gpuE3ELNS1_3repE0EEENS1_30default_config_static_selectorELNS0_4arch9wavefront6targetE0EEEvT1_
	.p2align	8
	.type	_ZN7rocprim17ROCPRIM_400000_NS6detail17trampoline_kernelINS0_14default_configENS1_20scan_config_selectorIN3c107complexIfEEEEZZNS1_9scan_implILNS1_25lookback_scan_determinismE0ELb0ELb0ES3_PKS7_PS7_S7_ZZZN2at6native31launch_logcumsumexp_cuda_kernelERKNSE_10TensorBaseESI_lENKUlvE_clEvENKUlvE2_clEvEUlS7_S7_E_S7_EEDaPvRmT3_T4_T5_mT6_P12ihipStream_tbENKUlT_T0_E_clISt17integral_constantIbLb1EESY_IbLb0EEEEDaSU_SV_EUlSU_E0_NS1_11comp_targetILNS1_3genE9ELNS1_11target_archE1100ELNS1_3gpuE3ELNS1_3repE0EEENS1_30default_config_static_selectorELNS0_4arch9wavefront6targetE0EEEvT1_,@function
_ZN7rocprim17ROCPRIM_400000_NS6detail17trampoline_kernelINS0_14default_configENS1_20scan_config_selectorIN3c107complexIfEEEEZZNS1_9scan_implILNS1_25lookback_scan_determinismE0ELb0ELb0ES3_PKS7_PS7_S7_ZZZN2at6native31launch_logcumsumexp_cuda_kernelERKNSE_10TensorBaseESI_lENKUlvE_clEvENKUlvE2_clEvEUlS7_S7_E_S7_EEDaPvRmT3_T4_T5_mT6_P12ihipStream_tbENKUlT_T0_E_clISt17integral_constantIbLb1EESY_IbLb0EEEEDaSU_SV_EUlSU_E0_NS1_11comp_targetILNS1_3genE9ELNS1_11target_archE1100ELNS1_3gpuE3ELNS1_3repE0EEENS1_30default_config_static_selectorELNS0_4arch9wavefront6targetE0EEEvT1_: ; @_ZN7rocprim17ROCPRIM_400000_NS6detail17trampoline_kernelINS0_14default_configENS1_20scan_config_selectorIN3c107complexIfEEEEZZNS1_9scan_implILNS1_25lookback_scan_determinismE0ELb0ELb0ES3_PKS7_PS7_S7_ZZZN2at6native31launch_logcumsumexp_cuda_kernelERKNSE_10TensorBaseESI_lENKUlvE_clEvENKUlvE2_clEvEUlS7_S7_E_S7_EEDaPvRmT3_T4_T5_mT6_P12ihipStream_tbENKUlT_T0_E_clISt17integral_constantIbLb1EESY_IbLb0EEEEDaSU_SV_EUlSU_E0_NS1_11comp_targetILNS1_3genE9ELNS1_11target_archE1100ELNS1_3gpuE3ELNS1_3repE0EEENS1_30default_config_static_selectorELNS0_4arch9wavefront6targetE0EEEvT1_
; %bb.0:
	.section	.rodata,"a",@progbits
	.p2align	6, 0x0
	.amdhsa_kernel _ZN7rocprim17ROCPRIM_400000_NS6detail17trampoline_kernelINS0_14default_configENS1_20scan_config_selectorIN3c107complexIfEEEEZZNS1_9scan_implILNS1_25lookback_scan_determinismE0ELb0ELb0ES3_PKS7_PS7_S7_ZZZN2at6native31launch_logcumsumexp_cuda_kernelERKNSE_10TensorBaseESI_lENKUlvE_clEvENKUlvE2_clEvEUlS7_S7_E_S7_EEDaPvRmT3_T4_T5_mT6_P12ihipStream_tbENKUlT_T0_E_clISt17integral_constantIbLb1EESY_IbLb0EEEEDaSU_SV_EUlSU_E0_NS1_11comp_targetILNS1_3genE9ELNS1_11target_archE1100ELNS1_3gpuE3ELNS1_3repE0EEENS1_30default_config_static_selectorELNS0_4arch9wavefront6targetE0EEEvT1_
		.amdhsa_group_segment_fixed_size 0
		.amdhsa_private_segment_fixed_size 0
		.amdhsa_kernarg_size 40
		.amdhsa_user_sgpr_count 2
		.amdhsa_user_sgpr_dispatch_ptr 0
		.amdhsa_user_sgpr_queue_ptr 0
		.amdhsa_user_sgpr_kernarg_segment_ptr 1
		.amdhsa_user_sgpr_dispatch_id 0
		.amdhsa_user_sgpr_private_segment_size 0
		.amdhsa_wavefront_size32 1
		.amdhsa_uses_dynamic_stack 0
		.amdhsa_enable_private_segment 0
		.amdhsa_system_sgpr_workgroup_id_x 1
		.amdhsa_system_sgpr_workgroup_id_y 0
		.amdhsa_system_sgpr_workgroup_id_z 0
		.amdhsa_system_sgpr_workgroup_info 0
		.amdhsa_system_vgpr_workitem_id 0
		.amdhsa_next_free_vgpr 1
		.amdhsa_next_free_sgpr 1
		.amdhsa_reserve_vcc 0
		.amdhsa_float_round_mode_32 0
		.amdhsa_float_round_mode_16_64 0
		.amdhsa_float_denorm_mode_32 3
		.amdhsa_float_denorm_mode_16_64 3
		.amdhsa_fp16_overflow 0
		.amdhsa_workgroup_processor_mode 1
		.amdhsa_memory_ordered 1
		.amdhsa_forward_progress 1
		.amdhsa_inst_pref_size 0
		.amdhsa_round_robin_scheduling 0
		.amdhsa_exception_fp_ieee_invalid_op 0
		.amdhsa_exception_fp_denorm_src 0
		.amdhsa_exception_fp_ieee_div_zero 0
		.amdhsa_exception_fp_ieee_overflow 0
		.amdhsa_exception_fp_ieee_underflow 0
		.amdhsa_exception_fp_ieee_inexact 0
		.amdhsa_exception_int_div_zero 0
	.end_amdhsa_kernel
	.section	.text._ZN7rocprim17ROCPRIM_400000_NS6detail17trampoline_kernelINS0_14default_configENS1_20scan_config_selectorIN3c107complexIfEEEEZZNS1_9scan_implILNS1_25lookback_scan_determinismE0ELb0ELb0ES3_PKS7_PS7_S7_ZZZN2at6native31launch_logcumsumexp_cuda_kernelERKNSE_10TensorBaseESI_lENKUlvE_clEvENKUlvE2_clEvEUlS7_S7_E_S7_EEDaPvRmT3_T4_T5_mT6_P12ihipStream_tbENKUlT_T0_E_clISt17integral_constantIbLb1EESY_IbLb0EEEEDaSU_SV_EUlSU_E0_NS1_11comp_targetILNS1_3genE9ELNS1_11target_archE1100ELNS1_3gpuE3ELNS1_3repE0EEENS1_30default_config_static_selectorELNS0_4arch9wavefront6targetE0EEEvT1_,"axG",@progbits,_ZN7rocprim17ROCPRIM_400000_NS6detail17trampoline_kernelINS0_14default_configENS1_20scan_config_selectorIN3c107complexIfEEEEZZNS1_9scan_implILNS1_25lookback_scan_determinismE0ELb0ELb0ES3_PKS7_PS7_S7_ZZZN2at6native31launch_logcumsumexp_cuda_kernelERKNSE_10TensorBaseESI_lENKUlvE_clEvENKUlvE2_clEvEUlS7_S7_E_S7_EEDaPvRmT3_T4_T5_mT6_P12ihipStream_tbENKUlT_T0_E_clISt17integral_constantIbLb1EESY_IbLb0EEEEDaSU_SV_EUlSU_E0_NS1_11comp_targetILNS1_3genE9ELNS1_11target_archE1100ELNS1_3gpuE3ELNS1_3repE0EEENS1_30default_config_static_selectorELNS0_4arch9wavefront6targetE0EEEvT1_,comdat
.Lfunc_end326:
	.size	_ZN7rocprim17ROCPRIM_400000_NS6detail17trampoline_kernelINS0_14default_configENS1_20scan_config_selectorIN3c107complexIfEEEEZZNS1_9scan_implILNS1_25lookback_scan_determinismE0ELb0ELb0ES3_PKS7_PS7_S7_ZZZN2at6native31launch_logcumsumexp_cuda_kernelERKNSE_10TensorBaseESI_lENKUlvE_clEvENKUlvE2_clEvEUlS7_S7_E_S7_EEDaPvRmT3_T4_T5_mT6_P12ihipStream_tbENKUlT_T0_E_clISt17integral_constantIbLb1EESY_IbLb0EEEEDaSU_SV_EUlSU_E0_NS1_11comp_targetILNS1_3genE9ELNS1_11target_archE1100ELNS1_3gpuE3ELNS1_3repE0EEENS1_30default_config_static_selectorELNS0_4arch9wavefront6targetE0EEEvT1_, .Lfunc_end326-_ZN7rocprim17ROCPRIM_400000_NS6detail17trampoline_kernelINS0_14default_configENS1_20scan_config_selectorIN3c107complexIfEEEEZZNS1_9scan_implILNS1_25lookback_scan_determinismE0ELb0ELb0ES3_PKS7_PS7_S7_ZZZN2at6native31launch_logcumsumexp_cuda_kernelERKNSE_10TensorBaseESI_lENKUlvE_clEvENKUlvE2_clEvEUlS7_S7_E_S7_EEDaPvRmT3_T4_T5_mT6_P12ihipStream_tbENKUlT_T0_E_clISt17integral_constantIbLb1EESY_IbLb0EEEEDaSU_SV_EUlSU_E0_NS1_11comp_targetILNS1_3genE9ELNS1_11target_archE1100ELNS1_3gpuE3ELNS1_3repE0EEENS1_30default_config_static_selectorELNS0_4arch9wavefront6targetE0EEEvT1_
                                        ; -- End function
	.set _ZN7rocprim17ROCPRIM_400000_NS6detail17trampoline_kernelINS0_14default_configENS1_20scan_config_selectorIN3c107complexIfEEEEZZNS1_9scan_implILNS1_25lookback_scan_determinismE0ELb0ELb0ES3_PKS7_PS7_S7_ZZZN2at6native31launch_logcumsumexp_cuda_kernelERKNSE_10TensorBaseESI_lENKUlvE_clEvENKUlvE2_clEvEUlS7_S7_E_S7_EEDaPvRmT3_T4_T5_mT6_P12ihipStream_tbENKUlT_T0_E_clISt17integral_constantIbLb1EESY_IbLb0EEEEDaSU_SV_EUlSU_E0_NS1_11comp_targetILNS1_3genE9ELNS1_11target_archE1100ELNS1_3gpuE3ELNS1_3repE0EEENS1_30default_config_static_selectorELNS0_4arch9wavefront6targetE0EEEvT1_.num_vgpr, 0
	.set _ZN7rocprim17ROCPRIM_400000_NS6detail17trampoline_kernelINS0_14default_configENS1_20scan_config_selectorIN3c107complexIfEEEEZZNS1_9scan_implILNS1_25lookback_scan_determinismE0ELb0ELb0ES3_PKS7_PS7_S7_ZZZN2at6native31launch_logcumsumexp_cuda_kernelERKNSE_10TensorBaseESI_lENKUlvE_clEvENKUlvE2_clEvEUlS7_S7_E_S7_EEDaPvRmT3_T4_T5_mT6_P12ihipStream_tbENKUlT_T0_E_clISt17integral_constantIbLb1EESY_IbLb0EEEEDaSU_SV_EUlSU_E0_NS1_11comp_targetILNS1_3genE9ELNS1_11target_archE1100ELNS1_3gpuE3ELNS1_3repE0EEENS1_30default_config_static_selectorELNS0_4arch9wavefront6targetE0EEEvT1_.num_agpr, 0
	.set _ZN7rocprim17ROCPRIM_400000_NS6detail17trampoline_kernelINS0_14default_configENS1_20scan_config_selectorIN3c107complexIfEEEEZZNS1_9scan_implILNS1_25lookback_scan_determinismE0ELb0ELb0ES3_PKS7_PS7_S7_ZZZN2at6native31launch_logcumsumexp_cuda_kernelERKNSE_10TensorBaseESI_lENKUlvE_clEvENKUlvE2_clEvEUlS7_S7_E_S7_EEDaPvRmT3_T4_T5_mT6_P12ihipStream_tbENKUlT_T0_E_clISt17integral_constantIbLb1EESY_IbLb0EEEEDaSU_SV_EUlSU_E0_NS1_11comp_targetILNS1_3genE9ELNS1_11target_archE1100ELNS1_3gpuE3ELNS1_3repE0EEENS1_30default_config_static_selectorELNS0_4arch9wavefront6targetE0EEEvT1_.numbered_sgpr, 0
	.set _ZN7rocprim17ROCPRIM_400000_NS6detail17trampoline_kernelINS0_14default_configENS1_20scan_config_selectorIN3c107complexIfEEEEZZNS1_9scan_implILNS1_25lookback_scan_determinismE0ELb0ELb0ES3_PKS7_PS7_S7_ZZZN2at6native31launch_logcumsumexp_cuda_kernelERKNSE_10TensorBaseESI_lENKUlvE_clEvENKUlvE2_clEvEUlS7_S7_E_S7_EEDaPvRmT3_T4_T5_mT6_P12ihipStream_tbENKUlT_T0_E_clISt17integral_constantIbLb1EESY_IbLb0EEEEDaSU_SV_EUlSU_E0_NS1_11comp_targetILNS1_3genE9ELNS1_11target_archE1100ELNS1_3gpuE3ELNS1_3repE0EEENS1_30default_config_static_selectorELNS0_4arch9wavefront6targetE0EEEvT1_.num_named_barrier, 0
	.set _ZN7rocprim17ROCPRIM_400000_NS6detail17trampoline_kernelINS0_14default_configENS1_20scan_config_selectorIN3c107complexIfEEEEZZNS1_9scan_implILNS1_25lookback_scan_determinismE0ELb0ELb0ES3_PKS7_PS7_S7_ZZZN2at6native31launch_logcumsumexp_cuda_kernelERKNSE_10TensorBaseESI_lENKUlvE_clEvENKUlvE2_clEvEUlS7_S7_E_S7_EEDaPvRmT3_T4_T5_mT6_P12ihipStream_tbENKUlT_T0_E_clISt17integral_constantIbLb1EESY_IbLb0EEEEDaSU_SV_EUlSU_E0_NS1_11comp_targetILNS1_3genE9ELNS1_11target_archE1100ELNS1_3gpuE3ELNS1_3repE0EEENS1_30default_config_static_selectorELNS0_4arch9wavefront6targetE0EEEvT1_.private_seg_size, 0
	.set _ZN7rocprim17ROCPRIM_400000_NS6detail17trampoline_kernelINS0_14default_configENS1_20scan_config_selectorIN3c107complexIfEEEEZZNS1_9scan_implILNS1_25lookback_scan_determinismE0ELb0ELb0ES3_PKS7_PS7_S7_ZZZN2at6native31launch_logcumsumexp_cuda_kernelERKNSE_10TensorBaseESI_lENKUlvE_clEvENKUlvE2_clEvEUlS7_S7_E_S7_EEDaPvRmT3_T4_T5_mT6_P12ihipStream_tbENKUlT_T0_E_clISt17integral_constantIbLb1EESY_IbLb0EEEEDaSU_SV_EUlSU_E0_NS1_11comp_targetILNS1_3genE9ELNS1_11target_archE1100ELNS1_3gpuE3ELNS1_3repE0EEENS1_30default_config_static_selectorELNS0_4arch9wavefront6targetE0EEEvT1_.uses_vcc, 0
	.set _ZN7rocprim17ROCPRIM_400000_NS6detail17trampoline_kernelINS0_14default_configENS1_20scan_config_selectorIN3c107complexIfEEEEZZNS1_9scan_implILNS1_25lookback_scan_determinismE0ELb0ELb0ES3_PKS7_PS7_S7_ZZZN2at6native31launch_logcumsumexp_cuda_kernelERKNSE_10TensorBaseESI_lENKUlvE_clEvENKUlvE2_clEvEUlS7_S7_E_S7_EEDaPvRmT3_T4_T5_mT6_P12ihipStream_tbENKUlT_T0_E_clISt17integral_constantIbLb1EESY_IbLb0EEEEDaSU_SV_EUlSU_E0_NS1_11comp_targetILNS1_3genE9ELNS1_11target_archE1100ELNS1_3gpuE3ELNS1_3repE0EEENS1_30default_config_static_selectorELNS0_4arch9wavefront6targetE0EEEvT1_.uses_flat_scratch, 0
	.set _ZN7rocprim17ROCPRIM_400000_NS6detail17trampoline_kernelINS0_14default_configENS1_20scan_config_selectorIN3c107complexIfEEEEZZNS1_9scan_implILNS1_25lookback_scan_determinismE0ELb0ELb0ES3_PKS7_PS7_S7_ZZZN2at6native31launch_logcumsumexp_cuda_kernelERKNSE_10TensorBaseESI_lENKUlvE_clEvENKUlvE2_clEvEUlS7_S7_E_S7_EEDaPvRmT3_T4_T5_mT6_P12ihipStream_tbENKUlT_T0_E_clISt17integral_constantIbLb1EESY_IbLb0EEEEDaSU_SV_EUlSU_E0_NS1_11comp_targetILNS1_3genE9ELNS1_11target_archE1100ELNS1_3gpuE3ELNS1_3repE0EEENS1_30default_config_static_selectorELNS0_4arch9wavefront6targetE0EEEvT1_.has_dyn_sized_stack, 0
	.set _ZN7rocprim17ROCPRIM_400000_NS6detail17trampoline_kernelINS0_14default_configENS1_20scan_config_selectorIN3c107complexIfEEEEZZNS1_9scan_implILNS1_25lookback_scan_determinismE0ELb0ELb0ES3_PKS7_PS7_S7_ZZZN2at6native31launch_logcumsumexp_cuda_kernelERKNSE_10TensorBaseESI_lENKUlvE_clEvENKUlvE2_clEvEUlS7_S7_E_S7_EEDaPvRmT3_T4_T5_mT6_P12ihipStream_tbENKUlT_T0_E_clISt17integral_constantIbLb1EESY_IbLb0EEEEDaSU_SV_EUlSU_E0_NS1_11comp_targetILNS1_3genE9ELNS1_11target_archE1100ELNS1_3gpuE3ELNS1_3repE0EEENS1_30default_config_static_selectorELNS0_4arch9wavefront6targetE0EEEvT1_.has_recursion, 0
	.set _ZN7rocprim17ROCPRIM_400000_NS6detail17trampoline_kernelINS0_14default_configENS1_20scan_config_selectorIN3c107complexIfEEEEZZNS1_9scan_implILNS1_25lookback_scan_determinismE0ELb0ELb0ES3_PKS7_PS7_S7_ZZZN2at6native31launch_logcumsumexp_cuda_kernelERKNSE_10TensorBaseESI_lENKUlvE_clEvENKUlvE2_clEvEUlS7_S7_E_S7_EEDaPvRmT3_T4_T5_mT6_P12ihipStream_tbENKUlT_T0_E_clISt17integral_constantIbLb1EESY_IbLb0EEEEDaSU_SV_EUlSU_E0_NS1_11comp_targetILNS1_3genE9ELNS1_11target_archE1100ELNS1_3gpuE3ELNS1_3repE0EEENS1_30default_config_static_selectorELNS0_4arch9wavefront6targetE0EEEvT1_.has_indirect_call, 0
	.section	.AMDGPU.csdata,"",@progbits
; Kernel info:
; codeLenInByte = 0
; TotalNumSgprs: 0
; NumVgprs: 0
; ScratchSize: 0
; MemoryBound: 0
; FloatMode: 240
; IeeeMode: 1
; LDSByteSize: 0 bytes/workgroup (compile time only)
; SGPRBlocks: 0
; VGPRBlocks: 0
; NumSGPRsForWavesPerEU: 1
; NumVGPRsForWavesPerEU: 1
; Occupancy: 16
; WaveLimiterHint : 0
; COMPUTE_PGM_RSRC2:SCRATCH_EN: 0
; COMPUTE_PGM_RSRC2:USER_SGPR: 2
; COMPUTE_PGM_RSRC2:TRAP_HANDLER: 0
; COMPUTE_PGM_RSRC2:TGID_X_EN: 1
; COMPUTE_PGM_RSRC2:TGID_Y_EN: 0
; COMPUTE_PGM_RSRC2:TGID_Z_EN: 0
; COMPUTE_PGM_RSRC2:TIDIG_COMP_CNT: 0
	.section	.text._ZN7rocprim17ROCPRIM_400000_NS6detail17trampoline_kernelINS0_14default_configENS1_20scan_config_selectorIN3c107complexIfEEEEZZNS1_9scan_implILNS1_25lookback_scan_determinismE0ELb0ELb0ES3_PKS7_PS7_S7_ZZZN2at6native31launch_logcumsumexp_cuda_kernelERKNSE_10TensorBaseESI_lENKUlvE_clEvENKUlvE2_clEvEUlS7_S7_E_S7_EEDaPvRmT3_T4_T5_mT6_P12ihipStream_tbENKUlT_T0_E_clISt17integral_constantIbLb1EESY_IbLb0EEEEDaSU_SV_EUlSU_E0_NS1_11comp_targetILNS1_3genE8ELNS1_11target_archE1030ELNS1_3gpuE2ELNS1_3repE0EEENS1_30default_config_static_selectorELNS0_4arch9wavefront6targetE0EEEvT1_,"axG",@progbits,_ZN7rocprim17ROCPRIM_400000_NS6detail17trampoline_kernelINS0_14default_configENS1_20scan_config_selectorIN3c107complexIfEEEEZZNS1_9scan_implILNS1_25lookback_scan_determinismE0ELb0ELb0ES3_PKS7_PS7_S7_ZZZN2at6native31launch_logcumsumexp_cuda_kernelERKNSE_10TensorBaseESI_lENKUlvE_clEvENKUlvE2_clEvEUlS7_S7_E_S7_EEDaPvRmT3_T4_T5_mT6_P12ihipStream_tbENKUlT_T0_E_clISt17integral_constantIbLb1EESY_IbLb0EEEEDaSU_SV_EUlSU_E0_NS1_11comp_targetILNS1_3genE8ELNS1_11target_archE1030ELNS1_3gpuE2ELNS1_3repE0EEENS1_30default_config_static_selectorELNS0_4arch9wavefront6targetE0EEEvT1_,comdat
	.globl	_ZN7rocprim17ROCPRIM_400000_NS6detail17trampoline_kernelINS0_14default_configENS1_20scan_config_selectorIN3c107complexIfEEEEZZNS1_9scan_implILNS1_25lookback_scan_determinismE0ELb0ELb0ES3_PKS7_PS7_S7_ZZZN2at6native31launch_logcumsumexp_cuda_kernelERKNSE_10TensorBaseESI_lENKUlvE_clEvENKUlvE2_clEvEUlS7_S7_E_S7_EEDaPvRmT3_T4_T5_mT6_P12ihipStream_tbENKUlT_T0_E_clISt17integral_constantIbLb1EESY_IbLb0EEEEDaSU_SV_EUlSU_E0_NS1_11comp_targetILNS1_3genE8ELNS1_11target_archE1030ELNS1_3gpuE2ELNS1_3repE0EEENS1_30default_config_static_selectorELNS0_4arch9wavefront6targetE0EEEvT1_ ; -- Begin function _ZN7rocprim17ROCPRIM_400000_NS6detail17trampoline_kernelINS0_14default_configENS1_20scan_config_selectorIN3c107complexIfEEEEZZNS1_9scan_implILNS1_25lookback_scan_determinismE0ELb0ELb0ES3_PKS7_PS7_S7_ZZZN2at6native31launch_logcumsumexp_cuda_kernelERKNSE_10TensorBaseESI_lENKUlvE_clEvENKUlvE2_clEvEUlS7_S7_E_S7_EEDaPvRmT3_T4_T5_mT6_P12ihipStream_tbENKUlT_T0_E_clISt17integral_constantIbLb1EESY_IbLb0EEEEDaSU_SV_EUlSU_E0_NS1_11comp_targetILNS1_3genE8ELNS1_11target_archE1030ELNS1_3gpuE2ELNS1_3repE0EEENS1_30default_config_static_selectorELNS0_4arch9wavefront6targetE0EEEvT1_
	.p2align	8
	.type	_ZN7rocprim17ROCPRIM_400000_NS6detail17trampoline_kernelINS0_14default_configENS1_20scan_config_selectorIN3c107complexIfEEEEZZNS1_9scan_implILNS1_25lookback_scan_determinismE0ELb0ELb0ES3_PKS7_PS7_S7_ZZZN2at6native31launch_logcumsumexp_cuda_kernelERKNSE_10TensorBaseESI_lENKUlvE_clEvENKUlvE2_clEvEUlS7_S7_E_S7_EEDaPvRmT3_T4_T5_mT6_P12ihipStream_tbENKUlT_T0_E_clISt17integral_constantIbLb1EESY_IbLb0EEEEDaSU_SV_EUlSU_E0_NS1_11comp_targetILNS1_3genE8ELNS1_11target_archE1030ELNS1_3gpuE2ELNS1_3repE0EEENS1_30default_config_static_selectorELNS0_4arch9wavefront6targetE0EEEvT1_,@function
_ZN7rocprim17ROCPRIM_400000_NS6detail17trampoline_kernelINS0_14default_configENS1_20scan_config_selectorIN3c107complexIfEEEEZZNS1_9scan_implILNS1_25lookback_scan_determinismE0ELb0ELb0ES3_PKS7_PS7_S7_ZZZN2at6native31launch_logcumsumexp_cuda_kernelERKNSE_10TensorBaseESI_lENKUlvE_clEvENKUlvE2_clEvEUlS7_S7_E_S7_EEDaPvRmT3_T4_T5_mT6_P12ihipStream_tbENKUlT_T0_E_clISt17integral_constantIbLb1EESY_IbLb0EEEEDaSU_SV_EUlSU_E0_NS1_11comp_targetILNS1_3genE8ELNS1_11target_archE1030ELNS1_3gpuE2ELNS1_3repE0EEENS1_30default_config_static_selectorELNS0_4arch9wavefront6targetE0EEEvT1_: ; @_ZN7rocprim17ROCPRIM_400000_NS6detail17trampoline_kernelINS0_14default_configENS1_20scan_config_selectorIN3c107complexIfEEEEZZNS1_9scan_implILNS1_25lookback_scan_determinismE0ELb0ELb0ES3_PKS7_PS7_S7_ZZZN2at6native31launch_logcumsumexp_cuda_kernelERKNSE_10TensorBaseESI_lENKUlvE_clEvENKUlvE2_clEvEUlS7_S7_E_S7_EEDaPvRmT3_T4_T5_mT6_P12ihipStream_tbENKUlT_T0_E_clISt17integral_constantIbLb1EESY_IbLb0EEEEDaSU_SV_EUlSU_E0_NS1_11comp_targetILNS1_3genE8ELNS1_11target_archE1030ELNS1_3gpuE2ELNS1_3repE0EEENS1_30default_config_static_selectorELNS0_4arch9wavefront6targetE0EEEvT1_
; %bb.0:
	.section	.rodata,"a",@progbits
	.p2align	6, 0x0
	.amdhsa_kernel _ZN7rocprim17ROCPRIM_400000_NS6detail17trampoline_kernelINS0_14default_configENS1_20scan_config_selectorIN3c107complexIfEEEEZZNS1_9scan_implILNS1_25lookback_scan_determinismE0ELb0ELb0ES3_PKS7_PS7_S7_ZZZN2at6native31launch_logcumsumexp_cuda_kernelERKNSE_10TensorBaseESI_lENKUlvE_clEvENKUlvE2_clEvEUlS7_S7_E_S7_EEDaPvRmT3_T4_T5_mT6_P12ihipStream_tbENKUlT_T0_E_clISt17integral_constantIbLb1EESY_IbLb0EEEEDaSU_SV_EUlSU_E0_NS1_11comp_targetILNS1_3genE8ELNS1_11target_archE1030ELNS1_3gpuE2ELNS1_3repE0EEENS1_30default_config_static_selectorELNS0_4arch9wavefront6targetE0EEEvT1_
		.amdhsa_group_segment_fixed_size 0
		.amdhsa_private_segment_fixed_size 0
		.amdhsa_kernarg_size 40
		.amdhsa_user_sgpr_count 2
		.amdhsa_user_sgpr_dispatch_ptr 0
		.amdhsa_user_sgpr_queue_ptr 0
		.amdhsa_user_sgpr_kernarg_segment_ptr 1
		.amdhsa_user_sgpr_dispatch_id 0
		.amdhsa_user_sgpr_private_segment_size 0
		.amdhsa_wavefront_size32 1
		.amdhsa_uses_dynamic_stack 0
		.amdhsa_enable_private_segment 0
		.amdhsa_system_sgpr_workgroup_id_x 1
		.amdhsa_system_sgpr_workgroup_id_y 0
		.amdhsa_system_sgpr_workgroup_id_z 0
		.amdhsa_system_sgpr_workgroup_info 0
		.amdhsa_system_vgpr_workitem_id 0
		.amdhsa_next_free_vgpr 1
		.amdhsa_next_free_sgpr 1
		.amdhsa_reserve_vcc 0
		.amdhsa_float_round_mode_32 0
		.amdhsa_float_round_mode_16_64 0
		.amdhsa_float_denorm_mode_32 3
		.amdhsa_float_denorm_mode_16_64 3
		.amdhsa_fp16_overflow 0
		.amdhsa_workgroup_processor_mode 1
		.amdhsa_memory_ordered 1
		.amdhsa_forward_progress 1
		.amdhsa_inst_pref_size 0
		.amdhsa_round_robin_scheduling 0
		.amdhsa_exception_fp_ieee_invalid_op 0
		.amdhsa_exception_fp_denorm_src 0
		.amdhsa_exception_fp_ieee_div_zero 0
		.amdhsa_exception_fp_ieee_overflow 0
		.amdhsa_exception_fp_ieee_underflow 0
		.amdhsa_exception_fp_ieee_inexact 0
		.amdhsa_exception_int_div_zero 0
	.end_amdhsa_kernel
	.section	.text._ZN7rocprim17ROCPRIM_400000_NS6detail17trampoline_kernelINS0_14default_configENS1_20scan_config_selectorIN3c107complexIfEEEEZZNS1_9scan_implILNS1_25lookback_scan_determinismE0ELb0ELb0ES3_PKS7_PS7_S7_ZZZN2at6native31launch_logcumsumexp_cuda_kernelERKNSE_10TensorBaseESI_lENKUlvE_clEvENKUlvE2_clEvEUlS7_S7_E_S7_EEDaPvRmT3_T4_T5_mT6_P12ihipStream_tbENKUlT_T0_E_clISt17integral_constantIbLb1EESY_IbLb0EEEEDaSU_SV_EUlSU_E0_NS1_11comp_targetILNS1_3genE8ELNS1_11target_archE1030ELNS1_3gpuE2ELNS1_3repE0EEENS1_30default_config_static_selectorELNS0_4arch9wavefront6targetE0EEEvT1_,"axG",@progbits,_ZN7rocprim17ROCPRIM_400000_NS6detail17trampoline_kernelINS0_14default_configENS1_20scan_config_selectorIN3c107complexIfEEEEZZNS1_9scan_implILNS1_25lookback_scan_determinismE0ELb0ELb0ES3_PKS7_PS7_S7_ZZZN2at6native31launch_logcumsumexp_cuda_kernelERKNSE_10TensorBaseESI_lENKUlvE_clEvENKUlvE2_clEvEUlS7_S7_E_S7_EEDaPvRmT3_T4_T5_mT6_P12ihipStream_tbENKUlT_T0_E_clISt17integral_constantIbLb1EESY_IbLb0EEEEDaSU_SV_EUlSU_E0_NS1_11comp_targetILNS1_3genE8ELNS1_11target_archE1030ELNS1_3gpuE2ELNS1_3repE0EEENS1_30default_config_static_selectorELNS0_4arch9wavefront6targetE0EEEvT1_,comdat
.Lfunc_end327:
	.size	_ZN7rocprim17ROCPRIM_400000_NS6detail17trampoline_kernelINS0_14default_configENS1_20scan_config_selectorIN3c107complexIfEEEEZZNS1_9scan_implILNS1_25lookback_scan_determinismE0ELb0ELb0ES3_PKS7_PS7_S7_ZZZN2at6native31launch_logcumsumexp_cuda_kernelERKNSE_10TensorBaseESI_lENKUlvE_clEvENKUlvE2_clEvEUlS7_S7_E_S7_EEDaPvRmT3_T4_T5_mT6_P12ihipStream_tbENKUlT_T0_E_clISt17integral_constantIbLb1EESY_IbLb0EEEEDaSU_SV_EUlSU_E0_NS1_11comp_targetILNS1_3genE8ELNS1_11target_archE1030ELNS1_3gpuE2ELNS1_3repE0EEENS1_30default_config_static_selectorELNS0_4arch9wavefront6targetE0EEEvT1_, .Lfunc_end327-_ZN7rocprim17ROCPRIM_400000_NS6detail17trampoline_kernelINS0_14default_configENS1_20scan_config_selectorIN3c107complexIfEEEEZZNS1_9scan_implILNS1_25lookback_scan_determinismE0ELb0ELb0ES3_PKS7_PS7_S7_ZZZN2at6native31launch_logcumsumexp_cuda_kernelERKNSE_10TensorBaseESI_lENKUlvE_clEvENKUlvE2_clEvEUlS7_S7_E_S7_EEDaPvRmT3_T4_T5_mT6_P12ihipStream_tbENKUlT_T0_E_clISt17integral_constantIbLb1EESY_IbLb0EEEEDaSU_SV_EUlSU_E0_NS1_11comp_targetILNS1_3genE8ELNS1_11target_archE1030ELNS1_3gpuE2ELNS1_3repE0EEENS1_30default_config_static_selectorELNS0_4arch9wavefront6targetE0EEEvT1_
                                        ; -- End function
	.set _ZN7rocprim17ROCPRIM_400000_NS6detail17trampoline_kernelINS0_14default_configENS1_20scan_config_selectorIN3c107complexIfEEEEZZNS1_9scan_implILNS1_25lookback_scan_determinismE0ELb0ELb0ES3_PKS7_PS7_S7_ZZZN2at6native31launch_logcumsumexp_cuda_kernelERKNSE_10TensorBaseESI_lENKUlvE_clEvENKUlvE2_clEvEUlS7_S7_E_S7_EEDaPvRmT3_T4_T5_mT6_P12ihipStream_tbENKUlT_T0_E_clISt17integral_constantIbLb1EESY_IbLb0EEEEDaSU_SV_EUlSU_E0_NS1_11comp_targetILNS1_3genE8ELNS1_11target_archE1030ELNS1_3gpuE2ELNS1_3repE0EEENS1_30default_config_static_selectorELNS0_4arch9wavefront6targetE0EEEvT1_.num_vgpr, 0
	.set _ZN7rocprim17ROCPRIM_400000_NS6detail17trampoline_kernelINS0_14default_configENS1_20scan_config_selectorIN3c107complexIfEEEEZZNS1_9scan_implILNS1_25lookback_scan_determinismE0ELb0ELb0ES3_PKS7_PS7_S7_ZZZN2at6native31launch_logcumsumexp_cuda_kernelERKNSE_10TensorBaseESI_lENKUlvE_clEvENKUlvE2_clEvEUlS7_S7_E_S7_EEDaPvRmT3_T4_T5_mT6_P12ihipStream_tbENKUlT_T0_E_clISt17integral_constantIbLb1EESY_IbLb0EEEEDaSU_SV_EUlSU_E0_NS1_11comp_targetILNS1_3genE8ELNS1_11target_archE1030ELNS1_3gpuE2ELNS1_3repE0EEENS1_30default_config_static_selectorELNS0_4arch9wavefront6targetE0EEEvT1_.num_agpr, 0
	.set _ZN7rocprim17ROCPRIM_400000_NS6detail17trampoline_kernelINS0_14default_configENS1_20scan_config_selectorIN3c107complexIfEEEEZZNS1_9scan_implILNS1_25lookback_scan_determinismE0ELb0ELb0ES3_PKS7_PS7_S7_ZZZN2at6native31launch_logcumsumexp_cuda_kernelERKNSE_10TensorBaseESI_lENKUlvE_clEvENKUlvE2_clEvEUlS7_S7_E_S7_EEDaPvRmT3_T4_T5_mT6_P12ihipStream_tbENKUlT_T0_E_clISt17integral_constantIbLb1EESY_IbLb0EEEEDaSU_SV_EUlSU_E0_NS1_11comp_targetILNS1_3genE8ELNS1_11target_archE1030ELNS1_3gpuE2ELNS1_3repE0EEENS1_30default_config_static_selectorELNS0_4arch9wavefront6targetE0EEEvT1_.numbered_sgpr, 0
	.set _ZN7rocprim17ROCPRIM_400000_NS6detail17trampoline_kernelINS0_14default_configENS1_20scan_config_selectorIN3c107complexIfEEEEZZNS1_9scan_implILNS1_25lookback_scan_determinismE0ELb0ELb0ES3_PKS7_PS7_S7_ZZZN2at6native31launch_logcumsumexp_cuda_kernelERKNSE_10TensorBaseESI_lENKUlvE_clEvENKUlvE2_clEvEUlS7_S7_E_S7_EEDaPvRmT3_T4_T5_mT6_P12ihipStream_tbENKUlT_T0_E_clISt17integral_constantIbLb1EESY_IbLb0EEEEDaSU_SV_EUlSU_E0_NS1_11comp_targetILNS1_3genE8ELNS1_11target_archE1030ELNS1_3gpuE2ELNS1_3repE0EEENS1_30default_config_static_selectorELNS0_4arch9wavefront6targetE0EEEvT1_.num_named_barrier, 0
	.set _ZN7rocprim17ROCPRIM_400000_NS6detail17trampoline_kernelINS0_14default_configENS1_20scan_config_selectorIN3c107complexIfEEEEZZNS1_9scan_implILNS1_25lookback_scan_determinismE0ELb0ELb0ES3_PKS7_PS7_S7_ZZZN2at6native31launch_logcumsumexp_cuda_kernelERKNSE_10TensorBaseESI_lENKUlvE_clEvENKUlvE2_clEvEUlS7_S7_E_S7_EEDaPvRmT3_T4_T5_mT6_P12ihipStream_tbENKUlT_T0_E_clISt17integral_constantIbLb1EESY_IbLb0EEEEDaSU_SV_EUlSU_E0_NS1_11comp_targetILNS1_3genE8ELNS1_11target_archE1030ELNS1_3gpuE2ELNS1_3repE0EEENS1_30default_config_static_selectorELNS0_4arch9wavefront6targetE0EEEvT1_.private_seg_size, 0
	.set _ZN7rocprim17ROCPRIM_400000_NS6detail17trampoline_kernelINS0_14default_configENS1_20scan_config_selectorIN3c107complexIfEEEEZZNS1_9scan_implILNS1_25lookback_scan_determinismE0ELb0ELb0ES3_PKS7_PS7_S7_ZZZN2at6native31launch_logcumsumexp_cuda_kernelERKNSE_10TensorBaseESI_lENKUlvE_clEvENKUlvE2_clEvEUlS7_S7_E_S7_EEDaPvRmT3_T4_T5_mT6_P12ihipStream_tbENKUlT_T0_E_clISt17integral_constantIbLb1EESY_IbLb0EEEEDaSU_SV_EUlSU_E0_NS1_11comp_targetILNS1_3genE8ELNS1_11target_archE1030ELNS1_3gpuE2ELNS1_3repE0EEENS1_30default_config_static_selectorELNS0_4arch9wavefront6targetE0EEEvT1_.uses_vcc, 0
	.set _ZN7rocprim17ROCPRIM_400000_NS6detail17trampoline_kernelINS0_14default_configENS1_20scan_config_selectorIN3c107complexIfEEEEZZNS1_9scan_implILNS1_25lookback_scan_determinismE0ELb0ELb0ES3_PKS7_PS7_S7_ZZZN2at6native31launch_logcumsumexp_cuda_kernelERKNSE_10TensorBaseESI_lENKUlvE_clEvENKUlvE2_clEvEUlS7_S7_E_S7_EEDaPvRmT3_T4_T5_mT6_P12ihipStream_tbENKUlT_T0_E_clISt17integral_constantIbLb1EESY_IbLb0EEEEDaSU_SV_EUlSU_E0_NS1_11comp_targetILNS1_3genE8ELNS1_11target_archE1030ELNS1_3gpuE2ELNS1_3repE0EEENS1_30default_config_static_selectorELNS0_4arch9wavefront6targetE0EEEvT1_.uses_flat_scratch, 0
	.set _ZN7rocprim17ROCPRIM_400000_NS6detail17trampoline_kernelINS0_14default_configENS1_20scan_config_selectorIN3c107complexIfEEEEZZNS1_9scan_implILNS1_25lookback_scan_determinismE0ELb0ELb0ES3_PKS7_PS7_S7_ZZZN2at6native31launch_logcumsumexp_cuda_kernelERKNSE_10TensorBaseESI_lENKUlvE_clEvENKUlvE2_clEvEUlS7_S7_E_S7_EEDaPvRmT3_T4_T5_mT6_P12ihipStream_tbENKUlT_T0_E_clISt17integral_constantIbLb1EESY_IbLb0EEEEDaSU_SV_EUlSU_E0_NS1_11comp_targetILNS1_3genE8ELNS1_11target_archE1030ELNS1_3gpuE2ELNS1_3repE0EEENS1_30default_config_static_selectorELNS0_4arch9wavefront6targetE0EEEvT1_.has_dyn_sized_stack, 0
	.set _ZN7rocprim17ROCPRIM_400000_NS6detail17trampoline_kernelINS0_14default_configENS1_20scan_config_selectorIN3c107complexIfEEEEZZNS1_9scan_implILNS1_25lookback_scan_determinismE0ELb0ELb0ES3_PKS7_PS7_S7_ZZZN2at6native31launch_logcumsumexp_cuda_kernelERKNSE_10TensorBaseESI_lENKUlvE_clEvENKUlvE2_clEvEUlS7_S7_E_S7_EEDaPvRmT3_T4_T5_mT6_P12ihipStream_tbENKUlT_T0_E_clISt17integral_constantIbLb1EESY_IbLb0EEEEDaSU_SV_EUlSU_E0_NS1_11comp_targetILNS1_3genE8ELNS1_11target_archE1030ELNS1_3gpuE2ELNS1_3repE0EEENS1_30default_config_static_selectorELNS0_4arch9wavefront6targetE0EEEvT1_.has_recursion, 0
	.set _ZN7rocprim17ROCPRIM_400000_NS6detail17trampoline_kernelINS0_14default_configENS1_20scan_config_selectorIN3c107complexIfEEEEZZNS1_9scan_implILNS1_25lookback_scan_determinismE0ELb0ELb0ES3_PKS7_PS7_S7_ZZZN2at6native31launch_logcumsumexp_cuda_kernelERKNSE_10TensorBaseESI_lENKUlvE_clEvENKUlvE2_clEvEUlS7_S7_E_S7_EEDaPvRmT3_T4_T5_mT6_P12ihipStream_tbENKUlT_T0_E_clISt17integral_constantIbLb1EESY_IbLb0EEEEDaSU_SV_EUlSU_E0_NS1_11comp_targetILNS1_3genE8ELNS1_11target_archE1030ELNS1_3gpuE2ELNS1_3repE0EEENS1_30default_config_static_selectorELNS0_4arch9wavefront6targetE0EEEvT1_.has_indirect_call, 0
	.section	.AMDGPU.csdata,"",@progbits
; Kernel info:
; codeLenInByte = 0
; TotalNumSgprs: 0
; NumVgprs: 0
; ScratchSize: 0
; MemoryBound: 0
; FloatMode: 240
; IeeeMode: 1
; LDSByteSize: 0 bytes/workgroup (compile time only)
; SGPRBlocks: 0
; VGPRBlocks: 0
; NumSGPRsForWavesPerEU: 1
; NumVGPRsForWavesPerEU: 1
; Occupancy: 16
; WaveLimiterHint : 0
; COMPUTE_PGM_RSRC2:SCRATCH_EN: 0
; COMPUTE_PGM_RSRC2:USER_SGPR: 2
; COMPUTE_PGM_RSRC2:TRAP_HANDLER: 0
; COMPUTE_PGM_RSRC2:TGID_X_EN: 1
; COMPUTE_PGM_RSRC2:TGID_Y_EN: 0
; COMPUTE_PGM_RSRC2:TGID_Z_EN: 0
; COMPUTE_PGM_RSRC2:TIDIG_COMP_CNT: 0
	.section	.text._ZN7rocprim17ROCPRIM_400000_NS6detail31init_lookback_scan_state_kernelINS1_19lookback_scan_stateIN3c107complexIfEELb0ELb1EEENS1_16block_id_wrapperIjLb1EEEEEvT_jT0_jPNSA_10value_typeE,"axG",@progbits,_ZN7rocprim17ROCPRIM_400000_NS6detail31init_lookback_scan_state_kernelINS1_19lookback_scan_stateIN3c107complexIfEELb0ELb1EEENS1_16block_id_wrapperIjLb1EEEEEvT_jT0_jPNSA_10value_typeE,comdat
	.protected	_ZN7rocprim17ROCPRIM_400000_NS6detail31init_lookback_scan_state_kernelINS1_19lookback_scan_stateIN3c107complexIfEELb0ELb1EEENS1_16block_id_wrapperIjLb1EEEEEvT_jT0_jPNSA_10value_typeE ; -- Begin function _ZN7rocprim17ROCPRIM_400000_NS6detail31init_lookback_scan_state_kernelINS1_19lookback_scan_stateIN3c107complexIfEELb0ELb1EEENS1_16block_id_wrapperIjLb1EEEEEvT_jT0_jPNSA_10value_typeE
	.globl	_ZN7rocprim17ROCPRIM_400000_NS6detail31init_lookback_scan_state_kernelINS1_19lookback_scan_stateIN3c107complexIfEELb0ELb1EEENS1_16block_id_wrapperIjLb1EEEEEvT_jT0_jPNSA_10value_typeE
	.p2align	8
	.type	_ZN7rocprim17ROCPRIM_400000_NS6detail31init_lookback_scan_state_kernelINS1_19lookback_scan_stateIN3c107complexIfEELb0ELb1EEENS1_16block_id_wrapperIjLb1EEEEEvT_jT0_jPNSA_10value_typeE,@function
_ZN7rocprim17ROCPRIM_400000_NS6detail31init_lookback_scan_state_kernelINS1_19lookback_scan_stateIN3c107complexIfEELb0ELb1EEENS1_16block_id_wrapperIjLb1EEEEEvT_jT0_jPNSA_10value_typeE: ; @_ZN7rocprim17ROCPRIM_400000_NS6detail31init_lookback_scan_state_kernelINS1_19lookback_scan_stateIN3c107complexIfEELb0ELb1EEENS1_16block_id_wrapperIjLb1EEEEEvT_jT0_jPNSA_10value_typeE
; %bb.0:
	s_clause 0x2
	s_load_b32 s7, s[0:1], 0x34
	s_load_b64 s[2:3], s[0:1], 0x20
	s_load_b96 s[4:6], s[0:1], 0x0
	s_wait_kmcnt 0x0
	s_and_b32 s7, s7, 0xffff
	s_cmp_eq_u64 s[2:3], 0
	v_mad_co_u64_u32 v[0:1], null, ttmp9, s7, v[0:1]
	s_cbranch_scc1 .LBB328_8
; %bb.1:
	s_load_b32 s8, s[0:1], 0x18
	s_mov_b32 s9, 0
	s_wait_kmcnt 0x0
	s_cmp_lt_u32 s8, s6
	s_cselect_b32 s7, s8, 0
	s_wait_alu 0xfffe
	v_cmp_eq_u32_e32 vcc_lo, s7, v0
	s_and_saveexec_b32 s7, vcc_lo
	s_cbranch_execz .LBB328_7
; %bb.2:
	s_add_co_i32 s8, s8, 32
	s_mov_b32 s10, exec_lo
	s_lshl_b64 s[8:9], s[8:9], 4
	v_mov_b32_e32 v5, 0
	s_add_nc_u64 s[8:9], s[4:5], s[8:9]
	s_delay_alu instid0(SALU_CYCLE_1) | instskip(SKIP_2) | instid1(VALU_DEP_1)
	v_dual_mov_b32 v1, s8 :: v_dual_mov_b32 v2, s9
	;;#ASMSTART
	global_load_b128 v[1:4], v[1:2] off scope:SCOPE_DEV	
s_wait_loadcnt 0x0
	;;#ASMEND
	v_and_b32_e32 v4, 0xff, v3
	v_cmpx_eq_u64_e32 0, v[4:5]
	s_cbranch_execz .LBB328_6
; %bb.3:
	v_dual_mov_b32 v6, s8 :: v_dual_mov_b32 v7, s9
	s_mov_b32 s8, 0
.LBB328_4:                              ; =>This Inner Loop Header: Depth=1
	;;#ASMSTART
	global_load_b128 v[1:4], v[6:7] off scope:SCOPE_DEV	
s_wait_loadcnt 0x0
	;;#ASMEND
	v_and_b32_e32 v4, 0xff, v3
	s_delay_alu instid0(VALU_DEP_1)
	v_cmp_ne_u64_e32 vcc_lo, 0, v[4:5]
	s_wait_alu 0xfffe
	s_or_b32 s8, vcc_lo, s8
	s_wait_alu 0xfffe
	s_and_not1_b32 exec_lo, exec_lo, s8
	s_cbranch_execnz .LBB328_4
; %bb.5:
	s_or_b32 exec_lo, exec_lo, s8
.LBB328_6:
	s_delay_alu instid0(SALU_CYCLE_1)
	s_or_b32 exec_lo, exec_lo, s10
	v_mov_b32_e32 v3, 0
	global_store_b64 v3, v[1:2], s[2:3]
.LBB328_7:
	s_wait_alu 0xfffe
	s_or_b32 exec_lo, exec_lo, s7
.LBB328_8:
	s_delay_alu instid0(SALU_CYCLE_1)
	s_mov_b32 s2, exec_lo
	v_cmpx_eq_u32_e32 0, v0
	s_cbranch_execz .LBB328_10
; %bb.9:
	s_load_b64 s[0:1], s[0:1], 0x10
	v_mov_b32_e32 v1, 0
	s_wait_kmcnt 0x0
	global_store_b32 v1, v1, s[0:1]
.LBB328_10:
	s_or_b32 exec_lo, exec_lo, s2
	s_delay_alu instid0(SALU_CYCLE_1)
	s_mov_b32 s0, exec_lo
	v_cmpx_gt_u32_e64 s6, v0
	s_cbranch_execz .LBB328_12
; %bb.11:
	v_dual_mov_b32 v2, 0 :: v_dual_add_nc_u32 v1, 32, v0
	s_delay_alu instid0(VALU_DEP_1) | instskip(SKIP_2) | instid1(VALU_DEP_3)
	v_lshlrev_b64_e32 v[4:5], 4, v[1:2]
	v_mov_b32_e32 v1, v2
	v_mov_b32_e32 v3, v2
	v_add_co_u32 v6, vcc_lo, s4, v4
	s_delay_alu instid0(VALU_DEP_1)
	v_add_co_ci_u32_e64 v7, null, s5, v5, vcc_lo
	v_mov_b32_e32 v4, v2
	global_store_b128 v[6:7], v[1:4], off
.LBB328_12:
	s_wait_alu 0xfffe
	s_or_b32 exec_lo, exec_lo, s0
	s_delay_alu instid0(SALU_CYCLE_1)
	s_mov_b32 s0, exec_lo
	v_cmpx_gt_u32_e32 32, v0
	s_cbranch_execz .LBB328_14
; %bb.13:
	v_dual_mov_b32 v1, 0 :: v_dual_mov_b32 v2, 0xff
	s_delay_alu instid0(VALU_DEP_1) | instskip(SKIP_1) | instid1(VALU_DEP_2)
	v_lshlrev_b64_e32 v[3:4], 4, v[0:1]
	v_mov_b32_e32 v0, v1
	v_add_co_u32 v5, vcc_lo, s4, v3
	s_wait_alu 0xfffd
	s_delay_alu instid0(VALU_DEP_3)
	v_add_co_ci_u32_e64 v6, null, s5, v4, vcc_lo
	v_mov_b32_e32 v3, v1
	global_store_b128 v[5:6], v[0:3], off
.LBB328_14:
	s_endpgm
	.section	.rodata,"a",@progbits
	.p2align	6, 0x0
	.amdhsa_kernel _ZN7rocprim17ROCPRIM_400000_NS6detail31init_lookback_scan_state_kernelINS1_19lookback_scan_stateIN3c107complexIfEELb0ELb1EEENS1_16block_id_wrapperIjLb1EEEEEvT_jT0_jPNSA_10value_typeE
		.amdhsa_group_segment_fixed_size 0
		.amdhsa_private_segment_fixed_size 0
		.amdhsa_kernarg_size 296
		.amdhsa_user_sgpr_count 2
		.amdhsa_user_sgpr_dispatch_ptr 0
		.amdhsa_user_sgpr_queue_ptr 0
		.amdhsa_user_sgpr_kernarg_segment_ptr 1
		.amdhsa_user_sgpr_dispatch_id 0
		.amdhsa_user_sgpr_private_segment_size 0
		.amdhsa_wavefront_size32 1
		.amdhsa_uses_dynamic_stack 0
		.amdhsa_enable_private_segment 0
		.amdhsa_system_sgpr_workgroup_id_x 1
		.amdhsa_system_sgpr_workgroup_id_y 0
		.amdhsa_system_sgpr_workgroup_id_z 0
		.amdhsa_system_sgpr_workgroup_info 0
		.amdhsa_system_vgpr_workitem_id 0
		.amdhsa_next_free_vgpr 8
		.amdhsa_next_free_sgpr 11
		.amdhsa_reserve_vcc 1
		.amdhsa_float_round_mode_32 0
		.amdhsa_float_round_mode_16_64 0
		.amdhsa_float_denorm_mode_32 3
		.amdhsa_float_denorm_mode_16_64 3
		.amdhsa_fp16_overflow 0
		.amdhsa_workgroup_processor_mode 1
		.amdhsa_memory_ordered 1
		.amdhsa_forward_progress 1
		.amdhsa_inst_pref_size 4
		.amdhsa_round_robin_scheduling 0
		.amdhsa_exception_fp_ieee_invalid_op 0
		.amdhsa_exception_fp_denorm_src 0
		.amdhsa_exception_fp_ieee_div_zero 0
		.amdhsa_exception_fp_ieee_overflow 0
		.amdhsa_exception_fp_ieee_underflow 0
		.amdhsa_exception_fp_ieee_inexact 0
		.amdhsa_exception_int_div_zero 0
	.end_amdhsa_kernel
	.section	.text._ZN7rocprim17ROCPRIM_400000_NS6detail31init_lookback_scan_state_kernelINS1_19lookback_scan_stateIN3c107complexIfEELb0ELb1EEENS1_16block_id_wrapperIjLb1EEEEEvT_jT0_jPNSA_10value_typeE,"axG",@progbits,_ZN7rocprim17ROCPRIM_400000_NS6detail31init_lookback_scan_state_kernelINS1_19lookback_scan_stateIN3c107complexIfEELb0ELb1EEENS1_16block_id_wrapperIjLb1EEEEEvT_jT0_jPNSA_10value_typeE,comdat
.Lfunc_end328:
	.size	_ZN7rocprim17ROCPRIM_400000_NS6detail31init_lookback_scan_state_kernelINS1_19lookback_scan_stateIN3c107complexIfEELb0ELb1EEENS1_16block_id_wrapperIjLb1EEEEEvT_jT0_jPNSA_10value_typeE, .Lfunc_end328-_ZN7rocprim17ROCPRIM_400000_NS6detail31init_lookback_scan_state_kernelINS1_19lookback_scan_stateIN3c107complexIfEELb0ELb1EEENS1_16block_id_wrapperIjLb1EEEEEvT_jT0_jPNSA_10value_typeE
                                        ; -- End function
	.set _ZN7rocprim17ROCPRIM_400000_NS6detail31init_lookback_scan_state_kernelINS1_19lookback_scan_stateIN3c107complexIfEELb0ELb1EEENS1_16block_id_wrapperIjLb1EEEEEvT_jT0_jPNSA_10value_typeE.num_vgpr, 8
	.set _ZN7rocprim17ROCPRIM_400000_NS6detail31init_lookback_scan_state_kernelINS1_19lookback_scan_stateIN3c107complexIfEELb0ELb1EEENS1_16block_id_wrapperIjLb1EEEEEvT_jT0_jPNSA_10value_typeE.num_agpr, 0
	.set _ZN7rocprim17ROCPRIM_400000_NS6detail31init_lookback_scan_state_kernelINS1_19lookback_scan_stateIN3c107complexIfEELb0ELb1EEENS1_16block_id_wrapperIjLb1EEEEEvT_jT0_jPNSA_10value_typeE.numbered_sgpr, 11
	.set _ZN7rocprim17ROCPRIM_400000_NS6detail31init_lookback_scan_state_kernelINS1_19lookback_scan_stateIN3c107complexIfEELb0ELb1EEENS1_16block_id_wrapperIjLb1EEEEEvT_jT0_jPNSA_10value_typeE.num_named_barrier, 0
	.set _ZN7rocprim17ROCPRIM_400000_NS6detail31init_lookback_scan_state_kernelINS1_19lookback_scan_stateIN3c107complexIfEELb0ELb1EEENS1_16block_id_wrapperIjLb1EEEEEvT_jT0_jPNSA_10value_typeE.private_seg_size, 0
	.set _ZN7rocprim17ROCPRIM_400000_NS6detail31init_lookback_scan_state_kernelINS1_19lookback_scan_stateIN3c107complexIfEELb0ELb1EEENS1_16block_id_wrapperIjLb1EEEEEvT_jT0_jPNSA_10value_typeE.uses_vcc, 1
	.set _ZN7rocprim17ROCPRIM_400000_NS6detail31init_lookback_scan_state_kernelINS1_19lookback_scan_stateIN3c107complexIfEELb0ELb1EEENS1_16block_id_wrapperIjLb1EEEEEvT_jT0_jPNSA_10value_typeE.uses_flat_scratch, 0
	.set _ZN7rocprim17ROCPRIM_400000_NS6detail31init_lookback_scan_state_kernelINS1_19lookback_scan_stateIN3c107complexIfEELb0ELb1EEENS1_16block_id_wrapperIjLb1EEEEEvT_jT0_jPNSA_10value_typeE.has_dyn_sized_stack, 0
	.set _ZN7rocprim17ROCPRIM_400000_NS6detail31init_lookback_scan_state_kernelINS1_19lookback_scan_stateIN3c107complexIfEELb0ELb1EEENS1_16block_id_wrapperIjLb1EEEEEvT_jT0_jPNSA_10value_typeE.has_recursion, 0
	.set _ZN7rocprim17ROCPRIM_400000_NS6detail31init_lookback_scan_state_kernelINS1_19lookback_scan_stateIN3c107complexIfEELb0ELb1EEENS1_16block_id_wrapperIjLb1EEEEEvT_jT0_jPNSA_10value_typeE.has_indirect_call, 0
	.section	.AMDGPU.csdata,"",@progbits
; Kernel info:
; codeLenInByte = 448
; TotalNumSgprs: 13
; NumVgprs: 8
; ScratchSize: 0
; MemoryBound: 0
; FloatMode: 240
; IeeeMode: 1
; LDSByteSize: 0 bytes/workgroup (compile time only)
; SGPRBlocks: 0
; VGPRBlocks: 0
; NumSGPRsForWavesPerEU: 13
; NumVGPRsForWavesPerEU: 8
; Occupancy: 16
; WaveLimiterHint : 0
; COMPUTE_PGM_RSRC2:SCRATCH_EN: 0
; COMPUTE_PGM_RSRC2:USER_SGPR: 2
; COMPUTE_PGM_RSRC2:TRAP_HANDLER: 0
; COMPUTE_PGM_RSRC2:TGID_X_EN: 1
; COMPUTE_PGM_RSRC2:TGID_Y_EN: 0
; COMPUTE_PGM_RSRC2:TGID_Z_EN: 0
; COMPUTE_PGM_RSRC2:TIDIG_COMP_CNT: 0
	.section	.text._ZN7rocprim17ROCPRIM_400000_NS6detail17trampoline_kernelINS0_14default_configENS1_20scan_config_selectorIN3c107complexIfEEEEZZNS1_9scan_implILNS1_25lookback_scan_determinismE0ELb0ELb0ES3_PKS7_PS7_S7_ZZZN2at6native31launch_logcumsumexp_cuda_kernelERKNSE_10TensorBaseESI_lENKUlvE_clEvENKUlvE2_clEvEUlS7_S7_E_S7_EEDaPvRmT3_T4_T5_mT6_P12ihipStream_tbENKUlT_T0_E_clISt17integral_constantIbLb0EESY_IbLb1EEEEDaSU_SV_EUlSU_E_NS1_11comp_targetILNS1_3genE0ELNS1_11target_archE4294967295ELNS1_3gpuE0ELNS1_3repE0EEENS1_30default_config_static_selectorELNS0_4arch9wavefront6targetE0EEEvT1_,"axG",@progbits,_ZN7rocprim17ROCPRIM_400000_NS6detail17trampoline_kernelINS0_14default_configENS1_20scan_config_selectorIN3c107complexIfEEEEZZNS1_9scan_implILNS1_25lookback_scan_determinismE0ELb0ELb0ES3_PKS7_PS7_S7_ZZZN2at6native31launch_logcumsumexp_cuda_kernelERKNSE_10TensorBaseESI_lENKUlvE_clEvENKUlvE2_clEvEUlS7_S7_E_S7_EEDaPvRmT3_T4_T5_mT6_P12ihipStream_tbENKUlT_T0_E_clISt17integral_constantIbLb0EESY_IbLb1EEEEDaSU_SV_EUlSU_E_NS1_11comp_targetILNS1_3genE0ELNS1_11target_archE4294967295ELNS1_3gpuE0ELNS1_3repE0EEENS1_30default_config_static_selectorELNS0_4arch9wavefront6targetE0EEEvT1_,comdat
	.globl	_ZN7rocprim17ROCPRIM_400000_NS6detail17trampoline_kernelINS0_14default_configENS1_20scan_config_selectorIN3c107complexIfEEEEZZNS1_9scan_implILNS1_25lookback_scan_determinismE0ELb0ELb0ES3_PKS7_PS7_S7_ZZZN2at6native31launch_logcumsumexp_cuda_kernelERKNSE_10TensorBaseESI_lENKUlvE_clEvENKUlvE2_clEvEUlS7_S7_E_S7_EEDaPvRmT3_T4_T5_mT6_P12ihipStream_tbENKUlT_T0_E_clISt17integral_constantIbLb0EESY_IbLb1EEEEDaSU_SV_EUlSU_E_NS1_11comp_targetILNS1_3genE0ELNS1_11target_archE4294967295ELNS1_3gpuE0ELNS1_3repE0EEENS1_30default_config_static_selectorELNS0_4arch9wavefront6targetE0EEEvT1_ ; -- Begin function _ZN7rocprim17ROCPRIM_400000_NS6detail17trampoline_kernelINS0_14default_configENS1_20scan_config_selectorIN3c107complexIfEEEEZZNS1_9scan_implILNS1_25lookback_scan_determinismE0ELb0ELb0ES3_PKS7_PS7_S7_ZZZN2at6native31launch_logcumsumexp_cuda_kernelERKNSE_10TensorBaseESI_lENKUlvE_clEvENKUlvE2_clEvEUlS7_S7_E_S7_EEDaPvRmT3_T4_T5_mT6_P12ihipStream_tbENKUlT_T0_E_clISt17integral_constantIbLb0EESY_IbLb1EEEEDaSU_SV_EUlSU_E_NS1_11comp_targetILNS1_3genE0ELNS1_11target_archE4294967295ELNS1_3gpuE0ELNS1_3repE0EEENS1_30default_config_static_selectorELNS0_4arch9wavefront6targetE0EEEvT1_
	.p2align	8
	.type	_ZN7rocprim17ROCPRIM_400000_NS6detail17trampoline_kernelINS0_14default_configENS1_20scan_config_selectorIN3c107complexIfEEEEZZNS1_9scan_implILNS1_25lookback_scan_determinismE0ELb0ELb0ES3_PKS7_PS7_S7_ZZZN2at6native31launch_logcumsumexp_cuda_kernelERKNSE_10TensorBaseESI_lENKUlvE_clEvENKUlvE2_clEvEUlS7_S7_E_S7_EEDaPvRmT3_T4_T5_mT6_P12ihipStream_tbENKUlT_T0_E_clISt17integral_constantIbLb0EESY_IbLb1EEEEDaSU_SV_EUlSU_E_NS1_11comp_targetILNS1_3genE0ELNS1_11target_archE4294967295ELNS1_3gpuE0ELNS1_3repE0EEENS1_30default_config_static_selectorELNS0_4arch9wavefront6targetE0EEEvT1_,@function
_ZN7rocprim17ROCPRIM_400000_NS6detail17trampoline_kernelINS0_14default_configENS1_20scan_config_selectorIN3c107complexIfEEEEZZNS1_9scan_implILNS1_25lookback_scan_determinismE0ELb0ELb0ES3_PKS7_PS7_S7_ZZZN2at6native31launch_logcumsumexp_cuda_kernelERKNSE_10TensorBaseESI_lENKUlvE_clEvENKUlvE2_clEvEUlS7_S7_E_S7_EEDaPvRmT3_T4_T5_mT6_P12ihipStream_tbENKUlT_T0_E_clISt17integral_constantIbLb0EESY_IbLb1EEEEDaSU_SV_EUlSU_E_NS1_11comp_targetILNS1_3genE0ELNS1_11target_archE4294967295ELNS1_3gpuE0ELNS1_3repE0EEENS1_30default_config_static_selectorELNS0_4arch9wavefront6targetE0EEEvT1_: ; @_ZN7rocprim17ROCPRIM_400000_NS6detail17trampoline_kernelINS0_14default_configENS1_20scan_config_selectorIN3c107complexIfEEEEZZNS1_9scan_implILNS1_25lookback_scan_determinismE0ELb0ELb0ES3_PKS7_PS7_S7_ZZZN2at6native31launch_logcumsumexp_cuda_kernelERKNSE_10TensorBaseESI_lENKUlvE_clEvENKUlvE2_clEvEUlS7_S7_E_S7_EEDaPvRmT3_T4_T5_mT6_P12ihipStream_tbENKUlT_T0_E_clISt17integral_constantIbLb0EESY_IbLb1EEEEDaSU_SV_EUlSU_E_NS1_11comp_targetILNS1_3genE0ELNS1_11target_archE4294967295ELNS1_3gpuE0ELNS1_3repE0EEENS1_30default_config_static_selectorELNS0_4arch9wavefront6targetE0EEEvT1_
; %bb.0:
	.section	.rodata,"a",@progbits
	.p2align	6, 0x0
	.amdhsa_kernel _ZN7rocprim17ROCPRIM_400000_NS6detail17trampoline_kernelINS0_14default_configENS1_20scan_config_selectorIN3c107complexIfEEEEZZNS1_9scan_implILNS1_25lookback_scan_determinismE0ELb0ELb0ES3_PKS7_PS7_S7_ZZZN2at6native31launch_logcumsumexp_cuda_kernelERKNSE_10TensorBaseESI_lENKUlvE_clEvENKUlvE2_clEvEUlS7_S7_E_S7_EEDaPvRmT3_T4_T5_mT6_P12ihipStream_tbENKUlT_T0_E_clISt17integral_constantIbLb0EESY_IbLb1EEEEDaSU_SV_EUlSU_E_NS1_11comp_targetILNS1_3genE0ELNS1_11target_archE4294967295ELNS1_3gpuE0ELNS1_3repE0EEENS1_30default_config_static_selectorELNS0_4arch9wavefront6targetE0EEEvT1_
		.amdhsa_group_segment_fixed_size 0
		.amdhsa_private_segment_fixed_size 0
		.amdhsa_kernarg_size 104
		.amdhsa_user_sgpr_count 2
		.amdhsa_user_sgpr_dispatch_ptr 0
		.amdhsa_user_sgpr_queue_ptr 0
		.amdhsa_user_sgpr_kernarg_segment_ptr 1
		.amdhsa_user_sgpr_dispatch_id 0
		.amdhsa_user_sgpr_private_segment_size 0
		.amdhsa_wavefront_size32 1
		.amdhsa_uses_dynamic_stack 0
		.amdhsa_enable_private_segment 0
		.amdhsa_system_sgpr_workgroup_id_x 1
		.amdhsa_system_sgpr_workgroup_id_y 0
		.amdhsa_system_sgpr_workgroup_id_z 0
		.amdhsa_system_sgpr_workgroup_info 0
		.amdhsa_system_vgpr_workitem_id 0
		.amdhsa_next_free_vgpr 1
		.amdhsa_next_free_sgpr 1
		.amdhsa_reserve_vcc 0
		.amdhsa_float_round_mode_32 0
		.amdhsa_float_round_mode_16_64 0
		.amdhsa_float_denorm_mode_32 3
		.amdhsa_float_denorm_mode_16_64 3
		.amdhsa_fp16_overflow 0
		.amdhsa_workgroup_processor_mode 1
		.amdhsa_memory_ordered 1
		.amdhsa_forward_progress 1
		.amdhsa_inst_pref_size 0
		.amdhsa_round_robin_scheduling 0
		.amdhsa_exception_fp_ieee_invalid_op 0
		.amdhsa_exception_fp_denorm_src 0
		.amdhsa_exception_fp_ieee_div_zero 0
		.amdhsa_exception_fp_ieee_overflow 0
		.amdhsa_exception_fp_ieee_underflow 0
		.amdhsa_exception_fp_ieee_inexact 0
		.amdhsa_exception_int_div_zero 0
	.end_amdhsa_kernel
	.section	.text._ZN7rocprim17ROCPRIM_400000_NS6detail17trampoline_kernelINS0_14default_configENS1_20scan_config_selectorIN3c107complexIfEEEEZZNS1_9scan_implILNS1_25lookback_scan_determinismE0ELb0ELb0ES3_PKS7_PS7_S7_ZZZN2at6native31launch_logcumsumexp_cuda_kernelERKNSE_10TensorBaseESI_lENKUlvE_clEvENKUlvE2_clEvEUlS7_S7_E_S7_EEDaPvRmT3_T4_T5_mT6_P12ihipStream_tbENKUlT_T0_E_clISt17integral_constantIbLb0EESY_IbLb1EEEEDaSU_SV_EUlSU_E_NS1_11comp_targetILNS1_3genE0ELNS1_11target_archE4294967295ELNS1_3gpuE0ELNS1_3repE0EEENS1_30default_config_static_selectorELNS0_4arch9wavefront6targetE0EEEvT1_,"axG",@progbits,_ZN7rocprim17ROCPRIM_400000_NS6detail17trampoline_kernelINS0_14default_configENS1_20scan_config_selectorIN3c107complexIfEEEEZZNS1_9scan_implILNS1_25lookback_scan_determinismE0ELb0ELb0ES3_PKS7_PS7_S7_ZZZN2at6native31launch_logcumsumexp_cuda_kernelERKNSE_10TensorBaseESI_lENKUlvE_clEvENKUlvE2_clEvEUlS7_S7_E_S7_EEDaPvRmT3_T4_T5_mT6_P12ihipStream_tbENKUlT_T0_E_clISt17integral_constantIbLb0EESY_IbLb1EEEEDaSU_SV_EUlSU_E_NS1_11comp_targetILNS1_3genE0ELNS1_11target_archE4294967295ELNS1_3gpuE0ELNS1_3repE0EEENS1_30default_config_static_selectorELNS0_4arch9wavefront6targetE0EEEvT1_,comdat
.Lfunc_end329:
	.size	_ZN7rocprim17ROCPRIM_400000_NS6detail17trampoline_kernelINS0_14default_configENS1_20scan_config_selectorIN3c107complexIfEEEEZZNS1_9scan_implILNS1_25lookback_scan_determinismE0ELb0ELb0ES3_PKS7_PS7_S7_ZZZN2at6native31launch_logcumsumexp_cuda_kernelERKNSE_10TensorBaseESI_lENKUlvE_clEvENKUlvE2_clEvEUlS7_S7_E_S7_EEDaPvRmT3_T4_T5_mT6_P12ihipStream_tbENKUlT_T0_E_clISt17integral_constantIbLb0EESY_IbLb1EEEEDaSU_SV_EUlSU_E_NS1_11comp_targetILNS1_3genE0ELNS1_11target_archE4294967295ELNS1_3gpuE0ELNS1_3repE0EEENS1_30default_config_static_selectorELNS0_4arch9wavefront6targetE0EEEvT1_, .Lfunc_end329-_ZN7rocprim17ROCPRIM_400000_NS6detail17trampoline_kernelINS0_14default_configENS1_20scan_config_selectorIN3c107complexIfEEEEZZNS1_9scan_implILNS1_25lookback_scan_determinismE0ELb0ELb0ES3_PKS7_PS7_S7_ZZZN2at6native31launch_logcumsumexp_cuda_kernelERKNSE_10TensorBaseESI_lENKUlvE_clEvENKUlvE2_clEvEUlS7_S7_E_S7_EEDaPvRmT3_T4_T5_mT6_P12ihipStream_tbENKUlT_T0_E_clISt17integral_constantIbLb0EESY_IbLb1EEEEDaSU_SV_EUlSU_E_NS1_11comp_targetILNS1_3genE0ELNS1_11target_archE4294967295ELNS1_3gpuE0ELNS1_3repE0EEENS1_30default_config_static_selectorELNS0_4arch9wavefront6targetE0EEEvT1_
                                        ; -- End function
	.set _ZN7rocprim17ROCPRIM_400000_NS6detail17trampoline_kernelINS0_14default_configENS1_20scan_config_selectorIN3c107complexIfEEEEZZNS1_9scan_implILNS1_25lookback_scan_determinismE0ELb0ELb0ES3_PKS7_PS7_S7_ZZZN2at6native31launch_logcumsumexp_cuda_kernelERKNSE_10TensorBaseESI_lENKUlvE_clEvENKUlvE2_clEvEUlS7_S7_E_S7_EEDaPvRmT3_T4_T5_mT6_P12ihipStream_tbENKUlT_T0_E_clISt17integral_constantIbLb0EESY_IbLb1EEEEDaSU_SV_EUlSU_E_NS1_11comp_targetILNS1_3genE0ELNS1_11target_archE4294967295ELNS1_3gpuE0ELNS1_3repE0EEENS1_30default_config_static_selectorELNS0_4arch9wavefront6targetE0EEEvT1_.num_vgpr, 0
	.set _ZN7rocprim17ROCPRIM_400000_NS6detail17trampoline_kernelINS0_14default_configENS1_20scan_config_selectorIN3c107complexIfEEEEZZNS1_9scan_implILNS1_25lookback_scan_determinismE0ELb0ELb0ES3_PKS7_PS7_S7_ZZZN2at6native31launch_logcumsumexp_cuda_kernelERKNSE_10TensorBaseESI_lENKUlvE_clEvENKUlvE2_clEvEUlS7_S7_E_S7_EEDaPvRmT3_T4_T5_mT6_P12ihipStream_tbENKUlT_T0_E_clISt17integral_constantIbLb0EESY_IbLb1EEEEDaSU_SV_EUlSU_E_NS1_11comp_targetILNS1_3genE0ELNS1_11target_archE4294967295ELNS1_3gpuE0ELNS1_3repE0EEENS1_30default_config_static_selectorELNS0_4arch9wavefront6targetE0EEEvT1_.num_agpr, 0
	.set _ZN7rocprim17ROCPRIM_400000_NS6detail17trampoline_kernelINS0_14default_configENS1_20scan_config_selectorIN3c107complexIfEEEEZZNS1_9scan_implILNS1_25lookback_scan_determinismE0ELb0ELb0ES3_PKS7_PS7_S7_ZZZN2at6native31launch_logcumsumexp_cuda_kernelERKNSE_10TensorBaseESI_lENKUlvE_clEvENKUlvE2_clEvEUlS7_S7_E_S7_EEDaPvRmT3_T4_T5_mT6_P12ihipStream_tbENKUlT_T0_E_clISt17integral_constantIbLb0EESY_IbLb1EEEEDaSU_SV_EUlSU_E_NS1_11comp_targetILNS1_3genE0ELNS1_11target_archE4294967295ELNS1_3gpuE0ELNS1_3repE0EEENS1_30default_config_static_selectorELNS0_4arch9wavefront6targetE0EEEvT1_.numbered_sgpr, 0
	.set _ZN7rocprim17ROCPRIM_400000_NS6detail17trampoline_kernelINS0_14default_configENS1_20scan_config_selectorIN3c107complexIfEEEEZZNS1_9scan_implILNS1_25lookback_scan_determinismE0ELb0ELb0ES3_PKS7_PS7_S7_ZZZN2at6native31launch_logcumsumexp_cuda_kernelERKNSE_10TensorBaseESI_lENKUlvE_clEvENKUlvE2_clEvEUlS7_S7_E_S7_EEDaPvRmT3_T4_T5_mT6_P12ihipStream_tbENKUlT_T0_E_clISt17integral_constantIbLb0EESY_IbLb1EEEEDaSU_SV_EUlSU_E_NS1_11comp_targetILNS1_3genE0ELNS1_11target_archE4294967295ELNS1_3gpuE0ELNS1_3repE0EEENS1_30default_config_static_selectorELNS0_4arch9wavefront6targetE0EEEvT1_.num_named_barrier, 0
	.set _ZN7rocprim17ROCPRIM_400000_NS6detail17trampoline_kernelINS0_14default_configENS1_20scan_config_selectorIN3c107complexIfEEEEZZNS1_9scan_implILNS1_25lookback_scan_determinismE0ELb0ELb0ES3_PKS7_PS7_S7_ZZZN2at6native31launch_logcumsumexp_cuda_kernelERKNSE_10TensorBaseESI_lENKUlvE_clEvENKUlvE2_clEvEUlS7_S7_E_S7_EEDaPvRmT3_T4_T5_mT6_P12ihipStream_tbENKUlT_T0_E_clISt17integral_constantIbLb0EESY_IbLb1EEEEDaSU_SV_EUlSU_E_NS1_11comp_targetILNS1_3genE0ELNS1_11target_archE4294967295ELNS1_3gpuE0ELNS1_3repE0EEENS1_30default_config_static_selectorELNS0_4arch9wavefront6targetE0EEEvT1_.private_seg_size, 0
	.set _ZN7rocprim17ROCPRIM_400000_NS6detail17trampoline_kernelINS0_14default_configENS1_20scan_config_selectorIN3c107complexIfEEEEZZNS1_9scan_implILNS1_25lookback_scan_determinismE0ELb0ELb0ES3_PKS7_PS7_S7_ZZZN2at6native31launch_logcumsumexp_cuda_kernelERKNSE_10TensorBaseESI_lENKUlvE_clEvENKUlvE2_clEvEUlS7_S7_E_S7_EEDaPvRmT3_T4_T5_mT6_P12ihipStream_tbENKUlT_T0_E_clISt17integral_constantIbLb0EESY_IbLb1EEEEDaSU_SV_EUlSU_E_NS1_11comp_targetILNS1_3genE0ELNS1_11target_archE4294967295ELNS1_3gpuE0ELNS1_3repE0EEENS1_30default_config_static_selectorELNS0_4arch9wavefront6targetE0EEEvT1_.uses_vcc, 0
	.set _ZN7rocprim17ROCPRIM_400000_NS6detail17trampoline_kernelINS0_14default_configENS1_20scan_config_selectorIN3c107complexIfEEEEZZNS1_9scan_implILNS1_25lookback_scan_determinismE0ELb0ELb0ES3_PKS7_PS7_S7_ZZZN2at6native31launch_logcumsumexp_cuda_kernelERKNSE_10TensorBaseESI_lENKUlvE_clEvENKUlvE2_clEvEUlS7_S7_E_S7_EEDaPvRmT3_T4_T5_mT6_P12ihipStream_tbENKUlT_T0_E_clISt17integral_constantIbLb0EESY_IbLb1EEEEDaSU_SV_EUlSU_E_NS1_11comp_targetILNS1_3genE0ELNS1_11target_archE4294967295ELNS1_3gpuE0ELNS1_3repE0EEENS1_30default_config_static_selectorELNS0_4arch9wavefront6targetE0EEEvT1_.uses_flat_scratch, 0
	.set _ZN7rocprim17ROCPRIM_400000_NS6detail17trampoline_kernelINS0_14default_configENS1_20scan_config_selectorIN3c107complexIfEEEEZZNS1_9scan_implILNS1_25lookback_scan_determinismE0ELb0ELb0ES3_PKS7_PS7_S7_ZZZN2at6native31launch_logcumsumexp_cuda_kernelERKNSE_10TensorBaseESI_lENKUlvE_clEvENKUlvE2_clEvEUlS7_S7_E_S7_EEDaPvRmT3_T4_T5_mT6_P12ihipStream_tbENKUlT_T0_E_clISt17integral_constantIbLb0EESY_IbLb1EEEEDaSU_SV_EUlSU_E_NS1_11comp_targetILNS1_3genE0ELNS1_11target_archE4294967295ELNS1_3gpuE0ELNS1_3repE0EEENS1_30default_config_static_selectorELNS0_4arch9wavefront6targetE0EEEvT1_.has_dyn_sized_stack, 0
	.set _ZN7rocprim17ROCPRIM_400000_NS6detail17trampoline_kernelINS0_14default_configENS1_20scan_config_selectorIN3c107complexIfEEEEZZNS1_9scan_implILNS1_25lookback_scan_determinismE0ELb0ELb0ES3_PKS7_PS7_S7_ZZZN2at6native31launch_logcumsumexp_cuda_kernelERKNSE_10TensorBaseESI_lENKUlvE_clEvENKUlvE2_clEvEUlS7_S7_E_S7_EEDaPvRmT3_T4_T5_mT6_P12ihipStream_tbENKUlT_T0_E_clISt17integral_constantIbLb0EESY_IbLb1EEEEDaSU_SV_EUlSU_E_NS1_11comp_targetILNS1_3genE0ELNS1_11target_archE4294967295ELNS1_3gpuE0ELNS1_3repE0EEENS1_30default_config_static_selectorELNS0_4arch9wavefront6targetE0EEEvT1_.has_recursion, 0
	.set _ZN7rocprim17ROCPRIM_400000_NS6detail17trampoline_kernelINS0_14default_configENS1_20scan_config_selectorIN3c107complexIfEEEEZZNS1_9scan_implILNS1_25lookback_scan_determinismE0ELb0ELb0ES3_PKS7_PS7_S7_ZZZN2at6native31launch_logcumsumexp_cuda_kernelERKNSE_10TensorBaseESI_lENKUlvE_clEvENKUlvE2_clEvEUlS7_S7_E_S7_EEDaPvRmT3_T4_T5_mT6_P12ihipStream_tbENKUlT_T0_E_clISt17integral_constantIbLb0EESY_IbLb1EEEEDaSU_SV_EUlSU_E_NS1_11comp_targetILNS1_3genE0ELNS1_11target_archE4294967295ELNS1_3gpuE0ELNS1_3repE0EEENS1_30default_config_static_selectorELNS0_4arch9wavefront6targetE0EEEvT1_.has_indirect_call, 0
	.section	.AMDGPU.csdata,"",@progbits
; Kernel info:
; codeLenInByte = 0
; TotalNumSgprs: 0
; NumVgprs: 0
; ScratchSize: 0
; MemoryBound: 0
; FloatMode: 240
; IeeeMode: 1
; LDSByteSize: 0 bytes/workgroup (compile time only)
; SGPRBlocks: 0
; VGPRBlocks: 0
; NumSGPRsForWavesPerEU: 1
; NumVGPRsForWavesPerEU: 1
; Occupancy: 16
; WaveLimiterHint : 0
; COMPUTE_PGM_RSRC2:SCRATCH_EN: 0
; COMPUTE_PGM_RSRC2:USER_SGPR: 2
; COMPUTE_PGM_RSRC2:TRAP_HANDLER: 0
; COMPUTE_PGM_RSRC2:TGID_X_EN: 1
; COMPUTE_PGM_RSRC2:TGID_Y_EN: 0
; COMPUTE_PGM_RSRC2:TGID_Z_EN: 0
; COMPUTE_PGM_RSRC2:TIDIG_COMP_CNT: 0
	.section	.text._ZN7rocprim17ROCPRIM_400000_NS6detail17trampoline_kernelINS0_14default_configENS1_20scan_config_selectorIN3c107complexIfEEEEZZNS1_9scan_implILNS1_25lookback_scan_determinismE0ELb0ELb0ES3_PKS7_PS7_S7_ZZZN2at6native31launch_logcumsumexp_cuda_kernelERKNSE_10TensorBaseESI_lENKUlvE_clEvENKUlvE2_clEvEUlS7_S7_E_S7_EEDaPvRmT3_T4_T5_mT6_P12ihipStream_tbENKUlT_T0_E_clISt17integral_constantIbLb0EESY_IbLb1EEEEDaSU_SV_EUlSU_E_NS1_11comp_targetILNS1_3genE5ELNS1_11target_archE942ELNS1_3gpuE9ELNS1_3repE0EEENS1_30default_config_static_selectorELNS0_4arch9wavefront6targetE0EEEvT1_,"axG",@progbits,_ZN7rocprim17ROCPRIM_400000_NS6detail17trampoline_kernelINS0_14default_configENS1_20scan_config_selectorIN3c107complexIfEEEEZZNS1_9scan_implILNS1_25lookback_scan_determinismE0ELb0ELb0ES3_PKS7_PS7_S7_ZZZN2at6native31launch_logcumsumexp_cuda_kernelERKNSE_10TensorBaseESI_lENKUlvE_clEvENKUlvE2_clEvEUlS7_S7_E_S7_EEDaPvRmT3_T4_T5_mT6_P12ihipStream_tbENKUlT_T0_E_clISt17integral_constantIbLb0EESY_IbLb1EEEEDaSU_SV_EUlSU_E_NS1_11comp_targetILNS1_3genE5ELNS1_11target_archE942ELNS1_3gpuE9ELNS1_3repE0EEENS1_30default_config_static_selectorELNS0_4arch9wavefront6targetE0EEEvT1_,comdat
	.globl	_ZN7rocprim17ROCPRIM_400000_NS6detail17trampoline_kernelINS0_14default_configENS1_20scan_config_selectorIN3c107complexIfEEEEZZNS1_9scan_implILNS1_25lookback_scan_determinismE0ELb0ELb0ES3_PKS7_PS7_S7_ZZZN2at6native31launch_logcumsumexp_cuda_kernelERKNSE_10TensorBaseESI_lENKUlvE_clEvENKUlvE2_clEvEUlS7_S7_E_S7_EEDaPvRmT3_T4_T5_mT6_P12ihipStream_tbENKUlT_T0_E_clISt17integral_constantIbLb0EESY_IbLb1EEEEDaSU_SV_EUlSU_E_NS1_11comp_targetILNS1_3genE5ELNS1_11target_archE942ELNS1_3gpuE9ELNS1_3repE0EEENS1_30default_config_static_selectorELNS0_4arch9wavefront6targetE0EEEvT1_ ; -- Begin function _ZN7rocprim17ROCPRIM_400000_NS6detail17trampoline_kernelINS0_14default_configENS1_20scan_config_selectorIN3c107complexIfEEEEZZNS1_9scan_implILNS1_25lookback_scan_determinismE0ELb0ELb0ES3_PKS7_PS7_S7_ZZZN2at6native31launch_logcumsumexp_cuda_kernelERKNSE_10TensorBaseESI_lENKUlvE_clEvENKUlvE2_clEvEUlS7_S7_E_S7_EEDaPvRmT3_T4_T5_mT6_P12ihipStream_tbENKUlT_T0_E_clISt17integral_constantIbLb0EESY_IbLb1EEEEDaSU_SV_EUlSU_E_NS1_11comp_targetILNS1_3genE5ELNS1_11target_archE942ELNS1_3gpuE9ELNS1_3repE0EEENS1_30default_config_static_selectorELNS0_4arch9wavefront6targetE0EEEvT1_
	.p2align	8
	.type	_ZN7rocprim17ROCPRIM_400000_NS6detail17trampoline_kernelINS0_14default_configENS1_20scan_config_selectorIN3c107complexIfEEEEZZNS1_9scan_implILNS1_25lookback_scan_determinismE0ELb0ELb0ES3_PKS7_PS7_S7_ZZZN2at6native31launch_logcumsumexp_cuda_kernelERKNSE_10TensorBaseESI_lENKUlvE_clEvENKUlvE2_clEvEUlS7_S7_E_S7_EEDaPvRmT3_T4_T5_mT6_P12ihipStream_tbENKUlT_T0_E_clISt17integral_constantIbLb0EESY_IbLb1EEEEDaSU_SV_EUlSU_E_NS1_11comp_targetILNS1_3genE5ELNS1_11target_archE942ELNS1_3gpuE9ELNS1_3repE0EEENS1_30default_config_static_selectorELNS0_4arch9wavefront6targetE0EEEvT1_,@function
_ZN7rocprim17ROCPRIM_400000_NS6detail17trampoline_kernelINS0_14default_configENS1_20scan_config_selectorIN3c107complexIfEEEEZZNS1_9scan_implILNS1_25lookback_scan_determinismE0ELb0ELb0ES3_PKS7_PS7_S7_ZZZN2at6native31launch_logcumsumexp_cuda_kernelERKNSE_10TensorBaseESI_lENKUlvE_clEvENKUlvE2_clEvEUlS7_S7_E_S7_EEDaPvRmT3_T4_T5_mT6_P12ihipStream_tbENKUlT_T0_E_clISt17integral_constantIbLb0EESY_IbLb1EEEEDaSU_SV_EUlSU_E_NS1_11comp_targetILNS1_3genE5ELNS1_11target_archE942ELNS1_3gpuE9ELNS1_3repE0EEENS1_30default_config_static_selectorELNS0_4arch9wavefront6targetE0EEEvT1_: ; @_ZN7rocprim17ROCPRIM_400000_NS6detail17trampoline_kernelINS0_14default_configENS1_20scan_config_selectorIN3c107complexIfEEEEZZNS1_9scan_implILNS1_25lookback_scan_determinismE0ELb0ELb0ES3_PKS7_PS7_S7_ZZZN2at6native31launch_logcumsumexp_cuda_kernelERKNSE_10TensorBaseESI_lENKUlvE_clEvENKUlvE2_clEvEUlS7_S7_E_S7_EEDaPvRmT3_T4_T5_mT6_P12ihipStream_tbENKUlT_T0_E_clISt17integral_constantIbLb0EESY_IbLb1EEEEDaSU_SV_EUlSU_E_NS1_11comp_targetILNS1_3genE5ELNS1_11target_archE942ELNS1_3gpuE9ELNS1_3repE0EEENS1_30default_config_static_selectorELNS0_4arch9wavefront6targetE0EEEvT1_
; %bb.0:
	.section	.rodata,"a",@progbits
	.p2align	6, 0x0
	.amdhsa_kernel _ZN7rocprim17ROCPRIM_400000_NS6detail17trampoline_kernelINS0_14default_configENS1_20scan_config_selectorIN3c107complexIfEEEEZZNS1_9scan_implILNS1_25lookback_scan_determinismE0ELb0ELb0ES3_PKS7_PS7_S7_ZZZN2at6native31launch_logcumsumexp_cuda_kernelERKNSE_10TensorBaseESI_lENKUlvE_clEvENKUlvE2_clEvEUlS7_S7_E_S7_EEDaPvRmT3_T4_T5_mT6_P12ihipStream_tbENKUlT_T0_E_clISt17integral_constantIbLb0EESY_IbLb1EEEEDaSU_SV_EUlSU_E_NS1_11comp_targetILNS1_3genE5ELNS1_11target_archE942ELNS1_3gpuE9ELNS1_3repE0EEENS1_30default_config_static_selectorELNS0_4arch9wavefront6targetE0EEEvT1_
		.amdhsa_group_segment_fixed_size 0
		.amdhsa_private_segment_fixed_size 0
		.amdhsa_kernarg_size 104
		.amdhsa_user_sgpr_count 2
		.amdhsa_user_sgpr_dispatch_ptr 0
		.amdhsa_user_sgpr_queue_ptr 0
		.amdhsa_user_sgpr_kernarg_segment_ptr 1
		.amdhsa_user_sgpr_dispatch_id 0
		.amdhsa_user_sgpr_private_segment_size 0
		.amdhsa_wavefront_size32 1
		.amdhsa_uses_dynamic_stack 0
		.amdhsa_enable_private_segment 0
		.amdhsa_system_sgpr_workgroup_id_x 1
		.amdhsa_system_sgpr_workgroup_id_y 0
		.amdhsa_system_sgpr_workgroup_id_z 0
		.amdhsa_system_sgpr_workgroup_info 0
		.amdhsa_system_vgpr_workitem_id 0
		.amdhsa_next_free_vgpr 1
		.amdhsa_next_free_sgpr 1
		.amdhsa_reserve_vcc 0
		.amdhsa_float_round_mode_32 0
		.amdhsa_float_round_mode_16_64 0
		.amdhsa_float_denorm_mode_32 3
		.amdhsa_float_denorm_mode_16_64 3
		.amdhsa_fp16_overflow 0
		.amdhsa_workgroup_processor_mode 1
		.amdhsa_memory_ordered 1
		.amdhsa_forward_progress 1
		.amdhsa_inst_pref_size 0
		.amdhsa_round_robin_scheduling 0
		.amdhsa_exception_fp_ieee_invalid_op 0
		.amdhsa_exception_fp_denorm_src 0
		.amdhsa_exception_fp_ieee_div_zero 0
		.amdhsa_exception_fp_ieee_overflow 0
		.amdhsa_exception_fp_ieee_underflow 0
		.amdhsa_exception_fp_ieee_inexact 0
		.amdhsa_exception_int_div_zero 0
	.end_amdhsa_kernel
	.section	.text._ZN7rocprim17ROCPRIM_400000_NS6detail17trampoline_kernelINS0_14default_configENS1_20scan_config_selectorIN3c107complexIfEEEEZZNS1_9scan_implILNS1_25lookback_scan_determinismE0ELb0ELb0ES3_PKS7_PS7_S7_ZZZN2at6native31launch_logcumsumexp_cuda_kernelERKNSE_10TensorBaseESI_lENKUlvE_clEvENKUlvE2_clEvEUlS7_S7_E_S7_EEDaPvRmT3_T4_T5_mT6_P12ihipStream_tbENKUlT_T0_E_clISt17integral_constantIbLb0EESY_IbLb1EEEEDaSU_SV_EUlSU_E_NS1_11comp_targetILNS1_3genE5ELNS1_11target_archE942ELNS1_3gpuE9ELNS1_3repE0EEENS1_30default_config_static_selectorELNS0_4arch9wavefront6targetE0EEEvT1_,"axG",@progbits,_ZN7rocprim17ROCPRIM_400000_NS6detail17trampoline_kernelINS0_14default_configENS1_20scan_config_selectorIN3c107complexIfEEEEZZNS1_9scan_implILNS1_25lookback_scan_determinismE0ELb0ELb0ES3_PKS7_PS7_S7_ZZZN2at6native31launch_logcumsumexp_cuda_kernelERKNSE_10TensorBaseESI_lENKUlvE_clEvENKUlvE2_clEvEUlS7_S7_E_S7_EEDaPvRmT3_T4_T5_mT6_P12ihipStream_tbENKUlT_T0_E_clISt17integral_constantIbLb0EESY_IbLb1EEEEDaSU_SV_EUlSU_E_NS1_11comp_targetILNS1_3genE5ELNS1_11target_archE942ELNS1_3gpuE9ELNS1_3repE0EEENS1_30default_config_static_selectorELNS0_4arch9wavefront6targetE0EEEvT1_,comdat
.Lfunc_end330:
	.size	_ZN7rocprim17ROCPRIM_400000_NS6detail17trampoline_kernelINS0_14default_configENS1_20scan_config_selectorIN3c107complexIfEEEEZZNS1_9scan_implILNS1_25lookback_scan_determinismE0ELb0ELb0ES3_PKS7_PS7_S7_ZZZN2at6native31launch_logcumsumexp_cuda_kernelERKNSE_10TensorBaseESI_lENKUlvE_clEvENKUlvE2_clEvEUlS7_S7_E_S7_EEDaPvRmT3_T4_T5_mT6_P12ihipStream_tbENKUlT_T0_E_clISt17integral_constantIbLb0EESY_IbLb1EEEEDaSU_SV_EUlSU_E_NS1_11comp_targetILNS1_3genE5ELNS1_11target_archE942ELNS1_3gpuE9ELNS1_3repE0EEENS1_30default_config_static_selectorELNS0_4arch9wavefront6targetE0EEEvT1_, .Lfunc_end330-_ZN7rocprim17ROCPRIM_400000_NS6detail17trampoline_kernelINS0_14default_configENS1_20scan_config_selectorIN3c107complexIfEEEEZZNS1_9scan_implILNS1_25lookback_scan_determinismE0ELb0ELb0ES3_PKS7_PS7_S7_ZZZN2at6native31launch_logcumsumexp_cuda_kernelERKNSE_10TensorBaseESI_lENKUlvE_clEvENKUlvE2_clEvEUlS7_S7_E_S7_EEDaPvRmT3_T4_T5_mT6_P12ihipStream_tbENKUlT_T0_E_clISt17integral_constantIbLb0EESY_IbLb1EEEEDaSU_SV_EUlSU_E_NS1_11comp_targetILNS1_3genE5ELNS1_11target_archE942ELNS1_3gpuE9ELNS1_3repE0EEENS1_30default_config_static_selectorELNS0_4arch9wavefront6targetE0EEEvT1_
                                        ; -- End function
	.set _ZN7rocprim17ROCPRIM_400000_NS6detail17trampoline_kernelINS0_14default_configENS1_20scan_config_selectorIN3c107complexIfEEEEZZNS1_9scan_implILNS1_25lookback_scan_determinismE0ELb0ELb0ES3_PKS7_PS7_S7_ZZZN2at6native31launch_logcumsumexp_cuda_kernelERKNSE_10TensorBaseESI_lENKUlvE_clEvENKUlvE2_clEvEUlS7_S7_E_S7_EEDaPvRmT3_T4_T5_mT6_P12ihipStream_tbENKUlT_T0_E_clISt17integral_constantIbLb0EESY_IbLb1EEEEDaSU_SV_EUlSU_E_NS1_11comp_targetILNS1_3genE5ELNS1_11target_archE942ELNS1_3gpuE9ELNS1_3repE0EEENS1_30default_config_static_selectorELNS0_4arch9wavefront6targetE0EEEvT1_.num_vgpr, 0
	.set _ZN7rocprim17ROCPRIM_400000_NS6detail17trampoline_kernelINS0_14default_configENS1_20scan_config_selectorIN3c107complexIfEEEEZZNS1_9scan_implILNS1_25lookback_scan_determinismE0ELb0ELb0ES3_PKS7_PS7_S7_ZZZN2at6native31launch_logcumsumexp_cuda_kernelERKNSE_10TensorBaseESI_lENKUlvE_clEvENKUlvE2_clEvEUlS7_S7_E_S7_EEDaPvRmT3_T4_T5_mT6_P12ihipStream_tbENKUlT_T0_E_clISt17integral_constantIbLb0EESY_IbLb1EEEEDaSU_SV_EUlSU_E_NS1_11comp_targetILNS1_3genE5ELNS1_11target_archE942ELNS1_3gpuE9ELNS1_3repE0EEENS1_30default_config_static_selectorELNS0_4arch9wavefront6targetE0EEEvT1_.num_agpr, 0
	.set _ZN7rocprim17ROCPRIM_400000_NS6detail17trampoline_kernelINS0_14default_configENS1_20scan_config_selectorIN3c107complexIfEEEEZZNS1_9scan_implILNS1_25lookback_scan_determinismE0ELb0ELb0ES3_PKS7_PS7_S7_ZZZN2at6native31launch_logcumsumexp_cuda_kernelERKNSE_10TensorBaseESI_lENKUlvE_clEvENKUlvE2_clEvEUlS7_S7_E_S7_EEDaPvRmT3_T4_T5_mT6_P12ihipStream_tbENKUlT_T0_E_clISt17integral_constantIbLb0EESY_IbLb1EEEEDaSU_SV_EUlSU_E_NS1_11comp_targetILNS1_3genE5ELNS1_11target_archE942ELNS1_3gpuE9ELNS1_3repE0EEENS1_30default_config_static_selectorELNS0_4arch9wavefront6targetE0EEEvT1_.numbered_sgpr, 0
	.set _ZN7rocprim17ROCPRIM_400000_NS6detail17trampoline_kernelINS0_14default_configENS1_20scan_config_selectorIN3c107complexIfEEEEZZNS1_9scan_implILNS1_25lookback_scan_determinismE0ELb0ELb0ES3_PKS7_PS7_S7_ZZZN2at6native31launch_logcumsumexp_cuda_kernelERKNSE_10TensorBaseESI_lENKUlvE_clEvENKUlvE2_clEvEUlS7_S7_E_S7_EEDaPvRmT3_T4_T5_mT6_P12ihipStream_tbENKUlT_T0_E_clISt17integral_constantIbLb0EESY_IbLb1EEEEDaSU_SV_EUlSU_E_NS1_11comp_targetILNS1_3genE5ELNS1_11target_archE942ELNS1_3gpuE9ELNS1_3repE0EEENS1_30default_config_static_selectorELNS0_4arch9wavefront6targetE0EEEvT1_.num_named_barrier, 0
	.set _ZN7rocprim17ROCPRIM_400000_NS6detail17trampoline_kernelINS0_14default_configENS1_20scan_config_selectorIN3c107complexIfEEEEZZNS1_9scan_implILNS1_25lookback_scan_determinismE0ELb0ELb0ES3_PKS7_PS7_S7_ZZZN2at6native31launch_logcumsumexp_cuda_kernelERKNSE_10TensorBaseESI_lENKUlvE_clEvENKUlvE2_clEvEUlS7_S7_E_S7_EEDaPvRmT3_T4_T5_mT6_P12ihipStream_tbENKUlT_T0_E_clISt17integral_constantIbLb0EESY_IbLb1EEEEDaSU_SV_EUlSU_E_NS1_11comp_targetILNS1_3genE5ELNS1_11target_archE942ELNS1_3gpuE9ELNS1_3repE0EEENS1_30default_config_static_selectorELNS0_4arch9wavefront6targetE0EEEvT1_.private_seg_size, 0
	.set _ZN7rocprim17ROCPRIM_400000_NS6detail17trampoline_kernelINS0_14default_configENS1_20scan_config_selectorIN3c107complexIfEEEEZZNS1_9scan_implILNS1_25lookback_scan_determinismE0ELb0ELb0ES3_PKS7_PS7_S7_ZZZN2at6native31launch_logcumsumexp_cuda_kernelERKNSE_10TensorBaseESI_lENKUlvE_clEvENKUlvE2_clEvEUlS7_S7_E_S7_EEDaPvRmT3_T4_T5_mT6_P12ihipStream_tbENKUlT_T0_E_clISt17integral_constantIbLb0EESY_IbLb1EEEEDaSU_SV_EUlSU_E_NS1_11comp_targetILNS1_3genE5ELNS1_11target_archE942ELNS1_3gpuE9ELNS1_3repE0EEENS1_30default_config_static_selectorELNS0_4arch9wavefront6targetE0EEEvT1_.uses_vcc, 0
	.set _ZN7rocprim17ROCPRIM_400000_NS6detail17trampoline_kernelINS0_14default_configENS1_20scan_config_selectorIN3c107complexIfEEEEZZNS1_9scan_implILNS1_25lookback_scan_determinismE0ELb0ELb0ES3_PKS7_PS7_S7_ZZZN2at6native31launch_logcumsumexp_cuda_kernelERKNSE_10TensorBaseESI_lENKUlvE_clEvENKUlvE2_clEvEUlS7_S7_E_S7_EEDaPvRmT3_T4_T5_mT6_P12ihipStream_tbENKUlT_T0_E_clISt17integral_constantIbLb0EESY_IbLb1EEEEDaSU_SV_EUlSU_E_NS1_11comp_targetILNS1_3genE5ELNS1_11target_archE942ELNS1_3gpuE9ELNS1_3repE0EEENS1_30default_config_static_selectorELNS0_4arch9wavefront6targetE0EEEvT1_.uses_flat_scratch, 0
	.set _ZN7rocprim17ROCPRIM_400000_NS6detail17trampoline_kernelINS0_14default_configENS1_20scan_config_selectorIN3c107complexIfEEEEZZNS1_9scan_implILNS1_25lookback_scan_determinismE0ELb0ELb0ES3_PKS7_PS7_S7_ZZZN2at6native31launch_logcumsumexp_cuda_kernelERKNSE_10TensorBaseESI_lENKUlvE_clEvENKUlvE2_clEvEUlS7_S7_E_S7_EEDaPvRmT3_T4_T5_mT6_P12ihipStream_tbENKUlT_T0_E_clISt17integral_constantIbLb0EESY_IbLb1EEEEDaSU_SV_EUlSU_E_NS1_11comp_targetILNS1_3genE5ELNS1_11target_archE942ELNS1_3gpuE9ELNS1_3repE0EEENS1_30default_config_static_selectorELNS0_4arch9wavefront6targetE0EEEvT1_.has_dyn_sized_stack, 0
	.set _ZN7rocprim17ROCPRIM_400000_NS6detail17trampoline_kernelINS0_14default_configENS1_20scan_config_selectorIN3c107complexIfEEEEZZNS1_9scan_implILNS1_25lookback_scan_determinismE0ELb0ELb0ES3_PKS7_PS7_S7_ZZZN2at6native31launch_logcumsumexp_cuda_kernelERKNSE_10TensorBaseESI_lENKUlvE_clEvENKUlvE2_clEvEUlS7_S7_E_S7_EEDaPvRmT3_T4_T5_mT6_P12ihipStream_tbENKUlT_T0_E_clISt17integral_constantIbLb0EESY_IbLb1EEEEDaSU_SV_EUlSU_E_NS1_11comp_targetILNS1_3genE5ELNS1_11target_archE942ELNS1_3gpuE9ELNS1_3repE0EEENS1_30default_config_static_selectorELNS0_4arch9wavefront6targetE0EEEvT1_.has_recursion, 0
	.set _ZN7rocprim17ROCPRIM_400000_NS6detail17trampoline_kernelINS0_14default_configENS1_20scan_config_selectorIN3c107complexIfEEEEZZNS1_9scan_implILNS1_25lookback_scan_determinismE0ELb0ELb0ES3_PKS7_PS7_S7_ZZZN2at6native31launch_logcumsumexp_cuda_kernelERKNSE_10TensorBaseESI_lENKUlvE_clEvENKUlvE2_clEvEUlS7_S7_E_S7_EEDaPvRmT3_T4_T5_mT6_P12ihipStream_tbENKUlT_T0_E_clISt17integral_constantIbLb0EESY_IbLb1EEEEDaSU_SV_EUlSU_E_NS1_11comp_targetILNS1_3genE5ELNS1_11target_archE942ELNS1_3gpuE9ELNS1_3repE0EEENS1_30default_config_static_selectorELNS0_4arch9wavefront6targetE0EEEvT1_.has_indirect_call, 0
	.section	.AMDGPU.csdata,"",@progbits
; Kernel info:
; codeLenInByte = 0
; TotalNumSgprs: 0
; NumVgprs: 0
; ScratchSize: 0
; MemoryBound: 0
; FloatMode: 240
; IeeeMode: 1
; LDSByteSize: 0 bytes/workgroup (compile time only)
; SGPRBlocks: 0
; VGPRBlocks: 0
; NumSGPRsForWavesPerEU: 1
; NumVGPRsForWavesPerEU: 1
; Occupancy: 16
; WaveLimiterHint : 0
; COMPUTE_PGM_RSRC2:SCRATCH_EN: 0
; COMPUTE_PGM_RSRC2:USER_SGPR: 2
; COMPUTE_PGM_RSRC2:TRAP_HANDLER: 0
; COMPUTE_PGM_RSRC2:TGID_X_EN: 1
; COMPUTE_PGM_RSRC2:TGID_Y_EN: 0
; COMPUTE_PGM_RSRC2:TGID_Z_EN: 0
; COMPUTE_PGM_RSRC2:TIDIG_COMP_CNT: 0
	.section	.text._ZN7rocprim17ROCPRIM_400000_NS6detail17trampoline_kernelINS0_14default_configENS1_20scan_config_selectorIN3c107complexIfEEEEZZNS1_9scan_implILNS1_25lookback_scan_determinismE0ELb0ELb0ES3_PKS7_PS7_S7_ZZZN2at6native31launch_logcumsumexp_cuda_kernelERKNSE_10TensorBaseESI_lENKUlvE_clEvENKUlvE2_clEvEUlS7_S7_E_S7_EEDaPvRmT3_T4_T5_mT6_P12ihipStream_tbENKUlT_T0_E_clISt17integral_constantIbLb0EESY_IbLb1EEEEDaSU_SV_EUlSU_E_NS1_11comp_targetILNS1_3genE4ELNS1_11target_archE910ELNS1_3gpuE8ELNS1_3repE0EEENS1_30default_config_static_selectorELNS0_4arch9wavefront6targetE0EEEvT1_,"axG",@progbits,_ZN7rocprim17ROCPRIM_400000_NS6detail17trampoline_kernelINS0_14default_configENS1_20scan_config_selectorIN3c107complexIfEEEEZZNS1_9scan_implILNS1_25lookback_scan_determinismE0ELb0ELb0ES3_PKS7_PS7_S7_ZZZN2at6native31launch_logcumsumexp_cuda_kernelERKNSE_10TensorBaseESI_lENKUlvE_clEvENKUlvE2_clEvEUlS7_S7_E_S7_EEDaPvRmT3_T4_T5_mT6_P12ihipStream_tbENKUlT_T0_E_clISt17integral_constantIbLb0EESY_IbLb1EEEEDaSU_SV_EUlSU_E_NS1_11comp_targetILNS1_3genE4ELNS1_11target_archE910ELNS1_3gpuE8ELNS1_3repE0EEENS1_30default_config_static_selectorELNS0_4arch9wavefront6targetE0EEEvT1_,comdat
	.globl	_ZN7rocprim17ROCPRIM_400000_NS6detail17trampoline_kernelINS0_14default_configENS1_20scan_config_selectorIN3c107complexIfEEEEZZNS1_9scan_implILNS1_25lookback_scan_determinismE0ELb0ELb0ES3_PKS7_PS7_S7_ZZZN2at6native31launch_logcumsumexp_cuda_kernelERKNSE_10TensorBaseESI_lENKUlvE_clEvENKUlvE2_clEvEUlS7_S7_E_S7_EEDaPvRmT3_T4_T5_mT6_P12ihipStream_tbENKUlT_T0_E_clISt17integral_constantIbLb0EESY_IbLb1EEEEDaSU_SV_EUlSU_E_NS1_11comp_targetILNS1_3genE4ELNS1_11target_archE910ELNS1_3gpuE8ELNS1_3repE0EEENS1_30default_config_static_selectorELNS0_4arch9wavefront6targetE0EEEvT1_ ; -- Begin function _ZN7rocprim17ROCPRIM_400000_NS6detail17trampoline_kernelINS0_14default_configENS1_20scan_config_selectorIN3c107complexIfEEEEZZNS1_9scan_implILNS1_25lookback_scan_determinismE0ELb0ELb0ES3_PKS7_PS7_S7_ZZZN2at6native31launch_logcumsumexp_cuda_kernelERKNSE_10TensorBaseESI_lENKUlvE_clEvENKUlvE2_clEvEUlS7_S7_E_S7_EEDaPvRmT3_T4_T5_mT6_P12ihipStream_tbENKUlT_T0_E_clISt17integral_constantIbLb0EESY_IbLb1EEEEDaSU_SV_EUlSU_E_NS1_11comp_targetILNS1_3genE4ELNS1_11target_archE910ELNS1_3gpuE8ELNS1_3repE0EEENS1_30default_config_static_selectorELNS0_4arch9wavefront6targetE0EEEvT1_
	.p2align	8
	.type	_ZN7rocprim17ROCPRIM_400000_NS6detail17trampoline_kernelINS0_14default_configENS1_20scan_config_selectorIN3c107complexIfEEEEZZNS1_9scan_implILNS1_25lookback_scan_determinismE0ELb0ELb0ES3_PKS7_PS7_S7_ZZZN2at6native31launch_logcumsumexp_cuda_kernelERKNSE_10TensorBaseESI_lENKUlvE_clEvENKUlvE2_clEvEUlS7_S7_E_S7_EEDaPvRmT3_T4_T5_mT6_P12ihipStream_tbENKUlT_T0_E_clISt17integral_constantIbLb0EESY_IbLb1EEEEDaSU_SV_EUlSU_E_NS1_11comp_targetILNS1_3genE4ELNS1_11target_archE910ELNS1_3gpuE8ELNS1_3repE0EEENS1_30default_config_static_selectorELNS0_4arch9wavefront6targetE0EEEvT1_,@function
_ZN7rocprim17ROCPRIM_400000_NS6detail17trampoline_kernelINS0_14default_configENS1_20scan_config_selectorIN3c107complexIfEEEEZZNS1_9scan_implILNS1_25lookback_scan_determinismE0ELb0ELb0ES3_PKS7_PS7_S7_ZZZN2at6native31launch_logcumsumexp_cuda_kernelERKNSE_10TensorBaseESI_lENKUlvE_clEvENKUlvE2_clEvEUlS7_S7_E_S7_EEDaPvRmT3_T4_T5_mT6_P12ihipStream_tbENKUlT_T0_E_clISt17integral_constantIbLb0EESY_IbLb1EEEEDaSU_SV_EUlSU_E_NS1_11comp_targetILNS1_3genE4ELNS1_11target_archE910ELNS1_3gpuE8ELNS1_3repE0EEENS1_30default_config_static_selectorELNS0_4arch9wavefront6targetE0EEEvT1_: ; @_ZN7rocprim17ROCPRIM_400000_NS6detail17trampoline_kernelINS0_14default_configENS1_20scan_config_selectorIN3c107complexIfEEEEZZNS1_9scan_implILNS1_25lookback_scan_determinismE0ELb0ELb0ES3_PKS7_PS7_S7_ZZZN2at6native31launch_logcumsumexp_cuda_kernelERKNSE_10TensorBaseESI_lENKUlvE_clEvENKUlvE2_clEvEUlS7_S7_E_S7_EEDaPvRmT3_T4_T5_mT6_P12ihipStream_tbENKUlT_T0_E_clISt17integral_constantIbLb0EESY_IbLb1EEEEDaSU_SV_EUlSU_E_NS1_11comp_targetILNS1_3genE4ELNS1_11target_archE910ELNS1_3gpuE8ELNS1_3repE0EEENS1_30default_config_static_selectorELNS0_4arch9wavefront6targetE0EEEvT1_
; %bb.0:
	.section	.rodata,"a",@progbits
	.p2align	6, 0x0
	.amdhsa_kernel _ZN7rocprim17ROCPRIM_400000_NS6detail17trampoline_kernelINS0_14default_configENS1_20scan_config_selectorIN3c107complexIfEEEEZZNS1_9scan_implILNS1_25lookback_scan_determinismE0ELb0ELb0ES3_PKS7_PS7_S7_ZZZN2at6native31launch_logcumsumexp_cuda_kernelERKNSE_10TensorBaseESI_lENKUlvE_clEvENKUlvE2_clEvEUlS7_S7_E_S7_EEDaPvRmT3_T4_T5_mT6_P12ihipStream_tbENKUlT_T0_E_clISt17integral_constantIbLb0EESY_IbLb1EEEEDaSU_SV_EUlSU_E_NS1_11comp_targetILNS1_3genE4ELNS1_11target_archE910ELNS1_3gpuE8ELNS1_3repE0EEENS1_30default_config_static_selectorELNS0_4arch9wavefront6targetE0EEEvT1_
		.amdhsa_group_segment_fixed_size 0
		.amdhsa_private_segment_fixed_size 0
		.amdhsa_kernarg_size 104
		.amdhsa_user_sgpr_count 2
		.amdhsa_user_sgpr_dispatch_ptr 0
		.amdhsa_user_sgpr_queue_ptr 0
		.amdhsa_user_sgpr_kernarg_segment_ptr 1
		.amdhsa_user_sgpr_dispatch_id 0
		.amdhsa_user_sgpr_private_segment_size 0
		.amdhsa_wavefront_size32 1
		.amdhsa_uses_dynamic_stack 0
		.amdhsa_enable_private_segment 0
		.amdhsa_system_sgpr_workgroup_id_x 1
		.amdhsa_system_sgpr_workgroup_id_y 0
		.amdhsa_system_sgpr_workgroup_id_z 0
		.amdhsa_system_sgpr_workgroup_info 0
		.amdhsa_system_vgpr_workitem_id 0
		.amdhsa_next_free_vgpr 1
		.amdhsa_next_free_sgpr 1
		.amdhsa_reserve_vcc 0
		.amdhsa_float_round_mode_32 0
		.amdhsa_float_round_mode_16_64 0
		.amdhsa_float_denorm_mode_32 3
		.amdhsa_float_denorm_mode_16_64 3
		.amdhsa_fp16_overflow 0
		.amdhsa_workgroup_processor_mode 1
		.amdhsa_memory_ordered 1
		.amdhsa_forward_progress 1
		.amdhsa_inst_pref_size 0
		.amdhsa_round_robin_scheduling 0
		.amdhsa_exception_fp_ieee_invalid_op 0
		.amdhsa_exception_fp_denorm_src 0
		.amdhsa_exception_fp_ieee_div_zero 0
		.amdhsa_exception_fp_ieee_overflow 0
		.amdhsa_exception_fp_ieee_underflow 0
		.amdhsa_exception_fp_ieee_inexact 0
		.amdhsa_exception_int_div_zero 0
	.end_amdhsa_kernel
	.section	.text._ZN7rocprim17ROCPRIM_400000_NS6detail17trampoline_kernelINS0_14default_configENS1_20scan_config_selectorIN3c107complexIfEEEEZZNS1_9scan_implILNS1_25lookback_scan_determinismE0ELb0ELb0ES3_PKS7_PS7_S7_ZZZN2at6native31launch_logcumsumexp_cuda_kernelERKNSE_10TensorBaseESI_lENKUlvE_clEvENKUlvE2_clEvEUlS7_S7_E_S7_EEDaPvRmT3_T4_T5_mT6_P12ihipStream_tbENKUlT_T0_E_clISt17integral_constantIbLb0EESY_IbLb1EEEEDaSU_SV_EUlSU_E_NS1_11comp_targetILNS1_3genE4ELNS1_11target_archE910ELNS1_3gpuE8ELNS1_3repE0EEENS1_30default_config_static_selectorELNS0_4arch9wavefront6targetE0EEEvT1_,"axG",@progbits,_ZN7rocprim17ROCPRIM_400000_NS6detail17trampoline_kernelINS0_14default_configENS1_20scan_config_selectorIN3c107complexIfEEEEZZNS1_9scan_implILNS1_25lookback_scan_determinismE0ELb0ELb0ES3_PKS7_PS7_S7_ZZZN2at6native31launch_logcumsumexp_cuda_kernelERKNSE_10TensorBaseESI_lENKUlvE_clEvENKUlvE2_clEvEUlS7_S7_E_S7_EEDaPvRmT3_T4_T5_mT6_P12ihipStream_tbENKUlT_T0_E_clISt17integral_constantIbLb0EESY_IbLb1EEEEDaSU_SV_EUlSU_E_NS1_11comp_targetILNS1_3genE4ELNS1_11target_archE910ELNS1_3gpuE8ELNS1_3repE0EEENS1_30default_config_static_selectorELNS0_4arch9wavefront6targetE0EEEvT1_,comdat
.Lfunc_end331:
	.size	_ZN7rocprim17ROCPRIM_400000_NS6detail17trampoline_kernelINS0_14default_configENS1_20scan_config_selectorIN3c107complexIfEEEEZZNS1_9scan_implILNS1_25lookback_scan_determinismE0ELb0ELb0ES3_PKS7_PS7_S7_ZZZN2at6native31launch_logcumsumexp_cuda_kernelERKNSE_10TensorBaseESI_lENKUlvE_clEvENKUlvE2_clEvEUlS7_S7_E_S7_EEDaPvRmT3_T4_T5_mT6_P12ihipStream_tbENKUlT_T0_E_clISt17integral_constantIbLb0EESY_IbLb1EEEEDaSU_SV_EUlSU_E_NS1_11comp_targetILNS1_3genE4ELNS1_11target_archE910ELNS1_3gpuE8ELNS1_3repE0EEENS1_30default_config_static_selectorELNS0_4arch9wavefront6targetE0EEEvT1_, .Lfunc_end331-_ZN7rocprim17ROCPRIM_400000_NS6detail17trampoline_kernelINS0_14default_configENS1_20scan_config_selectorIN3c107complexIfEEEEZZNS1_9scan_implILNS1_25lookback_scan_determinismE0ELb0ELb0ES3_PKS7_PS7_S7_ZZZN2at6native31launch_logcumsumexp_cuda_kernelERKNSE_10TensorBaseESI_lENKUlvE_clEvENKUlvE2_clEvEUlS7_S7_E_S7_EEDaPvRmT3_T4_T5_mT6_P12ihipStream_tbENKUlT_T0_E_clISt17integral_constantIbLb0EESY_IbLb1EEEEDaSU_SV_EUlSU_E_NS1_11comp_targetILNS1_3genE4ELNS1_11target_archE910ELNS1_3gpuE8ELNS1_3repE0EEENS1_30default_config_static_selectorELNS0_4arch9wavefront6targetE0EEEvT1_
                                        ; -- End function
	.set _ZN7rocprim17ROCPRIM_400000_NS6detail17trampoline_kernelINS0_14default_configENS1_20scan_config_selectorIN3c107complexIfEEEEZZNS1_9scan_implILNS1_25lookback_scan_determinismE0ELb0ELb0ES3_PKS7_PS7_S7_ZZZN2at6native31launch_logcumsumexp_cuda_kernelERKNSE_10TensorBaseESI_lENKUlvE_clEvENKUlvE2_clEvEUlS7_S7_E_S7_EEDaPvRmT3_T4_T5_mT6_P12ihipStream_tbENKUlT_T0_E_clISt17integral_constantIbLb0EESY_IbLb1EEEEDaSU_SV_EUlSU_E_NS1_11comp_targetILNS1_3genE4ELNS1_11target_archE910ELNS1_3gpuE8ELNS1_3repE0EEENS1_30default_config_static_selectorELNS0_4arch9wavefront6targetE0EEEvT1_.num_vgpr, 0
	.set _ZN7rocprim17ROCPRIM_400000_NS6detail17trampoline_kernelINS0_14default_configENS1_20scan_config_selectorIN3c107complexIfEEEEZZNS1_9scan_implILNS1_25lookback_scan_determinismE0ELb0ELb0ES3_PKS7_PS7_S7_ZZZN2at6native31launch_logcumsumexp_cuda_kernelERKNSE_10TensorBaseESI_lENKUlvE_clEvENKUlvE2_clEvEUlS7_S7_E_S7_EEDaPvRmT3_T4_T5_mT6_P12ihipStream_tbENKUlT_T0_E_clISt17integral_constantIbLb0EESY_IbLb1EEEEDaSU_SV_EUlSU_E_NS1_11comp_targetILNS1_3genE4ELNS1_11target_archE910ELNS1_3gpuE8ELNS1_3repE0EEENS1_30default_config_static_selectorELNS0_4arch9wavefront6targetE0EEEvT1_.num_agpr, 0
	.set _ZN7rocprim17ROCPRIM_400000_NS6detail17trampoline_kernelINS0_14default_configENS1_20scan_config_selectorIN3c107complexIfEEEEZZNS1_9scan_implILNS1_25lookback_scan_determinismE0ELb0ELb0ES3_PKS7_PS7_S7_ZZZN2at6native31launch_logcumsumexp_cuda_kernelERKNSE_10TensorBaseESI_lENKUlvE_clEvENKUlvE2_clEvEUlS7_S7_E_S7_EEDaPvRmT3_T4_T5_mT6_P12ihipStream_tbENKUlT_T0_E_clISt17integral_constantIbLb0EESY_IbLb1EEEEDaSU_SV_EUlSU_E_NS1_11comp_targetILNS1_3genE4ELNS1_11target_archE910ELNS1_3gpuE8ELNS1_3repE0EEENS1_30default_config_static_selectorELNS0_4arch9wavefront6targetE0EEEvT1_.numbered_sgpr, 0
	.set _ZN7rocprim17ROCPRIM_400000_NS6detail17trampoline_kernelINS0_14default_configENS1_20scan_config_selectorIN3c107complexIfEEEEZZNS1_9scan_implILNS1_25lookback_scan_determinismE0ELb0ELb0ES3_PKS7_PS7_S7_ZZZN2at6native31launch_logcumsumexp_cuda_kernelERKNSE_10TensorBaseESI_lENKUlvE_clEvENKUlvE2_clEvEUlS7_S7_E_S7_EEDaPvRmT3_T4_T5_mT6_P12ihipStream_tbENKUlT_T0_E_clISt17integral_constantIbLb0EESY_IbLb1EEEEDaSU_SV_EUlSU_E_NS1_11comp_targetILNS1_3genE4ELNS1_11target_archE910ELNS1_3gpuE8ELNS1_3repE0EEENS1_30default_config_static_selectorELNS0_4arch9wavefront6targetE0EEEvT1_.num_named_barrier, 0
	.set _ZN7rocprim17ROCPRIM_400000_NS6detail17trampoline_kernelINS0_14default_configENS1_20scan_config_selectorIN3c107complexIfEEEEZZNS1_9scan_implILNS1_25lookback_scan_determinismE0ELb0ELb0ES3_PKS7_PS7_S7_ZZZN2at6native31launch_logcumsumexp_cuda_kernelERKNSE_10TensorBaseESI_lENKUlvE_clEvENKUlvE2_clEvEUlS7_S7_E_S7_EEDaPvRmT3_T4_T5_mT6_P12ihipStream_tbENKUlT_T0_E_clISt17integral_constantIbLb0EESY_IbLb1EEEEDaSU_SV_EUlSU_E_NS1_11comp_targetILNS1_3genE4ELNS1_11target_archE910ELNS1_3gpuE8ELNS1_3repE0EEENS1_30default_config_static_selectorELNS0_4arch9wavefront6targetE0EEEvT1_.private_seg_size, 0
	.set _ZN7rocprim17ROCPRIM_400000_NS6detail17trampoline_kernelINS0_14default_configENS1_20scan_config_selectorIN3c107complexIfEEEEZZNS1_9scan_implILNS1_25lookback_scan_determinismE0ELb0ELb0ES3_PKS7_PS7_S7_ZZZN2at6native31launch_logcumsumexp_cuda_kernelERKNSE_10TensorBaseESI_lENKUlvE_clEvENKUlvE2_clEvEUlS7_S7_E_S7_EEDaPvRmT3_T4_T5_mT6_P12ihipStream_tbENKUlT_T0_E_clISt17integral_constantIbLb0EESY_IbLb1EEEEDaSU_SV_EUlSU_E_NS1_11comp_targetILNS1_3genE4ELNS1_11target_archE910ELNS1_3gpuE8ELNS1_3repE0EEENS1_30default_config_static_selectorELNS0_4arch9wavefront6targetE0EEEvT1_.uses_vcc, 0
	.set _ZN7rocprim17ROCPRIM_400000_NS6detail17trampoline_kernelINS0_14default_configENS1_20scan_config_selectorIN3c107complexIfEEEEZZNS1_9scan_implILNS1_25lookback_scan_determinismE0ELb0ELb0ES3_PKS7_PS7_S7_ZZZN2at6native31launch_logcumsumexp_cuda_kernelERKNSE_10TensorBaseESI_lENKUlvE_clEvENKUlvE2_clEvEUlS7_S7_E_S7_EEDaPvRmT3_T4_T5_mT6_P12ihipStream_tbENKUlT_T0_E_clISt17integral_constantIbLb0EESY_IbLb1EEEEDaSU_SV_EUlSU_E_NS1_11comp_targetILNS1_3genE4ELNS1_11target_archE910ELNS1_3gpuE8ELNS1_3repE0EEENS1_30default_config_static_selectorELNS0_4arch9wavefront6targetE0EEEvT1_.uses_flat_scratch, 0
	.set _ZN7rocprim17ROCPRIM_400000_NS6detail17trampoline_kernelINS0_14default_configENS1_20scan_config_selectorIN3c107complexIfEEEEZZNS1_9scan_implILNS1_25lookback_scan_determinismE0ELb0ELb0ES3_PKS7_PS7_S7_ZZZN2at6native31launch_logcumsumexp_cuda_kernelERKNSE_10TensorBaseESI_lENKUlvE_clEvENKUlvE2_clEvEUlS7_S7_E_S7_EEDaPvRmT3_T4_T5_mT6_P12ihipStream_tbENKUlT_T0_E_clISt17integral_constantIbLb0EESY_IbLb1EEEEDaSU_SV_EUlSU_E_NS1_11comp_targetILNS1_3genE4ELNS1_11target_archE910ELNS1_3gpuE8ELNS1_3repE0EEENS1_30default_config_static_selectorELNS0_4arch9wavefront6targetE0EEEvT1_.has_dyn_sized_stack, 0
	.set _ZN7rocprim17ROCPRIM_400000_NS6detail17trampoline_kernelINS0_14default_configENS1_20scan_config_selectorIN3c107complexIfEEEEZZNS1_9scan_implILNS1_25lookback_scan_determinismE0ELb0ELb0ES3_PKS7_PS7_S7_ZZZN2at6native31launch_logcumsumexp_cuda_kernelERKNSE_10TensorBaseESI_lENKUlvE_clEvENKUlvE2_clEvEUlS7_S7_E_S7_EEDaPvRmT3_T4_T5_mT6_P12ihipStream_tbENKUlT_T0_E_clISt17integral_constantIbLb0EESY_IbLb1EEEEDaSU_SV_EUlSU_E_NS1_11comp_targetILNS1_3genE4ELNS1_11target_archE910ELNS1_3gpuE8ELNS1_3repE0EEENS1_30default_config_static_selectorELNS0_4arch9wavefront6targetE0EEEvT1_.has_recursion, 0
	.set _ZN7rocprim17ROCPRIM_400000_NS6detail17trampoline_kernelINS0_14default_configENS1_20scan_config_selectorIN3c107complexIfEEEEZZNS1_9scan_implILNS1_25lookback_scan_determinismE0ELb0ELb0ES3_PKS7_PS7_S7_ZZZN2at6native31launch_logcumsumexp_cuda_kernelERKNSE_10TensorBaseESI_lENKUlvE_clEvENKUlvE2_clEvEUlS7_S7_E_S7_EEDaPvRmT3_T4_T5_mT6_P12ihipStream_tbENKUlT_T0_E_clISt17integral_constantIbLb0EESY_IbLb1EEEEDaSU_SV_EUlSU_E_NS1_11comp_targetILNS1_3genE4ELNS1_11target_archE910ELNS1_3gpuE8ELNS1_3repE0EEENS1_30default_config_static_selectorELNS0_4arch9wavefront6targetE0EEEvT1_.has_indirect_call, 0
	.section	.AMDGPU.csdata,"",@progbits
; Kernel info:
; codeLenInByte = 0
; TotalNumSgprs: 0
; NumVgprs: 0
; ScratchSize: 0
; MemoryBound: 0
; FloatMode: 240
; IeeeMode: 1
; LDSByteSize: 0 bytes/workgroup (compile time only)
; SGPRBlocks: 0
; VGPRBlocks: 0
; NumSGPRsForWavesPerEU: 1
; NumVGPRsForWavesPerEU: 1
; Occupancy: 16
; WaveLimiterHint : 0
; COMPUTE_PGM_RSRC2:SCRATCH_EN: 0
; COMPUTE_PGM_RSRC2:USER_SGPR: 2
; COMPUTE_PGM_RSRC2:TRAP_HANDLER: 0
; COMPUTE_PGM_RSRC2:TGID_X_EN: 1
; COMPUTE_PGM_RSRC2:TGID_Y_EN: 0
; COMPUTE_PGM_RSRC2:TGID_Z_EN: 0
; COMPUTE_PGM_RSRC2:TIDIG_COMP_CNT: 0
	.section	.text._ZN7rocprim17ROCPRIM_400000_NS6detail17trampoline_kernelINS0_14default_configENS1_20scan_config_selectorIN3c107complexIfEEEEZZNS1_9scan_implILNS1_25lookback_scan_determinismE0ELb0ELb0ES3_PKS7_PS7_S7_ZZZN2at6native31launch_logcumsumexp_cuda_kernelERKNSE_10TensorBaseESI_lENKUlvE_clEvENKUlvE2_clEvEUlS7_S7_E_S7_EEDaPvRmT3_T4_T5_mT6_P12ihipStream_tbENKUlT_T0_E_clISt17integral_constantIbLb0EESY_IbLb1EEEEDaSU_SV_EUlSU_E_NS1_11comp_targetILNS1_3genE3ELNS1_11target_archE908ELNS1_3gpuE7ELNS1_3repE0EEENS1_30default_config_static_selectorELNS0_4arch9wavefront6targetE0EEEvT1_,"axG",@progbits,_ZN7rocprim17ROCPRIM_400000_NS6detail17trampoline_kernelINS0_14default_configENS1_20scan_config_selectorIN3c107complexIfEEEEZZNS1_9scan_implILNS1_25lookback_scan_determinismE0ELb0ELb0ES3_PKS7_PS7_S7_ZZZN2at6native31launch_logcumsumexp_cuda_kernelERKNSE_10TensorBaseESI_lENKUlvE_clEvENKUlvE2_clEvEUlS7_S7_E_S7_EEDaPvRmT3_T4_T5_mT6_P12ihipStream_tbENKUlT_T0_E_clISt17integral_constantIbLb0EESY_IbLb1EEEEDaSU_SV_EUlSU_E_NS1_11comp_targetILNS1_3genE3ELNS1_11target_archE908ELNS1_3gpuE7ELNS1_3repE0EEENS1_30default_config_static_selectorELNS0_4arch9wavefront6targetE0EEEvT1_,comdat
	.globl	_ZN7rocprim17ROCPRIM_400000_NS6detail17trampoline_kernelINS0_14default_configENS1_20scan_config_selectorIN3c107complexIfEEEEZZNS1_9scan_implILNS1_25lookback_scan_determinismE0ELb0ELb0ES3_PKS7_PS7_S7_ZZZN2at6native31launch_logcumsumexp_cuda_kernelERKNSE_10TensorBaseESI_lENKUlvE_clEvENKUlvE2_clEvEUlS7_S7_E_S7_EEDaPvRmT3_T4_T5_mT6_P12ihipStream_tbENKUlT_T0_E_clISt17integral_constantIbLb0EESY_IbLb1EEEEDaSU_SV_EUlSU_E_NS1_11comp_targetILNS1_3genE3ELNS1_11target_archE908ELNS1_3gpuE7ELNS1_3repE0EEENS1_30default_config_static_selectorELNS0_4arch9wavefront6targetE0EEEvT1_ ; -- Begin function _ZN7rocprim17ROCPRIM_400000_NS6detail17trampoline_kernelINS0_14default_configENS1_20scan_config_selectorIN3c107complexIfEEEEZZNS1_9scan_implILNS1_25lookback_scan_determinismE0ELb0ELb0ES3_PKS7_PS7_S7_ZZZN2at6native31launch_logcumsumexp_cuda_kernelERKNSE_10TensorBaseESI_lENKUlvE_clEvENKUlvE2_clEvEUlS7_S7_E_S7_EEDaPvRmT3_T4_T5_mT6_P12ihipStream_tbENKUlT_T0_E_clISt17integral_constantIbLb0EESY_IbLb1EEEEDaSU_SV_EUlSU_E_NS1_11comp_targetILNS1_3genE3ELNS1_11target_archE908ELNS1_3gpuE7ELNS1_3repE0EEENS1_30default_config_static_selectorELNS0_4arch9wavefront6targetE0EEEvT1_
	.p2align	8
	.type	_ZN7rocprim17ROCPRIM_400000_NS6detail17trampoline_kernelINS0_14default_configENS1_20scan_config_selectorIN3c107complexIfEEEEZZNS1_9scan_implILNS1_25lookback_scan_determinismE0ELb0ELb0ES3_PKS7_PS7_S7_ZZZN2at6native31launch_logcumsumexp_cuda_kernelERKNSE_10TensorBaseESI_lENKUlvE_clEvENKUlvE2_clEvEUlS7_S7_E_S7_EEDaPvRmT3_T4_T5_mT6_P12ihipStream_tbENKUlT_T0_E_clISt17integral_constantIbLb0EESY_IbLb1EEEEDaSU_SV_EUlSU_E_NS1_11comp_targetILNS1_3genE3ELNS1_11target_archE908ELNS1_3gpuE7ELNS1_3repE0EEENS1_30default_config_static_selectorELNS0_4arch9wavefront6targetE0EEEvT1_,@function
_ZN7rocprim17ROCPRIM_400000_NS6detail17trampoline_kernelINS0_14default_configENS1_20scan_config_selectorIN3c107complexIfEEEEZZNS1_9scan_implILNS1_25lookback_scan_determinismE0ELb0ELb0ES3_PKS7_PS7_S7_ZZZN2at6native31launch_logcumsumexp_cuda_kernelERKNSE_10TensorBaseESI_lENKUlvE_clEvENKUlvE2_clEvEUlS7_S7_E_S7_EEDaPvRmT3_T4_T5_mT6_P12ihipStream_tbENKUlT_T0_E_clISt17integral_constantIbLb0EESY_IbLb1EEEEDaSU_SV_EUlSU_E_NS1_11comp_targetILNS1_3genE3ELNS1_11target_archE908ELNS1_3gpuE7ELNS1_3repE0EEENS1_30default_config_static_selectorELNS0_4arch9wavefront6targetE0EEEvT1_: ; @_ZN7rocprim17ROCPRIM_400000_NS6detail17trampoline_kernelINS0_14default_configENS1_20scan_config_selectorIN3c107complexIfEEEEZZNS1_9scan_implILNS1_25lookback_scan_determinismE0ELb0ELb0ES3_PKS7_PS7_S7_ZZZN2at6native31launch_logcumsumexp_cuda_kernelERKNSE_10TensorBaseESI_lENKUlvE_clEvENKUlvE2_clEvEUlS7_S7_E_S7_EEDaPvRmT3_T4_T5_mT6_P12ihipStream_tbENKUlT_T0_E_clISt17integral_constantIbLb0EESY_IbLb1EEEEDaSU_SV_EUlSU_E_NS1_11comp_targetILNS1_3genE3ELNS1_11target_archE908ELNS1_3gpuE7ELNS1_3repE0EEENS1_30default_config_static_selectorELNS0_4arch9wavefront6targetE0EEEvT1_
; %bb.0:
	.section	.rodata,"a",@progbits
	.p2align	6, 0x0
	.amdhsa_kernel _ZN7rocprim17ROCPRIM_400000_NS6detail17trampoline_kernelINS0_14default_configENS1_20scan_config_selectorIN3c107complexIfEEEEZZNS1_9scan_implILNS1_25lookback_scan_determinismE0ELb0ELb0ES3_PKS7_PS7_S7_ZZZN2at6native31launch_logcumsumexp_cuda_kernelERKNSE_10TensorBaseESI_lENKUlvE_clEvENKUlvE2_clEvEUlS7_S7_E_S7_EEDaPvRmT3_T4_T5_mT6_P12ihipStream_tbENKUlT_T0_E_clISt17integral_constantIbLb0EESY_IbLb1EEEEDaSU_SV_EUlSU_E_NS1_11comp_targetILNS1_3genE3ELNS1_11target_archE908ELNS1_3gpuE7ELNS1_3repE0EEENS1_30default_config_static_selectorELNS0_4arch9wavefront6targetE0EEEvT1_
		.amdhsa_group_segment_fixed_size 0
		.amdhsa_private_segment_fixed_size 0
		.amdhsa_kernarg_size 104
		.amdhsa_user_sgpr_count 2
		.amdhsa_user_sgpr_dispatch_ptr 0
		.amdhsa_user_sgpr_queue_ptr 0
		.amdhsa_user_sgpr_kernarg_segment_ptr 1
		.amdhsa_user_sgpr_dispatch_id 0
		.amdhsa_user_sgpr_private_segment_size 0
		.amdhsa_wavefront_size32 1
		.amdhsa_uses_dynamic_stack 0
		.amdhsa_enable_private_segment 0
		.amdhsa_system_sgpr_workgroup_id_x 1
		.amdhsa_system_sgpr_workgroup_id_y 0
		.amdhsa_system_sgpr_workgroup_id_z 0
		.amdhsa_system_sgpr_workgroup_info 0
		.amdhsa_system_vgpr_workitem_id 0
		.amdhsa_next_free_vgpr 1
		.amdhsa_next_free_sgpr 1
		.amdhsa_reserve_vcc 0
		.amdhsa_float_round_mode_32 0
		.amdhsa_float_round_mode_16_64 0
		.amdhsa_float_denorm_mode_32 3
		.amdhsa_float_denorm_mode_16_64 3
		.amdhsa_fp16_overflow 0
		.amdhsa_workgroup_processor_mode 1
		.amdhsa_memory_ordered 1
		.amdhsa_forward_progress 1
		.amdhsa_inst_pref_size 0
		.amdhsa_round_robin_scheduling 0
		.amdhsa_exception_fp_ieee_invalid_op 0
		.amdhsa_exception_fp_denorm_src 0
		.amdhsa_exception_fp_ieee_div_zero 0
		.amdhsa_exception_fp_ieee_overflow 0
		.amdhsa_exception_fp_ieee_underflow 0
		.amdhsa_exception_fp_ieee_inexact 0
		.amdhsa_exception_int_div_zero 0
	.end_amdhsa_kernel
	.section	.text._ZN7rocprim17ROCPRIM_400000_NS6detail17trampoline_kernelINS0_14default_configENS1_20scan_config_selectorIN3c107complexIfEEEEZZNS1_9scan_implILNS1_25lookback_scan_determinismE0ELb0ELb0ES3_PKS7_PS7_S7_ZZZN2at6native31launch_logcumsumexp_cuda_kernelERKNSE_10TensorBaseESI_lENKUlvE_clEvENKUlvE2_clEvEUlS7_S7_E_S7_EEDaPvRmT3_T4_T5_mT6_P12ihipStream_tbENKUlT_T0_E_clISt17integral_constantIbLb0EESY_IbLb1EEEEDaSU_SV_EUlSU_E_NS1_11comp_targetILNS1_3genE3ELNS1_11target_archE908ELNS1_3gpuE7ELNS1_3repE0EEENS1_30default_config_static_selectorELNS0_4arch9wavefront6targetE0EEEvT1_,"axG",@progbits,_ZN7rocprim17ROCPRIM_400000_NS6detail17trampoline_kernelINS0_14default_configENS1_20scan_config_selectorIN3c107complexIfEEEEZZNS1_9scan_implILNS1_25lookback_scan_determinismE0ELb0ELb0ES3_PKS7_PS7_S7_ZZZN2at6native31launch_logcumsumexp_cuda_kernelERKNSE_10TensorBaseESI_lENKUlvE_clEvENKUlvE2_clEvEUlS7_S7_E_S7_EEDaPvRmT3_T4_T5_mT6_P12ihipStream_tbENKUlT_T0_E_clISt17integral_constantIbLb0EESY_IbLb1EEEEDaSU_SV_EUlSU_E_NS1_11comp_targetILNS1_3genE3ELNS1_11target_archE908ELNS1_3gpuE7ELNS1_3repE0EEENS1_30default_config_static_selectorELNS0_4arch9wavefront6targetE0EEEvT1_,comdat
.Lfunc_end332:
	.size	_ZN7rocprim17ROCPRIM_400000_NS6detail17trampoline_kernelINS0_14default_configENS1_20scan_config_selectorIN3c107complexIfEEEEZZNS1_9scan_implILNS1_25lookback_scan_determinismE0ELb0ELb0ES3_PKS7_PS7_S7_ZZZN2at6native31launch_logcumsumexp_cuda_kernelERKNSE_10TensorBaseESI_lENKUlvE_clEvENKUlvE2_clEvEUlS7_S7_E_S7_EEDaPvRmT3_T4_T5_mT6_P12ihipStream_tbENKUlT_T0_E_clISt17integral_constantIbLb0EESY_IbLb1EEEEDaSU_SV_EUlSU_E_NS1_11comp_targetILNS1_3genE3ELNS1_11target_archE908ELNS1_3gpuE7ELNS1_3repE0EEENS1_30default_config_static_selectorELNS0_4arch9wavefront6targetE0EEEvT1_, .Lfunc_end332-_ZN7rocprim17ROCPRIM_400000_NS6detail17trampoline_kernelINS0_14default_configENS1_20scan_config_selectorIN3c107complexIfEEEEZZNS1_9scan_implILNS1_25lookback_scan_determinismE0ELb0ELb0ES3_PKS7_PS7_S7_ZZZN2at6native31launch_logcumsumexp_cuda_kernelERKNSE_10TensorBaseESI_lENKUlvE_clEvENKUlvE2_clEvEUlS7_S7_E_S7_EEDaPvRmT3_T4_T5_mT6_P12ihipStream_tbENKUlT_T0_E_clISt17integral_constantIbLb0EESY_IbLb1EEEEDaSU_SV_EUlSU_E_NS1_11comp_targetILNS1_3genE3ELNS1_11target_archE908ELNS1_3gpuE7ELNS1_3repE0EEENS1_30default_config_static_selectorELNS0_4arch9wavefront6targetE0EEEvT1_
                                        ; -- End function
	.set _ZN7rocprim17ROCPRIM_400000_NS6detail17trampoline_kernelINS0_14default_configENS1_20scan_config_selectorIN3c107complexIfEEEEZZNS1_9scan_implILNS1_25lookback_scan_determinismE0ELb0ELb0ES3_PKS7_PS7_S7_ZZZN2at6native31launch_logcumsumexp_cuda_kernelERKNSE_10TensorBaseESI_lENKUlvE_clEvENKUlvE2_clEvEUlS7_S7_E_S7_EEDaPvRmT3_T4_T5_mT6_P12ihipStream_tbENKUlT_T0_E_clISt17integral_constantIbLb0EESY_IbLb1EEEEDaSU_SV_EUlSU_E_NS1_11comp_targetILNS1_3genE3ELNS1_11target_archE908ELNS1_3gpuE7ELNS1_3repE0EEENS1_30default_config_static_selectorELNS0_4arch9wavefront6targetE0EEEvT1_.num_vgpr, 0
	.set _ZN7rocprim17ROCPRIM_400000_NS6detail17trampoline_kernelINS0_14default_configENS1_20scan_config_selectorIN3c107complexIfEEEEZZNS1_9scan_implILNS1_25lookback_scan_determinismE0ELb0ELb0ES3_PKS7_PS7_S7_ZZZN2at6native31launch_logcumsumexp_cuda_kernelERKNSE_10TensorBaseESI_lENKUlvE_clEvENKUlvE2_clEvEUlS7_S7_E_S7_EEDaPvRmT3_T4_T5_mT6_P12ihipStream_tbENKUlT_T0_E_clISt17integral_constantIbLb0EESY_IbLb1EEEEDaSU_SV_EUlSU_E_NS1_11comp_targetILNS1_3genE3ELNS1_11target_archE908ELNS1_3gpuE7ELNS1_3repE0EEENS1_30default_config_static_selectorELNS0_4arch9wavefront6targetE0EEEvT1_.num_agpr, 0
	.set _ZN7rocprim17ROCPRIM_400000_NS6detail17trampoline_kernelINS0_14default_configENS1_20scan_config_selectorIN3c107complexIfEEEEZZNS1_9scan_implILNS1_25lookback_scan_determinismE0ELb0ELb0ES3_PKS7_PS7_S7_ZZZN2at6native31launch_logcumsumexp_cuda_kernelERKNSE_10TensorBaseESI_lENKUlvE_clEvENKUlvE2_clEvEUlS7_S7_E_S7_EEDaPvRmT3_T4_T5_mT6_P12ihipStream_tbENKUlT_T0_E_clISt17integral_constantIbLb0EESY_IbLb1EEEEDaSU_SV_EUlSU_E_NS1_11comp_targetILNS1_3genE3ELNS1_11target_archE908ELNS1_3gpuE7ELNS1_3repE0EEENS1_30default_config_static_selectorELNS0_4arch9wavefront6targetE0EEEvT1_.numbered_sgpr, 0
	.set _ZN7rocprim17ROCPRIM_400000_NS6detail17trampoline_kernelINS0_14default_configENS1_20scan_config_selectorIN3c107complexIfEEEEZZNS1_9scan_implILNS1_25lookback_scan_determinismE0ELb0ELb0ES3_PKS7_PS7_S7_ZZZN2at6native31launch_logcumsumexp_cuda_kernelERKNSE_10TensorBaseESI_lENKUlvE_clEvENKUlvE2_clEvEUlS7_S7_E_S7_EEDaPvRmT3_T4_T5_mT6_P12ihipStream_tbENKUlT_T0_E_clISt17integral_constantIbLb0EESY_IbLb1EEEEDaSU_SV_EUlSU_E_NS1_11comp_targetILNS1_3genE3ELNS1_11target_archE908ELNS1_3gpuE7ELNS1_3repE0EEENS1_30default_config_static_selectorELNS0_4arch9wavefront6targetE0EEEvT1_.num_named_barrier, 0
	.set _ZN7rocprim17ROCPRIM_400000_NS6detail17trampoline_kernelINS0_14default_configENS1_20scan_config_selectorIN3c107complexIfEEEEZZNS1_9scan_implILNS1_25lookback_scan_determinismE0ELb0ELb0ES3_PKS7_PS7_S7_ZZZN2at6native31launch_logcumsumexp_cuda_kernelERKNSE_10TensorBaseESI_lENKUlvE_clEvENKUlvE2_clEvEUlS7_S7_E_S7_EEDaPvRmT3_T4_T5_mT6_P12ihipStream_tbENKUlT_T0_E_clISt17integral_constantIbLb0EESY_IbLb1EEEEDaSU_SV_EUlSU_E_NS1_11comp_targetILNS1_3genE3ELNS1_11target_archE908ELNS1_3gpuE7ELNS1_3repE0EEENS1_30default_config_static_selectorELNS0_4arch9wavefront6targetE0EEEvT1_.private_seg_size, 0
	.set _ZN7rocprim17ROCPRIM_400000_NS6detail17trampoline_kernelINS0_14default_configENS1_20scan_config_selectorIN3c107complexIfEEEEZZNS1_9scan_implILNS1_25lookback_scan_determinismE0ELb0ELb0ES3_PKS7_PS7_S7_ZZZN2at6native31launch_logcumsumexp_cuda_kernelERKNSE_10TensorBaseESI_lENKUlvE_clEvENKUlvE2_clEvEUlS7_S7_E_S7_EEDaPvRmT3_T4_T5_mT6_P12ihipStream_tbENKUlT_T0_E_clISt17integral_constantIbLb0EESY_IbLb1EEEEDaSU_SV_EUlSU_E_NS1_11comp_targetILNS1_3genE3ELNS1_11target_archE908ELNS1_3gpuE7ELNS1_3repE0EEENS1_30default_config_static_selectorELNS0_4arch9wavefront6targetE0EEEvT1_.uses_vcc, 0
	.set _ZN7rocprim17ROCPRIM_400000_NS6detail17trampoline_kernelINS0_14default_configENS1_20scan_config_selectorIN3c107complexIfEEEEZZNS1_9scan_implILNS1_25lookback_scan_determinismE0ELb0ELb0ES3_PKS7_PS7_S7_ZZZN2at6native31launch_logcumsumexp_cuda_kernelERKNSE_10TensorBaseESI_lENKUlvE_clEvENKUlvE2_clEvEUlS7_S7_E_S7_EEDaPvRmT3_T4_T5_mT6_P12ihipStream_tbENKUlT_T0_E_clISt17integral_constantIbLb0EESY_IbLb1EEEEDaSU_SV_EUlSU_E_NS1_11comp_targetILNS1_3genE3ELNS1_11target_archE908ELNS1_3gpuE7ELNS1_3repE0EEENS1_30default_config_static_selectorELNS0_4arch9wavefront6targetE0EEEvT1_.uses_flat_scratch, 0
	.set _ZN7rocprim17ROCPRIM_400000_NS6detail17trampoline_kernelINS0_14default_configENS1_20scan_config_selectorIN3c107complexIfEEEEZZNS1_9scan_implILNS1_25lookback_scan_determinismE0ELb0ELb0ES3_PKS7_PS7_S7_ZZZN2at6native31launch_logcumsumexp_cuda_kernelERKNSE_10TensorBaseESI_lENKUlvE_clEvENKUlvE2_clEvEUlS7_S7_E_S7_EEDaPvRmT3_T4_T5_mT6_P12ihipStream_tbENKUlT_T0_E_clISt17integral_constantIbLb0EESY_IbLb1EEEEDaSU_SV_EUlSU_E_NS1_11comp_targetILNS1_3genE3ELNS1_11target_archE908ELNS1_3gpuE7ELNS1_3repE0EEENS1_30default_config_static_selectorELNS0_4arch9wavefront6targetE0EEEvT1_.has_dyn_sized_stack, 0
	.set _ZN7rocprim17ROCPRIM_400000_NS6detail17trampoline_kernelINS0_14default_configENS1_20scan_config_selectorIN3c107complexIfEEEEZZNS1_9scan_implILNS1_25lookback_scan_determinismE0ELb0ELb0ES3_PKS7_PS7_S7_ZZZN2at6native31launch_logcumsumexp_cuda_kernelERKNSE_10TensorBaseESI_lENKUlvE_clEvENKUlvE2_clEvEUlS7_S7_E_S7_EEDaPvRmT3_T4_T5_mT6_P12ihipStream_tbENKUlT_T0_E_clISt17integral_constantIbLb0EESY_IbLb1EEEEDaSU_SV_EUlSU_E_NS1_11comp_targetILNS1_3genE3ELNS1_11target_archE908ELNS1_3gpuE7ELNS1_3repE0EEENS1_30default_config_static_selectorELNS0_4arch9wavefront6targetE0EEEvT1_.has_recursion, 0
	.set _ZN7rocprim17ROCPRIM_400000_NS6detail17trampoline_kernelINS0_14default_configENS1_20scan_config_selectorIN3c107complexIfEEEEZZNS1_9scan_implILNS1_25lookback_scan_determinismE0ELb0ELb0ES3_PKS7_PS7_S7_ZZZN2at6native31launch_logcumsumexp_cuda_kernelERKNSE_10TensorBaseESI_lENKUlvE_clEvENKUlvE2_clEvEUlS7_S7_E_S7_EEDaPvRmT3_T4_T5_mT6_P12ihipStream_tbENKUlT_T0_E_clISt17integral_constantIbLb0EESY_IbLb1EEEEDaSU_SV_EUlSU_E_NS1_11comp_targetILNS1_3genE3ELNS1_11target_archE908ELNS1_3gpuE7ELNS1_3repE0EEENS1_30default_config_static_selectorELNS0_4arch9wavefront6targetE0EEEvT1_.has_indirect_call, 0
	.section	.AMDGPU.csdata,"",@progbits
; Kernel info:
; codeLenInByte = 0
; TotalNumSgprs: 0
; NumVgprs: 0
; ScratchSize: 0
; MemoryBound: 0
; FloatMode: 240
; IeeeMode: 1
; LDSByteSize: 0 bytes/workgroup (compile time only)
; SGPRBlocks: 0
; VGPRBlocks: 0
; NumSGPRsForWavesPerEU: 1
; NumVGPRsForWavesPerEU: 1
; Occupancy: 16
; WaveLimiterHint : 0
; COMPUTE_PGM_RSRC2:SCRATCH_EN: 0
; COMPUTE_PGM_RSRC2:USER_SGPR: 2
; COMPUTE_PGM_RSRC2:TRAP_HANDLER: 0
; COMPUTE_PGM_RSRC2:TGID_X_EN: 1
; COMPUTE_PGM_RSRC2:TGID_Y_EN: 0
; COMPUTE_PGM_RSRC2:TGID_Z_EN: 0
; COMPUTE_PGM_RSRC2:TIDIG_COMP_CNT: 0
	.section	.text._ZN7rocprim17ROCPRIM_400000_NS6detail17trampoline_kernelINS0_14default_configENS1_20scan_config_selectorIN3c107complexIfEEEEZZNS1_9scan_implILNS1_25lookback_scan_determinismE0ELb0ELb0ES3_PKS7_PS7_S7_ZZZN2at6native31launch_logcumsumexp_cuda_kernelERKNSE_10TensorBaseESI_lENKUlvE_clEvENKUlvE2_clEvEUlS7_S7_E_S7_EEDaPvRmT3_T4_T5_mT6_P12ihipStream_tbENKUlT_T0_E_clISt17integral_constantIbLb0EESY_IbLb1EEEEDaSU_SV_EUlSU_E_NS1_11comp_targetILNS1_3genE2ELNS1_11target_archE906ELNS1_3gpuE6ELNS1_3repE0EEENS1_30default_config_static_selectorELNS0_4arch9wavefront6targetE0EEEvT1_,"axG",@progbits,_ZN7rocprim17ROCPRIM_400000_NS6detail17trampoline_kernelINS0_14default_configENS1_20scan_config_selectorIN3c107complexIfEEEEZZNS1_9scan_implILNS1_25lookback_scan_determinismE0ELb0ELb0ES3_PKS7_PS7_S7_ZZZN2at6native31launch_logcumsumexp_cuda_kernelERKNSE_10TensorBaseESI_lENKUlvE_clEvENKUlvE2_clEvEUlS7_S7_E_S7_EEDaPvRmT3_T4_T5_mT6_P12ihipStream_tbENKUlT_T0_E_clISt17integral_constantIbLb0EESY_IbLb1EEEEDaSU_SV_EUlSU_E_NS1_11comp_targetILNS1_3genE2ELNS1_11target_archE906ELNS1_3gpuE6ELNS1_3repE0EEENS1_30default_config_static_selectorELNS0_4arch9wavefront6targetE0EEEvT1_,comdat
	.globl	_ZN7rocprim17ROCPRIM_400000_NS6detail17trampoline_kernelINS0_14default_configENS1_20scan_config_selectorIN3c107complexIfEEEEZZNS1_9scan_implILNS1_25lookback_scan_determinismE0ELb0ELb0ES3_PKS7_PS7_S7_ZZZN2at6native31launch_logcumsumexp_cuda_kernelERKNSE_10TensorBaseESI_lENKUlvE_clEvENKUlvE2_clEvEUlS7_S7_E_S7_EEDaPvRmT3_T4_T5_mT6_P12ihipStream_tbENKUlT_T0_E_clISt17integral_constantIbLb0EESY_IbLb1EEEEDaSU_SV_EUlSU_E_NS1_11comp_targetILNS1_3genE2ELNS1_11target_archE906ELNS1_3gpuE6ELNS1_3repE0EEENS1_30default_config_static_selectorELNS0_4arch9wavefront6targetE0EEEvT1_ ; -- Begin function _ZN7rocprim17ROCPRIM_400000_NS6detail17trampoline_kernelINS0_14default_configENS1_20scan_config_selectorIN3c107complexIfEEEEZZNS1_9scan_implILNS1_25lookback_scan_determinismE0ELb0ELb0ES3_PKS7_PS7_S7_ZZZN2at6native31launch_logcumsumexp_cuda_kernelERKNSE_10TensorBaseESI_lENKUlvE_clEvENKUlvE2_clEvEUlS7_S7_E_S7_EEDaPvRmT3_T4_T5_mT6_P12ihipStream_tbENKUlT_T0_E_clISt17integral_constantIbLb0EESY_IbLb1EEEEDaSU_SV_EUlSU_E_NS1_11comp_targetILNS1_3genE2ELNS1_11target_archE906ELNS1_3gpuE6ELNS1_3repE0EEENS1_30default_config_static_selectorELNS0_4arch9wavefront6targetE0EEEvT1_
	.p2align	8
	.type	_ZN7rocprim17ROCPRIM_400000_NS6detail17trampoline_kernelINS0_14default_configENS1_20scan_config_selectorIN3c107complexIfEEEEZZNS1_9scan_implILNS1_25lookback_scan_determinismE0ELb0ELb0ES3_PKS7_PS7_S7_ZZZN2at6native31launch_logcumsumexp_cuda_kernelERKNSE_10TensorBaseESI_lENKUlvE_clEvENKUlvE2_clEvEUlS7_S7_E_S7_EEDaPvRmT3_T4_T5_mT6_P12ihipStream_tbENKUlT_T0_E_clISt17integral_constantIbLb0EESY_IbLb1EEEEDaSU_SV_EUlSU_E_NS1_11comp_targetILNS1_3genE2ELNS1_11target_archE906ELNS1_3gpuE6ELNS1_3repE0EEENS1_30default_config_static_selectorELNS0_4arch9wavefront6targetE0EEEvT1_,@function
_ZN7rocprim17ROCPRIM_400000_NS6detail17trampoline_kernelINS0_14default_configENS1_20scan_config_selectorIN3c107complexIfEEEEZZNS1_9scan_implILNS1_25lookback_scan_determinismE0ELb0ELb0ES3_PKS7_PS7_S7_ZZZN2at6native31launch_logcumsumexp_cuda_kernelERKNSE_10TensorBaseESI_lENKUlvE_clEvENKUlvE2_clEvEUlS7_S7_E_S7_EEDaPvRmT3_T4_T5_mT6_P12ihipStream_tbENKUlT_T0_E_clISt17integral_constantIbLb0EESY_IbLb1EEEEDaSU_SV_EUlSU_E_NS1_11comp_targetILNS1_3genE2ELNS1_11target_archE906ELNS1_3gpuE6ELNS1_3repE0EEENS1_30default_config_static_selectorELNS0_4arch9wavefront6targetE0EEEvT1_: ; @_ZN7rocprim17ROCPRIM_400000_NS6detail17trampoline_kernelINS0_14default_configENS1_20scan_config_selectorIN3c107complexIfEEEEZZNS1_9scan_implILNS1_25lookback_scan_determinismE0ELb0ELb0ES3_PKS7_PS7_S7_ZZZN2at6native31launch_logcumsumexp_cuda_kernelERKNSE_10TensorBaseESI_lENKUlvE_clEvENKUlvE2_clEvEUlS7_S7_E_S7_EEDaPvRmT3_T4_T5_mT6_P12ihipStream_tbENKUlT_T0_E_clISt17integral_constantIbLb0EESY_IbLb1EEEEDaSU_SV_EUlSU_E_NS1_11comp_targetILNS1_3genE2ELNS1_11target_archE906ELNS1_3gpuE6ELNS1_3repE0EEENS1_30default_config_static_selectorELNS0_4arch9wavefront6targetE0EEEvT1_
; %bb.0:
	.section	.rodata,"a",@progbits
	.p2align	6, 0x0
	.amdhsa_kernel _ZN7rocprim17ROCPRIM_400000_NS6detail17trampoline_kernelINS0_14default_configENS1_20scan_config_selectorIN3c107complexIfEEEEZZNS1_9scan_implILNS1_25lookback_scan_determinismE0ELb0ELb0ES3_PKS7_PS7_S7_ZZZN2at6native31launch_logcumsumexp_cuda_kernelERKNSE_10TensorBaseESI_lENKUlvE_clEvENKUlvE2_clEvEUlS7_S7_E_S7_EEDaPvRmT3_T4_T5_mT6_P12ihipStream_tbENKUlT_T0_E_clISt17integral_constantIbLb0EESY_IbLb1EEEEDaSU_SV_EUlSU_E_NS1_11comp_targetILNS1_3genE2ELNS1_11target_archE906ELNS1_3gpuE6ELNS1_3repE0EEENS1_30default_config_static_selectorELNS0_4arch9wavefront6targetE0EEEvT1_
		.amdhsa_group_segment_fixed_size 0
		.amdhsa_private_segment_fixed_size 0
		.amdhsa_kernarg_size 104
		.amdhsa_user_sgpr_count 2
		.amdhsa_user_sgpr_dispatch_ptr 0
		.amdhsa_user_sgpr_queue_ptr 0
		.amdhsa_user_sgpr_kernarg_segment_ptr 1
		.amdhsa_user_sgpr_dispatch_id 0
		.amdhsa_user_sgpr_private_segment_size 0
		.amdhsa_wavefront_size32 1
		.amdhsa_uses_dynamic_stack 0
		.amdhsa_enable_private_segment 0
		.amdhsa_system_sgpr_workgroup_id_x 1
		.amdhsa_system_sgpr_workgroup_id_y 0
		.amdhsa_system_sgpr_workgroup_id_z 0
		.amdhsa_system_sgpr_workgroup_info 0
		.amdhsa_system_vgpr_workitem_id 0
		.amdhsa_next_free_vgpr 1
		.amdhsa_next_free_sgpr 1
		.amdhsa_reserve_vcc 0
		.amdhsa_float_round_mode_32 0
		.amdhsa_float_round_mode_16_64 0
		.amdhsa_float_denorm_mode_32 3
		.amdhsa_float_denorm_mode_16_64 3
		.amdhsa_fp16_overflow 0
		.amdhsa_workgroup_processor_mode 1
		.amdhsa_memory_ordered 1
		.amdhsa_forward_progress 1
		.amdhsa_inst_pref_size 0
		.amdhsa_round_robin_scheduling 0
		.amdhsa_exception_fp_ieee_invalid_op 0
		.amdhsa_exception_fp_denorm_src 0
		.amdhsa_exception_fp_ieee_div_zero 0
		.amdhsa_exception_fp_ieee_overflow 0
		.amdhsa_exception_fp_ieee_underflow 0
		.amdhsa_exception_fp_ieee_inexact 0
		.amdhsa_exception_int_div_zero 0
	.end_amdhsa_kernel
	.section	.text._ZN7rocprim17ROCPRIM_400000_NS6detail17trampoline_kernelINS0_14default_configENS1_20scan_config_selectorIN3c107complexIfEEEEZZNS1_9scan_implILNS1_25lookback_scan_determinismE0ELb0ELb0ES3_PKS7_PS7_S7_ZZZN2at6native31launch_logcumsumexp_cuda_kernelERKNSE_10TensorBaseESI_lENKUlvE_clEvENKUlvE2_clEvEUlS7_S7_E_S7_EEDaPvRmT3_T4_T5_mT6_P12ihipStream_tbENKUlT_T0_E_clISt17integral_constantIbLb0EESY_IbLb1EEEEDaSU_SV_EUlSU_E_NS1_11comp_targetILNS1_3genE2ELNS1_11target_archE906ELNS1_3gpuE6ELNS1_3repE0EEENS1_30default_config_static_selectorELNS0_4arch9wavefront6targetE0EEEvT1_,"axG",@progbits,_ZN7rocprim17ROCPRIM_400000_NS6detail17trampoline_kernelINS0_14default_configENS1_20scan_config_selectorIN3c107complexIfEEEEZZNS1_9scan_implILNS1_25lookback_scan_determinismE0ELb0ELb0ES3_PKS7_PS7_S7_ZZZN2at6native31launch_logcumsumexp_cuda_kernelERKNSE_10TensorBaseESI_lENKUlvE_clEvENKUlvE2_clEvEUlS7_S7_E_S7_EEDaPvRmT3_T4_T5_mT6_P12ihipStream_tbENKUlT_T0_E_clISt17integral_constantIbLb0EESY_IbLb1EEEEDaSU_SV_EUlSU_E_NS1_11comp_targetILNS1_3genE2ELNS1_11target_archE906ELNS1_3gpuE6ELNS1_3repE0EEENS1_30default_config_static_selectorELNS0_4arch9wavefront6targetE0EEEvT1_,comdat
.Lfunc_end333:
	.size	_ZN7rocprim17ROCPRIM_400000_NS6detail17trampoline_kernelINS0_14default_configENS1_20scan_config_selectorIN3c107complexIfEEEEZZNS1_9scan_implILNS1_25lookback_scan_determinismE0ELb0ELb0ES3_PKS7_PS7_S7_ZZZN2at6native31launch_logcumsumexp_cuda_kernelERKNSE_10TensorBaseESI_lENKUlvE_clEvENKUlvE2_clEvEUlS7_S7_E_S7_EEDaPvRmT3_T4_T5_mT6_P12ihipStream_tbENKUlT_T0_E_clISt17integral_constantIbLb0EESY_IbLb1EEEEDaSU_SV_EUlSU_E_NS1_11comp_targetILNS1_3genE2ELNS1_11target_archE906ELNS1_3gpuE6ELNS1_3repE0EEENS1_30default_config_static_selectorELNS0_4arch9wavefront6targetE0EEEvT1_, .Lfunc_end333-_ZN7rocprim17ROCPRIM_400000_NS6detail17trampoline_kernelINS0_14default_configENS1_20scan_config_selectorIN3c107complexIfEEEEZZNS1_9scan_implILNS1_25lookback_scan_determinismE0ELb0ELb0ES3_PKS7_PS7_S7_ZZZN2at6native31launch_logcumsumexp_cuda_kernelERKNSE_10TensorBaseESI_lENKUlvE_clEvENKUlvE2_clEvEUlS7_S7_E_S7_EEDaPvRmT3_T4_T5_mT6_P12ihipStream_tbENKUlT_T0_E_clISt17integral_constantIbLb0EESY_IbLb1EEEEDaSU_SV_EUlSU_E_NS1_11comp_targetILNS1_3genE2ELNS1_11target_archE906ELNS1_3gpuE6ELNS1_3repE0EEENS1_30default_config_static_selectorELNS0_4arch9wavefront6targetE0EEEvT1_
                                        ; -- End function
	.set _ZN7rocprim17ROCPRIM_400000_NS6detail17trampoline_kernelINS0_14default_configENS1_20scan_config_selectorIN3c107complexIfEEEEZZNS1_9scan_implILNS1_25lookback_scan_determinismE0ELb0ELb0ES3_PKS7_PS7_S7_ZZZN2at6native31launch_logcumsumexp_cuda_kernelERKNSE_10TensorBaseESI_lENKUlvE_clEvENKUlvE2_clEvEUlS7_S7_E_S7_EEDaPvRmT3_T4_T5_mT6_P12ihipStream_tbENKUlT_T0_E_clISt17integral_constantIbLb0EESY_IbLb1EEEEDaSU_SV_EUlSU_E_NS1_11comp_targetILNS1_3genE2ELNS1_11target_archE906ELNS1_3gpuE6ELNS1_3repE0EEENS1_30default_config_static_selectorELNS0_4arch9wavefront6targetE0EEEvT1_.num_vgpr, 0
	.set _ZN7rocprim17ROCPRIM_400000_NS6detail17trampoline_kernelINS0_14default_configENS1_20scan_config_selectorIN3c107complexIfEEEEZZNS1_9scan_implILNS1_25lookback_scan_determinismE0ELb0ELb0ES3_PKS7_PS7_S7_ZZZN2at6native31launch_logcumsumexp_cuda_kernelERKNSE_10TensorBaseESI_lENKUlvE_clEvENKUlvE2_clEvEUlS7_S7_E_S7_EEDaPvRmT3_T4_T5_mT6_P12ihipStream_tbENKUlT_T0_E_clISt17integral_constantIbLb0EESY_IbLb1EEEEDaSU_SV_EUlSU_E_NS1_11comp_targetILNS1_3genE2ELNS1_11target_archE906ELNS1_3gpuE6ELNS1_3repE0EEENS1_30default_config_static_selectorELNS0_4arch9wavefront6targetE0EEEvT1_.num_agpr, 0
	.set _ZN7rocprim17ROCPRIM_400000_NS6detail17trampoline_kernelINS0_14default_configENS1_20scan_config_selectorIN3c107complexIfEEEEZZNS1_9scan_implILNS1_25lookback_scan_determinismE0ELb0ELb0ES3_PKS7_PS7_S7_ZZZN2at6native31launch_logcumsumexp_cuda_kernelERKNSE_10TensorBaseESI_lENKUlvE_clEvENKUlvE2_clEvEUlS7_S7_E_S7_EEDaPvRmT3_T4_T5_mT6_P12ihipStream_tbENKUlT_T0_E_clISt17integral_constantIbLb0EESY_IbLb1EEEEDaSU_SV_EUlSU_E_NS1_11comp_targetILNS1_3genE2ELNS1_11target_archE906ELNS1_3gpuE6ELNS1_3repE0EEENS1_30default_config_static_selectorELNS0_4arch9wavefront6targetE0EEEvT1_.numbered_sgpr, 0
	.set _ZN7rocprim17ROCPRIM_400000_NS6detail17trampoline_kernelINS0_14default_configENS1_20scan_config_selectorIN3c107complexIfEEEEZZNS1_9scan_implILNS1_25lookback_scan_determinismE0ELb0ELb0ES3_PKS7_PS7_S7_ZZZN2at6native31launch_logcumsumexp_cuda_kernelERKNSE_10TensorBaseESI_lENKUlvE_clEvENKUlvE2_clEvEUlS7_S7_E_S7_EEDaPvRmT3_T4_T5_mT6_P12ihipStream_tbENKUlT_T0_E_clISt17integral_constantIbLb0EESY_IbLb1EEEEDaSU_SV_EUlSU_E_NS1_11comp_targetILNS1_3genE2ELNS1_11target_archE906ELNS1_3gpuE6ELNS1_3repE0EEENS1_30default_config_static_selectorELNS0_4arch9wavefront6targetE0EEEvT1_.num_named_barrier, 0
	.set _ZN7rocprim17ROCPRIM_400000_NS6detail17trampoline_kernelINS0_14default_configENS1_20scan_config_selectorIN3c107complexIfEEEEZZNS1_9scan_implILNS1_25lookback_scan_determinismE0ELb0ELb0ES3_PKS7_PS7_S7_ZZZN2at6native31launch_logcumsumexp_cuda_kernelERKNSE_10TensorBaseESI_lENKUlvE_clEvENKUlvE2_clEvEUlS7_S7_E_S7_EEDaPvRmT3_T4_T5_mT6_P12ihipStream_tbENKUlT_T0_E_clISt17integral_constantIbLb0EESY_IbLb1EEEEDaSU_SV_EUlSU_E_NS1_11comp_targetILNS1_3genE2ELNS1_11target_archE906ELNS1_3gpuE6ELNS1_3repE0EEENS1_30default_config_static_selectorELNS0_4arch9wavefront6targetE0EEEvT1_.private_seg_size, 0
	.set _ZN7rocprim17ROCPRIM_400000_NS6detail17trampoline_kernelINS0_14default_configENS1_20scan_config_selectorIN3c107complexIfEEEEZZNS1_9scan_implILNS1_25lookback_scan_determinismE0ELb0ELb0ES3_PKS7_PS7_S7_ZZZN2at6native31launch_logcumsumexp_cuda_kernelERKNSE_10TensorBaseESI_lENKUlvE_clEvENKUlvE2_clEvEUlS7_S7_E_S7_EEDaPvRmT3_T4_T5_mT6_P12ihipStream_tbENKUlT_T0_E_clISt17integral_constantIbLb0EESY_IbLb1EEEEDaSU_SV_EUlSU_E_NS1_11comp_targetILNS1_3genE2ELNS1_11target_archE906ELNS1_3gpuE6ELNS1_3repE0EEENS1_30default_config_static_selectorELNS0_4arch9wavefront6targetE0EEEvT1_.uses_vcc, 0
	.set _ZN7rocprim17ROCPRIM_400000_NS6detail17trampoline_kernelINS0_14default_configENS1_20scan_config_selectorIN3c107complexIfEEEEZZNS1_9scan_implILNS1_25lookback_scan_determinismE0ELb0ELb0ES3_PKS7_PS7_S7_ZZZN2at6native31launch_logcumsumexp_cuda_kernelERKNSE_10TensorBaseESI_lENKUlvE_clEvENKUlvE2_clEvEUlS7_S7_E_S7_EEDaPvRmT3_T4_T5_mT6_P12ihipStream_tbENKUlT_T0_E_clISt17integral_constantIbLb0EESY_IbLb1EEEEDaSU_SV_EUlSU_E_NS1_11comp_targetILNS1_3genE2ELNS1_11target_archE906ELNS1_3gpuE6ELNS1_3repE0EEENS1_30default_config_static_selectorELNS0_4arch9wavefront6targetE0EEEvT1_.uses_flat_scratch, 0
	.set _ZN7rocprim17ROCPRIM_400000_NS6detail17trampoline_kernelINS0_14default_configENS1_20scan_config_selectorIN3c107complexIfEEEEZZNS1_9scan_implILNS1_25lookback_scan_determinismE0ELb0ELb0ES3_PKS7_PS7_S7_ZZZN2at6native31launch_logcumsumexp_cuda_kernelERKNSE_10TensorBaseESI_lENKUlvE_clEvENKUlvE2_clEvEUlS7_S7_E_S7_EEDaPvRmT3_T4_T5_mT6_P12ihipStream_tbENKUlT_T0_E_clISt17integral_constantIbLb0EESY_IbLb1EEEEDaSU_SV_EUlSU_E_NS1_11comp_targetILNS1_3genE2ELNS1_11target_archE906ELNS1_3gpuE6ELNS1_3repE0EEENS1_30default_config_static_selectorELNS0_4arch9wavefront6targetE0EEEvT1_.has_dyn_sized_stack, 0
	.set _ZN7rocprim17ROCPRIM_400000_NS6detail17trampoline_kernelINS0_14default_configENS1_20scan_config_selectorIN3c107complexIfEEEEZZNS1_9scan_implILNS1_25lookback_scan_determinismE0ELb0ELb0ES3_PKS7_PS7_S7_ZZZN2at6native31launch_logcumsumexp_cuda_kernelERKNSE_10TensorBaseESI_lENKUlvE_clEvENKUlvE2_clEvEUlS7_S7_E_S7_EEDaPvRmT3_T4_T5_mT6_P12ihipStream_tbENKUlT_T0_E_clISt17integral_constantIbLb0EESY_IbLb1EEEEDaSU_SV_EUlSU_E_NS1_11comp_targetILNS1_3genE2ELNS1_11target_archE906ELNS1_3gpuE6ELNS1_3repE0EEENS1_30default_config_static_selectorELNS0_4arch9wavefront6targetE0EEEvT1_.has_recursion, 0
	.set _ZN7rocprim17ROCPRIM_400000_NS6detail17trampoline_kernelINS0_14default_configENS1_20scan_config_selectorIN3c107complexIfEEEEZZNS1_9scan_implILNS1_25lookback_scan_determinismE0ELb0ELb0ES3_PKS7_PS7_S7_ZZZN2at6native31launch_logcumsumexp_cuda_kernelERKNSE_10TensorBaseESI_lENKUlvE_clEvENKUlvE2_clEvEUlS7_S7_E_S7_EEDaPvRmT3_T4_T5_mT6_P12ihipStream_tbENKUlT_T0_E_clISt17integral_constantIbLb0EESY_IbLb1EEEEDaSU_SV_EUlSU_E_NS1_11comp_targetILNS1_3genE2ELNS1_11target_archE906ELNS1_3gpuE6ELNS1_3repE0EEENS1_30default_config_static_selectorELNS0_4arch9wavefront6targetE0EEEvT1_.has_indirect_call, 0
	.section	.AMDGPU.csdata,"",@progbits
; Kernel info:
; codeLenInByte = 0
; TotalNumSgprs: 0
; NumVgprs: 0
; ScratchSize: 0
; MemoryBound: 0
; FloatMode: 240
; IeeeMode: 1
; LDSByteSize: 0 bytes/workgroup (compile time only)
; SGPRBlocks: 0
; VGPRBlocks: 0
; NumSGPRsForWavesPerEU: 1
; NumVGPRsForWavesPerEU: 1
; Occupancy: 16
; WaveLimiterHint : 0
; COMPUTE_PGM_RSRC2:SCRATCH_EN: 0
; COMPUTE_PGM_RSRC2:USER_SGPR: 2
; COMPUTE_PGM_RSRC2:TRAP_HANDLER: 0
; COMPUTE_PGM_RSRC2:TGID_X_EN: 1
; COMPUTE_PGM_RSRC2:TGID_Y_EN: 0
; COMPUTE_PGM_RSRC2:TGID_Z_EN: 0
; COMPUTE_PGM_RSRC2:TIDIG_COMP_CNT: 0
	.section	.text._ZN7rocprim17ROCPRIM_400000_NS6detail17trampoline_kernelINS0_14default_configENS1_20scan_config_selectorIN3c107complexIfEEEEZZNS1_9scan_implILNS1_25lookback_scan_determinismE0ELb0ELb0ES3_PKS7_PS7_S7_ZZZN2at6native31launch_logcumsumexp_cuda_kernelERKNSE_10TensorBaseESI_lENKUlvE_clEvENKUlvE2_clEvEUlS7_S7_E_S7_EEDaPvRmT3_T4_T5_mT6_P12ihipStream_tbENKUlT_T0_E_clISt17integral_constantIbLb0EESY_IbLb1EEEEDaSU_SV_EUlSU_E_NS1_11comp_targetILNS1_3genE10ELNS1_11target_archE1201ELNS1_3gpuE5ELNS1_3repE0EEENS1_30default_config_static_selectorELNS0_4arch9wavefront6targetE0EEEvT1_,"axG",@progbits,_ZN7rocprim17ROCPRIM_400000_NS6detail17trampoline_kernelINS0_14default_configENS1_20scan_config_selectorIN3c107complexIfEEEEZZNS1_9scan_implILNS1_25lookback_scan_determinismE0ELb0ELb0ES3_PKS7_PS7_S7_ZZZN2at6native31launch_logcumsumexp_cuda_kernelERKNSE_10TensorBaseESI_lENKUlvE_clEvENKUlvE2_clEvEUlS7_S7_E_S7_EEDaPvRmT3_T4_T5_mT6_P12ihipStream_tbENKUlT_T0_E_clISt17integral_constantIbLb0EESY_IbLb1EEEEDaSU_SV_EUlSU_E_NS1_11comp_targetILNS1_3genE10ELNS1_11target_archE1201ELNS1_3gpuE5ELNS1_3repE0EEENS1_30default_config_static_selectorELNS0_4arch9wavefront6targetE0EEEvT1_,comdat
	.globl	_ZN7rocprim17ROCPRIM_400000_NS6detail17trampoline_kernelINS0_14default_configENS1_20scan_config_selectorIN3c107complexIfEEEEZZNS1_9scan_implILNS1_25lookback_scan_determinismE0ELb0ELb0ES3_PKS7_PS7_S7_ZZZN2at6native31launch_logcumsumexp_cuda_kernelERKNSE_10TensorBaseESI_lENKUlvE_clEvENKUlvE2_clEvEUlS7_S7_E_S7_EEDaPvRmT3_T4_T5_mT6_P12ihipStream_tbENKUlT_T0_E_clISt17integral_constantIbLb0EESY_IbLb1EEEEDaSU_SV_EUlSU_E_NS1_11comp_targetILNS1_3genE10ELNS1_11target_archE1201ELNS1_3gpuE5ELNS1_3repE0EEENS1_30default_config_static_selectorELNS0_4arch9wavefront6targetE0EEEvT1_ ; -- Begin function _ZN7rocprim17ROCPRIM_400000_NS6detail17trampoline_kernelINS0_14default_configENS1_20scan_config_selectorIN3c107complexIfEEEEZZNS1_9scan_implILNS1_25lookback_scan_determinismE0ELb0ELb0ES3_PKS7_PS7_S7_ZZZN2at6native31launch_logcumsumexp_cuda_kernelERKNSE_10TensorBaseESI_lENKUlvE_clEvENKUlvE2_clEvEUlS7_S7_E_S7_EEDaPvRmT3_T4_T5_mT6_P12ihipStream_tbENKUlT_T0_E_clISt17integral_constantIbLb0EESY_IbLb1EEEEDaSU_SV_EUlSU_E_NS1_11comp_targetILNS1_3genE10ELNS1_11target_archE1201ELNS1_3gpuE5ELNS1_3repE0EEENS1_30default_config_static_selectorELNS0_4arch9wavefront6targetE0EEEvT1_
	.p2align	8
	.type	_ZN7rocprim17ROCPRIM_400000_NS6detail17trampoline_kernelINS0_14default_configENS1_20scan_config_selectorIN3c107complexIfEEEEZZNS1_9scan_implILNS1_25lookback_scan_determinismE0ELb0ELb0ES3_PKS7_PS7_S7_ZZZN2at6native31launch_logcumsumexp_cuda_kernelERKNSE_10TensorBaseESI_lENKUlvE_clEvENKUlvE2_clEvEUlS7_S7_E_S7_EEDaPvRmT3_T4_T5_mT6_P12ihipStream_tbENKUlT_T0_E_clISt17integral_constantIbLb0EESY_IbLb1EEEEDaSU_SV_EUlSU_E_NS1_11comp_targetILNS1_3genE10ELNS1_11target_archE1201ELNS1_3gpuE5ELNS1_3repE0EEENS1_30default_config_static_selectorELNS0_4arch9wavefront6targetE0EEEvT1_,@function
_ZN7rocprim17ROCPRIM_400000_NS6detail17trampoline_kernelINS0_14default_configENS1_20scan_config_selectorIN3c107complexIfEEEEZZNS1_9scan_implILNS1_25lookback_scan_determinismE0ELb0ELb0ES3_PKS7_PS7_S7_ZZZN2at6native31launch_logcumsumexp_cuda_kernelERKNSE_10TensorBaseESI_lENKUlvE_clEvENKUlvE2_clEvEUlS7_S7_E_S7_EEDaPvRmT3_T4_T5_mT6_P12ihipStream_tbENKUlT_T0_E_clISt17integral_constantIbLb0EESY_IbLb1EEEEDaSU_SV_EUlSU_E_NS1_11comp_targetILNS1_3genE10ELNS1_11target_archE1201ELNS1_3gpuE5ELNS1_3repE0EEENS1_30default_config_static_selectorELNS0_4arch9wavefront6targetE0EEEvT1_: ; @_ZN7rocprim17ROCPRIM_400000_NS6detail17trampoline_kernelINS0_14default_configENS1_20scan_config_selectorIN3c107complexIfEEEEZZNS1_9scan_implILNS1_25lookback_scan_determinismE0ELb0ELb0ES3_PKS7_PS7_S7_ZZZN2at6native31launch_logcumsumexp_cuda_kernelERKNSE_10TensorBaseESI_lENKUlvE_clEvENKUlvE2_clEvEUlS7_S7_E_S7_EEDaPvRmT3_T4_T5_mT6_P12ihipStream_tbENKUlT_T0_E_clISt17integral_constantIbLb0EESY_IbLb1EEEEDaSU_SV_EUlSU_E_NS1_11comp_targetILNS1_3genE10ELNS1_11target_archE1201ELNS1_3gpuE5ELNS1_3repE0EEENS1_30default_config_static_selectorELNS0_4arch9wavefront6targetE0EEEvT1_
; %bb.0:
	s_load_b64 s[28:29], s[0:1], 0x30
	v_mov_b32_e32 v63, v0
	s_mov_b32 s32, 0
	s_delay_alu instid0(VALU_DEP_1)
	v_cmp_ne_u32_e64 s8, 0, v63
	v_cmp_eq_u32_e64 s9, 0, v63
	s_and_saveexec_b32 s2, s9
	s_cbranch_execz .LBB334_4
; %bb.1:
	s_mov_b32 s4, exec_lo
	s_mov_b32 s3, exec_lo
	v_mbcnt_lo_u32_b32 v0, s4, 0
                                        ; implicit-def: $vgpr1
	s_delay_alu instid0(VALU_DEP_1)
	v_cmpx_eq_u32_e32 0, v0
	s_cbranch_execz .LBB334_3
; %bb.2:
	s_load_b64 s[6:7], s[0:1], 0x60
	s_bcnt1_i32_b32 s4, s4
	s_wait_alu 0xfffe
	v_dual_mov_b32 v1, 0 :: v_dual_mov_b32 v2, s4
	s_wait_kmcnt 0x0
	global_atomic_add_u32 v1, v1, v2, s[6:7] th:TH_ATOMIC_RETURN scope:SCOPE_DEV
.LBB334_3:
	s_or_b32 exec_lo, exec_lo, s3
	s_wait_loadcnt 0x0
	v_readfirstlane_b32 s3, v1
	s_delay_alu instid0(VALU_DEP_1)
	v_dual_mov_b32 v1, 0 :: v_dual_add_nc_u32 v0, s3, v0
	ds_store_b32 v1, v0
.LBB334_4:
	s_or_b32 exec_lo, exec_lo, s2
	v_dual_mov_b32 v0, 0 :: v_dual_lshlrev_b32 v107, 3, v63
	s_clause 0x2
	s_load_b256 s[20:27], s[0:1], 0x0
	s_load_b32 s2, s[0:1], 0x38
	s_load_b256 s[12:19], s[0:1], 0x40
	s_wait_dscnt 0x0
	s_barrier_signal -1
	s_barrier_wait -1
	global_inv scope:SCOPE_SE
	ds_load_b32 v0, v0
	s_mov_b32 s1, 0
	v_lshrrev_b32_e32 v108, 2, v63
	v_or_b32_e32 v106, 0x100, v63
	v_or_b32_e32 v105, 0x200, v63
	;; [unrolled: 1-line block ×10, first 2 shown]
	s_wait_kmcnt 0x0
	s_lshl_b64 s[22:23], s[22:23], 3
	s_add_co_i32 s5, s2, -1
	s_add_nc_u64 s[2:3], s[20:21], s[22:23]
	s_mov_b32 s21, s1
	v_or_b32_e32 v96, 0xb00, v63
	v_or_b32_e32 v95, 0xc00, v63
	;; [unrolled: 1-line block ×3, first 2 shown]
	s_wait_dscnt 0x0
	v_readfirstlane_b32 s11, v0
	s_wait_alu 0xfffe
	v_cmp_ne_u32_e64 s7, s5, v0
	v_or_b32_e32 v93, 0xe00, v63
	v_or_b32_e32 v92, 0xf00, v63
	s_mov_b32 s4, -1
	s_lshl_b32 s20, s11, 12
	s_lshl_b32 s0, s5, 12
	s_lshl_b64 s[34:35], s[20:21], 3
	s_and_b32 vcc_lo, exec_lo, s7
	s_add_nc_u64 s[2:3], s[2:3], s[34:35]
	s_wait_loadcnt 0x0
	s_barrier_signal -1
	s_barrier_wait -1
	global_inv scope:SCOPE_SE
	s_cbranch_vccz .LBB334_6
; %bb.5:
	s_clause 0xf
	global_load_b64 v[0:1], v107, s[2:3]
	global_load_b64 v[2:3], v107, s[2:3] offset:2048
	global_load_b64 v[4:5], v107, s[2:3] offset:4096
	;; [unrolled: 1-line block ×15, first 2 shown]
	v_lshrrev_b32_e32 v33, 2, v106
	v_lshrrev_b32_e32 v34, 2, v105
	;; [unrolled: 1-line block ×4, first 2 shown]
	v_and_b32_e32 v32, 56, v108
	v_lshrrev_b32_e32 v37, 2, v102
	v_lshrrev_b32_e32 v38, 2, v101
	;; [unrolled: 1-line block ×11, first 2 shown]
	v_and_b32_e32 v33, 0x78, v33
	v_and_b32_e32 v34, 0xb8, v34
	;; [unrolled: 1-line block ×4, first 2 shown]
	v_add_nc_u32_e32 v32, v32, v107
	v_and_b32_e32 v37, 0x178, v37
	v_and_b32_e32 v38, 0x1b8, v38
	;; [unrolled: 1-line block ×11, first 2 shown]
	v_add_nc_u32_e32 v33, v33, v107
	v_add_nc_u32_e32 v34, v34, v107
	;; [unrolled: 1-line block ×4, first 2 shown]
	s_mov_b32 s4, s1
	v_add_nc_u32_e32 v37, v37, v107
	v_add_nc_u32_e32 v38, v38, v107
	;; [unrolled: 1-line block ×11, first 2 shown]
	s_wait_loadcnt 0xf
	ds_store_b64 v32, v[0:1]
	s_wait_loadcnt 0xe
	ds_store_b64 v33, v[2:3] offset:2048
	s_wait_loadcnt 0xd
	ds_store_b64 v34, v[4:5] offset:4096
	;; [unrolled: 2-line block ×15, first 2 shown]
	s_wait_dscnt 0x0
	s_barrier_signal -1
	s_barrier_wait -1
.LBB334_6:
	s_sub_nc_u64 s[20:21], s[26:27], s[0:1]
	s_wait_alu 0xfffe
	s_and_not1_b32 vcc_lo, exec_lo, s4
	v_cmp_gt_u32_e64 s0, s20, v63
	s_cbranch_vccnz .LBB334_40
; %bb.7:
	v_mov_b32_e32 v0, 0
	global_load_b64 v[0:1], v0, s[2:3]
	s_wait_loadcnt 0x0
	v_dual_mov_b32 v3, v1 :: v_dual_mov_b32 v2, v0
	s_and_saveexec_b32 s1, s0
	s_cbranch_execz .LBB334_9
; %bb.8:
	global_load_b64 v[2:3], v107, s[2:3]
.LBB334_9:
	s_or_b32 exec_lo, exec_lo, s1
	v_dual_mov_b32 v5, v1 :: v_dual_mov_b32 v4, v0
	s_mov_b32 s0, exec_lo
	v_cmpx_gt_u32_e64 s20, v106
	s_cbranch_execz .LBB334_11
; %bb.10:
	global_load_b64 v[4:5], v107, s[2:3] offset:2048
.LBB334_11:
	s_or_b32 exec_lo, exec_lo, s0
	v_dual_mov_b32 v7, v1 :: v_dual_mov_b32 v6, v0
	s_mov_b32 s0, exec_lo
	v_cmpx_gt_u32_e64 s20, v105
	s_cbranch_execz .LBB334_13
; %bb.12:
	global_load_b64 v[6:7], v107, s[2:3] offset:4096
.LBB334_13:
	s_or_b32 exec_lo, exec_lo, s0
	v_dual_mov_b32 v11, v1 :: v_dual_mov_b32 v10, v0
	s_mov_b32 s0, exec_lo
	v_cmpx_gt_u32_e64 s20, v104
	s_cbranch_execz .LBB334_15
; %bb.14:
	global_load_b64 v[10:11], v107, s[2:3] offset:6144
.LBB334_15:
	s_or_b32 exec_lo, exec_lo, s0
	v_dual_mov_b32 v9, v1 :: v_dual_mov_b32 v8, v0
	s_mov_b32 s0, exec_lo
	v_cmpx_gt_u32_e64 s20, v103
	s_cbranch_execz .LBB334_17
; %bb.16:
	global_load_b64 v[8:9], v107, s[2:3] offset:8192
.LBB334_17:
	s_or_b32 exec_lo, exec_lo, s0
	v_dual_mov_b32 v13, v1 :: v_dual_mov_b32 v12, v0
	s_mov_b32 s0, exec_lo
	v_cmpx_gt_u32_e64 s20, v102
	s_cbranch_execz .LBB334_19
; %bb.18:
	global_load_b64 v[12:13], v107, s[2:3] offset:10240
.LBB334_19:
	s_or_b32 exec_lo, exec_lo, s0
	v_dual_mov_b32 v17, v1 :: v_dual_mov_b32 v16, v0
	s_mov_b32 s0, exec_lo
	v_cmpx_gt_u32_e64 s20, v101
	s_cbranch_execz .LBB334_21
; %bb.20:
	global_load_b64 v[16:17], v107, s[2:3] offset:12288
.LBB334_21:
	s_or_b32 exec_lo, exec_lo, s0
	v_dual_mov_b32 v21, v1 :: v_dual_mov_b32 v20, v0
	s_mov_b32 s0, exec_lo
	v_cmpx_gt_u32_e64 s20, v100
	s_cbranch_execz .LBB334_23
; %bb.22:
	global_load_b64 v[20:21], v107, s[2:3] offset:14336
.LBB334_23:
	s_or_b32 exec_lo, exec_lo, s0
	v_dual_mov_b32 v15, v1 :: v_dual_mov_b32 v14, v0
	s_mov_b32 s0, exec_lo
	v_cmpx_gt_u32_e64 s20, v99
	s_cbranch_execz .LBB334_25
; %bb.24:
	global_load_b64 v[14:15], v107, s[2:3] offset:16384
.LBB334_25:
	s_or_b32 exec_lo, exec_lo, s0
	v_dual_mov_b32 v19, v1 :: v_dual_mov_b32 v18, v0
	s_mov_b32 s0, exec_lo
	v_cmpx_gt_u32_e64 s20, v97
	s_cbranch_execz .LBB334_27
; %bb.26:
	global_load_b64 v[18:19], v107, s[2:3] offset:18432
.LBB334_27:
	s_or_b32 exec_lo, exec_lo, s0
	v_dual_mov_b32 v23, v1 :: v_dual_mov_b32 v22, v0
	s_mov_b32 s0, exec_lo
	v_cmpx_gt_u32_e64 s20, v98
	s_cbranch_execz .LBB334_29
; %bb.28:
	global_load_b64 v[22:23], v107, s[2:3] offset:20480
.LBB334_29:
	s_or_b32 exec_lo, exec_lo, s0
	v_dual_mov_b32 v25, v1 :: v_dual_mov_b32 v24, v0
	s_mov_b32 s0, exec_lo
	v_cmpx_gt_u32_e64 s20, v96
	s_cbranch_execz .LBB334_31
; %bb.30:
	global_load_b64 v[24:25], v107, s[2:3] offset:22528
.LBB334_31:
	s_or_b32 exec_lo, exec_lo, s0
	v_dual_mov_b32 v27, v1 :: v_dual_mov_b32 v26, v0
	s_mov_b32 s0, exec_lo
	v_cmpx_gt_u32_e64 s20, v95
	s_cbranch_execz .LBB334_33
; %bb.32:
	global_load_b64 v[26:27], v107, s[2:3] offset:24576
.LBB334_33:
	s_or_b32 exec_lo, exec_lo, s0
	v_dual_mov_b32 v29, v1 :: v_dual_mov_b32 v28, v0
	s_mov_b32 s0, exec_lo
	v_cmpx_gt_u32_e64 s20, v94
	s_cbranch_execz .LBB334_35
; %bb.34:
	global_load_b64 v[28:29], v107, s[2:3] offset:26624
.LBB334_35:
	s_or_b32 exec_lo, exec_lo, s0
	v_dual_mov_b32 v31, v1 :: v_dual_mov_b32 v30, v0
	s_mov_b32 s0, exec_lo
	v_cmpx_gt_u32_e64 s20, v93
	s_cbranch_execz .LBB334_37
; %bb.36:
	global_load_b64 v[30:31], v107, s[2:3] offset:28672
.LBB334_37:
	s_or_b32 exec_lo, exec_lo, s0
	s_delay_alu instid0(SALU_CYCLE_1)
	s_mov_b32 s0, exec_lo
	v_cmpx_gt_u32_e64 s20, v92
	s_cbranch_execz .LBB334_39
; %bb.38:
	global_load_b64 v[0:1], v107, s[2:3] offset:30720
.LBB334_39:
	s_or_b32 exec_lo, exec_lo, s0
	v_lshrrev_b32_e32 v32, 2, v106
	v_lshrrev_b32_e32 v33, 2, v105
	v_lshrrev_b32_e32 v34, 2, v104
	v_and_b32_e32 v35, 56, v108
	v_lshrrev_b32_e32 v36, 2, v103
	v_and_b32_e32 v32, 0x78, v32
	v_and_b32_e32 v33, 0xf8, v33
	;; [unrolled: 1-line block ×3, first 2 shown]
	v_lshrrev_b32_e32 v37, 2, v102
	v_add_nc_u32_e32 v35, v35, v107
	v_add_nc_u32_e32 v32, v32, v107
	v_lshrrev_b32_e32 v38, 2, v101
	v_add_nc_u32_e32 v33, v33, v107
	v_lshrrev_b32_e32 v39, 2, v100
	v_add_nc_u32_e32 v34, v34, v107
	v_and_b32_e32 v36, 0x1f8, v36
	v_and_b32_e32 v37, 0x1f8, v37
	s_wait_loadcnt 0x0
	ds_store_b64 v35, v[2:3]
	ds_store_b64 v32, v[4:5] offset:2048
	ds_store_b64 v33, v[6:7] offset:4096
	;; [unrolled: 1-line block ×3, first 2 shown]
	v_lshrrev_b32_e32 v6, 2, v99
	v_and_b32_e32 v4, 0x1f8, v38
	v_lshrrev_b32_e32 v7, 2, v97
	v_and_b32_e32 v5, 0x1f8, v39
	v_add_nc_u32_e32 v2, v36, v107
	v_add_nc_u32_e32 v3, v37, v107
	v_and_b32_e32 v6, 0x3f8, v6
	v_add_nc_u32_e32 v4, v4, v107
	v_and_b32_e32 v7, 0x3f8, v7
	v_add_nc_u32_e32 v5, v5, v107
	v_lshrrev_b32_e32 v10, 2, v98
	ds_store_b64 v2, v[8:9] offset:8192
	ds_store_b64 v3, v[12:13] offset:10240
	;; [unrolled: 1-line block ×4, first 2 shown]
	v_lshrrev_b32_e32 v5, 2, v96
	v_add_nc_u32_e32 v2, v6, v107
	v_lshrrev_b32_e32 v6, 2, v95
	v_add_nc_u32_e32 v3, v7, v107
	v_lshrrev_b32_e32 v7, 2, v94
	v_lshrrev_b32_e32 v8, 2, v93
	;; [unrolled: 1-line block ×3, first 2 shown]
	v_and_b32_e32 v10, 0x3f8, v10
	v_and_b32_e32 v5, 0x3f8, v5
	;; [unrolled: 1-line block ×6, first 2 shown]
	v_add_nc_u32_e32 v4, v10, v107
	v_add_nc_u32_e32 v5, v5, v107
	;; [unrolled: 1-line block ×6, first 2 shown]
	ds_store_b64 v2, v[14:15] offset:16384
	ds_store_b64 v3, v[18:19] offset:18432
	;; [unrolled: 1-line block ×8, first 2 shown]
	s_wait_dscnt 0x0
	s_barrier_signal -1
	s_barrier_wait -1
.LBB334_40:
	v_lshlrev_b32_e32 v0, 2, v63
	s_wait_loadcnt 0x0
	global_inv scope:SCOPE_SE
	s_cmp_lg_u32 s11, 0
	v_and_b32_e32 v0, 0x3f8, v0
	s_delay_alu instid0(VALU_DEP_1)
	v_lshl_add_u32 v109, v63, 7, v0
	ds_load_2addr_b64 v[22:25], v109 offset1:1
	ds_load_2addr_b64 v[50:53], v109 offset0:2 offset1:3
	ds_load_2addr_b64 v[46:49], v109 offset0:4 offset1:5
	;; [unrolled: 1-line block ×7, first 2 shown]
	s_wait_loadcnt_dscnt 0x0
	s_barrier_signal -1
	s_barrier_wait -1
	global_inv scope:SCOPE_SE
	s_cbranch_scc0 .LBB334_91
; %bb.41:
	v_dual_mov_b32 v0, v22 :: v_dual_mov_b32 v1, v23
	v_dual_mov_b32 v2, v24 :: v_dual_mov_b32 v3, v25
	s_getpc_b64 s[26:27]
	s_sext_i32_i16 s27, s27
	s_add_co_u32 s26, s26, _ZZZZN2at6native31launch_logcumsumexp_cuda_kernelERKNS_10TensorBaseES3_lENKUlvE_clEvENKUlvE2_clEvENKUlN3c107complexIfEES8_E_clES8_S8_@rel32@lo+8
	s_add_co_ci_u32 s27, s27, _ZZZZN2at6native31launch_logcumsumexp_cuda_kernelERKNS_10TensorBaseES3_lENKUlvE_clEvENKUlvE2_clEvENKUlN3c107complexIfEES8_E_clES8_S8_@rel32@hi+16
	s_delay_alu instid0(SALU_CYCLE_1)
	s_swappc_b64 s[30:31], s[26:27]
	v_dual_mov_b32 v2, v50 :: v_dual_mov_b32 v3, v51
	s_wait_alu 0xfffe
	s_swappc_b64 s[30:31], s[26:27]
	v_dual_mov_b32 v2, v52 :: v_dual_mov_b32 v3, v53
	s_wait_alu 0xfffe
	;; [unrolled: 3-line block ×14, first 2 shown]
	s_swappc_b64 s[30:31], s[26:27]
	v_dual_mov_b32 v64, v0 :: v_dual_mov_b32 v65, v1
	v_and_b32_e32 v0, 56, v108
	v_cmp_gt_u32_e64 s10, 32, v63
	s_delay_alu instid0(VALU_DEP_2)
	v_lshl_add_u32 v0, v63, 3, v0
	ds_store_b64 v0, v[64:65]
	s_wait_storecnt_dscnt 0x0
	s_barrier_signal -1
	s_barrier_wait -1
	global_inv scope:SCOPE_SE
	s_and_saveexec_b32 s33, s10
	s_cbranch_execz .LBB334_53
; %bb.42:
	v_lshlrev_b32_e32 v0, 1, v63
	v_lshlrev_b32_e32 v1, 6, v63
	s_delay_alu instid0(VALU_DEP_2) | instskip(NEXT) | instid1(VALU_DEP_1)
	v_and_b32_e32 v0, 0x1f8, v0
	v_add_nc_u32_e32 v60, v0, v1
	ds_load_b64 v[54:55], v60
	ds_load_2addr_b64 v[56:59], v60 offset0:1 offset1:2
	s_wait_dscnt 0x1
	v_dual_mov_b32 v0, v54 :: v_dual_mov_b32 v1, v55
	s_wait_dscnt 0x0
	v_dual_mov_b32 v2, v56 :: v_dual_mov_b32 v3, v57
	s_wait_alu 0xfffe
	s_swappc_b64 s[30:31], s[26:27]
	v_dual_mov_b32 v2, v58 :: v_dual_mov_b32 v3, v59
	s_wait_alu 0xfffe
	s_swappc_b64 s[30:31], s[26:27]
	ds_load_2addr_b64 v[56:59], v60 offset0:3 offset1:4
	s_wait_dscnt 0x0
	v_dual_mov_b32 v2, v56 :: v_dual_mov_b32 v3, v57
	s_wait_alu 0xfffe
	s_swappc_b64 s[30:31], s[26:27]
	v_dual_mov_b32 v2, v58 :: v_dual_mov_b32 v3, v59
	s_wait_alu 0xfffe
	s_swappc_b64 s[30:31], s[26:27]
	ds_load_2addr_b64 v[56:59], v60 offset0:5 offset1:6
	s_wait_dscnt 0x0
	v_dual_mov_b32 v2, v56 :: v_dual_mov_b32 v3, v57
	s_wait_alu 0xfffe
	s_swappc_b64 s[30:31], s[26:27]
	v_dual_mov_b32 v2, v58 :: v_dual_mov_b32 v3, v59
	s_wait_alu 0xfffe
	s_swappc_b64 s[30:31], s[26:27]
	ds_load_b64 v[2:3], v60 offset:56
	s_wait_alu 0xfffe
	s_swappc_b64 s[30:31], s[26:27]
	v_dual_mov_b32 v2, v0 :: v_dual_mov_b32 v3, v1
	v_mbcnt_lo_u32_b32 v56, -1, 0
	s_mov_b32 s26, exec_lo
	s_delay_alu instid0(VALU_DEP_2) | instskip(NEXT) | instid1(VALU_DEP_3)
	v_mov_b32_dpp v0, v2 row_shr:1 row_mask:0xf bank_mask:0xf
	v_mov_b32_dpp v1, v3 row_shr:1 row_mask:0xf bank_mask:0xf
	s_delay_alu instid0(VALU_DEP_3) | instskip(NEXT) | instid1(VALU_DEP_1)
	v_and_b32_e32 v57, 15, v56
	v_cmpx_ne_u32_e32 0, v57
	s_cbranch_execz .LBB334_44
; %bb.43:
	s_getpc_b64 s[0:1]
	s_wait_alu 0xfffe
	s_sext_i32_i16 s1, s1
	s_add_co_u32 s0, s0, _ZZZZN2at6native31launch_logcumsumexp_cuda_kernelERKNS_10TensorBaseES3_lENKUlvE_clEvENKUlvE2_clEvENKUlN3c107complexIfEES8_E_clES8_S8_@rel32@lo+12
	s_wait_alu 0xfffe
	s_add_co_ci_u32 s1, s1, _ZZZZN2at6native31launch_logcumsumexp_cuda_kernelERKNS_10TensorBaseES3_lENKUlvE_clEvENKUlvE2_clEvENKUlN3c107complexIfEES8_E_clES8_S8_@rel32@hi+24
	s_wait_alu 0xfffe
	s_swappc_b64 s[30:31], s[0:1]
	v_dual_mov_b32 v2, v0 :: v_dual_mov_b32 v3, v1
.LBB334_44:
	s_wait_alu 0xfffe
	s_or_b32 exec_lo, exec_lo, s26
	s_delay_alu instid0(VALU_DEP_1) | instskip(NEXT) | instid1(VALU_DEP_2)
	v_mov_b32_dpp v0, v2 row_shr:2 row_mask:0xf bank_mask:0xf
	v_mov_b32_dpp v1, v3 row_shr:2 row_mask:0xf bank_mask:0xf
	s_mov_b32 s26, exec_lo
	v_cmpx_lt_u32_e32 1, v57
	s_cbranch_execz .LBB334_46
; %bb.45:
	s_getpc_b64 s[0:1]
	s_wait_alu 0xfffe
	s_sext_i32_i16 s1, s1
	s_add_co_u32 s0, s0, _ZZZZN2at6native31launch_logcumsumexp_cuda_kernelERKNS_10TensorBaseES3_lENKUlvE_clEvENKUlvE2_clEvENKUlN3c107complexIfEES8_E_clES8_S8_@rel32@lo+12
	s_wait_alu 0xfffe
	s_add_co_ci_u32 s1, s1, _ZZZZN2at6native31launch_logcumsumexp_cuda_kernelERKNS_10TensorBaseES3_lENKUlvE_clEvENKUlvE2_clEvENKUlN3c107complexIfEES8_E_clES8_S8_@rel32@hi+24
	s_wait_alu 0xfffe
	s_swappc_b64 s[30:31], s[0:1]
	v_dual_mov_b32 v2, v0 :: v_dual_mov_b32 v3, v1
.LBB334_46:
	s_wait_alu 0xfffe
	s_or_b32 exec_lo, exec_lo, s26
	s_delay_alu instid0(VALU_DEP_1) | instskip(NEXT) | instid1(VALU_DEP_2)
	v_mov_b32_dpp v0, v2 row_shr:4 row_mask:0xf bank_mask:0xf
	v_mov_b32_dpp v1, v3 row_shr:4 row_mask:0xf bank_mask:0xf
	s_mov_b32 s26, exec_lo
	v_cmpx_lt_u32_e32 3, v57
	;; [unrolled: 19-line block ×3, first 2 shown]
	s_cbranch_execz .LBB334_50
; %bb.49:
	s_getpc_b64 s[0:1]
	s_wait_alu 0xfffe
	s_sext_i32_i16 s1, s1
	s_add_co_u32 s0, s0, _ZZZZN2at6native31launch_logcumsumexp_cuda_kernelERKNS_10TensorBaseES3_lENKUlvE_clEvENKUlvE2_clEvENKUlN3c107complexIfEES8_E_clES8_S8_@rel32@lo+12
	s_wait_alu 0xfffe
	s_add_co_ci_u32 s1, s1, _ZZZZN2at6native31launch_logcumsumexp_cuda_kernelERKNS_10TensorBaseES3_lENKUlvE_clEvENKUlvE2_clEvENKUlN3c107complexIfEES8_E_clES8_S8_@rel32@hi+24
	s_wait_alu 0xfffe
	s_swappc_b64 s[30:31], s[0:1]
	v_dual_mov_b32 v2, v0 :: v_dual_mov_b32 v3, v1
.LBB334_50:
	s_wait_alu 0xfffe
	s_or_b32 exec_lo, exec_lo, s26
	ds_swizzle_b32 v0, v2 offset:swizzle(BROADCAST,32,15)
	ds_swizzle_b32 v1, v3 offset:swizzle(BROADCAST,32,15)
	v_and_b32_e32 v4, 16, v56
	s_mov_b32 s26, exec_lo
	s_delay_alu instid0(VALU_DEP_1)
	v_cmpx_ne_u32_e32 0, v4
	s_cbranch_execz .LBB334_52
; %bb.51:
	s_getpc_b64 s[0:1]
	s_wait_alu 0xfffe
	s_sext_i32_i16 s1, s1
	s_add_co_u32 s0, s0, _ZZZZN2at6native31launch_logcumsumexp_cuda_kernelERKNS_10TensorBaseES3_lENKUlvE_clEvENKUlvE2_clEvENKUlN3c107complexIfEES8_E_clES8_S8_@rel32@lo+12
	s_wait_alu 0xfffe
	s_add_co_ci_u32 s1, s1, _ZZZZN2at6native31launch_logcumsumexp_cuda_kernelERKNS_10TensorBaseES3_lENKUlvE_clEvENKUlvE2_clEvENKUlN3c107complexIfEES8_E_clES8_S8_@rel32@hi+24
	s_wait_alu 0xfffe
	s_swappc_b64 s[30:31], s[0:1]
	v_dual_mov_b32 v2, v0 :: v_dual_mov_b32 v3, v1
.LBB334_52:
	s_wait_alu 0xfffe
	s_or_b32 exec_lo, exec_lo, s26
	s_wait_dscnt 0x1
	v_add_nc_u32_e32 v0, -1, v56
	s_getpc_b64 s[26:27]
	s_wait_alu 0xfffe
	s_sext_i32_i16 s27, s27
	s_add_co_u32 s26, s26, _ZZZZN2at6native31launch_logcumsumexp_cuda_kernelERKNS_10TensorBaseES3_lENKUlvE_clEvENKUlvE2_clEvENKUlN3c107complexIfEES8_E_clES8_S8_@rel32@lo+12
	s_wait_alu 0xfffe
	s_add_co_ci_u32 s27, s27, _ZZZZN2at6native31launch_logcumsumexp_cuda_kernelERKNS_10TensorBaseES3_lENKUlvE_clEvENKUlvE2_clEvENKUlN3c107complexIfEES8_E_clES8_S8_@rel32@hi+24
	v_cmp_gt_i32_e32 vcc_lo, 0, v0
	s_wait_alu 0xfffd
	v_cndmask_b32_e32 v0, v0, v56, vcc_lo
	s_wait_dscnt 0x0
	s_delay_alu instid0(VALU_DEP_1)
	v_lshlrev_b32_e32 v1, 2, v0
	ds_bpermute_b32 v0, v1, v2
	v_mov_b32_e32 v2, v54
	ds_bpermute_b32 v1, v1, v3
	v_mov_b32_e32 v3, v55
	s_wait_alu 0xfffe
	s_swappc_b64 s[30:31], s[26:27]
	v_cndmask_b32_e64 v0, v0, v64, s9
	v_cndmask_b32_e64 v1, v1, v65, s9
	; wave barrier
	ds_store_b64 v60, v[0:1]
	; wave barrier
	ds_load_2addr_b64 v[54:57], v60 offset0:1 offset1:2
	s_wait_dscnt 0x0
	v_dual_mov_b32 v2, v54 :: v_dual_mov_b32 v3, v55
	s_wait_alu 0xfffe
	s_swappc_b64 s[30:31], s[26:27]
	v_dual_mov_b32 v2, v56 :: v_dual_mov_b32 v3, v57
	v_dual_mov_b32 v58, v0 :: v_dual_mov_b32 v59, v1
	s_wait_alu 0xfffe
	s_swappc_b64 s[30:31], s[26:27]
	ds_load_2addr_b64 v[54:57], v60 offset0:3 offset1:4
	ds_store_2addr_b64 v60, v[58:59], v[0:1] offset0:1 offset1:2
	s_wait_dscnt 0x1
	v_dual_mov_b32 v2, v54 :: v_dual_mov_b32 v3, v55
	s_wait_alu 0xfffe
	s_swappc_b64 s[30:31], s[26:27]
	v_dual_mov_b32 v2, v56 :: v_dual_mov_b32 v3, v57
	v_dual_mov_b32 v58, v0 :: v_dual_mov_b32 v59, v1
	s_wait_alu 0xfffe
	s_swappc_b64 s[30:31], s[26:27]
	ds_load_2addr_b64 v[54:57], v60 offset0:5 offset1:6
	ds_store_2addr_b64 v60, v[58:59], v[0:1] offset0:3 offset1:4
	s_wait_dscnt 0x1
	v_dual_mov_b32 v2, v54 :: v_dual_mov_b32 v3, v55
	s_wait_alu 0xfffe
	s_swappc_b64 s[30:31], s[26:27]
	v_dual_mov_b32 v2, v56 :: v_dual_mov_b32 v3, v57
	v_dual_mov_b32 v54, v0 :: v_dual_mov_b32 v55, v1
	s_wait_alu 0xfffe
	s_swappc_b64 s[30:31], s[26:27]
	ds_load_b64 v[2:3], v60 offset:56
	ds_store_2addr_b64 v60, v[54:55], v[0:1] offset0:5 offset1:6
	s_wait_alu 0xfffe
	s_swappc_b64 s[30:31], s[26:27]
	ds_store_b64 v60, v[0:1] offset:56
.LBB334_53:
	s_wait_alu 0xfffe
	s_or_b32 exec_lo, exec_lo, s33
	s_wait_storecnt 0x0
	s_wait_loadcnt_dscnt 0x0
	s_barrier_signal -1
	s_barrier_wait -1
	global_inv scope:SCOPE_SE
	s_and_saveexec_b32 s0, s8
	s_cbranch_execz .LBB334_55
; %bb.54:
	v_add_nc_u32_e32 v0, -1, v63
	s_delay_alu instid0(VALU_DEP_1) | instskip(NEXT) | instid1(VALU_DEP_1)
	v_lshrrev_b32_e32 v1, 2, v0
	v_and_b32_e32 v1, 0x3ffffff8, v1
	s_delay_alu instid0(VALU_DEP_1)
	v_lshl_add_u32 v0, v0, 3, v1
	ds_load_b64 v[64:65], v0
.LBB334_55:
	s_wait_alu 0xfffe
	s_or_b32 exec_lo, exec_lo, s0
	s_and_saveexec_b32 s26, s10
	s_cbranch_execz .LBB334_96
; %bb.56:
	v_mov_b32_e32 v57, 0
	v_mbcnt_lo_u32_b32 v70, -1, 0
	s_mov_b32 s1, 0
	ds_load_b64 v[54:55], v57 offset:2096
	v_cmp_eq_u32_e64 s10, 0, v70
	s_and_saveexec_b32 s2, s10
	s_cbranch_execz .LBB334_58
; %bb.57:
	s_add_co_i32 s0, s11, 32
	s_wait_alu 0xfffe
	s_lshl_b64 s[0:1], s[0:1], 4
	s_wait_alu 0xfffe
	s_add_nc_u64 s[0:1], s[28:29], s[0:1]
	v_mov_b32_e32 v56, 1
	s_wait_alu 0xfffe
	v_dual_mov_b32 v0, s0 :: v_dual_mov_b32 v1, s1
	s_wait_dscnt 0x0
	;;#ASMSTART
	global_store_b128 v[0:1], v[54:57] off scope:SCOPE_DEV	
s_wait_storecnt 0x0
	;;#ASMEND
.LBB334_58:
	s_wait_alu 0xfffe
	s_or_b32 exec_lo, exec_lo, s2
	v_xad_u32 v71, v70, -1, s11
	s_mov_b32 s0, exec_lo
	s_delay_alu instid0(VALU_DEP_1) | instskip(NEXT) | instid1(VALU_DEP_1)
	v_add_nc_u32_e32 v56, 32, v71
	v_lshlrev_b64_e32 v[0:1], 4, v[56:57]
	s_delay_alu instid0(VALU_DEP_1) | instskip(SKIP_1) | instid1(VALU_DEP_2)
	v_add_co_u32 v0, vcc_lo, s28, v0
	s_wait_alu 0xfffd
	v_add_co_ci_u32_e64 v1, null, s29, v1, vcc_lo
	;;#ASMSTART
	global_load_b128 v[56:59], v[0:1] off scope:SCOPE_DEV	
s_wait_loadcnt 0x0
	;;#ASMEND
	v_and_b32_e32 v2, 0xff, v58
	s_delay_alu instid0(VALU_DEP_1)
	v_cmpx_eq_u16_e32 0, v2
	s_cbranch_execz .LBB334_62
; %bb.59:
	s_mov_b32 s1, 0
.LBB334_60:                             ; =>This Inner Loop Header: Depth=1
	;;#ASMSTART
	global_load_b128 v[56:59], v[0:1] off scope:SCOPE_DEV	
s_wait_loadcnt 0x0
	;;#ASMEND
	v_and_b32_e32 v2, 0xff, v58
	s_delay_alu instid0(VALU_DEP_1)
	v_cmp_ne_u16_e32 vcc_lo, 0, v2
	s_wait_alu 0xfffe
	s_or_b32 s1, vcc_lo, s1
	s_wait_alu 0xfffe
	s_and_not1_b32 exec_lo, exec_lo, s1
	s_cbranch_execnz .LBB334_60
; %bb.61:
	s_or_b32 exec_lo, exec_lo, s1
.LBB334_62:
	s_wait_alu 0xfffe
	s_or_b32 exec_lo, exec_lo, s0
	v_cmp_ne_u32_e32 vcc_lo, 31, v70
	v_and_b32_e32 v1, 0xff, v58
	v_lshlrev_b32_e64 v73, v70, -1
	s_mov_b32 s27, exec_lo
	s_wait_alu 0xfffd
	v_add_co_ci_u32_e64 v0, null, 0, v70, vcc_lo
	v_cmp_eq_u16_e32 vcc_lo, 2, v1
	s_delay_alu instid0(VALU_DEP_2)
	v_lshlrev_b32_e32 v72, 2, v0
	s_wait_alu 0xfffd
	v_and_or_b32 v2, vcc_lo, v73, 0x80000000
	ds_bpermute_b32 v0, v72, v56
	ds_bpermute_b32 v1, v72, v57
	v_ctz_i32_b32_e32 v61, v2
	s_delay_alu instid0(VALU_DEP_1)
	v_cmpx_lt_u32_e64 v70, v61
	s_cbranch_execz .LBB334_64
; %bb.63:
	v_dual_mov_b32 v2, v56 :: v_dual_mov_b32 v3, v57
	s_getpc_b64 s[0:1]
	s_wait_alu 0xfffe
	s_sext_i32_i16 s1, s1
	s_add_co_u32 s0, s0, _ZZZZN2at6native31launch_logcumsumexp_cuda_kernelERKNS_10TensorBaseES3_lENKUlvE_clEvENKUlvE2_clEvENKUlN3c107complexIfEES8_E_clES8_S8_@rel32@lo+12
	s_wait_alu 0xfffe
	s_add_co_ci_u32 s1, s1, _ZZZZN2at6native31launch_logcumsumexp_cuda_kernelERKNS_10TensorBaseES3_lENKUlvE_clEvENKUlvE2_clEvENKUlN3c107complexIfEES8_E_clES8_S8_@rel32@hi+24
	s_wait_alu 0xfffe
	s_swappc_b64 s[30:31], s[0:1]
	v_dual_mov_b32 v56, v0 :: v_dual_mov_b32 v57, v1
.LBB334_64:
	s_wait_alu 0xfffe
	s_or_b32 exec_lo, exec_lo, s27
	v_cmp_gt_u32_e32 vcc_lo, 30, v70
	v_add_nc_u32_e32 v75, 2, v70
	s_mov_b32 s27, exec_lo
	s_wait_dscnt 0x1
	s_wait_alu 0xfffd
	v_cndmask_b32_e64 v0, 0, 2, vcc_lo
	s_delay_alu instid0(VALU_DEP_1)
	v_add_lshl_u32 v74, v0, v70, 2
	ds_bpermute_b32 v0, v74, v56
	s_wait_dscnt 0x1
	ds_bpermute_b32 v1, v74, v57
	v_cmpx_le_u32_e64 v75, v61
	s_cbranch_execz .LBB334_66
; %bb.65:
	v_dual_mov_b32 v2, v56 :: v_dual_mov_b32 v3, v57
	s_getpc_b64 s[0:1]
	s_wait_alu 0xfffe
	s_sext_i32_i16 s1, s1
	s_add_co_u32 s0, s0, _ZZZZN2at6native31launch_logcumsumexp_cuda_kernelERKNS_10TensorBaseES3_lENKUlvE_clEvENKUlvE2_clEvENKUlN3c107complexIfEES8_E_clES8_S8_@rel32@lo+12
	s_wait_alu 0xfffe
	s_add_co_ci_u32 s1, s1, _ZZZZN2at6native31launch_logcumsumexp_cuda_kernelERKNS_10TensorBaseES3_lENKUlvE_clEvENKUlvE2_clEvENKUlN3c107complexIfEES8_E_clES8_S8_@rel32@hi+24
	s_wait_alu 0xfffe
	s_swappc_b64 s[30:31], s[0:1]
	v_dual_mov_b32 v56, v0 :: v_dual_mov_b32 v57, v1
.LBB334_66:
	s_wait_alu 0xfffe
	s_or_b32 exec_lo, exec_lo, s27
	v_cmp_gt_u32_e32 vcc_lo, 28, v70
	v_add_nc_u32_e32 v77, 4, v70
	s_mov_b32 s27, exec_lo
	s_wait_dscnt 0x1
	s_wait_alu 0xfffd
	v_cndmask_b32_e64 v0, 0, 4, vcc_lo
	s_delay_alu instid0(VALU_DEP_1)
	v_add_lshl_u32 v76, v0, v70, 2
	ds_bpermute_b32 v0, v76, v56
	s_wait_dscnt 0x1
	ds_bpermute_b32 v1, v76, v57
	v_cmpx_le_u32_e64 v77, v61
	;; [unrolled: 27-line block ×3, first 2 shown]
	s_cbranch_execz .LBB334_70
; %bb.69:
	v_dual_mov_b32 v2, v56 :: v_dual_mov_b32 v3, v57
	s_getpc_b64 s[0:1]
	s_wait_alu 0xfffe
	s_sext_i32_i16 s1, s1
	s_add_co_u32 s0, s0, _ZZZZN2at6native31launch_logcumsumexp_cuda_kernelERKNS_10TensorBaseES3_lENKUlvE_clEvENKUlvE2_clEvENKUlN3c107complexIfEES8_E_clES8_S8_@rel32@lo+12
	s_wait_alu 0xfffe
	s_add_co_ci_u32 s1, s1, _ZZZZN2at6native31launch_logcumsumexp_cuda_kernelERKNS_10TensorBaseES3_lENKUlvE_clEvENKUlvE2_clEvENKUlN3c107complexIfEES8_E_clES8_S8_@rel32@hi+24
	s_wait_alu 0xfffe
	s_swappc_b64 s[30:31], s[0:1]
	v_dual_mov_b32 v56, v0 :: v_dual_mov_b32 v57, v1
.LBB334_70:
	s_wait_alu 0xfffe
	s_or_b32 exec_lo, exec_lo, s27
	v_lshl_or_b32 v80, v70, 2, 64
	v_dual_mov_b32 v62, v71 :: v_dual_add_nc_u32 v81, 16, v70
	v_dual_mov_b32 v69, 0 :: v_dual_mov_b32 v2, v56
	ds_bpermute_b32 v59, v80, v56
	ds_bpermute_b32 v60, v80, v57
	v_cmp_le_u32_e64 s27, v81, v61
	v_mov_b32_e32 v61, v58
	v_mov_b32_e32 v3, v57
.LBB334_71:                             ; =>This Loop Header: Depth=1
                                        ;     Child Loop BB334_76 Depth 2
	s_wait_dscnt 0x1
	v_dual_mov_b32 v0, v58 :: v_dual_mov_b32 v67, v57
	v_mov_b32_e32 v68, v71
	v_mov_b32_e32 v66, v56
	s_and_saveexec_b32 s0, s27
	s_wait_alu 0xfffe
	s_xor_b32 s27, exec_lo, s0
	s_cbranch_execz .LBB334_73
; %bb.72:                               ;   in Loop: Header=BB334_71 Depth=1
	s_wait_dscnt 0x0
	v_dual_mov_b32 v0, v59 :: v_dual_mov_b32 v1, v60
	s_getpc_b64 s[0:1]
	s_wait_alu 0xfffe
	s_sext_i32_i16 s1, s1
	s_add_co_u32 s0, s0, _ZZZZN2at6native31launch_logcumsumexp_cuda_kernelERKNS_10TensorBaseES3_lENKUlvE_clEvENKUlvE2_clEvENKUlN3c107complexIfEES8_E_clES8_S8_@rel32@lo+12
	s_wait_alu 0xfffe
	s_add_co_ci_u32 s1, s1, _ZZZZN2at6native31launch_logcumsumexp_cuda_kernelERKNS_10TensorBaseES3_lENKUlvE_clEvENKUlvE2_clEvENKUlN3c107complexIfEES8_E_clES8_S8_@rel32@hi+24
	s_wait_alu 0xfffe
	s_swappc_b64 s[30:31], s[0:1]
	v_dual_mov_b32 v66, v0 :: v_dual_mov_b32 v67, v1
	v_mov_b32_e32 v0, v61
	v_mov_b32_e32 v68, v62
.LBB334_73:                             ;   in Loop: Header=BB334_71 Depth=1
	s_wait_alu 0xfffe
	s_or_b32 exec_lo, exec_lo, s27
	s_delay_alu instid0(VALU_DEP_2) | instskip(SKIP_2) | instid1(VALU_DEP_1)
	v_and_b32_e32 v0, 0xff, v0
	s_mov_b32 s27, -1
	s_mov_b32 s0, -1
                                        ; implicit-def: $vgpr59
                                        ; implicit-def: $vgpr62
	v_cmp_ne_u16_e32 vcc_lo, 2, v0
	s_cmp_lg_u32 vcc_lo, exec_lo
	s_cbranch_scc1 .LBB334_89
; %bb.74:                               ;   in Loop: Header=BB334_71 Depth=1
	s_wait_dscnt 0x0
	v_lshlrev_b64_e32 v[0:1], 4, v[68:69]
	s_mov_b32 s0, exec_lo
	s_delay_alu instid0(VALU_DEP_1) | instskip(SKIP_1) | instid1(VALU_DEP_2)
	v_add_co_u32 v0, vcc_lo, s28, v0
	s_wait_alu 0xfffd
	v_add_co_ci_u32_e64 v1, null, s29, v1, vcc_lo
	s_wait_dscnt 0x0
	;;#ASMSTART
	global_load_b128 v[59:62], v[0:1] off scope:SCOPE_DEV	
s_wait_loadcnt 0x0
	;;#ASMEND
	v_and_b32_e32 v2, 0xff, v61
	s_delay_alu instid0(VALU_DEP_1)
	v_cmpx_eq_u16_e32 0, v2
	s_cbranch_execz .LBB334_78
; %bb.75:                               ;   in Loop: Header=BB334_71 Depth=1
	s_mov_b32 s1, 0
.LBB334_76:                             ;   Parent Loop BB334_71 Depth=1
                                        ; =>  This Inner Loop Header: Depth=2
	;;#ASMSTART
	global_load_b128 v[59:62], v[0:1] off scope:SCOPE_DEV	
s_wait_loadcnt 0x0
	;;#ASMEND
	v_and_b32_e32 v2, 0xff, v61
	s_delay_alu instid0(VALU_DEP_1)
	v_cmp_ne_u16_e32 vcc_lo, 0, v2
	s_wait_alu 0xfffe
	s_or_b32 s1, vcc_lo, s1
	s_wait_alu 0xfffe
	s_and_not1_b32 exec_lo, exec_lo, s1
	s_cbranch_execnz .LBB334_76
; %bb.77:                               ;   in Loop: Header=BB334_71 Depth=1
	s_or_b32 exec_lo, exec_lo, s1
.LBB334_78:                             ;   in Loop: Header=BB334_71 Depth=1
	s_wait_alu 0xfffe
	s_or_b32 exec_lo, exec_lo, s0
	v_and_b32_e32 v1, 0xff, v61
	ds_bpermute_b32 v0, v72, v59
	s_mov_b32 s33, exec_lo
	v_cmp_eq_u16_e32 vcc_lo, 2, v1
	ds_bpermute_b32 v1, v72, v60
	s_wait_alu 0xfffd
	v_and_or_b32 v2, vcc_lo, v73, 0x80000000
	s_delay_alu instid0(VALU_DEP_1) | instskip(NEXT) | instid1(VALU_DEP_1)
	v_ctz_i32_b32_e32 v62, v2
	v_cmpx_lt_u32_e64 v70, v62
	s_cbranch_execz .LBB334_80
; %bb.79:                               ;   in Loop: Header=BB334_71 Depth=1
	v_dual_mov_b32 v2, v59 :: v_dual_mov_b32 v3, v60
	s_getpc_b64 s[0:1]
	s_wait_alu 0xfffe
	s_sext_i32_i16 s1, s1
	s_add_co_u32 s0, s0, _ZZZZN2at6native31launch_logcumsumexp_cuda_kernelERKNS_10TensorBaseES3_lENKUlvE_clEvENKUlvE2_clEvENKUlN3c107complexIfEES8_E_clES8_S8_@rel32@lo+12
	s_wait_alu 0xfffe
	s_add_co_ci_u32 s1, s1, _ZZZZN2at6native31launch_logcumsumexp_cuda_kernelERKNS_10TensorBaseES3_lENKUlvE_clEvENKUlvE2_clEvENKUlN3c107complexIfEES8_E_clES8_S8_@rel32@hi+24
	s_wait_alu 0xfffe
	s_swappc_b64 s[30:31], s[0:1]
	v_dual_mov_b32 v59, v0 :: v_dual_mov_b32 v60, v1
.LBB334_80:                             ;   in Loop: Header=BB334_71 Depth=1
	s_wait_alu 0xfffe
	s_or_b32 exec_lo, exec_lo, s33
	s_wait_dscnt 0x1
	ds_bpermute_b32 v0, v74, v59
	s_wait_dscnt 0x1
	ds_bpermute_b32 v1, v74, v60
	s_mov_b32 s33, exec_lo
	v_cmpx_le_u32_e64 v75, v62
	s_cbranch_execz .LBB334_82
; %bb.81:                               ;   in Loop: Header=BB334_71 Depth=1
	v_dual_mov_b32 v2, v59 :: v_dual_mov_b32 v3, v60
	s_getpc_b64 s[0:1]
	s_wait_alu 0xfffe
	s_sext_i32_i16 s1, s1
	s_add_co_u32 s0, s0, _ZZZZN2at6native31launch_logcumsumexp_cuda_kernelERKNS_10TensorBaseES3_lENKUlvE_clEvENKUlvE2_clEvENKUlN3c107complexIfEES8_E_clES8_S8_@rel32@lo+12
	s_wait_alu 0xfffe
	s_add_co_ci_u32 s1, s1, _ZZZZN2at6native31launch_logcumsumexp_cuda_kernelERKNS_10TensorBaseES3_lENKUlvE_clEvENKUlvE2_clEvENKUlN3c107complexIfEES8_E_clES8_S8_@rel32@hi+24
	s_wait_alu 0xfffe
	s_swappc_b64 s[30:31], s[0:1]
	v_dual_mov_b32 v59, v0 :: v_dual_mov_b32 v60, v1
.LBB334_82:                             ;   in Loop: Header=BB334_71 Depth=1
	s_wait_alu 0xfffe
	s_or_b32 exec_lo, exec_lo, s33
	s_wait_dscnt 0x1
	ds_bpermute_b32 v0, v76, v59
	s_wait_dscnt 0x1
	ds_bpermute_b32 v1, v76, v60
	s_mov_b32 s33, exec_lo
	v_cmpx_le_u32_e64 v77, v62
	;; [unrolled: 21-line block ×4, first 2 shown]
	s_cbranch_execz .LBB334_88
; %bb.87:                               ;   in Loop: Header=BB334_71 Depth=1
	v_dual_mov_b32 v2, v59 :: v_dual_mov_b32 v3, v60
	s_getpc_b64 s[0:1]
	s_wait_alu 0xfffe
	s_sext_i32_i16 s1, s1
	s_add_co_u32 s0, s0, _ZZZZN2at6native31launch_logcumsumexp_cuda_kernelERKNS_10TensorBaseES3_lENKUlvE_clEvENKUlvE2_clEvENKUlN3c107complexIfEES8_E_clES8_S8_@rel32@lo+12
	s_wait_alu 0xfffe
	s_add_co_ci_u32 s1, s1, _ZZZZN2at6native31launch_logcumsumexp_cuda_kernelERKNS_10TensorBaseES3_lENKUlvE_clEvENKUlvE2_clEvENKUlN3c107complexIfEES8_E_clES8_S8_@rel32@hi+24
	s_wait_alu 0xfffe
	s_swappc_b64 s[30:31], s[0:1]
	v_dual_mov_b32 v59, v0 :: v_dual_mov_b32 v60, v1
.LBB334_88:                             ;   in Loop: Header=BB334_71 Depth=1
	s_wait_alu 0xfffe
	s_or_b32 exec_lo, exec_lo, s33
	v_subrev_nc_u32_e32 v62, 32, v68
	s_mov_b32 s0, 0
.LBB334_89:                             ;   in Loop: Header=BB334_71 Depth=1
	s_wait_alu 0xfffe
	s_and_b32 vcc_lo, exec_lo, s0
	s_wait_alu 0xfffe
	s_cbranch_vccnz .LBB334_92
; %bb.90:                               ;   in Loop: Header=BB334_71 Depth=1
	v_dual_mov_b32 v3, v67 :: v_dual_mov_b32 v2, v66
	s_branch .LBB334_71
.LBB334_91:
                                        ; implicit-def: $vgpr54
                                        ; implicit-def: $vgpr56
                                        ; implicit-def: $vgpr60
                                        ; implicit-def: $vgpr66
                                        ; implicit-def: $vgpr70
                                        ; implicit-def: $vgpr74
                                        ; implicit-def: $vgpr78
                                        ; implicit-def: $vgpr82
                                        ; implicit-def: $vgpr84_vgpr85
                                        ; implicit-def: $vgpr80_vgpr81
                                        ; implicit-def: $vgpr76_vgpr77
                                        ; implicit-def: $vgpr72_vgpr73
                                        ; implicit-def: $vgpr68_vgpr69
                                        ; implicit-def: $vgpr64_vgpr65
                                        ; implicit-def: $vgpr58_vgpr59
                                        ; implicit-def: $vgpr86_vgpr87
	s_cbranch_execnz .LBB334_99
	s_branch .LBB334_118
.LBB334_92:
	s_and_saveexec_b32 s27, s10
	s_cbranch_execz .LBB334_94
; %bb.93:
	s_wait_dscnt 0x0
	v_dual_mov_b32 v0, v66 :: v_dual_mov_b32 v1, v67
	v_dual_mov_b32 v2, v54 :: v_dual_mov_b32 v3, v55
	s_getpc_b64 s[0:1]
	s_wait_alu 0xfffe
	s_sext_i32_i16 s1, s1
	s_add_co_u32 s0, s0, _ZZZZN2at6native31launch_logcumsumexp_cuda_kernelERKNS_10TensorBaseES3_lENKUlvE_clEvENKUlvE2_clEvENKUlN3c107complexIfEES8_E_clES8_S8_@rel32@lo+12
	s_wait_alu 0xfffe
	s_add_co_ci_u32 s1, s1, _ZZZZN2at6native31launch_logcumsumexp_cuda_kernelERKNS_10TensorBaseES3_lENKUlvE_clEvENKUlvE2_clEvENKUlN3c107complexIfEES8_E_clES8_S8_@rel32@hi+24
	s_wait_alu 0xfffe
	s_swappc_b64 s[30:31], s[0:1]
	s_add_co_i32 s0, s11, 32
	s_mov_b32 s1, 0
	v_dual_mov_b32 v2, 2 :: v_dual_mov_b32 v3, 0
	s_wait_alu 0xfffe
	s_lshl_b64 s[0:1], s[0:1], 4
	s_wait_alu 0xfffe
	s_add_nc_u64 s[0:1], s[28:29], s[0:1]
	s_wait_alu 0xfffe
	v_dual_mov_b32 v5, s1 :: v_dual_mov_b32 v4, s0
	;;#ASMSTART
	global_store_b128 v[4:5], v[0:3] off scope:SCOPE_DEV	
s_wait_storecnt 0x0
	;;#ASMEND
.LBB334_94:
	s_wait_alu 0xfffe
	s_or_b32 exec_lo, exec_lo, s27
	s_delay_alu instid0(SALU_CYCLE_1)
	s_and_b32 exec_lo, exec_lo, s9
	s_cbranch_execz .LBB334_96
; %bb.95:
	s_wait_dscnt 0x1
	v_mov_b32_e32 v0, 0
	ds_store_b64 v0, v[66:67]
.LBB334_96:
	s_wait_alu 0xfffe
	s_or_b32 exec_lo, exec_lo, s26
	s_wait_dscnt 0x1
	v_dual_mov_b32 v0, 0 :: v_dual_mov_b32 v3, v23
	s_wait_storecnt 0x0
	s_wait_loadcnt_dscnt 0x0
	s_barrier_signal -1
	s_barrier_wait -1
	global_inv scope:SCOPE_SE
	ds_load_b64 v[54:55], v0
	v_mov_b32_e32 v2, v22
	s_and_saveexec_b32 s10, s8
	s_cbranch_execz .LBB334_98
; %bb.97:
	v_dual_mov_b32 v0, v64 :: v_dual_mov_b32 v1, v65
	v_dual_mov_b32 v2, v22 :: v_dual_mov_b32 v3, v23
	s_getpc_b64 s[0:1]
	s_wait_alu 0xfffe
	s_sext_i32_i16 s1, s1
	s_add_co_u32 s0, s0, _ZZZZN2at6native31launch_logcumsumexp_cuda_kernelERKNS_10TensorBaseES3_lENKUlvE_clEvENKUlvE2_clEvENKUlN3c107complexIfEES8_E_clES8_S8_@rel32@lo+12
	s_wait_alu 0xfffe
	s_add_co_ci_u32 s1, s1, _ZZZZN2at6native31launch_logcumsumexp_cuda_kernelERKNS_10TensorBaseES3_lENKUlvE_clEvENKUlvE2_clEvENKUlN3c107complexIfEES8_E_clES8_S8_@rel32@hi+24
	s_wait_alu 0xfffe
	s_swappc_b64 s[30:31], s[0:1]
	v_dual_mov_b32 v2, v0 :: v_dual_mov_b32 v3, v1
.LBB334_98:
	s_wait_alu 0xfffe
	s_or_b32 exec_lo, exec_lo, s10
	s_wait_dscnt 0x0
	v_dual_mov_b32 v0, v54 :: v_dual_mov_b32 v1, v55
	s_getpc_b64 s[10:11]
	s_wait_alu 0xfffe
	s_sext_i32_i16 s11, s11
	s_add_co_u32 s10, s10, _ZZZZN2at6native31launch_logcumsumexp_cuda_kernelERKNS_10TensorBaseES3_lENKUlvE_clEvENKUlvE2_clEvENKUlN3c107complexIfEES8_E_clES8_S8_@rel32@lo+12
	s_wait_alu 0xfffe
	s_add_co_ci_u32 s11, s11, _ZZZZN2at6native31launch_logcumsumexp_cuda_kernelERKNS_10TensorBaseES3_lENKUlvE_clEvENKUlvE2_clEvENKUlN3c107complexIfEES8_E_clES8_S8_@rel32@hi+24
	s_wait_alu 0xfffe
	s_swappc_b64 s[30:31], s[10:11]
	v_dual_mov_b32 v2, v24 :: v_dual_mov_b32 v3, v25
	v_dual_mov_b32 v86, v0 :: v_dual_mov_b32 v87, v1
	s_wait_alu 0xfffe
	s_swappc_b64 s[30:31], s[10:11]
	v_dual_mov_b32 v2, v50 :: v_dual_mov_b32 v3, v51
	v_dual_mov_b32 v54, v0 :: v_dual_mov_b32 v55, v1
	;; [unrolled: 4-line block ×15, first 2 shown]
	s_wait_alu 0xfffe
	s_swappc_b64 s[30:31], s[10:11]
	v_dual_mov_b32 v84, v0 :: v_dual_mov_b32 v85, v1
	s_branch .LBB334_118
.LBB334_99:
	s_cmp_lg_u64 s[16:17], 0
	s_cselect_b32 s0, -1, 0
	s_delay_alu instid0(SALU_CYCLE_1) | instskip(NEXT) | instid1(SALU_CYCLE_1)
	s_and_b32 s0, s9, s0
	s_and_saveexec_b32 s10, s0
	s_cbranch_execz .LBB334_101
; %bb.100:
	v_dual_mov_b32 v0, 0 :: v_dual_mov_b32 v3, v23
	v_mov_b32_e32 v2, v22
	s_getpc_b64 s[0:1]
	s_sext_i32_i16 s1, s1
	s_add_co_u32 s0, s0, _ZZZZN2at6native31launch_logcumsumexp_cuda_kernelERKNS_10TensorBaseES3_lENKUlvE_clEvENKUlvE2_clEvENKUlN3c107complexIfEES8_E_clES8_S8_@rel32@lo+8
	s_add_co_ci_u32 s1, s1, _ZZZZN2at6native31launch_logcumsumexp_cuda_kernelERKNS_10TensorBaseES3_lENKUlvE_clEvENKUlvE2_clEvENKUlN3c107complexIfEES8_E_clES8_S8_@rel32@hi+16
	global_load_b64 v[0:1], v0, s[12:13]
	s_swappc_b64 s[30:31], s[0:1]
	v_dual_mov_b32 v22, v0 :: v_dual_mov_b32 v23, v1
.LBB334_101:
	s_or_b32 exec_lo, exec_lo, s10
	s_delay_alu instid0(VALU_DEP_1)
	v_dual_mov_b32 v0, v22 :: v_dual_mov_b32 v1, v23
	v_dual_mov_b32 v2, v24 :: v_dual_mov_b32 v3, v25
	s_getpc_b64 s[10:11]
	s_wait_alu 0xfffe
	s_sext_i32_i16 s11, s11
	s_add_co_u32 s10, s10, _ZZZZN2at6native31launch_logcumsumexp_cuda_kernelERKNS_10TensorBaseES3_lENKUlvE_clEvENKUlvE2_clEvENKUlN3c107complexIfEES8_E_clES8_S8_@rel32@lo+12
	s_wait_alu 0xfffe
	s_add_co_ci_u32 s11, s11, _ZZZZN2at6native31launch_logcumsumexp_cuda_kernelERKNS_10TensorBaseES3_lENKUlvE_clEvENKUlvE2_clEvENKUlN3c107complexIfEES8_E_clES8_S8_@rel32@hi+24
	s_wait_alu 0xfffe
	s_swappc_b64 s[30:31], s[10:11]
	v_dual_mov_b32 v2, v50 :: v_dual_mov_b32 v3, v51
	v_dual_mov_b32 v54, v0 :: v_dual_mov_b32 v55, v1
	s_wait_alu 0xfffe
	s_swappc_b64 s[30:31], s[10:11]
	v_dual_mov_b32 v2, v52 :: v_dual_mov_b32 v3, v53
	v_dual_mov_b32 v56, v0 :: v_dual_mov_b32 v57, v1
	;; [unrolled: 4-line block ×14, first 2 shown]
	s_wait_alu 0xfffe
	s_swappc_b64 s[30:31], s[10:11]
	v_dual_mov_b32 v84, v0 :: v_dual_mov_b32 v85, v1
	v_and_b32_e32 v0, 56, v108
	s_mov_b32 s12, exec_lo
	s_delay_alu instid0(VALU_DEP_1)
	v_lshl_add_u32 v0, v63, 3, v0
	ds_store_b64 v0, v[84:85]
	s_wait_storecnt_dscnt 0x0
	s_barrier_signal -1
	s_barrier_wait -1
	global_inv scope:SCOPE_SE
	v_cmpx_gt_u32_e32 32, v63
	s_cbranch_execz .LBB334_113
; %bb.102:
	v_lshlrev_b32_e32 v0, 1, v63
	v_lshlrev_b32_e32 v1, 6, v63
	s_delay_alu instid0(VALU_DEP_2) | instskip(NEXT) | instid1(VALU_DEP_1)
	v_and_b32_e32 v0, 0x1f8, v0
	v_add_nc_u32_e32 v62, v0, v1
	ds_load_b64 v[86:87], v62
	ds_load_2addr_b64 v[88:91], v62 offset0:1 offset1:2
	s_wait_dscnt 0x1
	v_dual_mov_b32 v0, v86 :: v_dual_mov_b32 v1, v87
	s_wait_dscnt 0x0
	v_dual_mov_b32 v2, v88 :: v_dual_mov_b32 v3, v89
	s_wait_alu 0xfffe
	s_swappc_b64 s[30:31], s[10:11]
	v_dual_mov_b32 v2, v90 :: v_dual_mov_b32 v3, v91
	s_wait_alu 0xfffe
	s_swappc_b64 s[30:31], s[10:11]
	ds_load_2addr_b64 v[88:91], v62 offset0:3 offset1:4
	s_wait_dscnt 0x0
	v_dual_mov_b32 v2, v88 :: v_dual_mov_b32 v3, v89
	s_wait_alu 0xfffe
	s_swappc_b64 s[30:31], s[10:11]
	v_dual_mov_b32 v2, v90 :: v_dual_mov_b32 v3, v91
	s_wait_alu 0xfffe
	s_swappc_b64 s[30:31], s[10:11]
	ds_load_2addr_b64 v[88:91], v62 offset0:5 offset1:6
	s_wait_dscnt 0x0
	v_dual_mov_b32 v2, v88 :: v_dual_mov_b32 v3, v89
	s_wait_alu 0xfffe
	s_swappc_b64 s[30:31], s[10:11]
	v_dual_mov_b32 v2, v90 :: v_dual_mov_b32 v3, v91
	s_wait_alu 0xfffe
	s_swappc_b64 s[30:31], s[10:11]
	ds_load_b64 v[2:3], v62 offset:56
	s_wait_alu 0xfffe
	s_swappc_b64 s[30:31], s[10:11]
	v_dual_mov_b32 v2, v0 :: v_dual_mov_b32 v3, v1
	v_mbcnt_lo_u32_b32 v88, -1, 0
	s_mov_b32 s10, exec_lo
	s_delay_alu instid0(VALU_DEP_2) | instskip(NEXT) | instid1(VALU_DEP_3)
	v_mov_b32_dpp v0, v2 row_shr:1 row_mask:0xf bank_mask:0xf
	v_mov_b32_dpp v1, v3 row_shr:1 row_mask:0xf bank_mask:0xf
	s_delay_alu instid0(VALU_DEP_3) | instskip(NEXT) | instid1(VALU_DEP_1)
	v_and_b32_e32 v89, 15, v88
	v_cmpx_ne_u32_e32 0, v89
	s_cbranch_execz .LBB334_104
; %bb.103:
	s_getpc_b64 s[0:1]
	s_wait_alu 0xfffe
	s_sext_i32_i16 s1, s1
	s_add_co_u32 s0, s0, _ZZZZN2at6native31launch_logcumsumexp_cuda_kernelERKNS_10TensorBaseES3_lENKUlvE_clEvENKUlvE2_clEvENKUlN3c107complexIfEES8_E_clES8_S8_@rel32@lo+12
	s_wait_alu 0xfffe
	s_add_co_ci_u32 s1, s1, _ZZZZN2at6native31launch_logcumsumexp_cuda_kernelERKNS_10TensorBaseES3_lENKUlvE_clEvENKUlvE2_clEvENKUlN3c107complexIfEES8_E_clES8_S8_@rel32@hi+24
	s_wait_alu 0xfffe
	s_swappc_b64 s[30:31], s[0:1]
	v_dual_mov_b32 v2, v0 :: v_dual_mov_b32 v3, v1
.LBB334_104:
	s_wait_alu 0xfffe
	s_or_b32 exec_lo, exec_lo, s10
	s_delay_alu instid0(VALU_DEP_1) | instskip(NEXT) | instid1(VALU_DEP_2)
	v_mov_b32_dpp v0, v2 row_shr:2 row_mask:0xf bank_mask:0xf
	v_mov_b32_dpp v1, v3 row_shr:2 row_mask:0xf bank_mask:0xf
	s_mov_b32 s10, exec_lo
	v_cmpx_lt_u32_e32 1, v89
	s_cbranch_execz .LBB334_106
; %bb.105:
	s_getpc_b64 s[0:1]
	s_wait_alu 0xfffe
	s_sext_i32_i16 s1, s1
	s_add_co_u32 s0, s0, _ZZZZN2at6native31launch_logcumsumexp_cuda_kernelERKNS_10TensorBaseES3_lENKUlvE_clEvENKUlvE2_clEvENKUlN3c107complexIfEES8_E_clES8_S8_@rel32@lo+12
	s_wait_alu 0xfffe
	s_add_co_ci_u32 s1, s1, _ZZZZN2at6native31launch_logcumsumexp_cuda_kernelERKNS_10TensorBaseES3_lENKUlvE_clEvENKUlvE2_clEvENKUlN3c107complexIfEES8_E_clES8_S8_@rel32@hi+24
	s_wait_alu 0xfffe
	s_swappc_b64 s[30:31], s[0:1]
	v_dual_mov_b32 v2, v0 :: v_dual_mov_b32 v3, v1
.LBB334_106:
	s_wait_alu 0xfffe
	s_or_b32 exec_lo, exec_lo, s10
	s_delay_alu instid0(VALU_DEP_1) | instskip(NEXT) | instid1(VALU_DEP_2)
	v_mov_b32_dpp v0, v2 row_shr:4 row_mask:0xf bank_mask:0xf
	v_mov_b32_dpp v1, v3 row_shr:4 row_mask:0xf bank_mask:0xf
	s_mov_b32 s10, exec_lo
	v_cmpx_lt_u32_e32 3, v89
	;; [unrolled: 19-line block ×3, first 2 shown]
	s_cbranch_execz .LBB334_110
; %bb.109:
	s_getpc_b64 s[0:1]
	s_wait_alu 0xfffe
	s_sext_i32_i16 s1, s1
	s_add_co_u32 s0, s0, _ZZZZN2at6native31launch_logcumsumexp_cuda_kernelERKNS_10TensorBaseES3_lENKUlvE_clEvENKUlvE2_clEvENKUlN3c107complexIfEES8_E_clES8_S8_@rel32@lo+12
	s_wait_alu 0xfffe
	s_add_co_ci_u32 s1, s1, _ZZZZN2at6native31launch_logcumsumexp_cuda_kernelERKNS_10TensorBaseES3_lENKUlvE_clEvENKUlvE2_clEvENKUlN3c107complexIfEES8_E_clES8_S8_@rel32@hi+24
	s_wait_alu 0xfffe
	s_swappc_b64 s[30:31], s[0:1]
	v_dual_mov_b32 v2, v0 :: v_dual_mov_b32 v3, v1
.LBB334_110:
	s_wait_alu 0xfffe
	s_or_b32 exec_lo, exec_lo, s10
	ds_swizzle_b32 v0, v2 offset:swizzle(BROADCAST,32,15)
	ds_swizzle_b32 v1, v3 offset:swizzle(BROADCAST,32,15)
	v_and_b32_e32 v4, 16, v88
	s_mov_b32 s10, exec_lo
	s_delay_alu instid0(VALU_DEP_1)
	v_cmpx_ne_u32_e32 0, v4
	s_cbranch_execz .LBB334_112
; %bb.111:
	s_getpc_b64 s[0:1]
	s_wait_alu 0xfffe
	s_sext_i32_i16 s1, s1
	s_add_co_u32 s0, s0, _ZZZZN2at6native31launch_logcumsumexp_cuda_kernelERKNS_10TensorBaseES3_lENKUlvE_clEvENKUlvE2_clEvENKUlN3c107complexIfEES8_E_clES8_S8_@rel32@lo+12
	s_wait_alu 0xfffe
	s_add_co_ci_u32 s1, s1, _ZZZZN2at6native31launch_logcumsumexp_cuda_kernelERKNS_10TensorBaseES3_lENKUlvE_clEvENKUlvE2_clEvENKUlN3c107complexIfEES8_E_clES8_S8_@rel32@hi+24
	s_wait_alu 0xfffe
	s_swappc_b64 s[30:31], s[0:1]
	v_dual_mov_b32 v2, v0 :: v_dual_mov_b32 v3, v1
.LBB334_112:
	s_wait_alu 0xfffe
	s_or_b32 exec_lo, exec_lo, s10
	s_wait_dscnt 0x1
	v_add_nc_u32_e32 v0, -1, v88
	s_getpc_b64 s[10:11]
	s_wait_alu 0xfffe
	s_sext_i32_i16 s11, s11
	s_add_co_u32 s10, s10, _ZZZZN2at6native31launch_logcumsumexp_cuda_kernelERKNS_10TensorBaseES3_lENKUlvE_clEvENKUlvE2_clEvENKUlN3c107complexIfEES8_E_clES8_S8_@rel32@lo+12
	s_wait_alu 0xfffe
	s_add_co_ci_u32 s11, s11, _ZZZZN2at6native31launch_logcumsumexp_cuda_kernelERKNS_10TensorBaseES3_lENKUlvE_clEvENKUlvE2_clEvENKUlN3c107complexIfEES8_E_clES8_S8_@rel32@hi+24
	v_cmp_gt_i32_e32 vcc_lo, 0, v0
	s_wait_alu 0xfffd
	v_cndmask_b32_e32 v0, v0, v88, vcc_lo
	s_wait_dscnt 0x0
	s_delay_alu instid0(VALU_DEP_1)
	v_lshlrev_b32_e32 v1, 2, v0
	ds_bpermute_b32 v0, v1, v2
	v_mov_b32_e32 v2, v86
	ds_bpermute_b32 v1, v1, v3
	v_mov_b32_e32 v3, v87
	s_wait_alu 0xfffe
	s_swappc_b64 s[30:31], s[10:11]
	v_cndmask_b32_e64 v0, v0, v84, s9
	v_cndmask_b32_e64 v1, v1, v85, s9
	; wave barrier
	ds_store_b64 v62, v[0:1]
	; wave barrier
	ds_load_2addr_b64 v[86:89], v62 offset0:1 offset1:2
	s_wait_dscnt 0x0
	v_dual_mov_b32 v2, v86 :: v_dual_mov_b32 v3, v87
	s_wait_alu 0xfffe
	s_swappc_b64 s[30:31], s[10:11]
	v_dual_mov_b32 v2, v88 :: v_dual_mov_b32 v3, v89
	v_dual_mov_b32 v90, v0 :: v_dual_mov_b32 v91, v1
	s_wait_alu 0xfffe
	s_swappc_b64 s[30:31], s[10:11]
	ds_load_2addr_b64 v[86:89], v62 offset0:3 offset1:4
	ds_store_2addr_b64 v62, v[90:91], v[0:1] offset0:1 offset1:2
	s_wait_dscnt 0x1
	v_dual_mov_b32 v2, v86 :: v_dual_mov_b32 v3, v87
	s_wait_alu 0xfffe
	s_swappc_b64 s[30:31], s[10:11]
	v_dual_mov_b32 v2, v88 :: v_dual_mov_b32 v3, v89
	v_dual_mov_b32 v90, v0 :: v_dual_mov_b32 v91, v1
	s_wait_alu 0xfffe
	s_swappc_b64 s[30:31], s[10:11]
	ds_load_2addr_b64 v[86:89], v62 offset0:5 offset1:6
	ds_store_2addr_b64 v62, v[90:91], v[0:1] offset0:3 offset1:4
	s_wait_dscnt 0x1
	v_dual_mov_b32 v2, v86 :: v_dual_mov_b32 v3, v87
	s_wait_alu 0xfffe
	s_swappc_b64 s[30:31], s[10:11]
	v_dual_mov_b32 v2, v88 :: v_dual_mov_b32 v3, v89
	v_dual_mov_b32 v86, v0 :: v_dual_mov_b32 v87, v1
	s_wait_alu 0xfffe
	s_swappc_b64 s[30:31], s[10:11]
	ds_load_b64 v[2:3], v62 offset:56
	ds_store_2addr_b64 v62, v[86:87], v[0:1] offset0:5 offset1:6
	s_wait_alu 0xfffe
	s_swappc_b64 s[30:31], s[10:11]
	ds_store_b64 v62, v[0:1] offset:56
.LBB334_113:
	s_wait_alu 0xfffe
	s_or_b32 exec_lo, exec_lo, s12
	s_wait_storecnt 0x0
	s_wait_loadcnt_dscnt 0x0
	s_barrier_signal -1
	s_barrier_wait -1
	global_inv scope:SCOPE_SE
	s_and_saveexec_b32 s10, s8
	s_cbranch_execz .LBB334_115
; %bb.114:
	v_dual_mov_b32 v3, v23 :: v_dual_add_nc_u32 v0, -1, v63
	s_getpc_b64 s[8:9]
	s_wait_alu 0xfffe
	s_sext_i32_i16 s9, s9
	s_add_co_u32 s8, s8, _ZZZZN2at6native31launch_logcumsumexp_cuda_kernelERKNS_10TensorBaseES3_lENKUlvE_clEvENKUlvE2_clEvENKUlN3c107complexIfEES8_E_clES8_S8_@rel32@lo+12
	s_wait_alu 0xfffe
	s_add_co_ci_u32 s9, s9, _ZZZZN2at6native31launch_logcumsumexp_cuda_kernelERKNS_10TensorBaseES3_lENKUlvE_clEvENKUlvE2_clEvENKUlN3c107complexIfEES8_E_clES8_S8_@rel32@hi+24
	v_mov_b32_e32 v2, v22
	v_lshrrev_b32_e32 v1, 2, v0
	s_delay_alu instid0(VALU_DEP_1) | instskip(NEXT) | instid1(VALU_DEP_1)
	v_and_b32_e32 v1, 0x3ffffff8, v1
	v_lshl_add_u32 v0, v0, 3, v1
	ds_load_b64 v[0:1], v0
	s_wait_alu 0xfffe
	s_swappc_b64 s[30:31], s[8:9]
	v_dual_mov_b32 v2, v24 :: v_dual_mov_b32 v3, v25
	v_dual_mov_b32 v22, v0 :: v_dual_mov_b32 v23, v1
	;;#ASMSTART
	;;#ASMEND
	s_wait_alu 0xfffe
	s_swappc_b64 s[30:31], s[8:9]
	v_dual_mov_b32 v2, v50 :: v_dual_mov_b32 v3, v51
	v_dual_mov_b32 v54, v0 :: v_dual_mov_b32 v55, v1
	s_wait_alu 0xfffe
	s_swappc_b64 s[30:31], s[8:9]
	v_dual_mov_b32 v2, v52 :: v_dual_mov_b32 v3, v53
	v_dual_mov_b32 v56, v0 :: v_dual_mov_b32 v57, v1
	;; [unrolled: 4-line block ×14, first 2 shown]
	s_wait_alu 0xfffe
	s_swappc_b64 s[30:31], s[8:9]
	v_dual_mov_b32 v84, v0 :: v_dual_mov_b32 v85, v1
.LBB334_115:
	s_wait_alu 0xfffe
	s_or_b32 exec_lo, exec_lo, s10
	s_delay_alu instid0(SALU_CYCLE_1)
	s_mov_b32 s0, exec_lo
	v_cmpx_eq_u32_e32 0xff, v63
	s_cbranch_execz .LBB334_117
; %bb.116:
	s_add_nc_u64 s[2:3], s[28:29], 0x200
	v_dual_mov_b32 v2, 2 :: v_dual_mov_b32 v3, 0
	v_dual_mov_b32 v0, v84 :: v_dual_mov_b32 v1, v85
	s_wait_alu 0xfffe
	v_dual_mov_b32 v5, s3 :: v_dual_mov_b32 v4, s2
	;;#ASMSTART
	global_store_b128 v[4:5], v[0:3] off scope:SCOPE_DEV	
s_wait_storecnt 0x0
	;;#ASMEND
.LBB334_117:
	s_wait_alu 0xfffe
	s_or_b32 exec_lo, exec_lo, s0
	v_dual_mov_b32 v86, v22 :: v_dual_mov_b32 v87, v23
.LBB334_118:
	s_add_nc_u64 s[0:1], s[24:25], s[22:23]
	s_and_b32 vcc_lo, exec_lo, s7
	s_wait_alu 0xfffe
	s_add_nc_u64 s[0:1], s[0:1], s[34:35]
	s_mov_b32 s2, -1
	s_wait_loadcnt 0x0
	s_wait_storecnt 0x0
	s_barrier_signal -1
	s_barrier_wait -1
	global_inv scope:SCOPE_SE
	s_cbranch_vccz .LBB334_120
; %bb.119:
	v_lshrrev_b32_e32 v1, 2, v106
	v_lshrrev_b32_e32 v2, 2, v105
	;; [unrolled: 1-line block ×3, first 2 shown]
	v_and_b32_e32 v0, 56, v108
	v_lshrrev_b32_e32 v4, 2, v103
	v_and_b32_e32 v1, 0x78, v1
	v_and_b32_e32 v2, 0xb8, v2
	;; [unrolled: 1-line block ×3, first 2 shown]
	v_add_nc_u32_e32 v0, v0, v107
	v_lshrrev_b32_e32 v5, 2, v102
	v_and_b32_e32 v9, 0x138, v4
	v_lshrrev_b32_e32 v11, 2, v101
	v_lshrrev_b32_e32 v12, 2, v100
	v_add_nc_u32_e32 v6, v1, v107
	v_add_nc_u32_e32 v7, v2, v107
	;; [unrolled: 1-line block ×3, first 2 shown]
	v_lshrrev_b32_e32 v14, 2, v98
	ds_store_2addr_b64 v109, v[86:87], v[54:55] offset1:1
	ds_store_2addr_b64 v109, v[56:57], v[58:59] offset0:2 offset1:3
	ds_store_2addr_b64 v109, v[60:61], v[64:65] offset0:4 offset1:5
	;; [unrolled: 1-line block ×7, first 2 shown]
	s_wait_loadcnt_dscnt 0x0
	s_barrier_signal -1
	s_barrier_wait -1
	global_inv scope:SCOPE_SE
	v_and_b32_e32 v10, 0x178, v5
	ds_load_b64 v[0:1], v0
	ds_load_b64 v[2:3], v6 offset:2048
	ds_load_b64 v[4:5], v7 offset:4096
	;; [unrolled: 1-line block ×3, first 2 shown]
	v_add_nc_u32_e32 v8, v9, v107
	v_and_b32_e32 v9, 0x1b8, v11
	v_and_b32_e32 v11, 0x1f8, v12
	v_lshrrev_b32_e32 v12, 2, v99
	v_and_b32_e32 v19, 0x2b8, v14
	v_lshrrev_b32_e32 v13, 2, v97
	v_lshrrev_b32_e32 v20, 2, v96
	v_add_nc_u32_e32 v10, v10, v107
	v_and_b32_e32 v17, 0x238, v12
	v_add_nc_u32_e32 v15, v9, v107
	v_add_nc_u32_e32 v16, v11, v107
	;; [unrolled: 1-line block ×3, first 2 shown]
	v_lshrrev_b32_e32 v19, 2, v95
	v_and_b32_e32 v18, 0x278, v13
	ds_load_b64 v[8:9], v8 offset:8192
	ds_load_b64 v[10:11], v10 offset:10240
	;; [unrolled: 1-line block ×4, first 2 shown]
	v_add_nc_u32_e32 v16, v17, v107
	v_and_b32_e32 v17, 0x2f8, v20
	v_lshrrev_b32_e32 v20, 2, v94
	v_lshrrev_b32_e32 v22, 2, v93
	;; [unrolled: 1-line block ×3, first 2 shown]
	v_and_b32_e32 v25, 0x338, v19
	v_add_nc_u32_e32 v18, v18, v107
	v_and_b32_e32 v26, 0x378, v20
	v_and_b32_e32 v27, 0x3b8, v22
	v_add_nc_u32_e32 v24, v17, v107
	v_and_b32_e32 v28, 0x3f8, v23
	ds_load_b64 v[16:17], v16 offset:16384
	ds_load_b64 v[18:19], v18 offset:18432
	;; [unrolled: 1-line block ×4, first 2 shown]
	v_add_nc_u32_e32 v24, v25, v107
	v_add_nc_u32_e32 v26, v26, v107
	v_add_nc_u32_e32 v29, v27, v107
	v_add_nc_u32_e32 v30, v28, v107
	ds_load_b64 v[24:25], v24 offset:24576
	ds_load_b64 v[26:27], v26 offset:26624
	;; [unrolled: 1-line block ×4, first 2 shown]
	s_wait_dscnt 0xf
	global_store_b64 v107, v[0:1], s[0:1]
	s_wait_dscnt 0xe
	global_store_b64 v107, v[2:3], s[0:1] offset:2048
	s_wait_dscnt 0xd
	global_store_b64 v107, v[4:5], s[0:1] offset:4096
	;; [unrolled: 2-line block ×11, first 2 shown]
	s_mov_b32 s2, 0
	s_wait_dscnt 0x3
	global_store_b64 v107, v[24:25], s[0:1] offset:24576
	s_wait_dscnt 0x2
	global_store_b64 v107, v[26:27], s[0:1] offset:26624
	;; [unrolled: 2-line block ×4, first 2 shown]
.LBB334_120:
	s_wait_alu 0xfffe
	s_and_not1_b32 vcc_lo, exec_lo, s2
	s_wait_alu 0xfffe
	s_cbranch_vccnz .LBB334_138
; %bb.121:
	v_and_b32_e32 v0, 56, v108
	v_lshrrev_b32_e32 v1, 2, v106
	v_lshrrev_b32_e32 v2, 2, v105
	;; [unrolled: 1-line block ×4, first 2 shown]
	v_add_nc_u32_e32 v34, v0, v107
	v_and_b32_e32 v0, 0x78, v1
	v_and_b32_e32 v1, 0xb8, v2
	;; [unrolled: 1-line block ×3, first 2 shown]
	v_lshrrev_b32_e32 v3, 2, v103
	v_and_b32_e32 v9, 0x178, v4
	v_lshrrev_b32_e32 v10, 2, v101
	v_lshrrev_b32_e32 v11, 2, v100
	v_lshrrev_b32_e32 v14, 2, v98
	v_and_b32_e32 v8, 0x138, v3
	v_add_nc_u32_e32 v12, v9, v107
	v_and_b32_e32 v9, 0x1b8, v10
	v_and_b32_e32 v10, 0x1f8, v11
	v_lshrrev_b32_e32 v11, 2, v99
	v_add_nc_u32_e32 v8, v8, v107
	v_lshrrev_b32_e32 v13, 2, v97
	v_add_nc_u32_e32 v0, v0, v107
	v_and_b32_e32 v19, 0x2b8, v14
	v_and_b32_e32 v17, 0x238, v11
	ds_store_2addr_b64 v109, v[86:87], v[54:55] offset1:1
	ds_store_2addr_b64 v109, v[56:57], v[58:59] offset0:2 offset1:3
	ds_store_2addr_b64 v109, v[60:61], v[64:65] offset0:4 offset1:5
	;; [unrolled: 1-line block ×7, first 2 shown]
	v_dual_mov_b32 v64, 0 :: v_dual_add_nc_u32 v15, v9, v107
	v_add_nc_u32_e32 v5, v1, v107
	v_add_nc_u32_e32 v6, v2, v107
	;; [unrolled: 1-line block ×3, first 2 shown]
	s_wait_storecnt 0x0
	s_wait_loadcnt_dscnt 0x0
	s_barrier_signal -1
	s_barrier_wait -1
	global_inv scope:SCOPE_SE
	ds_load_b64 v[2:3], v34
	ds_load_b64 v[0:1], v0 offset:2048
	ds_load_b64 v[4:5], v5 offset:4096
	;; [unrolled: 1-line block ×3, first 2 shown]
	v_and_b32_e32 v18, 0x278, v13
	ds_load_b64 v[8:9], v8 offset:8192
	ds_load_b64 v[10:11], v12 offset:10240
	;; [unrolled: 1-line block ×4, first 2 shown]
	v_add_nc_u32_e32 v16, v17, v107
	v_lshrrev_b32_e32 v17, 2, v96
	v_add_nc_u32_e32 v20, v19, v107
	v_lshrrev_b32_e32 v19, 2, v95
	v_lshrrev_b32_e32 v21, 2, v94
	;; [unrolled: 1-line block ×4, first 2 shown]
	v_and_b32_e32 v17, 0x2f8, v17
	v_and_b32_e32 v19, 0x338, v19
	;; [unrolled: 1-line block ×5, first 2 shown]
	v_add_nc_u32_e32 v18, v18, v107
	v_add_nc_u32_e32 v24, v17, v107
	;; [unrolled: 1-line block ×6, first 2 shown]
	ds_load_b64 v[16:17], v16 offset:16384
	ds_load_b64 v[18:19], v18 offset:18432
	ds_load_b64 v[20:21], v20 offset:20480
	ds_load_b64 v[22:23], v24 offset:22528
	ds_load_b64 v[24:25], v25 offset:24576
	ds_load_b64 v[26:27], v26 offset:26624
	ds_load_b64 v[28:29], v28 offset:28672
	ds_load_b64 v[30:31], v30 offset:30720
	v_add_co_u32 v32, s0, s0, v107
	s_wait_alu 0xf1ff
	v_add_co_ci_u32_e64 v33, null, s1, 0, s0
	s_mov_b32 s0, exec_lo
	v_cmpx_gt_u32_e64 s20, v63
	s_cbranch_execnz .LBB334_139
; %bb.122:
	s_wait_alu 0xfffe
	s_or_b32 exec_lo, exec_lo, s0
	s_delay_alu instid0(SALU_CYCLE_1)
	s_mov_b32 s0, exec_lo
	v_cmpx_gt_u32_e64 s20, v106
	s_cbranch_execnz .LBB334_140
.LBB334_123:
	s_wait_alu 0xfffe
	s_or_b32 exec_lo, exec_lo, s0
	s_delay_alu instid0(SALU_CYCLE_1)
	s_mov_b32 s0, exec_lo
	v_cmpx_gt_u32_e64 s20, v105
	s_cbranch_execnz .LBB334_141
.LBB334_124:
	s_wait_alu 0xfffe
	s_or_b32 exec_lo, exec_lo, s0
	s_delay_alu instid0(SALU_CYCLE_1)
	s_mov_b32 s0, exec_lo
	v_cmpx_gt_u32_e64 s20, v104
	s_cbranch_execnz .LBB334_142
.LBB334_125:
	s_wait_alu 0xfffe
	s_or_b32 exec_lo, exec_lo, s0
	s_delay_alu instid0(SALU_CYCLE_1)
	s_mov_b32 s0, exec_lo
	v_cmpx_gt_u32_e64 s20, v103
	s_cbranch_execnz .LBB334_143
.LBB334_126:
	s_wait_alu 0xfffe
	s_or_b32 exec_lo, exec_lo, s0
	s_delay_alu instid0(SALU_CYCLE_1)
	s_mov_b32 s0, exec_lo
	v_cmpx_gt_u32_e64 s20, v102
	s_cbranch_execnz .LBB334_144
.LBB334_127:
	s_wait_alu 0xfffe
	s_or_b32 exec_lo, exec_lo, s0
	s_delay_alu instid0(SALU_CYCLE_1)
	s_mov_b32 s0, exec_lo
	v_cmpx_gt_u32_e64 s20, v101
	s_cbranch_execnz .LBB334_145
.LBB334_128:
	s_wait_alu 0xfffe
	s_or_b32 exec_lo, exec_lo, s0
	s_delay_alu instid0(SALU_CYCLE_1)
	s_mov_b32 s0, exec_lo
	v_cmpx_gt_u32_e64 s20, v100
	s_cbranch_execnz .LBB334_146
.LBB334_129:
	s_wait_alu 0xfffe
	s_or_b32 exec_lo, exec_lo, s0
	s_delay_alu instid0(SALU_CYCLE_1)
	s_mov_b32 s0, exec_lo
	v_cmpx_gt_u32_e64 s20, v99
	s_cbranch_execnz .LBB334_147
.LBB334_130:
	s_wait_alu 0xfffe
	s_or_b32 exec_lo, exec_lo, s0
	s_delay_alu instid0(SALU_CYCLE_1)
	s_mov_b32 s0, exec_lo
	v_cmpx_gt_u32_e64 s20, v97
	s_cbranch_execnz .LBB334_148
.LBB334_131:
	s_wait_alu 0xfffe
	s_or_b32 exec_lo, exec_lo, s0
	s_delay_alu instid0(SALU_CYCLE_1)
	s_mov_b32 s0, exec_lo
	v_cmpx_gt_u32_e64 s20, v98
	s_cbranch_execnz .LBB334_149
.LBB334_132:
	s_wait_alu 0xfffe
	s_or_b32 exec_lo, exec_lo, s0
	s_delay_alu instid0(SALU_CYCLE_1)
	s_mov_b32 s0, exec_lo
	v_cmpx_gt_u32_e64 s20, v96
	s_cbranch_execnz .LBB334_150
.LBB334_133:
	s_wait_alu 0xfffe
	s_or_b32 exec_lo, exec_lo, s0
	s_delay_alu instid0(SALU_CYCLE_1)
	s_mov_b32 s0, exec_lo
	v_cmpx_gt_u32_e64 s20, v95
	s_cbranch_execnz .LBB334_151
.LBB334_134:
	s_wait_alu 0xfffe
	s_or_b32 exec_lo, exec_lo, s0
	s_delay_alu instid0(SALU_CYCLE_1)
	s_mov_b32 s0, exec_lo
	v_cmpx_gt_u32_e64 s20, v94
	s_cbranch_execnz .LBB334_152
.LBB334_135:
	s_wait_alu 0xfffe
	s_or_b32 exec_lo, exec_lo, s0
	s_delay_alu instid0(SALU_CYCLE_1)
	s_mov_b32 s0, exec_lo
	v_cmpx_gt_u32_e64 s20, v93
	s_cbranch_execnz .LBB334_153
.LBB334_136:
	s_wait_alu 0xfffe
	s_or_b32 exec_lo, exec_lo, s0
	s_delay_alu instid0(SALU_CYCLE_1)
	s_mov_b32 s0, exec_lo
	v_cmpx_gt_u32_e64 s20, v92
	s_cbranch_execnz .LBB334_154
.LBB334_137:
	s_wait_alu 0xfffe
	s_or_b32 exec_lo, exec_lo, s0
	v_cmp_lt_u64_e64 s0, s[18:19], 2
	s_and_b32 vcc_lo, exec_lo, s0
	s_wait_alu 0xfffe
	s_cbranch_vccz .LBB334_155
.LBB334_138:
	s_nop 0
	s_sendmsg sendmsg(MSG_DEALLOC_VGPRS)
	s_endpgm
.LBB334_139:
	ds_load_b64 v[34:35], v34
	s_wait_dscnt 0x0
	global_store_b64 v[32:33], v[34:35], off
	s_wait_alu 0xfffe
	s_or_b32 exec_lo, exec_lo, s0
	s_delay_alu instid0(SALU_CYCLE_1)
	s_mov_b32 s0, exec_lo
	v_cmpx_gt_u32_e64 s20, v106
	s_cbranch_execz .LBB334_123
.LBB334_140:
	s_wait_dscnt 0xe
	global_store_b64 v[32:33], v[0:1], off offset:2048
	s_wait_alu 0xfffe
	s_or_b32 exec_lo, exec_lo, s0
	s_delay_alu instid0(SALU_CYCLE_1)
	s_mov_b32 s0, exec_lo
	v_cmpx_gt_u32_e64 s20, v105
	s_cbranch_execz .LBB334_124
.LBB334_141:
	s_wait_dscnt 0xd
	global_store_b64 v[32:33], v[4:5], off offset:4096
	s_wait_alu 0xfffe
	s_or_b32 exec_lo, exec_lo, s0
	s_delay_alu instid0(SALU_CYCLE_1)
	s_mov_b32 s0, exec_lo
	v_cmpx_gt_u32_e64 s20, v104
	s_cbranch_execz .LBB334_125
.LBB334_142:
	s_wait_dscnt 0xc
	global_store_b64 v[32:33], v[6:7], off offset:6144
	s_wait_alu 0xfffe
	s_or_b32 exec_lo, exec_lo, s0
	s_delay_alu instid0(SALU_CYCLE_1)
	s_mov_b32 s0, exec_lo
	v_cmpx_gt_u32_e64 s20, v103
	s_cbranch_execz .LBB334_126
.LBB334_143:
	s_wait_dscnt 0xb
	global_store_b64 v[32:33], v[8:9], off offset:8192
	s_wait_alu 0xfffe
	s_or_b32 exec_lo, exec_lo, s0
	s_delay_alu instid0(SALU_CYCLE_1)
	s_mov_b32 s0, exec_lo
	v_cmpx_gt_u32_e64 s20, v102
	s_cbranch_execz .LBB334_127
.LBB334_144:
	s_wait_dscnt 0xa
	global_store_b64 v[32:33], v[10:11], off offset:10240
	s_wait_alu 0xfffe
	s_or_b32 exec_lo, exec_lo, s0
	s_delay_alu instid0(SALU_CYCLE_1)
	s_mov_b32 s0, exec_lo
	v_cmpx_gt_u32_e64 s20, v101
	s_cbranch_execz .LBB334_128
.LBB334_145:
	s_wait_dscnt 0x9
	global_store_b64 v[32:33], v[12:13], off offset:12288
	s_wait_alu 0xfffe
	s_or_b32 exec_lo, exec_lo, s0
	s_delay_alu instid0(SALU_CYCLE_1)
	s_mov_b32 s0, exec_lo
	v_cmpx_gt_u32_e64 s20, v100
	s_cbranch_execz .LBB334_129
.LBB334_146:
	s_wait_dscnt 0x8
	global_store_b64 v[32:33], v[14:15], off offset:14336
	s_wait_alu 0xfffe
	s_or_b32 exec_lo, exec_lo, s0
	s_delay_alu instid0(SALU_CYCLE_1)
	s_mov_b32 s0, exec_lo
	v_cmpx_gt_u32_e64 s20, v99
	s_cbranch_execz .LBB334_130
.LBB334_147:
	s_wait_dscnt 0x7
	global_store_b64 v[32:33], v[16:17], off offset:16384
	s_wait_alu 0xfffe
	s_or_b32 exec_lo, exec_lo, s0
	s_delay_alu instid0(SALU_CYCLE_1)
	s_mov_b32 s0, exec_lo
	v_cmpx_gt_u32_e64 s20, v97
	s_cbranch_execz .LBB334_131
.LBB334_148:
	s_wait_dscnt 0x6
	global_store_b64 v[32:33], v[18:19], off offset:18432
	s_wait_alu 0xfffe
	s_or_b32 exec_lo, exec_lo, s0
	s_delay_alu instid0(SALU_CYCLE_1)
	s_mov_b32 s0, exec_lo
	v_cmpx_gt_u32_e64 s20, v98
	s_cbranch_execz .LBB334_132
.LBB334_149:
	s_wait_dscnt 0x5
	global_store_b64 v[32:33], v[20:21], off offset:20480
	s_wait_alu 0xfffe
	s_or_b32 exec_lo, exec_lo, s0
	s_delay_alu instid0(SALU_CYCLE_1)
	s_mov_b32 s0, exec_lo
	v_cmpx_gt_u32_e64 s20, v96
	s_cbranch_execz .LBB334_133
.LBB334_150:
	s_wait_dscnt 0x4
	global_store_b64 v[32:33], v[22:23], off offset:22528
	s_wait_alu 0xfffe
	s_or_b32 exec_lo, exec_lo, s0
	s_delay_alu instid0(SALU_CYCLE_1)
	s_mov_b32 s0, exec_lo
	v_cmpx_gt_u32_e64 s20, v95
	s_cbranch_execz .LBB334_134
.LBB334_151:
	s_wait_dscnt 0x3
	global_store_b64 v[32:33], v[24:25], off offset:24576
	s_wait_alu 0xfffe
	s_or_b32 exec_lo, exec_lo, s0
	s_delay_alu instid0(SALU_CYCLE_1)
	s_mov_b32 s0, exec_lo
	v_cmpx_gt_u32_e64 s20, v94
	s_cbranch_execz .LBB334_135
.LBB334_152:
	s_wait_dscnt 0x2
	global_store_b64 v[32:33], v[26:27], off offset:26624
	s_wait_alu 0xfffe
	s_or_b32 exec_lo, exec_lo, s0
	s_delay_alu instid0(SALU_CYCLE_1)
	s_mov_b32 s0, exec_lo
	v_cmpx_gt_u32_e64 s20, v93
	s_cbranch_execz .LBB334_136
.LBB334_153:
	s_wait_dscnt 0x1
	global_store_b64 v[32:33], v[28:29], off offset:28672
	s_wait_alu 0xfffe
	s_or_b32 exec_lo, exec_lo, s0
	s_delay_alu instid0(SALU_CYCLE_1)
	s_mov_b32 s0, exec_lo
	v_cmpx_gt_u32_e64 s20, v92
	s_cbranch_execz .LBB334_137
.LBB334_154:
	s_wait_dscnt 0x0
	global_store_b64 v[32:33], v[30:31], off offset:30720
	s_wait_alu 0xfffe
	s_or_b32 exec_lo, exec_lo, s0
	v_cmp_lt_u64_e64 s0, s[18:19], 2
	s_and_b32 vcc_lo, exec_lo, s0
	s_wait_alu 0xfffe
	s_cbranch_vccnz .LBB334_138
.LBB334_155:
	s_add_nc_u64 s[0:1], s[20:21], -1
	s_wait_alu 0xfffe
	s_lshr_b64 s[2:3], s[0:1], 4
	s_mov_b32 s1, exec_lo
	s_wait_alu 0xfffe
	v_cmpx_eq_u64_e64 s[2:3], v[63:64]
	s_cbranch_execz .LBB334_138
; %bb.156:
	s_and_b32 s0, s0, 15
	s_mov_b32 s1, 0
	s_wait_alu 0xfffe
	v_cmp_lt_i64_e64 s2, s[0:1], 8
	s_and_b32 vcc_lo, exec_lo, s2
	s_mov_b32 s2, -1
	s_wait_alu 0xfffe
	s_cbranch_vccnz .LBB334_183
; %bb.157:
	v_cmp_lt_i64_e64 s2, s[0:1], 12
	s_and_b32 vcc_lo, exec_lo, s2
	s_mov_b32 s2, -1
	s_wait_alu 0xfffe
	s_cbranch_vccnz .LBB334_170
; %bb.158:
	;; [unrolled: 6-line block ×3, first 2 shown]
	v_cmp_gt_i64_e64 s2, s[0:1], 14
	s_and_b32 vcc_lo, exec_lo, s2
	s_mov_b32 s2, -1
	s_wait_alu 0xfffe
	s_cbranch_vccz .LBB334_161
; %bb.160:
	v_mov_b32_e32 v32, 0
	s_mov_b32 s2, 0
	s_wait_dscnt 0x0
	global_store_b64 v32, v[30:31], s[14:15]
.LBB334_161:
	s_wait_alu 0xfffe
	s_and_not1_b32 vcc_lo, exec_lo, s2
	s_wait_alu 0xfffe
	s_cbranch_vccnz .LBB334_163
; %bb.162:
	s_wait_dscnt 0x0
	v_mov_b32_e32 v30, 0
	global_store_b64 v30, v[28:29], s[14:15]
.LBB334_163:
	s_mov_b32 s2, 0
.LBB334_164:
	s_wait_alu 0xfffe
	s_and_not1_b32 vcc_lo, exec_lo, s2
	s_wait_alu 0xfffe
	s_cbranch_vccnz .LBB334_169
; %bb.165:
	v_cmp_gt_i64_e64 s2, s[0:1], 12
	s_and_b32 vcc_lo, exec_lo, s2
	s_mov_b32 s2, -1
	s_wait_alu 0xfffe
	s_cbranch_vccz .LBB334_167
; %bb.166:
	s_wait_dscnt 0x1
	v_mov_b32_e32 v28, 0
	s_mov_b32 s2, 0
	global_store_b64 v28, v[26:27], s[14:15]
.LBB334_167:
	s_wait_alu 0xfffe
	s_and_not1_b32 vcc_lo, exec_lo, s2
	s_wait_alu 0xfffe
	s_cbranch_vccnz .LBB334_169
; %bb.168:
	s_wait_dscnt 0x2
	v_mov_b32_e32 v26, 0
	global_store_b64 v26, v[24:25], s[14:15]
.LBB334_169:
	s_mov_b32 s2, 0
.LBB334_170:
	s_wait_alu 0xfffe
	s_and_not1_b32 vcc_lo, exec_lo, s2
	s_wait_alu 0xfffe
	s_cbranch_vccnz .LBB334_182
; %bb.171:
	v_cmp_lt_i64_e64 s2, s[0:1], 10
	s_and_b32 vcc_lo, exec_lo, s2
	s_mov_b32 s2, -1
	s_wait_alu 0xfffe
	s_cbranch_vccnz .LBB334_177
; %bb.172:
	v_cmp_gt_i64_e64 s2, s[0:1], 10
	s_and_b32 vcc_lo, exec_lo, s2
	s_mov_b32 s2, -1
	s_wait_alu 0xfffe
	s_cbranch_vccz .LBB334_174
; %bb.173:
	s_wait_dscnt 0x3
	v_mov_b32_e32 v24, 0
	s_mov_b32 s2, 0
	global_store_b64 v24, v[22:23], s[14:15]
.LBB334_174:
	s_wait_alu 0xfffe
	s_and_not1_b32 vcc_lo, exec_lo, s2
	s_wait_alu 0xfffe
	s_cbranch_vccnz .LBB334_176
; %bb.175:
	s_wait_dscnt 0x4
	v_mov_b32_e32 v22, 0
	global_store_b64 v22, v[20:21], s[14:15]
.LBB334_176:
	s_mov_b32 s2, 0
.LBB334_177:
	s_wait_alu 0xfffe
	s_and_not1_b32 vcc_lo, exec_lo, s2
	s_wait_alu 0xfffe
	s_cbranch_vccnz .LBB334_182
; %bb.178:
	v_cmp_gt_i64_e64 s2, s[0:1], 8
	s_and_b32 vcc_lo, exec_lo, s2
	s_mov_b32 s2, -1
	s_wait_alu 0xfffe
	s_cbranch_vccz .LBB334_180
; %bb.179:
	s_wait_dscnt 0x5
	v_mov_b32_e32 v20, 0
	s_mov_b32 s2, 0
	global_store_b64 v20, v[18:19], s[14:15]
.LBB334_180:
	s_wait_alu 0xfffe
	s_and_not1_b32 vcc_lo, exec_lo, s2
	s_wait_alu 0xfffe
	s_cbranch_vccnz .LBB334_182
; %bb.181:
	s_wait_dscnt 0x6
	v_mov_b32_e32 v18, 0
	global_store_b64 v18, v[16:17], s[14:15]
.LBB334_182:
	s_mov_b32 s2, 0
.LBB334_183:
	s_wait_alu 0xfffe
	s_and_not1_b32 vcc_lo, exec_lo, s2
	s_wait_alu 0xfffe
	s_cbranch_vccnz .LBB334_138
; %bb.184:
	v_cmp_lt_i64_e64 s2, s[0:1], 4
	s_and_b32 vcc_lo, exec_lo, s2
	s_mov_b32 s2, -1
	s_wait_alu 0xfffe
	s_cbranch_vccnz .LBB334_197
; %bb.185:
	v_cmp_lt_i64_e64 s2, s[0:1], 6
	s_and_b32 vcc_lo, exec_lo, s2
	s_mov_b32 s2, -1
	s_wait_alu 0xfffe
	s_cbranch_vccnz .LBB334_191
; %bb.186:
	v_cmp_gt_i64_e64 s2, s[0:1], 6
	s_and_b32 vcc_lo, exec_lo, s2
	s_mov_b32 s2, -1
	s_wait_alu 0xfffe
	s_cbranch_vccz .LBB334_188
; %bb.187:
	s_wait_dscnt 0x7
	v_mov_b32_e32 v16, 0
	s_mov_b32 s2, 0
	global_store_b64 v16, v[14:15], s[14:15]
.LBB334_188:
	s_wait_alu 0xfffe
	s_and_not1_b32 vcc_lo, exec_lo, s2
	s_wait_alu 0xfffe
	s_cbranch_vccnz .LBB334_190
; %bb.189:
	s_wait_dscnt 0x8
	v_mov_b32_e32 v14, 0
	global_store_b64 v14, v[12:13], s[14:15]
.LBB334_190:
	s_mov_b32 s2, 0
.LBB334_191:
	s_wait_alu 0xfffe
	s_and_not1_b32 vcc_lo, exec_lo, s2
	s_wait_alu 0xfffe
	s_cbranch_vccnz .LBB334_196
; %bb.192:
	v_cmp_gt_i64_e64 s2, s[0:1], 4
	s_and_b32 vcc_lo, exec_lo, s2
	s_mov_b32 s2, -1
	s_wait_alu 0xfffe
	s_cbranch_vccz .LBB334_194
; %bb.193:
	s_wait_dscnt 0x9
	v_mov_b32_e32 v12, 0
	s_mov_b32 s2, 0
	global_store_b64 v12, v[10:11], s[14:15]
.LBB334_194:
	s_wait_alu 0xfffe
	s_and_not1_b32 vcc_lo, exec_lo, s2
	s_wait_alu 0xfffe
	s_cbranch_vccnz .LBB334_196
; %bb.195:
	s_wait_dscnt 0xa
	v_mov_b32_e32 v10, 0
	global_store_b64 v10, v[8:9], s[14:15]
.LBB334_196:
	s_mov_b32 s2, 0
.LBB334_197:
	s_wait_alu 0xfffe
	s_and_not1_b32 vcc_lo, exec_lo, s2
	s_wait_alu 0xfffe
	s_cbranch_vccnz .LBB334_138
; %bb.198:
	v_cmp_lt_i64_e64 s2, s[0:1], 2
	s_and_b32 vcc_lo, exec_lo, s2
	s_mov_b32 s2, -1
	s_wait_alu 0xfffe
	s_cbranch_vccnz .LBB334_204
; %bb.199:
	v_cmp_gt_i64_e64 s2, s[0:1], 2
	s_and_b32 vcc_lo, exec_lo, s2
	s_mov_b32 s2, -1
	s_wait_alu 0xfffe
	s_cbranch_vccz .LBB334_201
; %bb.200:
	s_wait_dscnt 0xb
	v_mov_b32_e32 v8, 0
	s_mov_b32 s2, 0
	global_store_b64 v8, v[6:7], s[14:15]
.LBB334_201:
	s_wait_alu 0xfffe
	s_and_not1_b32 vcc_lo, exec_lo, s2
	s_wait_alu 0xfffe
	s_cbranch_vccnz .LBB334_203
; %bb.202:
	s_wait_dscnt 0xc
	v_mov_b32_e32 v6, 0
	global_store_b64 v6, v[4:5], s[14:15]
.LBB334_203:
	s_mov_b32 s2, 0
.LBB334_204:
	s_wait_alu 0xfffe
	s_and_not1_b32 vcc_lo, exec_lo, s2
	s_wait_alu 0xfffe
	s_cbranch_vccnz .LBB334_138
; %bb.205:
	s_cmp_eq_u64 s[0:1], 1
	s_mov_b32 s0, -1
	s_cbranch_scc1 .LBB334_207
; %bb.206:
	s_wait_dscnt 0xd
	v_mov_b32_e32 v4, 0
	s_mov_b32 s0, 0
	global_store_b64 v4, v[2:3], s[14:15]
.LBB334_207:
	s_wait_alu 0xfffe
	s_and_not1_b32 vcc_lo, exec_lo, s0
	s_wait_alu 0xfffe
	s_cbranch_vccnz .LBB334_138
; %bb.208:
	s_wait_dscnt 0xf
	v_mov_b32_e32 v2, 0
	s_wait_dscnt 0xe
	global_store_b64 v2, v[0:1], s[14:15]
	s_nop 0
	s_sendmsg sendmsg(MSG_DEALLOC_VGPRS)
	s_endpgm
	.section	.rodata,"a",@progbits
	.p2align	6, 0x0
	.amdhsa_kernel _ZN7rocprim17ROCPRIM_400000_NS6detail17trampoline_kernelINS0_14default_configENS1_20scan_config_selectorIN3c107complexIfEEEEZZNS1_9scan_implILNS1_25lookback_scan_determinismE0ELb0ELb0ES3_PKS7_PS7_S7_ZZZN2at6native31launch_logcumsumexp_cuda_kernelERKNSE_10TensorBaseESI_lENKUlvE_clEvENKUlvE2_clEvEUlS7_S7_E_S7_EEDaPvRmT3_T4_T5_mT6_P12ihipStream_tbENKUlT_T0_E_clISt17integral_constantIbLb0EESY_IbLb1EEEEDaSU_SV_EUlSU_E_NS1_11comp_targetILNS1_3genE10ELNS1_11target_archE1201ELNS1_3gpuE5ELNS1_3repE0EEENS1_30default_config_static_selectorELNS0_4arch9wavefront6targetE0EEEvT1_
		.amdhsa_group_segment_fixed_size 33792
		.amdhsa_private_segment_fixed_size 0
		.amdhsa_kernarg_size 104
		.amdhsa_user_sgpr_count 2
		.amdhsa_user_sgpr_dispatch_ptr 0
		.amdhsa_user_sgpr_queue_ptr 0
		.amdhsa_user_sgpr_kernarg_segment_ptr 1
		.amdhsa_user_sgpr_dispatch_id 0
		.amdhsa_user_sgpr_private_segment_size 0
		.amdhsa_wavefront_size32 1
		.amdhsa_uses_dynamic_stack 0
		.amdhsa_enable_private_segment 0
		.amdhsa_system_sgpr_workgroup_id_x 1
		.amdhsa_system_sgpr_workgroup_id_y 0
		.amdhsa_system_sgpr_workgroup_id_z 0
		.amdhsa_system_sgpr_workgroup_info 0
		.amdhsa_system_vgpr_workitem_id 0
		.amdhsa_next_free_vgpr 217
		.amdhsa_next_free_sgpr 36
		.amdhsa_reserve_vcc 1
		.amdhsa_float_round_mode_32 0
		.amdhsa_float_round_mode_16_64 0
		.amdhsa_float_denorm_mode_32 3
		.amdhsa_float_denorm_mode_16_64 3
		.amdhsa_fp16_overflow 0
		.amdhsa_workgroup_processor_mode 1
		.amdhsa_memory_ordered 1
		.amdhsa_forward_progress 1
		.amdhsa_inst_pref_size 92
		.amdhsa_round_robin_scheduling 0
		.amdhsa_exception_fp_ieee_invalid_op 0
		.amdhsa_exception_fp_denorm_src 0
		.amdhsa_exception_fp_ieee_div_zero 0
		.amdhsa_exception_fp_ieee_overflow 0
		.amdhsa_exception_fp_ieee_underflow 0
		.amdhsa_exception_fp_ieee_inexact 0
		.amdhsa_exception_int_div_zero 0
	.end_amdhsa_kernel
	.section	.text._ZN7rocprim17ROCPRIM_400000_NS6detail17trampoline_kernelINS0_14default_configENS1_20scan_config_selectorIN3c107complexIfEEEEZZNS1_9scan_implILNS1_25lookback_scan_determinismE0ELb0ELb0ES3_PKS7_PS7_S7_ZZZN2at6native31launch_logcumsumexp_cuda_kernelERKNSE_10TensorBaseESI_lENKUlvE_clEvENKUlvE2_clEvEUlS7_S7_E_S7_EEDaPvRmT3_T4_T5_mT6_P12ihipStream_tbENKUlT_T0_E_clISt17integral_constantIbLb0EESY_IbLb1EEEEDaSU_SV_EUlSU_E_NS1_11comp_targetILNS1_3genE10ELNS1_11target_archE1201ELNS1_3gpuE5ELNS1_3repE0EEENS1_30default_config_static_selectorELNS0_4arch9wavefront6targetE0EEEvT1_,"axG",@progbits,_ZN7rocprim17ROCPRIM_400000_NS6detail17trampoline_kernelINS0_14default_configENS1_20scan_config_selectorIN3c107complexIfEEEEZZNS1_9scan_implILNS1_25lookback_scan_determinismE0ELb0ELb0ES3_PKS7_PS7_S7_ZZZN2at6native31launch_logcumsumexp_cuda_kernelERKNSE_10TensorBaseESI_lENKUlvE_clEvENKUlvE2_clEvEUlS7_S7_E_S7_EEDaPvRmT3_T4_T5_mT6_P12ihipStream_tbENKUlT_T0_E_clISt17integral_constantIbLb0EESY_IbLb1EEEEDaSU_SV_EUlSU_E_NS1_11comp_targetILNS1_3genE10ELNS1_11target_archE1201ELNS1_3gpuE5ELNS1_3repE0EEENS1_30default_config_static_selectorELNS0_4arch9wavefront6targetE0EEEvT1_,comdat
.Lfunc_end334:
	.size	_ZN7rocprim17ROCPRIM_400000_NS6detail17trampoline_kernelINS0_14default_configENS1_20scan_config_selectorIN3c107complexIfEEEEZZNS1_9scan_implILNS1_25lookback_scan_determinismE0ELb0ELb0ES3_PKS7_PS7_S7_ZZZN2at6native31launch_logcumsumexp_cuda_kernelERKNSE_10TensorBaseESI_lENKUlvE_clEvENKUlvE2_clEvEUlS7_S7_E_S7_EEDaPvRmT3_T4_T5_mT6_P12ihipStream_tbENKUlT_T0_E_clISt17integral_constantIbLb0EESY_IbLb1EEEEDaSU_SV_EUlSU_E_NS1_11comp_targetILNS1_3genE10ELNS1_11target_archE1201ELNS1_3gpuE5ELNS1_3repE0EEENS1_30default_config_static_selectorELNS0_4arch9wavefront6targetE0EEEvT1_, .Lfunc_end334-_ZN7rocprim17ROCPRIM_400000_NS6detail17trampoline_kernelINS0_14default_configENS1_20scan_config_selectorIN3c107complexIfEEEEZZNS1_9scan_implILNS1_25lookback_scan_determinismE0ELb0ELb0ES3_PKS7_PS7_S7_ZZZN2at6native31launch_logcumsumexp_cuda_kernelERKNSE_10TensorBaseESI_lENKUlvE_clEvENKUlvE2_clEvEUlS7_S7_E_S7_EEDaPvRmT3_T4_T5_mT6_P12ihipStream_tbENKUlT_T0_E_clISt17integral_constantIbLb0EESY_IbLb1EEEEDaSU_SV_EUlSU_E_NS1_11comp_targetILNS1_3genE10ELNS1_11target_archE1201ELNS1_3gpuE5ELNS1_3repE0EEENS1_30default_config_static_selectorELNS0_4arch9wavefront6targetE0EEEvT1_
                                        ; -- End function
	.set _ZN7rocprim17ROCPRIM_400000_NS6detail17trampoline_kernelINS0_14default_configENS1_20scan_config_selectorIN3c107complexIfEEEEZZNS1_9scan_implILNS1_25lookback_scan_determinismE0ELb0ELb0ES3_PKS7_PS7_S7_ZZZN2at6native31launch_logcumsumexp_cuda_kernelERKNSE_10TensorBaseESI_lENKUlvE_clEvENKUlvE2_clEvEUlS7_S7_E_S7_EEDaPvRmT3_T4_T5_mT6_P12ihipStream_tbENKUlT_T0_E_clISt17integral_constantIbLb0EESY_IbLb1EEEEDaSU_SV_EUlSU_E_NS1_11comp_targetILNS1_3genE10ELNS1_11target_archE1201ELNS1_3gpuE5ELNS1_3repE0EEENS1_30default_config_static_selectorELNS0_4arch9wavefront6targetE0EEEvT1_.num_vgpr, max(110, .L_ZZZZN2at6native31launch_logcumsumexp_cuda_kernelERKNS_10TensorBaseES3_lENKUlvE_clEvENKUlvE2_clEvENKUlN3c107complexIfEES8_E_clES8_S8_.num_vgpr)
	.set _ZN7rocprim17ROCPRIM_400000_NS6detail17trampoline_kernelINS0_14default_configENS1_20scan_config_selectorIN3c107complexIfEEEEZZNS1_9scan_implILNS1_25lookback_scan_determinismE0ELb0ELb0ES3_PKS7_PS7_S7_ZZZN2at6native31launch_logcumsumexp_cuda_kernelERKNSE_10TensorBaseESI_lENKUlvE_clEvENKUlvE2_clEvEUlS7_S7_E_S7_EEDaPvRmT3_T4_T5_mT6_P12ihipStream_tbENKUlT_T0_E_clISt17integral_constantIbLb0EESY_IbLb1EEEEDaSU_SV_EUlSU_E_NS1_11comp_targetILNS1_3genE10ELNS1_11target_archE1201ELNS1_3gpuE5ELNS1_3repE0EEENS1_30default_config_static_selectorELNS0_4arch9wavefront6targetE0EEEvT1_.num_agpr, max(0, .L_ZZZZN2at6native31launch_logcumsumexp_cuda_kernelERKNS_10TensorBaseES3_lENKUlvE_clEvENKUlvE2_clEvENKUlN3c107complexIfEES8_E_clES8_S8_.num_agpr)
	.set _ZN7rocprim17ROCPRIM_400000_NS6detail17trampoline_kernelINS0_14default_configENS1_20scan_config_selectorIN3c107complexIfEEEEZZNS1_9scan_implILNS1_25lookback_scan_determinismE0ELb0ELb0ES3_PKS7_PS7_S7_ZZZN2at6native31launch_logcumsumexp_cuda_kernelERKNSE_10TensorBaseESI_lENKUlvE_clEvENKUlvE2_clEvEUlS7_S7_E_S7_EEDaPvRmT3_T4_T5_mT6_P12ihipStream_tbENKUlT_T0_E_clISt17integral_constantIbLb0EESY_IbLb1EEEEDaSU_SV_EUlSU_E_NS1_11comp_targetILNS1_3genE10ELNS1_11target_archE1201ELNS1_3gpuE5ELNS1_3repE0EEENS1_30default_config_static_selectorELNS0_4arch9wavefront6targetE0EEEvT1_.numbered_sgpr, max(36, .L_ZZZZN2at6native31launch_logcumsumexp_cuda_kernelERKNS_10TensorBaseES3_lENKUlvE_clEvENKUlvE2_clEvENKUlN3c107complexIfEES8_E_clES8_S8_.numbered_sgpr)
	.set _ZN7rocprim17ROCPRIM_400000_NS6detail17trampoline_kernelINS0_14default_configENS1_20scan_config_selectorIN3c107complexIfEEEEZZNS1_9scan_implILNS1_25lookback_scan_determinismE0ELb0ELb0ES3_PKS7_PS7_S7_ZZZN2at6native31launch_logcumsumexp_cuda_kernelERKNSE_10TensorBaseESI_lENKUlvE_clEvENKUlvE2_clEvEUlS7_S7_E_S7_EEDaPvRmT3_T4_T5_mT6_P12ihipStream_tbENKUlT_T0_E_clISt17integral_constantIbLb0EESY_IbLb1EEEEDaSU_SV_EUlSU_E_NS1_11comp_targetILNS1_3genE10ELNS1_11target_archE1201ELNS1_3gpuE5ELNS1_3repE0EEENS1_30default_config_static_selectorELNS0_4arch9wavefront6targetE0EEEvT1_.num_named_barrier, max(0, .L_ZZZZN2at6native31launch_logcumsumexp_cuda_kernelERKNS_10TensorBaseES3_lENKUlvE_clEvENKUlvE2_clEvENKUlN3c107complexIfEES8_E_clES8_S8_.num_named_barrier)
	.set _ZN7rocprim17ROCPRIM_400000_NS6detail17trampoline_kernelINS0_14default_configENS1_20scan_config_selectorIN3c107complexIfEEEEZZNS1_9scan_implILNS1_25lookback_scan_determinismE0ELb0ELb0ES3_PKS7_PS7_S7_ZZZN2at6native31launch_logcumsumexp_cuda_kernelERKNSE_10TensorBaseESI_lENKUlvE_clEvENKUlvE2_clEvEUlS7_S7_E_S7_EEDaPvRmT3_T4_T5_mT6_P12ihipStream_tbENKUlT_T0_E_clISt17integral_constantIbLb0EESY_IbLb1EEEEDaSU_SV_EUlSU_E_NS1_11comp_targetILNS1_3genE10ELNS1_11target_archE1201ELNS1_3gpuE5ELNS1_3repE0EEENS1_30default_config_static_selectorELNS0_4arch9wavefront6targetE0EEEvT1_.private_seg_size, 0+max(.L_ZZZZN2at6native31launch_logcumsumexp_cuda_kernelERKNS_10TensorBaseES3_lENKUlvE_clEvENKUlvE2_clEvENKUlN3c107complexIfEES8_E_clES8_S8_.private_seg_size)
	.set _ZN7rocprim17ROCPRIM_400000_NS6detail17trampoline_kernelINS0_14default_configENS1_20scan_config_selectorIN3c107complexIfEEEEZZNS1_9scan_implILNS1_25lookback_scan_determinismE0ELb0ELb0ES3_PKS7_PS7_S7_ZZZN2at6native31launch_logcumsumexp_cuda_kernelERKNSE_10TensorBaseESI_lENKUlvE_clEvENKUlvE2_clEvEUlS7_S7_E_S7_EEDaPvRmT3_T4_T5_mT6_P12ihipStream_tbENKUlT_T0_E_clISt17integral_constantIbLb0EESY_IbLb1EEEEDaSU_SV_EUlSU_E_NS1_11comp_targetILNS1_3genE10ELNS1_11target_archE1201ELNS1_3gpuE5ELNS1_3repE0EEENS1_30default_config_static_selectorELNS0_4arch9wavefront6targetE0EEEvT1_.uses_vcc, or(1, .L_ZZZZN2at6native31launch_logcumsumexp_cuda_kernelERKNS_10TensorBaseES3_lENKUlvE_clEvENKUlvE2_clEvENKUlN3c107complexIfEES8_E_clES8_S8_.uses_vcc)
	.set _ZN7rocprim17ROCPRIM_400000_NS6detail17trampoline_kernelINS0_14default_configENS1_20scan_config_selectorIN3c107complexIfEEEEZZNS1_9scan_implILNS1_25lookback_scan_determinismE0ELb0ELb0ES3_PKS7_PS7_S7_ZZZN2at6native31launch_logcumsumexp_cuda_kernelERKNSE_10TensorBaseESI_lENKUlvE_clEvENKUlvE2_clEvEUlS7_S7_E_S7_EEDaPvRmT3_T4_T5_mT6_P12ihipStream_tbENKUlT_T0_E_clISt17integral_constantIbLb0EESY_IbLb1EEEEDaSU_SV_EUlSU_E_NS1_11comp_targetILNS1_3genE10ELNS1_11target_archE1201ELNS1_3gpuE5ELNS1_3repE0EEENS1_30default_config_static_selectorELNS0_4arch9wavefront6targetE0EEEvT1_.uses_flat_scratch, or(0, .L_ZZZZN2at6native31launch_logcumsumexp_cuda_kernelERKNS_10TensorBaseES3_lENKUlvE_clEvENKUlvE2_clEvENKUlN3c107complexIfEES8_E_clES8_S8_.uses_flat_scratch)
	.set _ZN7rocprim17ROCPRIM_400000_NS6detail17trampoline_kernelINS0_14default_configENS1_20scan_config_selectorIN3c107complexIfEEEEZZNS1_9scan_implILNS1_25lookback_scan_determinismE0ELb0ELb0ES3_PKS7_PS7_S7_ZZZN2at6native31launch_logcumsumexp_cuda_kernelERKNSE_10TensorBaseESI_lENKUlvE_clEvENKUlvE2_clEvEUlS7_S7_E_S7_EEDaPvRmT3_T4_T5_mT6_P12ihipStream_tbENKUlT_T0_E_clISt17integral_constantIbLb0EESY_IbLb1EEEEDaSU_SV_EUlSU_E_NS1_11comp_targetILNS1_3genE10ELNS1_11target_archE1201ELNS1_3gpuE5ELNS1_3repE0EEENS1_30default_config_static_selectorELNS0_4arch9wavefront6targetE0EEEvT1_.has_dyn_sized_stack, or(0, .L_ZZZZN2at6native31launch_logcumsumexp_cuda_kernelERKNS_10TensorBaseES3_lENKUlvE_clEvENKUlvE2_clEvENKUlN3c107complexIfEES8_E_clES8_S8_.has_dyn_sized_stack)
	.set _ZN7rocprim17ROCPRIM_400000_NS6detail17trampoline_kernelINS0_14default_configENS1_20scan_config_selectorIN3c107complexIfEEEEZZNS1_9scan_implILNS1_25lookback_scan_determinismE0ELb0ELb0ES3_PKS7_PS7_S7_ZZZN2at6native31launch_logcumsumexp_cuda_kernelERKNSE_10TensorBaseESI_lENKUlvE_clEvENKUlvE2_clEvEUlS7_S7_E_S7_EEDaPvRmT3_T4_T5_mT6_P12ihipStream_tbENKUlT_T0_E_clISt17integral_constantIbLb0EESY_IbLb1EEEEDaSU_SV_EUlSU_E_NS1_11comp_targetILNS1_3genE10ELNS1_11target_archE1201ELNS1_3gpuE5ELNS1_3repE0EEENS1_30default_config_static_selectorELNS0_4arch9wavefront6targetE0EEEvT1_.has_recursion, or(0, .L_ZZZZN2at6native31launch_logcumsumexp_cuda_kernelERKNS_10TensorBaseES3_lENKUlvE_clEvENKUlvE2_clEvENKUlN3c107complexIfEES8_E_clES8_S8_.has_recursion)
	.set _ZN7rocprim17ROCPRIM_400000_NS6detail17trampoline_kernelINS0_14default_configENS1_20scan_config_selectorIN3c107complexIfEEEEZZNS1_9scan_implILNS1_25lookback_scan_determinismE0ELb0ELb0ES3_PKS7_PS7_S7_ZZZN2at6native31launch_logcumsumexp_cuda_kernelERKNSE_10TensorBaseESI_lENKUlvE_clEvENKUlvE2_clEvEUlS7_S7_E_S7_EEDaPvRmT3_T4_T5_mT6_P12ihipStream_tbENKUlT_T0_E_clISt17integral_constantIbLb0EESY_IbLb1EEEEDaSU_SV_EUlSU_E_NS1_11comp_targetILNS1_3genE10ELNS1_11target_archE1201ELNS1_3gpuE5ELNS1_3repE0EEENS1_30default_config_static_selectorELNS0_4arch9wavefront6targetE0EEEvT1_.has_indirect_call, or(0, .L_ZZZZN2at6native31launch_logcumsumexp_cuda_kernelERKNS_10TensorBaseES3_lENKUlvE_clEvENKUlvE2_clEvENKUlN3c107complexIfEES8_E_clES8_S8_.has_indirect_call)
	.section	.AMDGPU.csdata,"",@progbits
; Kernel info:
; codeLenInByte = 11724
; TotalNumSgprs: 38
; NumVgprs: 110
; ScratchSize: 0
; MemoryBound: 0
; FloatMode: 240
; IeeeMode: 1
; LDSByteSize: 33792 bytes/workgroup (compile time only)
; SGPRBlocks: 0
; VGPRBlocks: 27
; NumSGPRsForWavesPerEU: 38
; NumVGPRsForWavesPerEU: 217
; Occupancy: 6
; WaveLimiterHint : 0
; COMPUTE_PGM_RSRC2:SCRATCH_EN: 0
; COMPUTE_PGM_RSRC2:USER_SGPR: 2
; COMPUTE_PGM_RSRC2:TRAP_HANDLER: 0
; COMPUTE_PGM_RSRC2:TGID_X_EN: 1
; COMPUTE_PGM_RSRC2:TGID_Y_EN: 0
; COMPUTE_PGM_RSRC2:TGID_Z_EN: 0
; COMPUTE_PGM_RSRC2:TIDIG_COMP_CNT: 0
	.section	.text._ZN7rocprim17ROCPRIM_400000_NS6detail17trampoline_kernelINS0_14default_configENS1_20scan_config_selectorIN3c107complexIfEEEEZZNS1_9scan_implILNS1_25lookback_scan_determinismE0ELb0ELb0ES3_PKS7_PS7_S7_ZZZN2at6native31launch_logcumsumexp_cuda_kernelERKNSE_10TensorBaseESI_lENKUlvE_clEvENKUlvE2_clEvEUlS7_S7_E_S7_EEDaPvRmT3_T4_T5_mT6_P12ihipStream_tbENKUlT_T0_E_clISt17integral_constantIbLb0EESY_IbLb1EEEEDaSU_SV_EUlSU_E_NS1_11comp_targetILNS1_3genE10ELNS1_11target_archE1200ELNS1_3gpuE4ELNS1_3repE0EEENS1_30default_config_static_selectorELNS0_4arch9wavefront6targetE0EEEvT1_,"axG",@progbits,_ZN7rocprim17ROCPRIM_400000_NS6detail17trampoline_kernelINS0_14default_configENS1_20scan_config_selectorIN3c107complexIfEEEEZZNS1_9scan_implILNS1_25lookback_scan_determinismE0ELb0ELb0ES3_PKS7_PS7_S7_ZZZN2at6native31launch_logcumsumexp_cuda_kernelERKNSE_10TensorBaseESI_lENKUlvE_clEvENKUlvE2_clEvEUlS7_S7_E_S7_EEDaPvRmT3_T4_T5_mT6_P12ihipStream_tbENKUlT_T0_E_clISt17integral_constantIbLb0EESY_IbLb1EEEEDaSU_SV_EUlSU_E_NS1_11comp_targetILNS1_3genE10ELNS1_11target_archE1200ELNS1_3gpuE4ELNS1_3repE0EEENS1_30default_config_static_selectorELNS0_4arch9wavefront6targetE0EEEvT1_,comdat
	.globl	_ZN7rocprim17ROCPRIM_400000_NS6detail17trampoline_kernelINS0_14default_configENS1_20scan_config_selectorIN3c107complexIfEEEEZZNS1_9scan_implILNS1_25lookback_scan_determinismE0ELb0ELb0ES3_PKS7_PS7_S7_ZZZN2at6native31launch_logcumsumexp_cuda_kernelERKNSE_10TensorBaseESI_lENKUlvE_clEvENKUlvE2_clEvEUlS7_S7_E_S7_EEDaPvRmT3_T4_T5_mT6_P12ihipStream_tbENKUlT_T0_E_clISt17integral_constantIbLb0EESY_IbLb1EEEEDaSU_SV_EUlSU_E_NS1_11comp_targetILNS1_3genE10ELNS1_11target_archE1200ELNS1_3gpuE4ELNS1_3repE0EEENS1_30default_config_static_selectorELNS0_4arch9wavefront6targetE0EEEvT1_ ; -- Begin function _ZN7rocprim17ROCPRIM_400000_NS6detail17trampoline_kernelINS0_14default_configENS1_20scan_config_selectorIN3c107complexIfEEEEZZNS1_9scan_implILNS1_25lookback_scan_determinismE0ELb0ELb0ES3_PKS7_PS7_S7_ZZZN2at6native31launch_logcumsumexp_cuda_kernelERKNSE_10TensorBaseESI_lENKUlvE_clEvENKUlvE2_clEvEUlS7_S7_E_S7_EEDaPvRmT3_T4_T5_mT6_P12ihipStream_tbENKUlT_T0_E_clISt17integral_constantIbLb0EESY_IbLb1EEEEDaSU_SV_EUlSU_E_NS1_11comp_targetILNS1_3genE10ELNS1_11target_archE1200ELNS1_3gpuE4ELNS1_3repE0EEENS1_30default_config_static_selectorELNS0_4arch9wavefront6targetE0EEEvT1_
	.p2align	8
	.type	_ZN7rocprim17ROCPRIM_400000_NS6detail17trampoline_kernelINS0_14default_configENS1_20scan_config_selectorIN3c107complexIfEEEEZZNS1_9scan_implILNS1_25lookback_scan_determinismE0ELb0ELb0ES3_PKS7_PS7_S7_ZZZN2at6native31launch_logcumsumexp_cuda_kernelERKNSE_10TensorBaseESI_lENKUlvE_clEvENKUlvE2_clEvEUlS7_S7_E_S7_EEDaPvRmT3_T4_T5_mT6_P12ihipStream_tbENKUlT_T0_E_clISt17integral_constantIbLb0EESY_IbLb1EEEEDaSU_SV_EUlSU_E_NS1_11comp_targetILNS1_3genE10ELNS1_11target_archE1200ELNS1_3gpuE4ELNS1_3repE0EEENS1_30default_config_static_selectorELNS0_4arch9wavefront6targetE0EEEvT1_,@function
_ZN7rocprim17ROCPRIM_400000_NS6detail17trampoline_kernelINS0_14default_configENS1_20scan_config_selectorIN3c107complexIfEEEEZZNS1_9scan_implILNS1_25lookback_scan_determinismE0ELb0ELb0ES3_PKS7_PS7_S7_ZZZN2at6native31launch_logcumsumexp_cuda_kernelERKNSE_10TensorBaseESI_lENKUlvE_clEvENKUlvE2_clEvEUlS7_S7_E_S7_EEDaPvRmT3_T4_T5_mT6_P12ihipStream_tbENKUlT_T0_E_clISt17integral_constantIbLb0EESY_IbLb1EEEEDaSU_SV_EUlSU_E_NS1_11comp_targetILNS1_3genE10ELNS1_11target_archE1200ELNS1_3gpuE4ELNS1_3repE0EEENS1_30default_config_static_selectorELNS0_4arch9wavefront6targetE0EEEvT1_: ; @_ZN7rocprim17ROCPRIM_400000_NS6detail17trampoline_kernelINS0_14default_configENS1_20scan_config_selectorIN3c107complexIfEEEEZZNS1_9scan_implILNS1_25lookback_scan_determinismE0ELb0ELb0ES3_PKS7_PS7_S7_ZZZN2at6native31launch_logcumsumexp_cuda_kernelERKNSE_10TensorBaseESI_lENKUlvE_clEvENKUlvE2_clEvEUlS7_S7_E_S7_EEDaPvRmT3_T4_T5_mT6_P12ihipStream_tbENKUlT_T0_E_clISt17integral_constantIbLb0EESY_IbLb1EEEEDaSU_SV_EUlSU_E_NS1_11comp_targetILNS1_3genE10ELNS1_11target_archE1200ELNS1_3gpuE4ELNS1_3repE0EEENS1_30default_config_static_selectorELNS0_4arch9wavefront6targetE0EEEvT1_
; %bb.0:
	.section	.rodata,"a",@progbits
	.p2align	6, 0x0
	.amdhsa_kernel _ZN7rocprim17ROCPRIM_400000_NS6detail17trampoline_kernelINS0_14default_configENS1_20scan_config_selectorIN3c107complexIfEEEEZZNS1_9scan_implILNS1_25lookback_scan_determinismE0ELb0ELb0ES3_PKS7_PS7_S7_ZZZN2at6native31launch_logcumsumexp_cuda_kernelERKNSE_10TensorBaseESI_lENKUlvE_clEvENKUlvE2_clEvEUlS7_S7_E_S7_EEDaPvRmT3_T4_T5_mT6_P12ihipStream_tbENKUlT_T0_E_clISt17integral_constantIbLb0EESY_IbLb1EEEEDaSU_SV_EUlSU_E_NS1_11comp_targetILNS1_3genE10ELNS1_11target_archE1200ELNS1_3gpuE4ELNS1_3repE0EEENS1_30default_config_static_selectorELNS0_4arch9wavefront6targetE0EEEvT1_
		.amdhsa_group_segment_fixed_size 0
		.amdhsa_private_segment_fixed_size 0
		.amdhsa_kernarg_size 104
		.amdhsa_user_sgpr_count 2
		.amdhsa_user_sgpr_dispatch_ptr 0
		.amdhsa_user_sgpr_queue_ptr 0
		.amdhsa_user_sgpr_kernarg_segment_ptr 1
		.amdhsa_user_sgpr_dispatch_id 0
		.amdhsa_user_sgpr_private_segment_size 0
		.amdhsa_wavefront_size32 1
		.amdhsa_uses_dynamic_stack 0
		.amdhsa_enable_private_segment 0
		.amdhsa_system_sgpr_workgroup_id_x 1
		.amdhsa_system_sgpr_workgroup_id_y 0
		.amdhsa_system_sgpr_workgroup_id_z 0
		.amdhsa_system_sgpr_workgroup_info 0
		.amdhsa_system_vgpr_workitem_id 0
		.amdhsa_next_free_vgpr 1
		.amdhsa_next_free_sgpr 1
		.amdhsa_reserve_vcc 0
		.amdhsa_float_round_mode_32 0
		.amdhsa_float_round_mode_16_64 0
		.amdhsa_float_denorm_mode_32 3
		.amdhsa_float_denorm_mode_16_64 3
		.amdhsa_fp16_overflow 0
		.amdhsa_workgroup_processor_mode 1
		.amdhsa_memory_ordered 1
		.amdhsa_forward_progress 1
		.amdhsa_inst_pref_size 0
		.amdhsa_round_robin_scheduling 0
		.amdhsa_exception_fp_ieee_invalid_op 0
		.amdhsa_exception_fp_denorm_src 0
		.amdhsa_exception_fp_ieee_div_zero 0
		.amdhsa_exception_fp_ieee_overflow 0
		.amdhsa_exception_fp_ieee_underflow 0
		.amdhsa_exception_fp_ieee_inexact 0
		.amdhsa_exception_int_div_zero 0
	.end_amdhsa_kernel
	.section	.text._ZN7rocprim17ROCPRIM_400000_NS6detail17trampoline_kernelINS0_14default_configENS1_20scan_config_selectorIN3c107complexIfEEEEZZNS1_9scan_implILNS1_25lookback_scan_determinismE0ELb0ELb0ES3_PKS7_PS7_S7_ZZZN2at6native31launch_logcumsumexp_cuda_kernelERKNSE_10TensorBaseESI_lENKUlvE_clEvENKUlvE2_clEvEUlS7_S7_E_S7_EEDaPvRmT3_T4_T5_mT6_P12ihipStream_tbENKUlT_T0_E_clISt17integral_constantIbLb0EESY_IbLb1EEEEDaSU_SV_EUlSU_E_NS1_11comp_targetILNS1_3genE10ELNS1_11target_archE1200ELNS1_3gpuE4ELNS1_3repE0EEENS1_30default_config_static_selectorELNS0_4arch9wavefront6targetE0EEEvT1_,"axG",@progbits,_ZN7rocprim17ROCPRIM_400000_NS6detail17trampoline_kernelINS0_14default_configENS1_20scan_config_selectorIN3c107complexIfEEEEZZNS1_9scan_implILNS1_25lookback_scan_determinismE0ELb0ELb0ES3_PKS7_PS7_S7_ZZZN2at6native31launch_logcumsumexp_cuda_kernelERKNSE_10TensorBaseESI_lENKUlvE_clEvENKUlvE2_clEvEUlS7_S7_E_S7_EEDaPvRmT3_T4_T5_mT6_P12ihipStream_tbENKUlT_T0_E_clISt17integral_constantIbLb0EESY_IbLb1EEEEDaSU_SV_EUlSU_E_NS1_11comp_targetILNS1_3genE10ELNS1_11target_archE1200ELNS1_3gpuE4ELNS1_3repE0EEENS1_30default_config_static_selectorELNS0_4arch9wavefront6targetE0EEEvT1_,comdat
.Lfunc_end335:
	.size	_ZN7rocprim17ROCPRIM_400000_NS6detail17trampoline_kernelINS0_14default_configENS1_20scan_config_selectorIN3c107complexIfEEEEZZNS1_9scan_implILNS1_25lookback_scan_determinismE0ELb0ELb0ES3_PKS7_PS7_S7_ZZZN2at6native31launch_logcumsumexp_cuda_kernelERKNSE_10TensorBaseESI_lENKUlvE_clEvENKUlvE2_clEvEUlS7_S7_E_S7_EEDaPvRmT3_T4_T5_mT6_P12ihipStream_tbENKUlT_T0_E_clISt17integral_constantIbLb0EESY_IbLb1EEEEDaSU_SV_EUlSU_E_NS1_11comp_targetILNS1_3genE10ELNS1_11target_archE1200ELNS1_3gpuE4ELNS1_3repE0EEENS1_30default_config_static_selectorELNS0_4arch9wavefront6targetE0EEEvT1_, .Lfunc_end335-_ZN7rocprim17ROCPRIM_400000_NS6detail17trampoline_kernelINS0_14default_configENS1_20scan_config_selectorIN3c107complexIfEEEEZZNS1_9scan_implILNS1_25lookback_scan_determinismE0ELb0ELb0ES3_PKS7_PS7_S7_ZZZN2at6native31launch_logcumsumexp_cuda_kernelERKNSE_10TensorBaseESI_lENKUlvE_clEvENKUlvE2_clEvEUlS7_S7_E_S7_EEDaPvRmT3_T4_T5_mT6_P12ihipStream_tbENKUlT_T0_E_clISt17integral_constantIbLb0EESY_IbLb1EEEEDaSU_SV_EUlSU_E_NS1_11comp_targetILNS1_3genE10ELNS1_11target_archE1200ELNS1_3gpuE4ELNS1_3repE0EEENS1_30default_config_static_selectorELNS0_4arch9wavefront6targetE0EEEvT1_
                                        ; -- End function
	.set _ZN7rocprim17ROCPRIM_400000_NS6detail17trampoline_kernelINS0_14default_configENS1_20scan_config_selectorIN3c107complexIfEEEEZZNS1_9scan_implILNS1_25lookback_scan_determinismE0ELb0ELb0ES3_PKS7_PS7_S7_ZZZN2at6native31launch_logcumsumexp_cuda_kernelERKNSE_10TensorBaseESI_lENKUlvE_clEvENKUlvE2_clEvEUlS7_S7_E_S7_EEDaPvRmT3_T4_T5_mT6_P12ihipStream_tbENKUlT_T0_E_clISt17integral_constantIbLb0EESY_IbLb1EEEEDaSU_SV_EUlSU_E_NS1_11comp_targetILNS1_3genE10ELNS1_11target_archE1200ELNS1_3gpuE4ELNS1_3repE0EEENS1_30default_config_static_selectorELNS0_4arch9wavefront6targetE0EEEvT1_.num_vgpr, 0
	.set _ZN7rocprim17ROCPRIM_400000_NS6detail17trampoline_kernelINS0_14default_configENS1_20scan_config_selectorIN3c107complexIfEEEEZZNS1_9scan_implILNS1_25lookback_scan_determinismE0ELb0ELb0ES3_PKS7_PS7_S7_ZZZN2at6native31launch_logcumsumexp_cuda_kernelERKNSE_10TensorBaseESI_lENKUlvE_clEvENKUlvE2_clEvEUlS7_S7_E_S7_EEDaPvRmT3_T4_T5_mT6_P12ihipStream_tbENKUlT_T0_E_clISt17integral_constantIbLb0EESY_IbLb1EEEEDaSU_SV_EUlSU_E_NS1_11comp_targetILNS1_3genE10ELNS1_11target_archE1200ELNS1_3gpuE4ELNS1_3repE0EEENS1_30default_config_static_selectorELNS0_4arch9wavefront6targetE0EEEvT1_.num_agpr, 0
	.set _ZN7rocprim17ROCPRIM_400000_NS6detail17trampoline_kernelINS0_14default_configENS1_20scan_config_selectorIN3c107complexIfEEEEZZNS1_9scan_implILNS1_25lookback_scan_determinismE0ELb0ELb0ES3_PKS7_PS7_S7_ZZZN2at6native31launch_logcumsumexp_cuda_kernelERKNSE_10TensorBaseESI_lENKUlvE_clEvENKUlvE2_clEvEUlS7_S7_E_S7_EEDaPvRmT3_T4_T5_mT6_P12ihipStream_tbENKUlT_T0_E_clISt17integral_constantIbLb0EESY_IbLb1EEEEDaSU_SV_EUlSU_E_NS1_11comp_targetILNS1_3genE10ELNS1_11target_archE1200ELNS1_3gpuE4ELNS1_3repE0EEENS1_30default_config_static_selectorELNS0_4arch9wavefront6targetE0EEEvT1_.numbered_sgpr, 0
	.set _ZN7rocprim17ROCPRIM_400000_NS6detail17trampoline_kernelINS0_14default_configENS1_20scan_config_selectorIN3c107complexIfEEEEZZNS1_9scan_implILNS1_25lookback_scan_determinismE0ELb0ELb0ES3_PKS7_PS7_S7_ZZZN2at6native31launch_logcumsumexp_cuda_kernelERKNSE_10TensorBaseESI_lENKUlvE_clEvENKUlvE2_clEvEUlS7_S7_E_S7_EEDaPvRmT3_T4_T5_mT6_P12ihipStream_tbENKUlT_T0_E_clISt17integral_constantIbLb0EESY_IbLb1EEEEDaSU_SV_EUlSU_E_NS1_11comp_targetILNS1_3genE10ELNS1_11target_archE1200ELNS1_3gpuE4ELNS1_3repE0EEENS1_30default_config_static_selectorELNS0_4arch9wavefront6targetE0EEEvT1_.num_named_barrier, 0
	.set _ZN7rocprim17ROCPRIM_400000_NS6detail17trampoline_kernelINS0_14default_configENS1_20scan_config_selectorIN3c107complexIfEEEEZZNS1_9scan_implILNS1_25lookback_scan_determinismE0ELb0ELb0ES3_PKS7_PS7_S7_ZZZN2at6native31launch_logcumsumexp_cuda_kernelERKNSE_10TensorBaseESI_lENKUlvE_clEvENKUlvE2_clEvEUlS7_S7_E_S7_EEDaPvRmT3_T4_T5_mT6_P12ihipStream_tbENKUlT_T0_E_clISt17integral_constantIbLb0EESY_IbLb1EEEEDaSU_SV_EUlSU_E_NS1_11comp_targetILNS1_3genE10ELNS1_11target_archE1200ELNS1_3gpuE4ELNS1_3repE0EEENS1_30default_config_static_selectorELNS0_4arch9wavefront6targetE0EEEvT1_.private_seg_size, 0
	.set _ZN7rocprim17ROCPRIM_400000_NS6detail17trampoline_kernelINS0_14default_configENS1_20scan_config_selectorIN3c107complexIfEEEEZZNS1_9scan_implILNS1_25lookback_scan_determinismE0ELb0ELb0ES3_PKS7_PS7_S7_ZZZN2at6native31launch_logcumsumexp_cuda_kernelERKNSE_10TensorBaseESI_lENKUlvE_clEvENKUlvE2_clEvEUlS7_S7_E_S7_EEDaPvRmT3_T4_T5_mT6_P12ihipStream_tbENKUlT_T0_E_clISt17integral_constantIbLb0EESY_IbLb1EEEEDaSU_SV_EUlSU_E_NS1_11comp_targetILNS1_3genE10ELNS1_11target_archE1200ELNS1_3gpuE4ELNS1_3repE0EEENS1_30default_config_static_selectorELNS0_4arch9wavefront6targetE0EEEvT1_.uses_vcc, 0
	.set _ZN7rocprim17ROCPRIM_400000_NS6detail17trampoline_kernelINS0_14default_configENS1_20scan_config_selectorIN3c107complexIfEEEEZZNS1_9scan_implILNS1_25lookback_scan_determinismE0ELb0ELb0ES3_PKS7_PS7_S7_ZZZN2at6native31launch_logcumsumexp_cuda_kernelERKNSE_10TensorBaseESI_lENKUlvE_clEvENKUlvE2_clEvEUlS7_S7_E_S7_EEDaPvRmT3_T4_T5_mT6_P12ihipStream_tbENKUlT_T0_E_clISt17integral_constantIbLb0EESY_IbLb1EEEEDaSU_SV_EUlSU_E_NS1_11comp_targetILNS1_3genE10ELNS1_11target_archE1200ELNS1_3gpuE4ELNS1_3repE0EEENS1_30default_config_static_selectorELNS0_4arch9wavefront6targetE0EEEvT1_.uses_flat_scratch, 0
	.set _ZN7rocprim17ROCPRIM_400000_NS6detail17trampoline_kernelINS0_14default_configENS1_20scan_config_selectorIN3c107complexIfEEEEZZNS1_9scan_implILNS1_25lookback_scan_determinismE0ELb0ELb0ES3_PKS7_PS7_S7_ZZZN2at6native31launch_logcumsumexp_cuda_kernelERKNSE_10TensorBaseESI_lENKUlvE_clEvENKUlvE2_clEvEUlS7_S7_E_S7_EEDaPvRmT3_T4_T5_mT6_P12ihipStream_tbENKUlT_T0_E_clISt17integral_constantIbLb0EESY_IbLb1EEEEDaSU_SV_EUlSU_E_NS1_11comp_targetILNS1_3genE10ELNS1_11target_archE1200ELNS1_3gpuE4ELNS1_3repE0EEENS1_30default_config_static_selectorELNS0_4arch9wavefront6targetE0EEEvT1_.has_dyn_sized_stack, 0
	.set _ZN7rocprim17ROCPRIM_400000_NS6detail17trampoline_kernelINS0_14default_configENS1_20scan_config_selectorIN3c107complexIfEEEEZZNS1_9scan_implILNS1_25lookback_scan_determinismE0ELb0ELb0ES3_PKS7_PS7_S7_ZZZN2at6native31launch_logcumsumexp_cuda_kernelERKNSE_10TensorBaseESI_lENKUlvE_clEvENKUlvE2_clEvEUlS7_S7_E_S7_EEDaPvRmT3_T4_T5_mT6_P12ihipStream_tbENKUlT_T0_E_clISt17integral_constantIbLb0EESY_IbLb1EEEEDaSU_SV_EUlSU_E_NS1_11comp_targetILNS1_3genE10ELNS1_11target_archE1200ELNS1_3gpuE4ELNS1_3repE0EEENS1_30default_config_static_selectorELNS0_4arch9wavefront6targetE0EEEvT1_.has_recursion, 0
	.set _ZN7rocprim17ROCPRIM_400000_NS6detail17trampoline_kernelINS0_14default_configENS1_20scan_config_selectorIN3c107complexIfEEEEZZNS1_9scan_implILNS1_25lookback_scan_determinismE0ELb0ELb0ES3_PKS7_PS7_S7_ZZZN2at6native31launch_logcumsumexp_cuda_kernelERKNSE_10TensorBaseESI_lENKUlvE_clEvENKUlvE2_clEvEUlS7_S7_E_S7_EEDaPvRmT3_T4_T5_mT6_P12ihipStream_tbENKUlT_T0_E_clISt17integral_constantIbLb0EESY_IbLb1EEEEDaSU_SV_EUlSU_E_NS1_11comp_targetILNS1_3genE10ELNS1_11target_archE1200ELNS1_3gpuE4ELNS1_3repE0EEENS1_30default_config_static_selectorELNS0_4arch9wavefront6targetE0EEEvT1_.has_indirect_call, 0
	.section	.AMDGPU.csdata,"",@progbits
; Kernel info:
; codeLenInByte = 0
; TotalNumSgprs: 0
; NumVgprs: 0
; ScratchSize: 0
; MemoryBound: 0
; FloatMode: 240
; IeeeMode: 1
; LDSByteSize: 0 bytes/workgroup (compile time only)
; SGPRBlocks: 0
; VGPRBlocks: 0
; NumSGPRsForWavesPerEU: 1
; NumVGPRsForWavesPerEU: 1
; Occupancy: 16
; WaveLimiterHint : 0
; COMPUTE_PGM_RSRC2:SCRATCH_EN: 0
; COMPUTE_PGM_RSRC2:USER_SGPR: 2
; COMPUTE_PGM_RSRC2:TRAP_HANDLER: 0
; COMPUTE_PGM_RSRC2:TGID_X_EN: 1
; COMPUTE_PGM_RSRC2:TGID_Y_EN: 0
; COMPUTE_PGM_RSRC2:TGID_Z_EN: 0
; COMPUTE_PGM_RSRC2:TIDIG_COMP_CNT: 0
	.section	.text._ZN7rocprim17ROCPRIM_400000_NS6detail17trampoline_kernelINS0_14default_configENS1_20scan_config_selectorIN3c107complexIfEEEEZZNS1_9scan_implILNS1_25lookback_scan_determinismE0ELb0ELb0ES3_PKS7_PS7_S7_ZZZN2at6native31launch_logcumsumexp_cuda_kernelERKNSE_10TensorBaseESI_lENKUlvE_clEvENKUlvE2_clEvEUlS7_S7_E_S7_EEDaPvRmT3_T4_T5_mT6_P12ihipStream_tbENKUlT_T0_E_clISt17integral_constantIbLb0EESY_IbLb1EEEEDaSU_SV_EUlSU_E_NS1_11comp_targetILNS1_3genE9ELNS1_11target_archE1100ELNS1_3gpuE3ELNS1_3repE0EEENS1_30default_config_static_selectorELNS0_4arch9wavefront6targetE0EEEvT1_,"axG",@progbits,_ZN7rocprim17ROCPRIM_400000_NS6detail17trampoline_kernelINS0_14default_configENS1_20scan_config_selectorIN3c107complexIfEEEEZZNS1_9scan_implILNS1_25lookback_scan_determinismE0ELb0ELb0ES3_PKS7_PS7_S7_ZZZN2at6native31launch_logcumsumexp_cuda_kernelERKNSE_10TensorBaseESI_lENKUlvE_clEvENKUlvE2_clEvEUlS7_S7_E_S7_EEDaPvRmT3_T4_T5_mT6_P12ihipStream_tbENKUlT_T0_E_clISt17integral_constantIbLb0EESY_IbLb1EEEEDaSU_SV_EUlSU_E_NS1_11comp_targetILNS1_3genE9ELNS1_11target_archE1100ELNS1_3gpuE3ELNS1_3repE0EEENS1_30default_config_static_selectorELNS0_4arch9wavefront6targetE0EEEvT1_,comdat
	.globl	_ZN7rocprim17ROCPRIM_400000_NS6detail17trampoline_kernelINS0_14default_configENS1_20scan_config_selectorIN3c107complexIfEEEEZZNS1_9scan_implILNS1_25lookback_scan_determinismE0ELb0ELb0ES3_PKS7_PS7_S7_ZZZN2at6native31launch_logcumsumexp_cuda_kernelERKNSE_10TensorBaseESI_lENKUlvE_clEvENKUlvE2_clEvEUlS7_S7_E_S7_EEDaPvRmT3_T4_T5_mT6_P12ihipStream_tbENKUlT_T0_E_clISt17integral_constantIbLb0EESY_IbLb1EEEEDaSU_SV_EUlSU_E_NS1_11comp_targetILNS1_3genE9ELNS1_11target_archE1100ELNS1_3gpuE3ELNS1_3repE0EEENS1_30default_config_static_selectorELNS0_4arch9wavefront6targetE0EEEvT1_ ; -- Begin function _ZN7rocprim17ROCPRIM_400000_NS6detail17trampoline_kernelINS0_14default_configENS1_20scan_config_selectorIN3c107complexIfEEEEZZNS1_9scan_implILNS1_25lookback_scan_determinismE0ELb0ELb0ES3_PKS7_PS7_S7_ZZZN2at6native31launch_logcumsumexp_cuda_kernelERKNSE_10TensorBaseESI_lENKUlvE_clEvENKUlvE2_clEvEUlS7_S7_E_S7_EEDaPvRmT3_T4_T5_mT6_P12ihipStream_tbENKUlT_T0_E_clISt17integral_constantIbLb0EESY_IbLb1EEEEDaSU_SV_EUlSU_E_NS1_11comp_targetILNS1_3genE9ELNS1_11target_archE1100ELNS1_3gpuE3ELNS1_3repE0EEENS1_30default_config_static_selectorELNS0_4arch9wavefront6targetE0EEEvT1_
	.p2align	8
	.type	_ZN7rocprim17ROCPRIM_400000_NS6detail17trampoline_kernelINS0_14default_configENS1_20scan_config_selectorIN3c107complexIfEEEEZZNS1_9scan_implILNS1_25lookback_scan_determinismE0ELb0ELb0ES3_PKS7_PS7_S7_ZZZN2at6native31launch_logcumsumexp_cuda_kernelERKNSE_10TensorBaseESI_lENKUlvE_clEvENKUlvE2_clEvEUlS7_S7_E_S7_EEDaPvRmT3_T4_T5_mT6_P12ihipStream_tbENKUlT_T0_E_clISt17integral_constantIbLb0EESY_IbLb1EEEEDaSU_SV_EUlSU_E_NS1_11comp_targetILNS1_3genE9ELNS1_11target_archE1100ELNS1_3gpuE3ELNS1_3repE0EEENS1_30default_config_static_selectorELNS0_4arch9wavefront6targetE0EEEvT1_,@function
_ZN7rocprim17ROCPRIM_400000_NS6detail17trampoline_kernelINS0_14default_configENS1_20scan_config_selectorIN3c107complexIfEEEEZZNS1_9scan_implILNS1_25lookback_scan_determinismE0ELb0ELb0ES3_PKS7_PS7_S7_ZZZN2at6native31launch_logcumsumexp_cuda_kernelERKNSE_10TensorBaseESI_lENKUlvE_clEvENKUlvE2_clEvEUlS7_S7_E_S7_EEDaPvRmT3_T4_T5_mT6_P12ihipStream_tbENKUlT_T0_E_clISt17integral_constantIbLb0EESY_IbLb1EEEEDaSU_SV_EUlSU_E_NS1_11comp_targetILNS1_3genE9ELNS1_11target_archE1100ELNS1_3gpuE3ELNS1_3repE0EEENS1_30default_config_static_selectorELNS0_4arch9wavefront6targetE0EEEvT1_: ; @_ZN7rocprim17ROCPRIM_400000_NS6detail17trampoline_kernelINS0_14default_configENS1_20scan_config_selectorIN3c107complexIfEEEEZZNS1_9scan_implILNS1_25lookback_scan_determinismE0ELb0ELb0ES3_PKS7_PS7_S7_ZZZN2at6native31launch_logcumsumexp_cuda_kernelERKNSE_10TensorBaseESI_lENKUlvE_clEvENKUlvE2_clEvEUlS7_S7_E_S7_EEDaPvRmT3_T4_T5_mT6_P12ihipStream_tbENKUlT_T0_E_clISt17integral_constantIbLb0EESY_IbLb1EEEEDaSU_SV_EUlSU_E_NS1_11comp_targetILNS1_3genE9ELNS1_11target_archE1100ELNS1_3gpuE3ELNS1_3repE0EEENS1_30default_config_static_selectorELNS0_4arch9wavefront6targetE0EEEvT1_
; %bb.0:
	.section	.rodata,"a",@progbits
	.p2align	6, 0x0
	.amdhsa_kernel _ZN7rocprim17ROCPRIM_400000_NS6detail17trampoline_kernelINS0_14default_configENS1_20scan_config_selectorIN3c107complexIfEEEEZZNS1_9scan_implILNS1_25lookback_scan_determinismE0ELb0ELb0ES3_PKS7_PS7_S7_ZZZN2at6native31launch_logcumsumexp_cuda_kernelERKNSE_10TensorBaseESI_lENKUlvE_clEvENKUlvE2_clEvEUlS7_S7_E_S7_EEDaPvRmT3_T4_T5_mT6_P12ihipStream_tbENKUlT_T0_E_clISt17integral_constantIbLb0EESY_IbLb1EEEEDaSU_SV_EUlSU_E_NS1_11comp_targetILNS1_3genE9ELNS1_11target_archE1100ELNS1_3gpuE3ELNS1_3repE0EEENS1_30default_config_static_selectorELNS0_4arch9wavefront6targetE0EEEvT1_
		.amdhsa_group_segment_fixed_size 0
		.amdhsa_private_segment_fixed_size 0
		.amdhsa_kernarg_size 104
		.amdhsa_user_sgpr_count 2
		.amdhsa_user_sgpr_dispatch_ptr 0
		.amdhsa_user_sgpr_queue_ptr 0
		.amdhsa_user_sgpr_kernarg_segment_ptr 1
		.amdhsa_user_sgpr_dispatch_id 0
		.amdhsa_user_sgpr_private_segment_size 0
		.amdhsa_wavefront_size32 1
		.amdhsa_uses_dynamic_stack 0
		.amdhsa_enable_private_segment 0
		.amdhsa_system_sgpr_workgroup_id_x 1
		.amdhsa_system_sgpr_workgroup_id_y 0
		.amdhsa_system_sgpr_workgroup_id_z 0
		.amdhsa_system_sgpr_workgroup_info 0
		.amdhsa_system_vgpr_workitem_id 0
		.amdhsa_next_free_vgpr 1
		.amdhsa_next_free_sgpr 1
		.amdhsa_reserve_vcc 0
		.amdhsa_float_round_mode_32 0
		.amdhsa_float_round_mode_16_64 0
		.amdhsa_float_denorm_mode_32 3
		.amdhsa_float_denorm_mode_16_64 3
		.amdhsa_fp16_overflow 0
		.amdhsa_workgroup_processor_mode 1
		.amdhsa_memory_ordered 1
		.amdhsa_forward_progress 1
		.amdhsa_inst_pref_size 0
		.amdhsa_round_robin_scheduling 0
		.amdhsa_exception_fp_ieee_invalid_op 0
		.amdhsa_exception_fp_denorm_src 0
		.amdhsa_exception_fp_ieee_div_zero 0
		.amdhsa_exception_fp_ieee_overflow 0
		.amdhsa_exception_fp_ieee_underflow 0
		.amdhsa_exception_fp_ieee_inexact 0
		.amdhsa_exception_int_div_zero 0
	.end_amdhsa_kernel
	.section	.text._ZN7rocprim17ROCPRIM_400000_NS6detail17trampoline_kernelINS0_14default_configENS1_20scan_config_selectorIN3c107complexIfEEEEZZNS1_9scan_implILNS1_25lookback_scan_determinismE0ELb0ELb0ES3_PKS7_PS7_S7_ZZZN2at6native31launch_logcumsumexp_cuda_kernelERKNSE_10TensorBaseESI_lENKUlvE_clEvENKUlvE2_clEvEUlS7_S7_E_S7_EEDaPvRmT3_T4_T5_mT6_P12ihipStream_tbENKUlT_T0_E_clISt17integral_constantIbLb0EESY_IbLb1EEEEDaSU_SV_EUlSU_E_NS1_11comp_targetILNS1_3genE9ELNS1_11target_archE1100ELNS1_3gpuE3ELNS1_3repE0EEENS1_30default_config_static_selectorELNS0_4arch9wavefront6targetE0EEEvT1_,"axG",@progbits,_ZN7rocprim17ROCPRIM_400000_NS6detail17trampoline_kernelINS0_14default_configENS1_20scan_config_selectorIN3c107complexIfEEEEZZNS1_9scan_implILNS1_25lookback_scan_determinismE0ELb0ELb0ES3_PKS7_PS7_S7_ZZZN2at6native31launch_logcumsumexp_cuda_kernelERKNSE_10TensorBaseESI_lENKUlvE_clEvENKUlvE2_clEvEUlS7_S7_E_S7_EEDaPvRmT3_T4_T5_mT6_P12ihipStream_tbENKUlT_T0_E_clISt17integral_constantIbLb0EESY_IbLb1EEEEDaSU_SV_EUlSU_E_NS1_11comp_targetILNS1_3genE9ELNS1_11target_archE1100ELNS1_3gpuE3ELNS1_3repE0EEENS1_30default_config_static_selectorELNS0_4arch9wavefront6targetE0EEEvT1_,comdat
.Lfunc_end336:
	.size	_ZN7rocprim17ROCPRIM_400000_NS6detail17trampoline_kernelINS0_14default_configENS1_20scan_config_selectorIN3c107complexIfEEEEZZNS1_9scan_implILNS1_25lookback_scan_determinismE0ELb0ELb0ES3_PKS7_PS7_S7_ZZZN2at6native31launch_logcumsumexp_cuda_kernelERKNSE_10TensorBaseESI_lENKUlvE_clEvENKUlvE2_clEvEUlS7_S7_E_S7_EEDaPvRmT3_T4_T5_mT6_P12ihipStream_tbENKUlT_T0_E_clISt17integral_constantIbLb0EESY_IbLb1EEEEDaSU_SV_EUlSU_E_NS1_11comp_targetILNS1_3genE9ELNS1_11target_archE1100ELNS1_3gpuE3ELNS1_3repE0EEENS1_30default_config_static_selectorELNS0_4arch9wavefront6targetE0EEEvT1_, .Lfunc_end336-_ZN7rocprim17ROCPRIM_400000_NS6detail17trampoline_kernelINS0_14default_configENS1_20scan_config_selectorIN3c107complexIfEEEEZZNS1_9scan_implILNS1_25lookback_scan_determinismE0ELb0ELb0ES3_PKS7_PS7_S7_ZZZN2at6native31launch_logcumsumexp_cuda_kernelERKNSE_10TensorBaseESI_lENKUlvE_clEvENKUlvE2_clEvEUlS7_S7_E_S7_EEDaPvRmT3_T4_T5_mT6_P12ihipStream_tbENKUlT_T0_E_clISt17integral_constantIbLb0EESY_IbLb1EEEEDaSU_SV_EUlSU_E_NS1_11comp_targetILNS1_3genE9ELNS1_11target_archE1100ELNS1_3gpuE3ELNS1_3repE0EEENS1_30default_config_static_selectorELNS0_4arch9wavefront6targetE0EEEvT1_
                                        ; -- End function
	.set _ZN7rocprim17ROCPRIM_400000_NS6detail17trampoline_kernelINS0_14default_configENS1_20scan_config_selectorIN3c107complexIfEEEEZZNS1_9scan_implILNS1_25lookback_scan_determinismE0ELb0ELb0ES3_PKS7_PS7_S7_ZZZN2at6native31launch_logcumsumexp_cuda_kernelERKNSE_10TensorBaseESI_lENKUlvE_clEvENKUlvE2_clEvEUlS7_S7_E_S7_EEDaPvRmT3_T4_T5_mT6_P12ihipStream_tbENKUlT_T0_E_clISt17integral_constantIbLb0EESY_IbLb1EEEEDaSU_SV_EUlSU_E_NS1_11comp_targetILNS1_3genE9ELNS1_11target_archE1100ELNS1_3gpuE3ELNS1_3repE0EEENS1_30default_config_static_selectorELNS0_4arch9wavefront6targetE0EEEvT1_.num_vgpr, 0
	.set _ZN7rocprim17ROCPRIM_400000_NS6detail17trampoline_kernelINS0_14default_configENS1_20scan_config_selectorIN3c107complexIfEEEEZZNS1_9scan_implILNS1_25lookback_scan_determinismE0ELb0ELb0ES3_PKS7_PS7_S7_ZZZN2at6native31launch_logcumsumexp_cuda_kernelERKNSE_10TensorBaseESI_lENKUlvE_clEvENKUlvE2_clEvEUlS7_S7_E_S7_EEDaPvRmT3_T4_T5_mT6_P12ihipStream_tbENKUlT_T0_E_clISt17integral_constantIbLb0EESY_IbLb1EEEEDaSU_SV_EUlSU_E_NS1_11comp_targetILNS1_3genE9ELNS1_11target_archE1100ELNS1_3gpuE3ELNS1_3repE0EEENS1_30default_config_static_selectorELNS0_4arch9wavefront6targetE0EEEvT1_.num_agpr, 0
	.set _ZN7rocprim17ROCPRIM_400000_NS6detail17trampoline_kernelINS0_14default_configENS1_20scan_config_selectorIN3c107complexIfEEEEZZNS1_9scan_implILNS1_25lookback_scan_determinismE0ELb0ELb0ES3_PKS7_PS7_S7_ZZZN2at6native31launch_logcumsumexp_cuda_kernelERKNSE_10TensorBaseESI_lENKUlvE_clEvENKUlvE2_clEvEUlS7_S7_E_S7_EEDaPvRmT3_T4_T5_mT6_P12ihipStream_tbENKUlT_T0_E_clISt17integral_constantIbLb0EESY_IbLb1EEEEDaSU_SV_EUlSU_E_NS1_11comp_targetILNS1_3genE9ELNS1_11target_archE1100ELNS1_3gpuE3ELNS1_3repE0EEENS1_30default_config_static_selectorELNS0_4arch9wavefront6targetE0EEEvT1_.numbered_sgpr, 0
	.set _ZN7rocprim17ROCPRIM_400000_NS6detail17trampoline_kernelINS0_14default_configENS1_20scan_config_selectorIN3c107complexIfEEEEZZNS1_9scan_implILNS1_25lookback_scan_determinismE0ELb0ELb0ES3_PKS7_PS7_S7_ZZZN2at6native31launch_logcumsumexp_cuda_kernelERKNSE_10TensorBaseESI_lENKUlvE_clEvENKUlvE2_clEvEUlS7_S7_E_S7_EEDaPvRmT3_T4_T5_mT6_P12ihipStream_tbENKUlT_T0_E_clISt17integral_constantIbLb0EESY_IbLb1EEEEDaSU_SV_EUlSU_E_NS1_11comp_targetILNS1_3genE9ELNS1_11target_archE1100ELNS1_3gpuE3ELNS1_3repE0EEENS1_30default_config_static_selectorELNS0_4arch9wavefront6targetE0EEEvT1_.num_named_barrier, 0
	.set _ZN7rocprim17ROCPRIM_400000_NS6detail17trampoline_kernelINS0_14default_configENS1_20scan_config_selectorIN3c107complexIfEEEEZZNS1_9scan_implILNS1_25lookback_scan_determinismE0ELb0ELb0ES3_PKS7_PS7_S7_ZZZN2at6native31launch_logcumsumexp_cuda_kernelERKNSE_10TensorBaseESI_lENKUlvE_clEvENKUlvE2_clEvEUlS7_S7_E_S7_EEDaPvRmT3_T4_T5_mT6_P12ihipStream_tbENKUlT_T0_E_clISt17integral_constantIbLb0EESY_IbLb1EEEEDaSU_SV_EUlSU_E_NS1_11comp_targetILNS1_3genE9ELNS1_11target_archE1100ELNS1_3gpuE3ELNS1_3repE0EEENS1_30default_config_static_selectorELNS0_4arch9wavefront6targetE0EEEvT1_.private_seg_size, 0
	.set _ZN7rocprim17ROCPRIM_400000_NS6detail17trampoline_kernelINS0_14default_configENS1_20scan_config_selectorIN3c107complexIfEEEEZZNS1_9scan_implILNS1_25lookback_scan_determinismE0ELb0ELb0ES3_PKS7_PS7_S7_ZZZN2at6native31launch_logcumsumexp_cuda_kernelERKNSE_10TensorBaseESI_lENKUlvE_clEvENKUlvE2_clEvEUlS7_S7_E_S7_EEDaPvRmT3_T4_T5_mT6_P12ihipStream_tbENKUlT_T0_E_clISt17integral_constantIbLb0EESY_IbLb1EEEEDaSU_SV_EUlSU_E_NS1_11comp_targetILNS1_3genE9ELNS1_11target_archE1100ELNS1_3gpuE3ELNS1_3repE0EEENS1_30default_config_static_selectorELNS0_4arch9wavefront6targetE0EEEvT1_.uses_vcc, 0
	.set _ZN7rocprim17ROCPRIM_400000_NS6detail17trampoline_kernelINS0_14default_configENS1_20scan_config_selectorIN3c107complexIfEEEEZZNS1_9scan_implILNS1_25lookback_scan_determinismE0ELb0ELb0ES3_PKS7_PS7_S7_ZZZN2at6native31launch_logcumsumexp_cuda_kernelERKNSE_10TensorBaseESI_lENKUlvE_clEvENKUlvE2_clEvEUlS7_S7_E_S7_EEDaPvRmT3_T4_T5_mT6_P12ihipStream_tbENKUlT_T0_E_clISt17integral_constantIbLb0EESY_IbLb1EEEEDaSU_SV_EUlSU_E_NS1_11comp_targetILNS1_3genE9ELNS1_11target_archE1100ELNS1_3gpuE3ELNS1_3repE0EEENS1_30default_config_static_selectorELNS0_4arch9wavefront6targetE0EEEvT1_.uses_flat_scratch, 0
	.set _ZN7rocprim17ROCPRIM_400000_NS6detail17trampoline_kernelINS0_14default_configENS1_20scan_config_selectorIN3c107complexIfEEEEZZNS1_9scan_implILNS1_25lookback_scan_determinismE0ELb0ELb0ES3_PKS7_PS7_S7_ZZZN2at6native31launch_logcumsumexp_cuda_kernelERKNSE_10TensorBaseESI_lENKUlvE_clEvENKUlvE2_clEvEUlS7_S7_E_S7_EEDaPvRmT3_T4_T5_mT6_P12ihipStream_tbENKUlT_T0_E_clISt17integral_constantIbLb0EESY_IbLb1EEEEDaSU_SV_EUlSU_E_NS1_11comp_targetILNS1_3genE9ELNS1_11target_archE1100ELNS1_3gpuE3ELNS1_3repE0EEENS1_30default_config_static_selectorELNS0_4arch9wavefront6targetE0EEEvT1_.has_dyn_sized_stack, 0
	.set _ZN7rocprim17ROCPRIM_400000_NS6detail17trampoline_kernelINS0_14default_configENS1_20scan_config_selectorIN3c107complexIfEEEEZZNS1_9scan_implILNS1_25lookback_scan_determinismE0ELb0ELb0ES3_PKS7_PS7_S7_ZZZN2at6native31launch_logcumsumexp_cuda_kernelERKNSE_10TensorBaseESI_lENKUlvE_clEvENKUlvE2_clEvEUlS7_S7_E_S7_EEDaPvRmT3_T4_T5_mT6_P12ihipStream_tbENKUlT_T0_E_clISt17integral_constantIbLb0EESY_IbLb1EEEEDaSU_SV_EUlSU_E_NS1_11comp_targetILNS1_3genE9ELNS1_11target_archE1100ELNS1_3gpuE3ELNS1_3repE0EEENS1_30default_config_static_selectorELNS0_4arch9wavefront6targetE0EEEvT1_.has_recursion, 0
	.set _ZN7rocprim17ROCPRIM_400000_NS6detail17trampoline_kernelINS0_14default_configENS1_20scan_config_selectorIN3c107complexIfEEEEZZNS1_9scan_implILNS1_25lookback_scan_determinismE0ELb0ELb0ES3_PKS7_PS7_S7_ZZZN2at6native31launch_logcumsumexp_cuda_kernelERKNSE_10TensorBaseESI_lENKUlvE_clEvENKUlvE2_clEvEUlS7_S7_E_S7_EEDaPvRmT3_T4_T5_mT6_P12ihipStream_tbENKUlT_T0_E_clISt17integral_constantIbLb0EESY_IbLb1EEEEDaSU_SV_EUlSU_E_NS1_11comp_targetILNS1_3genE9ELNS1_11target_archE1100ELNS1_3gpuE3ELNS1_3repE0EEENS1_30default_config_static_selectorELNS0_4arch9wavefront6targetE0EEEvT1_.has_indirect_call, 0
	.section	.AMDGPU.csdata,"",@progbits
; Kernel info:
; codeLenInByte = 0
; TotalNumSgprs: 0
; NumVgprs: 0
; ScratchSize: 0
; MemoryBound: 0
; FloatMode: 240
; IeeeMode: 1
; LDSByteSize: 0 bytes/workgroup (compile time only)
; SGPRBlocks: 0
; VGPRBlocks: 0
; NumSGPRsForWavesPerEU: 1
; NumVGPRsForWavesPerEU: 1
; Occupancy: 16
; WaveLimiterHint : 0
; COMPUTE_PGM_RSRC2:SCRATCH_EN: 0
; COMPUTE_PGM_RSRC2:USER_SGPR: 2
; COMPUTE_PGM_RSRC2:TRAP_HANDLER: 0
; COMPUTE_PGM_RSRC2:TGID_X_EN: 1
; COMPUTE_PGM_RSRC2:TGID_Y_EN: 0
; COMPUTE_PGM_RSRC2:TGID_Z_EN: 0
; COMPUTE_PGM_RSRC2:TIDIG_COMP_CNT: 0
	.section	.text._ZN7rocprim17ROCPRIM_400000_NS6detail17trampoline_kernelINS0_14default_configENS1_20scan_config_selectorIN3c107complexIfEEEEZZNS1_9scan_implILNS1_25lookback_scan_determinismE0ELb0ELb0ES3_PKS7_PS7_S7_ZZZN2at6native31launch_logcumsumexp_cuda_kernelERKNSE_10TensorBaseESI_lENKUlvE_clEvENKUlvE2_clEvEUlS7_S7_E_S7_EEDaPvRmT3_T4_T5_mT6_P12ihipStream_tbENKUlT_T0_E_clISt17integral_constantIbLb0EESY_IbLb1EEEEDaSU_SV_EUlSU_E_NS1_11comp_targetILNS1_3genE8ELNS1_11target_archE1030ELNS1_3gpuE2ELNS1_3repE0EEENS1_30default_config_static_selectorELNS0_4arch9wavefront6targetE0EEEvT1_,"axG",@progbits,_ZN7rocprim17ROCPRIM_400000_NS6detail17trampoline_kernelINS0_14default_configENS1_20scan_config_selectorIN3c107complexIfEEEEZZNS1_9scan_implILNS1_25lookback_scan_determinismE0ELb0ELb0ES3_PKS7_PS7_S7_ZZZN2at6native31launch_logcumsumexp_cuda_kernelERKNSE_10TensorBaseESI_lENKUlvE_clEvENKUlvE2_clEvEUlS7_S7_E_S7_EEDaPvRmT3_T4_T5_mT6_P12ihipStream_tbENKUlT_T0_E_clISt17integral_constantIbLb0EESY_IbLb1EEEEDaSU_SV_EUlSU_E_NS1_11comp_targetILNS1_3genE8ELNS1_11target_archE1030ELNS1_3gpuE2ELNS1_3repE0EEENS1_30default_config_static_selectorELNS0_4arch9wavefront6targetE0EEEvT1_,comdat
	.globl	_ZN7rocprim17ROCPRIM_400000_NS6detail17trampoline_kernelINS0_14default_configENS1_20scan_config_selectorIN3c107complexIfEEEEZZNS1_9scan_implILNS1_25lookback_scan_determinismE0ELb0ELb0ES3_PKS7_PS7_S7_ZZZN2at6native31launch_logcumsumexp_cuda_kernelERKNSE_10TensorBaseESI_lENKUlvE_clEvENKUlvE2_clEvEUlS7_S7_E_S7_EEDaPvRmT3_T4_T5_mT6_P12ihipStream_tbENKUlT_T0_E_clISt17integral_constantIbLb0EESY_IbLb1EEEEDaSU_SV_EUlSU_E_NS1_11comp_targetILNS1_3genE8ELNS1_11target_archE1030ELNS1_3gpuE2ELNS1_3repE0EEENS1_30default_config_static_selectorELNS0_4arch9wavefront6targetE0EEEvT1_ ; -- Begin function _ZN7rocprim17ROCPRIM_400000_NS6detail17trampoline_kernelINS0_14default_configENS1_20scan_config_selectorIN3c107complexIfEEEEZZNS1_9scan_implILNS1_25lookback_scan_determinismE0ELb0ELb0ES3_PKS7_PS7_S7_ZZZN2at6native31launch_logcumsumexp_cuda_kernelERKNSE_10TensorBaseESI_lENKUlvE_clEvENKUlvE2_clEvEUlS7_S7_E_S7_EEDaPvRmT3_T4_T5_mT6_P12ihipStream_tbENKUlT_T0_E_clISt17integral_constantIbLb0EESY_IbLb1EEEEDaSU_SV_EUlSU_E_NS1_11comp_targetILNS1_3genE8ELNS1_11target_archE1030ELNS1_3gpuE2ELNS1_3repE0EEENS1_30default_config_static_selectorELNS0_4arch9wavefront6targetE0EEEvT1_
	.p2align	8
	.type	_ZN7rocprim17ROCPRIM_400000_NS6detail17trampoline_kernelINS0_14default_configENS1_20scan_config_selectorIN3c107complexIfEEEEZZNS1_9scan_implILNS1_25lookback_scan_determinismE0ELb0ELb0ES3_PKS7_PS7_S7_ZZZN2at6native31launch_logcumsumexp_cuda_kernelERKNSE_10TensorBaseESI_lENKUlvE_clEvENKUlvE2_clEvEUlS7_S7_E_S7_EEDaPvRmT3_T4_T5_mT6_P12ihipStream_tbENKUlT_T0_E_clISt17integral_constantIbLb0EESY_IbLb1EEEEDaSU_SV_EUlSU_E_NS1_11comp_targetILNS1_3genE8ELNS1_11target_archE1030ELNS1_3gpuE2ELNS1_3repE0EEENS1_30default_config_static_selectorELNS0_4arch9wavefront6targetE0EEEvT1_,@function
_ZN7rocprim17ROCPRIM_400000_NS6detail17trampoline_kernelINS0_14default_configENS1_20scan_config_selectorIN3c107complexIfEEEEZZNS1_9scan_implILNS1_25lookback_scan_determinismE0ELb0ELb0ES3_PKS7_PS7_S7_ZZZN2at6native31launch_logcumsumexp_cuda_kernelERKNSE_10TensorBaseESI_lENKUlvE_clEvENKUlvE2_clEvEUlS7_S7_E_S7_EEDaPvRmT3_T4_T5_mT6_P12ihipStream_tbENKUlT_T0_E_clISt17integral_constantIbLb0EESY_IbLb1EEEEDaSU_SV_EUlSU_E_NS1_11comp_targetILNS1_3genE8ELNS1_11target_archE1030ELNS1_3gpuE2ELNS1_3repE0EEENS1_30default_config_static_selectorELNS0_4arch9wavefront6targetE0EEEvT1_: ; @_ZN7rocprim17ROCPRIM_400000_NS6detail17trampoline_kernelINS0_14default_configENS1_20scan_config_selectorIN3c107complexIfEEEEZZNS1_9scan_implILNS1_25lookback_scan_determinismE0ELb0ELb0ES3_PKS7_PS7_S7_ZZZN2at6native31launch_logcumsumexp_cuda_kernelERKNSE_10TensorBaseESI_lENKUlvE_clEvENKUlvE2_clEvEUlS7_S7_E_S7_EEDaPvRmT3_T4_T5_mT6_P12ihipStream_tbENKUlT_T0_E_clISt17integral_constantIbLb0EESY_IbLb1EEEEDaSU_SV_EUlSU_E_NS1_11comp_targetILNS1_3genE8ELNS1_11target_archE1030ELNS1_3gpuE2ELNS1_3repE0EEENS1_30default_config_static_selectorELNS0_4arch9wavefront6targetE0EEEvT1_
; %bb.0:
	.section	.rodata,"a",@progbits
	.p2align	6, 0x0
	.amdhsa_kernel _ZN7rocprim17ROCPRIM_400000_NS6detail17trampoline_kernelINS0_14default_configENS1_20scan_config_selectorIN3c107complexIfEEEEZZNS1_9scan_implILNS1_25lookback_scan_determinismE0ELb0ELb0ES3_PKS7_PS7_S7_ZZZN2at6native31launch_logcumsumexp_cuda_kernelERKNSE_10TensorBaseESI_lENKUlvE_clEvENKUlvE2_clEvEUlS7_S7_E_S7_EEDaPvRmT3_T4_T5_mT6_P12ihipStream_tbENKUlT_T0_E_clISt17integral_constantIbLb0EESY_IbLb1EEEEDaSU_SV_EUlSU_E_NS1_11comp_targetILNS1_3genE8ELNS1_11target_archE1030ELNS1_3gpuE2ELNS1_3repE0EEENS1_30default_config_static_selectorELNS0_4arch9wavefront6targetE0EEEvT1_
		.amdhsa_group_segment_fixed_size 0
		.amdhsa_private_segment_fixed_size 0
		.amdhsa_kernarg_size 104
		.amdhsa_user_sgpr_count 2
		.amdhsa_user_sgpr_dispatch_ptr 0
		.amdhsa_user_sgpr_queue_ptr 0
		.amdhsa_user_sgpr_kernarg_segment_ptr 1
		.amdhsa_user_sgpr_dispatch_id 0
		.amdhsa_user_sgpr_private_segment_size 0
		.amdhsa_wavefront_size32 1
		.amdhsa_uses_dynamic_stack 0
		.amdhsa_enable_private_segment 0
		.amdhsa_system_sgpr_workgroup_id_x 1
		.amdhsa_system_sgpr_workgroup_id_y 0
		.amdhsa_system_sgpr_workgroup_id_z 0
		.amdhsa_system_sgpr_workgroup_info 0
		.amdhsa_system_vgpr_workitem_id 0
		.amdhsa_next_free_vgpr 1
		.amdhsa_next_free_sgpr 1
		.amdhsa_reserve_vcc 0
		.amdhsa_float_round_mode_32 0
		.amdhsa_float_round_mode_16_64 0
		.amdhsa_float_denorm_mode_32 3
		.amdhsa_float_denorm_mode_16_64 3
		.amdhsa_fp16_overflow 0
		.amdhsa_workgroup_processor_mode 1
		.amdhsa_memory_ordered 1
		.amdhsa_forward_progress 1
		.amdhsa_inst_pref_size 0
		.amdhsa_round_robin_scheduling 0
		.amdhsa_exception_fp_ieee_invalid_op 0
		.amdhsa_exception_fp_denorm_src 0
		.amdhsa_exception_fp_ieee_div_zero 0
		.amdhsa_exception_fp_ieee_overflow 0
		.amdhsa_exception_fp_ieee_underflow 0
		.amdhsa_exception_fp_ieee_inexact 0
		.amdhsa_exception_int_div_zero 0
	.end_amdhsa_kernel
	.section	.text._ZN7rocprim17ROCPRIM_400000_NS6detail17trampoline_kernelINS0_14default_configENS1_20scan_config_selectorIN3c107complexIfEEEEZZNS1_9scan_implILNS1_25lookback_scan_determinismE0ELb0ELb0ES3_PKS7_PS7_S7_ZZZN2at6native31launch_logcumsumexp_cuda_kernelERKNSE_10TensorBaseESI_lENKUlvE_clEvENKUlvE2_clEvEUlS7_S7_E_S7_EEDaPvRmT3_T4_T5_mT6_P12ihipStream_tbENKUlT_T0_E_clISt17integral_constantIbLb0EESY_IbLb1EEEEDaSU_SV_EUlSU_E_NS1_11comp_targetILNS1_3genE8ELNS1_11target_archE1030ELNS1_3gpuE2ELNS1_3repE0EEENS1_30default_config_static_selectorELNS0_4arch9wavefront6targetE0EEEvT1_,"axG",@progbits,_ZN7rocprim17ROCPRIM_400000_NS6detail17trampoline_kernelINS0_14default_configENS1_20scan_config_selectorIN3c107complexIfEEEEZZNS1_9scan_implILNS1_25lookback_scan_determinismE0ELb0ELb0ES3_PKS7_PS7_S7_ZZZN2at6native31launch_logcumsumexp_cuda_kernelERKNSE_10TensorBaseESI_lENKUlvE_clEvENKUlvE2_clEvEUlS7_S7_E_S7_EEDaPvRmT3_T4_T5_mT6_P12ihipStream_tbENKUlT_T0_E_clISt17integral_constantIbLb0EESY_IbLb1EEEEDaSU_SV_EUlSU_E_NS1_11comp_targetILNS1_3genE8ELNS1_11target_archE1030ELNS1_3gpuE2ELNS1_3repE0EEENS1_30default_config_static_selectorELNS0_4arch9wavefront6targetE0EEEvT1_,comdat
.Lfunc_end337:
	.size	_ZN7rocprim17ROCPRIM_400000_NS6detail17trampoline_kernelINS0_14default_configENS1_20scan_config_selectorIN3c107complexIfEEEEZZNS1_9scan_implILNS1_25lookback_scan_determinismE0ELb0ELb0ES3_PKS7_PS7_S7_ZZZN2at6native31launch_logcumsumexp_cuda_kernelERKNSE_10TensorBaseESI_lENKUlvE_clEvENKUlvE2_clEvEUlS7_S7_E_S7_EEDaPvRmT3_T4_T5_mT6_P12ihipStream_tbENKUlT_T0_E_clISt17integral_constantIbLb0EESY_IbLb1EEEEDaSU_SV_EUlSU_E_NS1_11comp_targetILNS1_3genE8ELNS1_11target_archE1030ELNS1_3gpuE2ELNS1_3repE0EEENS1_30default_config_static_selectorELNS0_4arch9wavefront6targetE0EEEvT1_, .Lfunc_end337-_ZN7rocprim17ROCPRIM_400000_NS6detail17trampoline_kernelINS0_14default_configENS1_20scan_config_selectorIN3c107complexIfEEEEZZNS1_9scan_implILNS1_25lookback_scan_determinismE0ELb0ELb0ES3_PKS7_PS7_S7_ZZZN2at6native31launch_logcumsumexp_cuda_kernelERKNSE_10TensorBaseESI_lENKUlvE_clEvENKUlvE2_clEvEUlS7_S7_E_S7_EEDaPvRmT3_T4_T5_mT6_P12ihipStream_tbENKUlT_T0_E_clISt17integral_constantIbLb0EESY_IbLb1EEEEDaSU_SV_EUlSU_E_NS1_11comp_targetILNS1_3genE8ELNS1_11target_archE1030ELNS1_3gpuE2ELNS1_3repE0EEENS1_30default_config_static_selectorELNS0_4arch9wavefront6targetE0EEEvT1_
                                        ; -- End function
	.set _ZN7rocprim17ROCPRIM_400000_NS6detail17trampoline_kernelINS0_14default_configENS1_20scan_config_selectorIN3c107complexIfEEEEZZNS1_9scan_implILNS1_25lookback_scan_determinismE0ELb0ELb0ES3_PKS7_PS7_S7_ZZZN2at6native31launch_logcumsumexp_cuda_kernelERKNSE_10TensorBaseESI_lENKUlvE_clEvENKUlvE2_clEvEUlS7_S7_E_S7_EEDaPvRmT3_T4_T5_mT6_P12ihipStream_tbENKUlT_T0_E_clISt17integral_constantIbLb0EESY_IbLb1EEEEDaSU_SV_EUlSU_E_NS1_11comp_targetILNS1_3genE8ELNS1_11target_archE1030ELNS1_3gpuE2ELNS1_3repE0EEENS1_30default_config_static_selectorELNS0_4arch9wavefront6targetE0EEEvT1_.num_vgpr, 0
	.set _ZN7rocprim17ROCPRIM_400000_NS6detail17trampoline_kernelINS0_14default_configENS1_20scan_config_selectorIN3c107complexIfEEEEZZNS1_9scan_implILNS1_25lookback_scan_determinismE0ELb0ELb0ES3_PKS7_PS7_S7_ZZZN2at6native31launch_logcumsumexp_cuda_kernelERKNSE_10TensorBaseESI_lENKUlvE_clEvENKUlvE2_clEvEUlS7_S7_E_S7_EEDaPvRmT3_T4_T5_mT6_P12ihipStream_tbENKUlT_T0_E_clISt17integral_constantIbLb0EESY_IbLb1EEEEDaSU_SV_EUlSU_E_NS1_11comp_targetILNS1_3genE8ELNS1_11target_archE1030ELNS1_3gpuE2ELNS1_3repE0EEENS1_30default_config_static_selectorELNS0_4arch9wavefront6targetE0EEEvT1_.num_agpr, 0
	.set _ZN7rocprim17ROCPRIM_400000_NS6detail17trampoline_kernelINS0_14default_configENS1_20scan_config_selectorIN3c107complexIfEEEEZZNS1_9scan_implILNS1_25lookback_scan_determinismE0ELb0ELb0ES3_PKS7_PS7_S7_ZZZN2at6native31launch_logcumsumexp_cuda_kernelERKNSE_10TensorBaseESI_lENKUlvE_clEvENKUlvE2_clEvEUlS7_S7_E_S7_EEDaPvRmT3_T4_T5_mT6_P12ihipStream_tbENKUlT_T0_E_clISt17integral_constantIbLb0EESY_IbLb1EEEEDaSU_SV_EUlSU_E_NS1_11comp_targetILNS1_3genE8ELNS1_11target_archE1030ELNS1_3gpuE2ELNS1_3repE0EEENS1_30default_config_static_selectorELNS0_4arch9wavefront6targetE0EEEvT1_.numbered_sgpr, 0
	.set _ZN7rocprim17ROCPRIM_400000_NS6detail17trampoline_kernelINS0_14default_configENS1_20scan_config_selectorIN3c107complexIfEEEEZZNS1_9scan_implILNS1_25lookback_scan_determinismE0ELb0ELb0ES3_PKS7_PS7_S7_ZZZN2at6native31launch_logcumsumexp_cuda_kernelERKNSE_10TensorBaseESI_lENKUlvE_clEvENKUlvE2_clEvEUlS7_S7_E_S7_EEDaPvRmT3_T4_T5_mT6_P12ihipStream_tbENKUlT_T0_E_clISt17integral_constantIbLb0EESY_IbLb1EEEEDaSU_SV_EUlSU_E_NS1_11comp_targetILNS1_3genE8ELNS1_11target_archE1030ELNS1_3gpuE2ELNS1_3repE0EEENS1_30default_config_static_selectorELNS0_4arch9wavefront6targetE0EEEvT1_.num_named_barrier, 0
	.set _ZN7rocprim17ROCPRIM_400000_NS6detail17trampoline_kernelINS0_14default_configENS1_20scan_config_selectorIN3c107complexIfEEEEZZNS1_9scan_implILNS1_25lookback_scan_determinismE0ELb0ELb0ES3_PKS7_PS7_S7_ZZZN2at6native31launch_logcumsumexp_cuda_kernelERKNSE_10TensorBaseESI_lENKUlvE_clEvENKUlvE2_clEvEUlS7_S7_E_S7_EEDaPvRmT3_T4_T5_mT6_P12ihipStream_tbENKUlT_T0_E_clISt17integral_constantIbLb0EESY_IbLb1EEEEDaSU_SV_EUlSU_E_NS1_11comp_targetILNS1_3genE8ELNS1_11target_archE1030ELNS1_3gpuE2ELNS1_3repE0EEENS1_30default_config_static_selectorELNS0_4arch9wavefront6targetE0EEEvT1_.private_seg_size, 0
	.set _ZN7rocprim17ROCPRIM_400000_NS6detail17trampoline_kernelINS0_14default_configENS1_20scan_config_selectorIN3c107complexIfEEEEZZNS1_9scan_implILNS1_25lookback_scan_determinismE0ELb0ELb0ES3_PKS7_PS7_S7_ZZZN2at6native31launch_logcumsumexp_cuda_kernelERKNSE_10TensorBaseESI_lENKUlvE_clEvENKUlvE2_clEvEUlS7_S7_E_S7_EEDaPvRmT3_T4_T5_mT6_P12ihipStream_tbENKUlT_T0_E_clISt17integral_constantIbLb0EESY_IbLb1EEEEDaSU_SV_EUlSU_E_NS1_11comp_targetILNS1_3genE8ELNS1_11target_archE1030ELNS1_3gpuE2ELNS1_3repE0EEENS1_30default_config_static_selectorELNS0_4arch9wavefront6targetE0EEEvT1_.uses_vcc, 0
	.set _ZN7rocprim17ROCPRIM_400000_NS6detail17trampoline_kernelINS0_14default_configENS1_20scan_config_selectorIN3c107complexIfEEEEZZNS1_9scan_implILNS1_25lookback_scan_determinismE0ELb0ELb0ES3_PKS7_PS7_S7_ZZZN2at6native31launch_logcumsumexp_cuda_kernelERKNSE_10TensorBaseESI_lENKUlvE_clEvENKUlvE2_clEvEUlS7_S7_E_S7_EEDaPvRmT3_T4_T5_mT6_P12ihipStream_tbENKUlT_T0_E_clISt17integral_constantIbLb0EESY_IbLb1EEEEDaSU_SV_EUlSU_E_NS1_11comp_targetILNS1_3genE8ELNS1_11target_archE1030ELNS1_3gpuE2ELNS1_3repE0EEENS1_30default_config_static_selectorELNS0_4arch9wavefront6targetE0EEEvT1_.uses_flat_scratch, 0
	.set _ZN7rocprim17ROCPRIM_400000_NS6detail17trampoline_kernelINS0_14default_configENS1_20scan_config_selectorIN3c107complexIfEEEEZZNS1_9scan_implILNS1_25lookback_scan_determinismE0ELb0ELb0ES3_PKS7_PS7_S7_ZZZN2at6native31launch_logcumsumexp_cuda_kernelERKNSE_10TensorBaseESI_lENKUlvE_clEvENKUlvE2_clEvEUlS7_S7_E_S7_EEDaPvRmT3_T4_T5_mT6_P12ihipStream_tbENKUlT_T0_E_clISt17integral_constantIbLb0EESY_IbLb1EEEEDaSU_SV_EUlSU_E_NS1_11comp_targetILNS1_3genE8ELNS1_11target_archE1030ELNS1_3gpuE2ELNS1_3repE0EEENS1_30default_config_static_selectorELNS0_4arch9wavefront6targetE0EEEvT1_.has_dyn_sized_stack, 0
	.set _ZN7rocprim17ROCPRIM_400000_NS6detail17trampoline_kernelINS0_14default_configENS1_20scan_config_selectorIN3c107complexIfEEEEZZNS1_9scan_implILNS1_25lookback_scan_determinismE0ELb0ELb0ES3_PKS7_PS7_S7_ZZZN2at6native31launch_logcumsumexp_cuda_kernelERKNSE_10TensorBaseESI_lENKUlvE_clEvENKUlvE2_clEvEUlS7_S7_E_S7_EEDaPvRmT3_T4_T5_mT6_P12ihipStream_tbENKUlT_T0_E_clISt17integral_constantIbLb0EESY_IbLb1EEEEDaSU_SV_EUlSU_E_NS1_11comp_targetILNS1_3genE8ELNS1_11target_archE1030ELNS1_3gpuE2ELNS1_3repE0EEENS1_30default_config_static_selectorELNS0_4arch9wavefront6targetE0EEEvT1_.has_recursion, 0
	.set _ZN7rocprim17ROCPRIM_400000_NS6detail17trampoline_kernelINS0_14default_configENS1_20scan_config_selectorIN3c107complexIfEEEEZZNS1_9scan_implILNS1_25lookback_scan_determinismE0ELb0ELb0ES3_PKS7_PS7_S7_ZZZN2at6native31launch_logcumsumexp_cuda_kernelERKNSE_10TensorBaseESI_lENKUlvE_clEvENKUlvE2_clEvEUlS7_S7_E_S7_EEDaPvRmT3_T4_T5_mT6_P12ihipStream_tbENKUlT_T0_E_clISt17integral_constantIbLb0EESY_IbLb1EEEEDaSU_SV_EUlSU_E_NS1_11comp_targetILNS1_3genE8ELNS1_11target_archE1030ELNS1_3gpuE2ELNS1_3repE0EEENS1_30default_config_static_selectorELNS0_4arch9wavefront6targetE0EEEvT1_.has_indirect_call, 0
	.section	.AMDGPU.csdata,"",@progbits
; Kernel info:
; codeLenInByte = 0
; TotalNumSgprs: 0
; NumVgprs: 0
; ScratchSize: 0
; MemoryBound: 0
; FloatMode: 240
; IeeeMode: 1
; LDSByteSize: 0 bytes/workgroup (compile time only)
; SGPRBlocks: 0
; VGPRBlocks: 0
; NumSGPRsForWavesPerEU: 1
; NumVGPRsForWavesPerEU: 1
; Occupancy: 16
; WaveLimiterHint : 0
; COMPUTE_PGM_RSRC2:SCRATCH_EN: 0
; COMPUTE_PGM_RSRC2:USER_SGPR: 2
; COMPUTE_PGM_RSRC2:TRAP_HANDLER: 0
; COMPUTE_PGM_RSRC2:TGID_X_EN: 1
; COMPUTE_PGM_RSRC2:TGID_Y_EN: 0
; COMPUTE_PGM_RSRC2:TGID_Z_EN: 0
; COMPUTE_PGM_RSRC2:TIDIG_COMP_CNT: 0
	.section	.text._ZN7rocprim17ROCPRIM_400000_NS6detail17trampoline_kernelINS0_14default_configENS1_20scan_config_selectorIN3c107complexIfEEEEZZNS1_9scan_implILNS1_25lookback_scan_determinismE0ELb0ELb0ES3_PKS7_PS7_S7_ZZZN2at6native31launch_logcumsumexp_cuda_kernelERKNSE_10TensorBaseESI_lENKUlvE_clEvENKUlvE2_clEvEUlS7_S7_E_S7_EEDaPvRmT3_T4_T5_mT6_P12ihipStream_tbENKUlT_T0_E_clISt17integral_constantIbLb0EESY_IbLb1EEEEDaSU_SV_EUlSU_E0_NS1_11comp_targetILNS1_3genE0ELNS1_11target_archE4294967295ELNS1_3gpuE0ELNS1_3repE0EEENS1_30default_config_static_selectorELNS0_4arch9wavefront6targetE0EEEvT1_,"axG",@progbits,_ZN7rocprim17ROCPRIM_400000_NS6detail17trampoline_kernelINS0_14default_configENS1_20scan_config_selectorIN3c107complexIfEEEEZZNS1_9scan_implILNS1_25lookback_scan_determinismE0ELb0ELb0ES3_PKS7_PS7_S7_ZZZN2at6native31launch_logcumsumexp_cuda_kernelERKNSE_10TensorBaseESI_lENKUlvE_clEvENKUlvE2_clEvEUlS7_S7_E_S7_EEDaPvRmT3_T4_T5_mT6_P12ihipStream_tbENKUlT_T0_E_clISt17integral_constantIbLb0EESY_IbLb1EEEEDaSU_SV_EUlSU_E0_NS1_11comp_targetILNS1_3genE0ELNS1_11target_archE4294967295ELNS1_3gpuE0ELNS1_3repE0EEENS1_30default_config_static_selectorELNS0_4arch9wavefront6targetE0EEEvT1_,comdat
	.globl	_ZN7rocprim17ROCPRIM_400000_NS6detail17trampoline_kernelINS0_14default_configENS1_20scan_config_selectorIN3c107complexIfEEEEZZNS1_9scan_implILNS1_25lookback_scan_determinismE0ELb0ELb0ES3_PKS7_PS7_S7_ZZZN2at6native31launch_logcumsumexp_cuda_kernelERKNSE_10TensorBaseESI_lENKUlvE_clEvENKUlvE2_clEvEUlS7_S7_E_S7_EEDaPvRmT3_T4_T5_mT6_P12ihipStream_tbENKUlT_T0_E_clISt17integral_constantIbLb0EESY_IbLb1EEEEDaSU_SV_EUlSU_E0_NS1_11comp_targetILNS1_3genE0ELNS1_11target_archE4294967295ELNS1_3gpuE0ELNS1_3repE0EEENS1_30default_config_static_selectorELNS0_4arch9wavefront6targetE0EEEvT1_ ; -- Begin function _ZN7rocprim17ROCPRIM_400000_NS6detail17trampoline_kernelINS0_14default_configENS1_20scan_config_selectorIN3c107complexIfEEEEZZNS1_9scan_implILNS1_25lookback_scan_determinismE0ELb0ELb0ES3_PKS7_PS7_S7_ZZZN2at6native31launch_logcumsumexp_cuda_kernelERKNSE_10TensorBaseESI_lENKUlvE_clEvENKUlvE2_clEvEUlS7_S7_E_S7_EEDaPvRmT3_T4_T5_mT6_P12ihipStream_tbENKUlT_T0_E_clISt17integral_constantIbLb0EESY_IbLb1EEEEDaSU_SV_EUlSU_E0_NS1_11comp_targetILNS1_3genE0ELNS1_11target_archE4294967295ELNS1_3gpuE0ELNS1_3repE0EEENS1_30default_config_static_selectorELNS0_4arch9wavefront6targetE0EEEvT1_
	.p2align	8
	.type	_ZN7rocprim17ROCPRIM_400000_NS6detail17trampoline_kernelINS0_14default_configENS1_20scan_config_selectorIN3c107complexIfEEEEZZNS1_9scan_implILNS1_25lookback_scan_determinismE0ELb0ELb0ES3_PKS7_PS7_S7_ZZZN2at6native31launch_logcumsumexp_cuda_kernelERKNSE_10TensorBaseESI_lENKUlvE_clEvENKUlvE2_clEvEUlS7_S7_E_S7_EEDaPvRmT3_T4_T5_mT6_P12ihipStream_tbENKUlT_T0_E_clISt17integral_constantIbLb0EESY_IbLb1EEEEDaSU_SV_EUlSU_E0_NS1_11comp_targetILNS1_3genE0ELNS1_11target_archE4294967295ELNS1_3gpuE0ELNS1_3repE0EEENS1_30default_config_static_selectorELNS0_4arch9wavefront6targetE0EEEvT1_,@function
_ZN7rocprim17ROCPRIM_400000_NS6detail17trampoline_kernelINS0_14default_configENS1_20scan_config_selectorIN3c107complexIfEEEEZZNS1_9scan_implILNS1_25lookback_scan_determinismE0ELb0ELb0ES3_PKS7_PS7_S7_ZZZN2at6native31launch_logcumsumexp_cuda_kernelERKNSE_10TensorBaseESI_lENKUlvE_clEvENKUlvE2_clEvEUlS7_S7_E_S7_EEDaPvRmT3_T4_T5_mT6_P12ihipStream_tbENKUlT_T0_E_clISt17integral_constantIbLb0EESY_IbLb1EEEEDaSU_SV_EUlSU_E0_NS1_11comp_targetILNS1_3genE0ELNS1_11target_archE4294967295ELNS1_3gpuE0ELNS1_3repE0EEENS1_30default_config_static_selectorELNS0_4arch9wavefront6targetE0EEEvT1_: ; @_ZN7rocprim17ROCPRIM_400000_NS6detail17trampoline_kernelINS0_14default_configENS1_20scan_config_selectorIN3c107complexIfEEEEZZNS1_9scan_implILNS1_25lookback_scan_determinismE0ELb0ELb0ES3_PKS7_PS7_S7_ZZZN2at6native31launch_logcumsumexp_cuda_kernelERKNSE_10TensorBaseESI_lENKUlvE_clEvENKUlvE2_clEvEUlS7_S7_E_S7_EEDaPvRmT3_T4_T5_mT6_P12ihipStream_tbENKUlT_T0_E_clISt17integral_constantIbLb0EESY_IbLb1EEEEDaSU_SV_EUlSU_E0_NS1_11comp_targetILNS1_3genE0ELNS1_11target_archE4294967295ELNS1_3gpuE0ELNS1_3repE0EEENS1_30default_config_static_selectorELNS0_4arch9wavefront6targetE0EEEvT1_
; %bb.0:
	.section	.rodata,"a",@progbits
	.p2align	6, 0x0
	.amdhsa_kernel _ZN7rocprim17ROCPRIM_400000_NS6detail17trampoline_kernelINS0_14default_configENS1_20scan_config_selectorIN3c107complexIfEEEEZZNS1_9scan_implILNS1_25lookback_scan_determinismE0ELb0ELb0ES3_PKS7_PS7_S7_ZZZN2at6native31launch_logcumsumexp_cuda_kernelERKNSE_10TensorBaseESI_lENKUlvE_clEvENKUlvE2_clEvEUlS7_S7_E_S7_EEDaPvRmT3_T4_T5_mT6_P12ihipStream_tbENKUlT_T0_E_clISt17integral_constantIbLb0EESY_IbLb1EEEEDaSU_SV_EUlSU_E0_NS1_11comp_targetILNS1_3genE0ELNS1_11target_archE4294967295ELNS1_3gpuE0ELNS1_3repE0EEENS1_30default_config_static_selectorELNS0_4arch9wavefront6targetE0EEEvT1_
		.amdhsa_group_segment_fixed_size 0
		.amdhsa_private_segment_fixed_size 0
		.amdhsa_kernarg_size 40
		.amdhsa_user_sgpr_count 2
		.amdhsa_user_sgpr_dispatch_ptr 0
		.amdhsa_user_sgpr_queue_ptr 0
		.amdhsa_user_sgpr_kernarg_segment_ptr 1
		.amdhsa_user_sgpr_dispatch_id 0
		.amdhsa_user_sgpr_private_segment_size 0
		.amdhsa_wavefront_size32 1
		.amdhsa_uses_dynamic_stack 0
		.amdhsa_enable_private_segment 0
		.amdhsa_system_sgpr_workgroup_id_x 1
		.amdhsa_system_sgpr_workgroup_id_y 0
		.amdhsa_system_sgpr_workgroup_id_z 0
		.amdhsa_system_sgpr_workgroup_info 0
		.amdhsa_system_vgpr_workitem_id 0
		.amdhsa_next_free_vgpr 1
		.amdhsa_next_free_sgpr 1
		.amdhsa_reserve_vcc 0
		.amdhsa_float_round_mode_32 0
		.amdhsa_float_round_mode_16_64 0
		.amdhsa_float_denorm_mode_32 3
		.amdhsa_float_denorm_mode_16_64 3
		.amdhsa_fp16_overflow 0
		.amdhsa_workgroup_processor_mode 1
		.amdhsa_memory_ordered 1
		.amdhsa_forward_progress 1
		.amdhsa_inst_pref_size 0
		.amdhsa_round_robin_scheduling 0
		.amdhsa_exception_fp_ieee_invalid_op 0
		.amdhsa_exception_fp_denorm_src 0
		.amdhsa_exception_fp_ieee_div_zero 0
		.amdhsa_exception_fp_ieee_overflow 0
		.amdhsa_exception_fp_ieee_underflow 0
		.amdhsa_exception_fp_ieee_inexact 0
		.amdhsa_exception_int_div_zero 0
	.end_amdhsa_kernel
	.section	.text._ZN7rocprim17ROCPRIM_400000_NS6detail17trampoline_kernelINS0_14default_configENS1_20scan_config_selectorIN3c107complexIfEEEEZZNS1_9scan_implILNS1_25lookback_scan_determinismE0ELb0ELb0ES3_PKS7_PS7_S7_ZZZN2at6native31launch_logcumsumexp_cuda_kernelERKNSE_10TensorBaseESI_lENKUlvE_clEvENKUlvE2_clEvEUlS7_S7_E_S7_EEDaPvRmT3_T4_T5_mT6_P12ihipStream_tbENKUlT_T0_E_clISt17integral_constantIbLb0EESY_IbLb1EEEEDaSU_SV_EUlSU_E0_NS1_11comp_targetILNS1_3genE0ELNS1_11target_archE4294967295ELNS1_3gpuE0ELNS1_3repE0EEENS1_30default_config_static_selectorELNS0_4arch9wavefront6targetE0EEEvT1_,"axG",@progbits,_ZN7rocprim17ROCPRIM_400000_NS6detail17trampoline_kernelINS0_14default_configENS1_20scan_config_selectorIN3c107complexIfEEEEZZNS1_9scan_implILNS1_25lookback_scan_determinismE0ELb0ELb0ES3_PKS7_PS7_S7_ZZZN2at6native31launch_logcumsumexp_cuda_kernelERKNSE_10TensorBaseESI_lENKUlvE_clEvENKUlvE2_clEvEUlS7_S7_E_S7_EEDaPvRmT3_T4_T5_mT6_P12ihipStream_tbENKUlT_T0_E_clISt17integral_constantIbLb0EESY_IbLb1EEEEDaSU_SV_EUlSU_E0_NS1_11comp_targetILNS1_3genE0ELNS1_11target_archE4294967295ELNS1_3gpuE0ELNS1_3repE0EEENS1_30default_config_static_selectorELNS0_4arch9wavefront6targetE0EEEvT1_,comdat
.Lfunc_end338:
	.size	_ZN7rocprim17ROCPRIM_400000_NS6detail17trampoline_kernelINS0_14default_configENS1_20scan_config_selectorIN3c107complexIfEEEEZZNS1_9scan_implILNS1_25lookback_scan_determinismE0ELb0ELb0ES3_PKS7_PS7_S7_ZZZN2at6native31launch_logcumsumexp_cuda_kernelERKNSE_10TensorBaseESI_lENKUlvE_clEvENKUlvE2_clEvEUlS7_S7_E_S7_EEDaPvRmT3_T4_T5_mT6_P12ihipStream_tbENKUlT_T0_E_clISt17integral_constantIbLb0EESY_IbLb1EEEEDaSU_SV_EUlSU_E0_NS1_11comp_targetILNS1_3genE0ELNS1_11target_archE4294967295ELNS1_3gpuE0ELNS1_3repE0EEENS1_30default_config_static_selectorELNS0_4arch9wavefront6targetE0EEEvT1_, .Lfunc_end338-_ZN7rocprim17ROCPRIM_400000_NS6detail17trampoline_kernelINS0_14default_configENS1_20scan_config_selectorIN3c107complexIfEEEEZZNS1_9scan_implILNS1_25lookback_scan_determinismE0ELb0ELb0ES3_PKS7_PS7_S7_ZZZN2at6native31launch_logcumsumexp_cuda_kernelERKNSE_10TensorBaseESI_lENKUlvE_clEvENKUlvE2_clEvEUlS7_S7_E_S7_EEDaPvRmT3_T4_T5_mT6_P12ihipStream_tbENKUlT_T0_E_clISt17integral_constantIbLb0EESY_IbLb1EEEEDaSU_SV_EUlSU_E0_NS1_11comp_targetILNS1_3genE0ELNS1_11target_archE4294967295ELNS1_3gpuE0ELNS1_3repE0EEENS1_30default_config_static_selectorELNS0_4arch9wavefront6targetE0EEEvT1_
                                        ; -- End function
	.set _ZN7rocprim17ROCPRIM_400000_NS6detail17trampoline_kernelINS0_14default_configENS1_20scan_config_selectorIN3c107complexIfEEEEZZNS1_9scan_implILNS1_25lookback_scan_determinismE0ELb0ELb0ES3_PKS7_PS7_S7_ZZZN2at6native31launch_logcumsumexp_cuda_kernelERKNSE_10TensorBaseESI_lENKUlvE_clEvENKUlvE2_clEvEUlS7_S7_E_S7_EEDaPvRmT3_T4_T5_mT6_P12ihipStream_tbENKUlT_T0_E_clISt17integral_constantIbLb0EESY_IbLb1EEEEDaSU_SV_EUlSU_E0_NS1_11comp_targetILNS1_3genE0ELNS1_11target_archE4294967295ELNS1_3gpuE0ELNS1_3repE0EEENS1_30default_config_static_selectorELNS0_4arch9wavefront6targetE0EEEvT1_.num_vgpr, 0
	.set _ZN7rocprim17ROCPRIM_400000_NS6detail17trampoline_kernelINS0_14default_configENS1_20scan_config_selectorIN3c107complexIfEEEEZZNS1_9scan_implILNS1_25lookback_scan_determinismE0ELb0ELb0ES3_PKS7_PS7_S7_ZZZN2at6native31launch_logcumsumexp_cuda_kernelERKNSE_10TensorBaseESI_lENKUlvE_clEvENKUlvE2_clEvEUlS7_S7_E_S7_EEDaPvRmT3_T4_T5_mT6_P12ihipStream_tbENKUlT_T0_E_clISt17integral_constantIbLb0EESY_IbLb1EEEEDaSU_SV_EUlSU_E0_NS1_11comp_targetILNS1_3genE0ELNS1_11target_archE4294967295ELNS1_3gpuE0ELNS1_3repE0EEENS1_30default_config_static_selectorELNS0_4arch9wavefront6targetE0EEEvT1_.num_agpr, 0
	.set _ZN7rocprim17ROCPRIM_400000_NS6detail17trampoline_kernelINS0_14default_configENS1_20scan_config_selectorIN3c107complexIfEEEEZZNS1_9scan_implILNS1_25lookback_scan_determinismE0ELb0ELb0ES3_PKS7_PS7_S7_ZZZN2at6native31launch_logcumsumexp_cuda_kernelERKNSE_10TensorBaseESI_lENKUlvE_clEvENKUlvE2_clEvEUlS7_S7_E_S7_EEDaPvRmT3_T4_T5_mT6_P12ihipStream_tbENKUlT_T0_E_clISt17integral_constantIbLb0EESY_IbLb1EEEEDaSU_SV_EUlSU_E0_NS1_11comp_targetILNS1_3genE0ELNS1_11target_archE4294967295ELNS1_3gpuE0ELNS1_3repE0EEENS1_30default_config_static_selectorELNS0_4arch9wavefront6targetE0EEEvT1_.numbered_sgpr, 0
	.set _ZN7rocprim17ROCPRIM_400000_NS6detail17trampoline_kernelINS0_14default_configENS1_20scan_config_selectorIN3c107complexIfEEEEZZNS1_9scan_implILNS1_25lookback_scan_determinismE0ELb0ELb0ES3_PKS7_PS7_S7_ZZZN2at6native31launch_logcumsumexp_cuda_kernelERKNSE_10TensorBaseESI_lENKUlvE_clEvENKUlvE2_clEvEUlS7_S7_E_S7_EEDaPvRmT3_T4_T5_mT6_P12ihipStream_tbENKUlT_T0_E_clISt17integral_constantIbLb0EESY_IbLb1EEEEDaSU_SV_EUlSU_E0_NS1_11comp_targetILNS1_3genE0ELNS1_11target_archE4294967295ELNS1_3gpuE0ELNS1_3repE0EEENS1_30default_config_static_selectorELNS0_4arch9wavefront6targetE0EEEvT1_.num_named_barrier, 0
	.set _ZN7rocprim17ROCPRIM_400000_NS6detail17trampoline_kernelINS0_14default_configENS1_20scan_config_selectorIN3c107complexIfEEEEZZNS1_9scan_implILNS1_25lookback_scan_determinismE0ELb0ELb0ES3_PKS7_PS7_S7_ZZZN2at6native31launch_logcumsumexp_cuda_kernelERKNSE_10TensorBaseESI_lENKUlvE_clEvENKUlvE2_clEvEUlS7_S7_E_S7_EEDaPvRmT3_T4_T5_mT6_P12ihipStream_tbENKUlT_T0_E_clISt17integral_constantIbLb0EESY_IbLb1EEEEDaSU_SV_EUlSU_E0_NS1_11comp_targetILNS1_3genE0ELNS1_11target_archE4294967295ELNS1_3gpuE0ELNS1_3repE0EEENS1_30default_config_static_selectorELNS0_4arch9wavefront6targetE0EEEvT1_.private_seg_size, 0
	.set _ZN7rocprim17ROCPRIM_400000_NS6detail17trampoline_kernelINS0_14default_configENS1_20scan_config_selectorIN3c107complexIfEEEEZZNS1_9scan_implILNS1_25lookback_scan_determinismE0ELb0ELb0ES3_PKS7_PS7_S7_ZZZN2at6native31launch_logcumsumexp_cuda_kernelERKNSE_10TensorBaseESI_lENKUlvE_clEvENKUlvE2_clEvEUlS7_S7_E_S7_EEDaPvRmT3_T4_T5_mT6_P12ihipStream_tbENKUlT_T0_E_clISt17integral_constantIbLb0EESY_IbLb1EEEEDaSU_SV_EUlSU_E0_NS1_11comp_targetILNS1_3genE0ELNS1_11target_archE4294967295ELNS1_3gpuE0ELNS1_3repE0EEENS1_30default_config_static_selectorELNS0_4arch9wavefront6targetE0EEEvT1_.uses_vcc, 0
	.set _ZN7rocprim17ROCPRIM_400000_NS6detail17trampoline_kernelINS0_14default_configENS1_20scan_config_selectorIN3c107complexIfEEEEZZNS1_9scan_implILNS1_25lookback_scan_determinismE0ELb0ELb0ES3_PKS7_PS7_S7_ZZZN2at6native31launch_logcumsumexp_cuda_kernelERKNSE_10TensorBaseESI_lENKUlvE_clEvENKUlvE2_clEvEUlS7_S7_E_S7_EEDaPvRmT3_T4_T5_mT6_P12ihipStream_tbENKUlT_T0_E_clISt17integral_constantIbLb0EESY_IbLb1EEEEDaSU_SV_EUlSU_E0_NS1_11comp_targetILNS1_3genE0ELNS1_11target_archE4294967295ELNS1_3gpuE0ELNS1_3repE0EEENS1_30default_config_static_selectorELNS0_4arch9wavefront6targetE0EEEvT1_.uses_flat_scratch, 0
	.set _ZN7rocprim17ROCPRIM_400000_NS6detail17trampoline_kernelINS0_14default_configENS1_20scan_config_selectorIN3c107complexIfEEEEZZNS1_9scan_implILNS1_25lookback_scan_determinismE0ELb0ELb0ES3_PKS7_PS7_S7_ZZZN2at6native31launch_logcumsumexp_cuda_kernelERKNSE_10TensorBaseESI_lENKUlvE_clEvENKUlvE2_clEvEUlS7_S7_E_S7_EEDaPvRmT3_T4_T5_mT6_P12ihipStream_tbENKUlT_T0_E_clISt17integral_constantIbLb0EESY_IbLb1EEEEDaSU_SV_EUlSU_E0_NS1_11comp_targetILNS1_3genE0ELNS1_11target_archE4294967295ELNS1_3gpuE0ELNS1_3repE0EEENS1_30default_config_static_selectorELNS0_4arch9wavefront6targetE0EEEvT1_.has_dyn_sized_stack, 0
	.set _ZN7rocprim17ROCPRIM_400000_NS6detail17trampoline_kernelINS0_14default_configENS1_20scan_config_selectorIN3c107complexIfEEEEZZNS1_9scan_implILNS1_25lookback_scan_determinismE0ELb0ELb0ES3_PKS7_PS7_S7_ZZZN2at6native31launch_logcumsumexp_cuda_kernelERKNSE_10TensorBaseESI_lENKUlvE_clEvENKUlvE2_clEvEUlS7_S7_E_S7_EEDaPvRmT3_T4_T5_mT6_P12ihipStream_tbENKUlT_T0_E_clISt17integral_constantIbLb0EESY_IbLb1EEEEDaSU_SV_EUlSU_E0_NS1_11comp_targetILNS1_3genE0ELNS1_11target_archE4294967295ELNS1_3gpuE0ELNS1_3repE0EEENS1_30default_config_static_selectorELNS0_4arch9wavefront6targetE0EEEvT1_.has_recursion, 0
	.set _ZN7rocprim17ROCPRIM_400000_NS6detail17trampoline_kernelINS0_14default_configENS1_20scan_config_selectorIN3c107complexIfEEEEZZNS1_9scan_implILNS1_25lookback_scan_determinismE0ELb0ELb0ES3_PKS7_PS7_S7_ZZZN2at6native31launch_logcumsumexp_cuda_kernelERKNSE_10TensorBaseESI_lENKUlvE_clEvENKUlvE2_clEvEUlS7_S7_E_S7_EEDaPvRmT3_T4_T5_mT6_P12ihipStream_tbENKUlT_T0_E_clISt17integral_constantIbLb0EESY_IbLb1EEEEDaSU_SV_EUlSU_E0_NS1_11comp_targetILNS1_3genE0ELNS1_11target_archE4294967295ELNS1_3gpuE0ELNS1_3repE0EEENS1_30default_config_static_selectorELNS0_4arch9wavefront6targetE0EEEvT1_.has_indirect_call, 0
	.section	.AMDGPU.csdata,"",@progbits
; Kernel info:
; codeLenInByte = 0
; TotalNumSgprs: 0
; NumVgprs: 0
; ScratchSize: 0
; MemoryBound: 0
; FloatMode: 240
; IeeeMode: 1
; LDSByteSize: 0 bytes/workgroup (compile time only)
; SGPRBlocks: 0
; VGPRBlocks: 0
; NumSGPRsForWavesPerEU: 1
; NumVGPRsForWavesPerEU: 1
; Occupancy: 16
; WaveLimiterHint : 0
; COMPUTE_PGM_RSRC2:SCRATCH_EN: 0
; COMPUTE_PGM_RSRC2:USER_SGPR: 2
; COMPUTE_PGM_RSRC2:TRAP_HANDLER: 0
; COMPUTE_PGM_RSRC2:TGID_X_EN: 1
; COMPUTE_PGM_RSRC2:TGID_Y_EN: 0
; COMPUTE_PGM_RSRC2:TGID_Z_EN: 0
; COMPUTE_PGM_RSRC2:TIDIG_COMP_CNT: 0
	.section	.text._ZN7rocprim17ROCPRIM_400000_NS6detail17trampoline_kernelINS0_14default_configENS1_20scan_config_selectorIN3c107complexIfEEEEZZNS1_9scan_implILNS1_25lookback_scan_determinismE0ELb0ELb0ES3_PKS7_PS7_S7_ZZZN2at6native31launch_logcumsumexp_cuda_kernelERKNSE_10TensorBaseESI_lENKUlvE_clEvENKUlvE2_clEvEUlS7_S7_E_S7_EEDaPvRmT3_T4_T5_mT6_P12ihipStream_tbENKUlT_T0_E_clISt17integral_constantIbLb0EESY_IbLb1EEEEDaSU_SV_EUlSU_E0_NS1_11comp_targetILNS1_3genE5ELNS1_11target_archE942ELNS1_3gpuE9ELNS1_3repE0EEENS1_30default_config_static_selectorELNS0_4arch9wavefront6targetE0EEEvT1_,"axG",@progbits,_ZN7rocprim17ROCPRIM_400000_NS6detail17trampoline_kernelINS0_14default_configENS1_20scan_config_selectorIN3c107complexIfEEEEZZNS1_9scan_implILNS1_25lookback_scan_determinismE0ELb0ELb0ES3_PKS7_PS7_S7_ZZZN2at6native31launch_logcumsumexp_cuda_kernelERKNSE_10TensorBaseESI_lENKUlvE_clEvENKUlvE2_clEvEUlS7_S7_E_S7_EEDaPvRmT3_T4_T5_mT6_P12ihipStream_tbENKUlT_T0_E_clISt17integral_constantIbLb0EESY_IbLb1EEEEDaSU_SV_EUlSU_E0_NS1_11comp_targetILNS1_3genE5ELNS1_11target_archE942ELNS1_3gpuE9ELNS1_3repE0EEENS1_30default_config_static_selectorELNS0_4arch9wavefront6targetE0EEEvT1_,comdat
	.globl	_ZN7rocprim17ROCPRIM_400000_NS6detail17trampoline_kernelINS0_14default_configENS1_20scan_config_selectorIN3c107complexIfEEEEZZNS1_9scan_implILNS1_25lookback_scan_determinismE0ELb0ELb0ES3_PKS7_PS7_S7_ZZZN2at6native31launch_logcumsumexp_cuda_kernelERKNSE_10TensorBaseESI_lENKUlvE_clEvENKUlvE2_clEvEUlS7_S7_E_S7_EEDaPvRmT3_T4_T5_mT6_P12ihipStream_tbENKUlT_T0_E_clISt17integral_constantIbLb0EESY_IbLb1EEEEDaSU_SV_EUlSU_E0_NS1_11comp_targetILNS1_3genE5ELNS1_11target_archE942ELNS1_3gpuE9ELNS1_3repE0EEENS1_30default_config_static_selectorELNS0_4arch9wavefront6targetE0EEEvT1_ ; -- Begin function _ZN7rocprim17ROCPRIM_400000_NS6detail17trampoline_kernelINS0_14default_configENS1_20scan_config_selectorIN3c107complexIfEEEEZZNS1_9scan_implILNS1_25lookback_scan_determinismE0ELb0ELb0ES3_PKS7_PS7_S7_ZZZN2at6native31launch_logcumsumexp_cuda_kernelERKNSE_10TensorBaseESI_lENKUlvE_clEvENKUlvE2_clEvEUlS7_S7_E_S7_EEDaPvRmT3_T4_T5_mT6_P12ihipStream_tbENKUlT_T0_E_clISt17integral_constantIbLb0EESY_IbLb1EEEEDaSU_SV_EUlSU_E0_NS1_11comp_targetILNS1_3genE5ELNS1_11target_archE942ELNS1_3gpuE9ELNS1_3repE0EEENS1_30default_config_static_selectorELNS0_4arch9wavefront6targetE0EEEvT1_
	.p2align	8
	.type	_ZN7rocprim17ROCPRIM_400000_NS6detail17trampoline_kernelINS0_14default_configENS1_20scan_config_selectorIN3c107complexIfEEEEZZNS1_9scan_implILNS1_25lookback_scan_determinismE0ELb0ELb0ES3_PKS7_PS7_S7_ZZZN2at6native31launch_logcumsumexp_cuda_kernelERKNSE_10TensorBaseESI_lENKUlvE_clEvENKUlvE2_clEvEUlS7_S7_E_S7_EEDaPvRmT3_T4_T5_mT6_P12ihipStream_tbENKUlT_T0_E_clISt17integral_constantIbLb0EESY_IbLb1EEEEDaSU_SV_EUlSU_E0_NS1_11comp_targetILNS1_3genE5ELNS1_11target_archE942ELNS1_3gpuE9ELNS1_3repE0EEENS1_30default_config_static_selectorELNS0_4arch9wavefront6targetE0EEEvT1_,@function
_ZN7rocprim17ROCPRIM_400000_NS6detail17trampoline_kernelINS0_14default_configENS1_20scan_config_selectorIN3c107complexIfEEEEZZNS1_9scan_implILNS1_25lookback_scan_determinismE0ELb0ELb0ES3_PKS7_PS7_S7_ZZZN2at6native31launch_logcumsumexp_cuda_kernelERKNSE_10TensorBaseESI_lENKUlvE_clEvENKUlvE2_clEvEUlS7_S7_E_S7_EEDaPvRmT3_T4_T5_mT6_P12ihipStream_tbENKUlT_T0_E_clISt17integral_constantIbLb0EESY_IbLb1EEEEDaSU_SV_EUlSU_E0_NS1_11comp_targetILNS1_3genE5ELNS1_11target_archE942ELNS1_3gpuE9ELNS1_3repE0EEENS1_30default_config_static_selectorELNS0_4arch9wavefront6targetE0EEEvT1_: ; @_ZN7rocprim17ROCPRIM_400000_NS6detail17trampoline_kernelINS0_14default_configENS1_20scan_config_selectorIN3c107complexIfEEEEZZNS1_9scan_implILNS1_25lookback_scan_determinismE0ELb0ELb0ES3_PKS7_PS7_S7_ZZZN2at6native31launch_logcumsumexp_cuda_kernelERKNSE_10TensorBaseESI_lENKUlvE_clEvENKUlvE2_clEvEUlS7_S7_E_S7_EEDaPvRmT3_T4_T5_mT6_P12ihipStream_tbENKUlT_T0_E_clISt17integral_constantIbLb0EESY_IbLb1EEEEDaSU_SV_EUlSU_E0_NS1_11comp_targetILNS1_3genE5ELNS1_11target_archE942ELNS1_3gpuE9ELNS1_3repE0EEENS1_30default_config_static_selectorELNS0_4arch9wavefront6targetE0EEEvT1_
; %bb.0:
	.section	.rodata,"a",@progbits
	.p2align	6, 0x0
	.amdhsa_kernel _ZN7rocprim17ROCPRIM_400000_NS6detail17trampoline_kernelINS0_14default_configENS1_20scan_config_selectorIN3c107complexIfEEEEZZNS1_9scan_implILNS1_25lookback_scan_determinismE0ELb0ELb0ES3_PKS7_PS7_S7_ZZZN2at6native31launch_logcumsumexp_cuda_kernelERKNSE_10TensorBaseESI_lENKUlvE_clEvENKUlvE2_clEvEUlS7_S7_E_S7_EEDaPvRmT3_T4_T5_mT6_P12ihipStream_tbENKUlT_T0_E_clISt17integral_constantIbLb0EESY_IbLb1EEEEDaSU_SV_EUlSU_E0_NS1_11comp_targetILNS1_3genE5ELNS1_11target_archE942ELNS1_3gpuE9ELNS1_3repE0EEENS1_30default_config_static_selectorELNS0_4arch9wavefront6targetE0EEEvT1_
		.amdhsa_group_segment_fixed_size 0
		.amdhsa_private_segment_fixed_size 0
		.amdhsa_kernarg_size 40
		.amdhsa_user_sgpr_count 2
		.amdhsa_user_sgpr_dispatch_ptr 0
		.amdhsa_user_sgpr_queue_ptr 0
		.amdhsa_user_sgpr_kernarg_segment_ptr 1
		.amdhsa_user_sgpr_dispatch_id 0
		.amdhsa_user_sgpr_private_segment_size 0
		.amdhsa_wavefront_size32 1
		.amdhsa_uses_dynamic_stack 0
		.amdhsa_enable_private_segment 0
		.amdhsa_system_sgpr_workgroup_id_x 1
		.amdhsa_system_sgpr_workgroup_id_y 0
		.amdhsa_system_sgpr_workgroup_id_z 0
		.amdhsa_system_sgpr_workgroup_info 0
		.amdhsa_system_vgpr_workitem_id 0
		.amdhsa_next_free_vgpr 1
		.amdhsa_next_free_sgpr 1
		.amdhsa_reserve_vcc 0
		.amdhsa_float_round_mode_32 0
		.amdhsa_float_round_mode_16_64 0
		.amdhsa_float_denorm_mode_32 3
		.amdhsa_float_denorm_mode_16_64 3
		.amdhsa_fp16_overflow 0
		.amdhsa_workgroup_processor_mode 1
		.amdhsa_memory_ordered 1
		.amdhsa_forward_progress 1
		.amdhsa_inst_pref_size 0
		.amdhsa_round_robin_scheduling 0
		.amdhsa_exception_fp_ieee_invalid_op 0
		.amdhsa_exception_fp_denorm_src 0
		.amdhsa_exception_fp_ieee_div_zero 0
		.amdhsa_exception_fp_ieee_overflow 0
		.amdhsa_exception_fp_ieee_underflow 0
		.amdhsa_exception_fp_ieee_inexact 0
		.amdhsa_exception_int_div_zero 0
	.end_amdhsa_kernel
	.section	.text._ZN7rocprim17ROCPRIM_400000_NS6detail17trampoline_kernelINS0_14default_configENS1_20scan_config_selectorIN3c107complexIfEEEEZZNS1_9scan_implILNS1_25lookback_scan_determinismE0ELb0ELb0ES3_PKS7_PS7_S7_ZZZN2at6native31launch_logcumsumexp_cuda_kernelERKNSE_10TensorBaseESI_lENKUlvE_clEvENKUlvE2_clEvEUlS7_S7_E_S7_EEDaPvRmT3_T4_T5_mT6_P12ihipStream_tbENKUlT_T0_E_clISt17integral_constantIbLb0EESY_IbLb1EEEEDaSU_SV_EUlSU_E0_NS1_11comp_targetILNS1_3genE5ELNS1_11target_archE942ELNS1_3gpuE9ELNS1_3repE0EEENS1_30default_config_static_selectorELNS0_4arch9wavefront6targetE0EEEvT1_,"axG",@progbits,_ZN7rocprim17ROCPRIM_400000_NS6detail17trampoline_kernelINS0_14default_configENS1_20scan_config_selectorIN3c107complexIfEEEEZZNS1_9scan_implILNS1_25lookback_scan_determinismE0ELb0ELb0ES3_PKS7_PS7_S7_ZZZN2at6native31launch_logcumsumexp_cuda_kernelERKNSE_10TensorBaseESI_lENKUlvE_clEvENKUlvE2_clEvEUlS7_S7_E_S7_EEDaPvRmT3_T4_T5_mT6_P12ihipStream_tbENKUlT_T0_E_clISt17integral_constantIbLb0EESY_IbLb1EEEEDaSU_SV_EUlSU_E0_NS1_11comp_targetILNS1_3genE5ELNS1_11target_archE942ELNS1_3gpuE9ELNS1_3repE0EEENS1_30default_config_static_selectorELNS0_4arch9wavefront6targetE0EEEvT1_,comdat
.Lfunc_end339:
	.size	_ZN7rocprim17ROCPRIM_400000_NS6detail17trampoline_kernelINS0_14default_configENS1_20scan_config_selectorIN3c107complexIfEEEEZZNS1_9scan_implILNS1_25lookback_scan_determinismE0ELb0ELb0ES3_PKS7_PS7_S7_ZZZN2at6native31launch_logcumsumexp_cuda_kernelERKNSE_10TensorBaseESI_lENKUlvE_clEvENKUlvE2_clEvEUlS7_S7_E_S7_EEDaPvRmT3_T4_T5_mT6_P12ihipStream_tbENKUlT_T0_E_clISt17integral_constantIbLb0EESY_IbLb1EEEEDaSU_SV_EUlSU_E0_NS1_11comp_targetILNS1_3genE5ELNS1_11target_archE942ELNS1_3gpuE9ELNS1_3repE0EEENS1_30default_config_static_selectorELNS0_4arch9wavefront6targetE0EEEvT1_, .Lfunc_end339-_ZN7rocprim17ROCPRIM_400000_NS6detail17trampoline_kernelINS0_14default_configENS1_20scan_config_selectorIN3c107complexIfEEEEZZNS1_9scan_implILNS1_25lookback_scan_determinismE0ELb0ELb0ES3_PKS7_PS7_S7_ZZZN2at6native31launch_logcumsumexp_cuda_kernelERKNSE_10TensorBaseESI_lENKUlvE_clEvENKUlvE2_clEvEUlS7_S7_E_S7_EEDaPvRmT3_T4_T5_mT6_P12ihipStream_tbENKUlT_T0_E_clISt17integral_constantIbLb0EESY_IbLb1EEEEDaSU_SV_EUlSU_E0_NS1_11comp_targetILNS1_3genE5ELNS1_11target_archE942ELNS1_3gpuE9ELNS1_3repE0EEENS1_30default_config_static_selectorELNS0_4arch9wavefront6targetE0EEEvT1_
                                        ; -- End function
	.set _ZN7rocprim17ROCPRIM_400000_NS6detail17trampoline_kernelINS0_14default_configENS1_20scan_config_selectorIN3c107complexIfEEEEZZNS1_9scan_implILNS1_25lookback_scan_determinismE0ELb0ELb0ES3_PKS7_PS7_S7_ZZZN2at6native31launch_logcumsumexp_cuda_kernelERKNSE_10TensorBaseESI_lENKUlvE_clEvENKUlvE2_clEvEUlS7_S7_E_S7_EEDaPvRmT3_T4_T5_mT6_P12ihipStream_tbENKUlT_T0_E_clISt17integral_constantIbLb0EESY_IbLb1EEEEDaSU_SV_EUlSU_E0_NS1_11comp_targetILNS1_3genE5ELNS1_11target_archE942ELNS1_3gpuE9ELNS1_3repE0EEENS1_30default_config_static_selectorELNS0_4arch9wavefront6targetE0EEEvT1_.num_vgpr, 0
	.set _ZN7rocprim17ROCPRIM_400000_NS6detail17trampoline_kernelINS0_14default_configENS1_20scan_config_selectorIN3c107complexIfEEEEZZNS1_9scan_implILNS1_25lookback_scan_determinismE0ELb0ELb0ES3_PKS7_PS7_S7_ZZZN2at6native31launch_logcumsumexp_cuda_kernelERKNSE_10TensorBaseESI_lENKUlvE_clEvENKUlvE2_clEvEUlS7_S7_E_S7_EEDaPvRmT3_T4_T5_mT6_P12ihipStream_tbENKUlT_T0_E_clISt17integral_constantIbLb0EESY_IbLb1EEEEDaSU_SV_EUlSU_E0_NS1_11comp_targetILNS1_3genE5ELNS1_11target_archE942ELNS1_3gpuE9ELNS1_3repE0EEENS1_30default_config_static_selectorELNS0_4arch9wavefront6targetE0EEEvT1_.num_agpr, 0
	.set _ZN7rocprim17ROCPRIM_400000_NS6detail17trampoline_kernelINS0_14default_configENS1_20scan_config_selectorIN3c107complexIfEEEEZZNS1_9scan_implILNS1_25lookback_scan_determinismE0ELb0ELb0ES3_PKS7_PS7_S7_ZZZN2at6native31launch_logcumsumexp_cuda_kernelERKNSE_10TensorBaseESI_lENKUlvE_clEvENKUlvE2_clEvEUlS7_S7_E_S7_EEDaPvRmT3_T4_T5_mT6_P12ihipStream_tbENKUlT_T0_E_clISt17integral_constantIbLb0EESY_IbLb1EEEEDaSU_SV_EUlSU_E0_NS1_11comp_targetILNS1_3genE5ELNS1_11target_archE942ELNS1_3gpuE9ELNS1_3repE0EEENS1_30default_config_static_selectorELNS0_4arch9wavefront6targetE0EEEvT1_.numbered_sgpr, 0
	.set _ZN7rocprim17ROCPRIM_400000_NS6detail17trampoline_kernelINS0_14default_configENS1_20scan_config_selectorIN3c107complexIfEEEEZZNS1_9scan_implILNS1_25lookback_scan_determinismE0ELb0ELb0ES3_PKS7_PS7_S7_ZZZN2at6native31launch_logcumsumexp_cuda_kernelERKNSE_10TensorBaseESI_lENKUlvE_clEvENKUlvE2_clEvEUlS7_S7_E_S7_EEDaPvRmT3_T4_T5_mT6_P12ihipStream_tbENKUlT_T0_E_clISt17integral_constantIbLb0EESY_IbLb1EEEEDaSU_SV_EUlSU_E0_NS1_11comp_targetILNS1_3genE5ELNS1_11target_archE942ELNS1_3gpuE9ELNS1_3repE0EEENS1_30default_config_static_selectorELNS0_4arch9wavefront6targetE0EEEvT1_.num_named_barrier, 0
	.set _ZN7rocprim17ROCPRIM_400000_NS6detail17trampoline_kernelINS0_14default_configENS1_20scan_config_selectorIN3c107complexIfEEEEZZNS1_9scan_implILNS1_25lookback_scan_determinismE0ELb0ELb0ES3_PKS7_PS7_S7_ZZZN2at6native31launch_logcumsumexp_cuda_kernelERKNSE_10TensorBaseESI_lENKUlvE_clEvENKUlvE2_clEvEUlS7_S7_E_S7_EEDaPvRmT3_T4_T5_mT6_P12ihipStream_tbENKUlT_T0_E_clISt17integral_constantIbLb0EESY_IbLb1EEEEDaSU_SV_EUlSU_E0_NS1_11comp_targetILNS1_3genE5ELNS1_11target_archE942ELNS1_3gpuE9ELNS1_3repE0EEENS1_30default_config_static_selectorELNS0_4arch9wavefront6targetE0EEEvT1_.private_seg_size, 0
	.set _ZN7rocprim17ROCPRIM_400000_NS6detail17trampoline_kernelINS0_14default_configENS1_20scan_config_selectorIN3c107complexIfEEEEZZNS1_9scan_implILNS1_25lookback_scan_determinismE0ELb0ELb0ES3_PKS7_PS7_S7_ZZZN2at6native31launch_logcumsumexp_cuda_kernelERKNSE_10TensorBaseESI_lENKUlvE_clEvENKUlvE2_clEvEUlS7_S7_E_S7_EEDaPvRmT3_T4_T5_mT6_P12ihipStream_tbENKUlT_T0_E_clISt17integral_constantIbLb0EESY_IbLb1EEEEDaSU_SV_EUlSU_E0_NS1_11comp_targetILNS1_3genE5ELNS1_11target_archE942ELNS1_3gpuE9ELNS1_3repE0EEENS1_30default_config_static_selectorELNS0_4arch9wavefront6targetE0EEEvT1_.uses_vcc, 0
	.set _ZN7rocprim17ROCPRIM_400000_NS6detail17trampoline_kernelINS0_14default_configENS1_20scan_config_selectorIN3c107complexIfEEEEZZNS1_9scan_implILNS1_25lookback_scan_determinismE0ELb0ELb0ES3_PKS7_PS7_S7_ZZZN2at6native31launch_logcumsumexp_cuda_kernelERKNSE_10TensorBaseESI_lENKUlvE_clEvENKUlvE2_clEvEUlS7_S7_E_S7_EEDaPvRmT3_T4_T5_mT6_P12ihipStream_tbENKUlT_T0_E_clISt17integral_constantIbLb0EESY_IbLb1EEEEDaSU_SV_EUlSU_E0_NS1_11comp_targetILNS1_3genE5ELNS1_11target_archE942ELNS1_3gpuE9ELNS1_3repE0EEENS1_30default_config_static_selectorELNS0_4arch9wavefront6targetE0EEEvT1_.uses_flat_scratch, 0
	.set _ZN7rocprim17ROCPRIM_400000_NS6detail17trampoline_kernelINS0_14default_configENS1_20scan_config_selectorIN3c107complexIfEEEEZZNS1_9scan_implILNS1_25lookback_scan_determinismE0ELb0ELb0ES3_PKS7_PS7_S7_ZZZN2at6native31launch_logcumsumexp_cuda_kernelERKNSE_10TensorBaseESI_lENKUlvE_clEvENKUlvE2_clEvEUlS7_S7_E_S7_EEDaPvRmT3_T4_T5_mT6_P12ihipStream_tbENKUlT_T0_E_clISt17integral_constantIbLb0EESY_IbLb1EEEEDaSU_SV_EUlSU_E0_NS1_11comp_targetILNS1_3genE5ELNS1_11target_archE942ELNS1_3gpuE9ELNS1_3repE0EEENS1_30default_config_static_selectorELNS0_4arch9wavefront6targetE0EEEvT1_.has_dyn_sized_stack, 0
	.set _ZN7rocprim17ROCPRIM_400000_NS6detail17trampoline_kernelINS0_14default_configENS1_20scan_config_selectorIN3c107complexIfEEEEZZNS1_9scan_implILNS1_25lookback_scan_determinismE0ELb0ELb0ES3_PKS7_PS7_S7_ZZZN2at6native31launch_logcumsumexp_cuda_kernelERKNSE_10TensorBaseESI_lENKUlvE_clEvENKUlvE2_clEvEUlS7_S7_E_S7_EEDaPvRmT3_T4_T5_mT6_P12ihipStream_tbENKUlT_T0_E_clISt17integral_constantIbLb0EESY_IbLb1EEEEDaSU_SV_EUlSU_E0_NS1_11comp_targetILNS1_3genE5ELNS1_11target_archE942ELNS1_3gpuE9ELNS1_3repE0EEENS1_30default_config_static_selectorELNS0_4arch9wavefront6targetE0EEEvT1_.has_recursion, 0
	.set _ZN7rocprim17ROCPRIM_400000_NS6detail17trampoline_kernelINS0_14default_configENS1_20scan_config_selectorIN3c107complexIfEEEEZZNS1_9scan_implILNS1_25lookback_scan_determinismE0ELb0ELb0ES3_PKS7_PS7_S7_ZZZN2at6native31launch_logcumsumexp_cuda_kernelERKNSE_10TensorBaseESI_lENKUlvE_clEvENKUlvE2_clEvEUlS7_S7_E_S7_EEDaPvRmT3_T4_T5_mT6_P12ihipStream_tbENKUlT_T0_E_clISt17integral_constantIbLb0EESY_IbLb1EEEEDaSU_SV_EUlSU_E0_NS1_11comp_targetILNS1_3genE5ELNS1_11target_archE942ELNS1_3gpuE9ELNS1_3repE0EEENS1_30default_config_static_selectorELNS0_4arch9wavefront6targetE0EEEvT1_.has_indirect_call, 0
	.section	.AMDGPU.csdata,"",@progbits
; Kernel info:
; codeLenInByte = 0
; TotalNumSgprs: 0
; NumVgprs: 0
; ScratchSize: 0
; MemoryBound: 0
; FloatMode: 240
; IeeeMode: 1
; LDSByteSize: 0 bytes/workgroup (compile time only)
; SGPRBlocks: 0
; VGPRBlocks: 0
; NumSGPRsForWavesPerEU: 1
; NumVGPRsForWavesPerEU: 1
; Occupancy: 16
; WaveLimiterHint : 0
; COMPUTE_PGM_RSRC2:SCRATCH_EN: 0
; COMPUTE_PGM_RSRC2:USER_SGPR: 2
; COMPUTE_PGM_RSRC2:TRAP_HANDLER: 0
; COMPUTE_PGM_RSRC2:TGID_X_EN: 1
; COMPUTE_PGM_RSRC2:TGID_Y_EN: 0
; COMPUTE_PGM_RSRC2:TGID_Z_EN: 0
; COMPUTE_PGM_RSRC2:TIDIG_COMP_CNT: 0
	.section	.text._ZN7rocprim17ROCPRIM_400000_NS6detail17trampoline_kernelINS0_14default_configENS1_20scan_config_selectorIN3c107complexIfEEEEZZNS1_9scan_implILNS1_25lookback_scan_determinismE0ELb0ELb0ES3_PKS7_PS7_S7_ZZZN2at6native31launch_logcumsumexp_cuda_kernelERKNSE_10TensorBaseESI_lENKUlvE_clEvENKUlvE2_clEvEUlS7_S7_E_S7_EEDaPvRmT3_T4_T5_mT6_P12ihipStream_tbENKUlT_T0_E_clISt17integral_constantIbLb0EESY_IbLb1EEEEDaSU_SV_EUlSU_E0_NS1_11comp_targetILNS1_3genE4ELNS1_11target_archE910ELNS1_3gpuE8ELNS1_3repE0EEENS1_30default_config_static_selectorELNS0_4arch9wavefront6targetE0EEEvT1_,"axG",@progbits,_ZN7rocprim17ROCPRIM_400000_NS6detail17trampoline_kernelINS0_14default_configENS1_20scan_config_selectorIN3c107complexIfEEEEZZNS1_9scan_implILNS1_25lookback_scan_determinismE0ELb0ELb0ES3_PKS7_PS7_S7_ZZZN2at6native31launch_logcumsumexp_cuda_kernelERKNSE_10TensorBaseESI_lENKUlvE_clEvENKUlvE2_clEvEUlS7_S7_E_S7_EEDaPvRmT3_T4_T5_mT6_P12ihipStream_tbENKUlT_T0_E_clISt17integral_constantIbLb0EESY_IbLb1EEEEDaSU_SV_EUlSU_E0_NS1_11comp_targetILNS1_3genE4ELNS1_11target_archE910ELNS1_3gpuE8ELNS1_3repE0EEENS1_30default_config_static_selectorELNS0_4arch9wavefront6targetE0EEEvT1_,comdat
	.globl	_ZN7rocprim17ROCPRIM_400000_NS6detail17trampoline_kernelINS0_14default_configENS1_20scan_config_selectorIN3c107complexIfEEEEZZNS1_9scan_implILNS1_25lookback_scan_determinismE0ELb0ELb0ES3_PKS7_PS7_S7_ZZZN2at6native31launch_logcumsumexp_cuda_kernelERKNSE_10TensorBaseESI_lENKUlvE_clEvENKUlvE2_clEvEUlS7_S7_E_S7_EEDaPvRmT3_T4_T5_mT6_P12ihipStream_tbENKUlT_T0_E_clISt17integral_constantIbLb0EESY_IbLb1EEEEDaSU_SV_EUlSU_E0_NS1_11comp_targetILNS1_3genE4ELNS1_11target_archE910ELNS1_3gpuE8ELNS1_3repE0EEENS1_30default_config_static_selectorELNS0_4arch9wavefront6targetE0EEEvT1_ ; -- Begin function _ZN7rocprim17ROCPRIM_400000_NS6detail17trampoline_kernelINS0_14default_configENS1_20scan_config_selectorIN3c107complexIfEEEEZZNS1_9scan_implILNS1_25lookback_scan_determinismE0ELb0ELb0ES3_PKS7_PS7_S7_ZZZN2at6native31launch_logcumsumexp_cuda_kernelERKNSE_10TensorBaseESI_lENKUlvE_clEvENKUlvE2_clEvEUlS7_S7_E_S7_EEDaPvRmT3_T4_T5_mT6_P12ihipStream_tbENKUlT_T0_E_clISt17integral_constantIbLb0EESY_IbLb1EEEEDaSU_SV_EUlSU_E0_NS1_11comp_targetILNS1_3genE4ELNS1_11target_archE910ELNS1_3gpuE8ELNS1_3repE0EEENS1_30default_config_static_selectorELNS0_4arch9wavefront6targetE0EEEvT1_
	.p2align	8
	.type	_ZN7rocprim17ROCPRIM_400000_NS6detail17trampoline_kernelINS0_14default_configENS1_20scan_config_selectorIN3c107complexIfEEEEZZNS1_9scan_implILNS1_25lookback_scan_determinismE0ELb0ELb0ES3_PKS7_PS7_S7_ZZZN2at6native31launch_logcumsumexp_cuda_kernelERKNSE_10TensorBaseESI_lENKUlvE_clEvENKUlvE2_clEvEUlS7_S7_E_S7_EEDaPvRmT3_T4_T5_mT6_P12ihipStream_tbENKUlT_T0_E_clISt17integral_constantIbLb0EESY_IbLb1EEEEDaSU_SV_EUlSU_E0_NS1_11comp_targetILNS1_3genE4ELNS1_11target_archE910ELNS1_3gpuE8ELNS1_3repE0EEENS1_30default_config_static_selectorELNS0_4arch9wavefront6targetE0EEEvT1_,@function
_ZN7rocprim17ROCPRIM_400000_NS6detail17trampoline_kernelINS0_14default_configENS1_20scan_config_selectorIN3c107complexIfEEEEZZNS1_9scan_implILNS1_25lookback_scan_determinismE0ELb0ELb0ES3_PKS7_PS7_S7_ZZZN2at6native31launch_logcumsumexp_cuda_kernelERKNSE_10TensorBaseESI_lENKUlvE_clEvENKUlvE2_clEvEUlS7_S7_E_S7_EEDaPvRmT3_T4_T5_mT6_P12ihipStream_tbENKUlT_T0_E_clISt17integral_constantIbLb0EESY_IbLb1EEEEDaSU_SV_EUlSU_E0_NS1_11comp_targetILNS1_3genE4ELNS1_11target_archE910ELNS1_3gpuE8ELNS1_3repE0EEENS1_30default_config_static_selectorELNS0_4arch9wavefront6targetE0EEEvT1_: ; @_ZN7rocprim17ROCPRIM_400000_NS6detail17trampoline_kernelINS0_14default_configENS1_20scan_config_selectorIN3c107complexIfEEEEZZNS1_9scan_implILNS1_25lookback_scan_determinismE0ELb0ELb0ES3_PKS7_PS7_S7_ZZZN2at6native31launch_logcumsumexp_cuda_kernelERKNSE_10TensorBaseESI_lENKUlvE_clEvENKUlvE2_clEvEUlS7_S7_E_S7_EEDaPvRmT3_T4_T5_mT6_P12ihipStream_tbENKUlT_T0_E_clISt17integral_constantIbLb0EESY_IbLb1EEEEDaSU_SV_EUlSU_E0_NS1_11comp_targetILNS1_3genE4ELNS1_11target_archE910ELNS1_3gpuE8ELNS1_3repE0EEENS1_30default_config_static_selectorELNS0_4arch9wavefront6targetE0EEEvT1_
; %bb.0:
	.section	.rodata,"a",@progbits
	.p2align	6, 0x0
	.amdhsa_kernel _ZN7rocprim17ROCPRIM_400000_NS6detail17trampoline_kernelINS0_14default_configENS1_20scan_config_selectorIN3c107complexIfEEEEZZNS1_9scan_implILNS1_25lookback_scan_determinismE0ELb0ELb0ES3_PKS7_PS7_S7_ZZZN2at6native31launch_logcumsumexp_cuda_kernelERKNSE_10TensorBaseESI_lENKUlvE_clEvENKUlvE2_clEvEUlS7_S7_E_S7_EEDaPvRmT3_T4_T5_mT6_P12ihipStream_tbENKUlT_T0_E_clISt17integral_constantIbLb0EESY_IbLb1EEEEDaSU_SV_EUlSU_E0_NS1_11comp_targetILNS1_3genE4ELNS1_11target_archE910ELNS1_3gpuE8ELNS1_3repE0EEENS1_30default_config_static_selectorELNS0_4arch9wavefront6targetE0EEEvT1_
		.amdhsa_group_segment_fixed_size 0
		.amdhsa_private_segment_fixed_size 0
		.amdhsa_kernarg_size 40
		.amdhsa_user_sgpr_count 2
		.amdhsa_user_sgpr_dispatch_ptr 0
		.amdhsa_user_sgpr_queue_ptr 0
		.amdhsa_user_sgpr_kernarg_segment_ptr 1
		.amdhsa_user_sgpr_dispatch_id 0
		.amdhsa_user_sgpr_private_segment_size 0
		.amdhsa_wavefront_size32 1
		.amdhsa_uses_dynamic_stack 0
		.amdhsa_enable_private_segment 0
		.amdhsa_system_sgpr_workgroup_id_x 1
		.amdhsa_system_sgpr_workgroup_id_y 0
		.amdhsa_system_sgpr_workgroup_id_z 0
		.amdhsa_system_sgpr_workgroup_info 0
		.amdhsa_system_vgpr_workitem_id 0
		.amdhsa_next_free_vgpr 1
		.amdhsa_next_free_sgpr 1
		.amdhsa_reserve_vcc 0
		.amdhsa_float_round_mode_32 0
		.amdhsa_float_round_mode_16_64 0
		.amdhsa_float_denorm_mode_32 3
		.amdhsa_float_denorm_mode_16_64 3
		.amdhsa_fp16_overflow 0
		.amdhsa_workgroup_processor_mode 1
		.amdhsa_memory_ordered 1
		.amdhsa_forward_progress 1
		.amdhsa_inst_pref_size 0
		.amdhsa_round_robin_scheduling 0
		.amdhsa_exception_fp_ieee_invalid_op 0
		.amdhsa_exception_fp_denorm_src 0
		.amdhsa_exception_fp_ieee_div_zero 0
		.amdhsa_exception_fp_ieee_overflow 0
		.amdhsa_exception_fp_ieee_underflow 0
		.amdhsa_exception_fp_ieee_inexact 0
		.amdhsa_exception_int_div_zero 0
	.end_amdhsa_kernel
	.section	.text._ZN7rocprim17ROCPRIM_400000_NS6detail17trampoline_kernelINS0_14default_configENS1_20scan_config_selectorIN3c107complexIfEEEEZZNS1_9scan_implILNS1_25lookback_scan_determinismE0ELb0ELb0ES3_PKS7_PS7_S7_ZZZN2at6native31launch_logcumsumexp_cuda_kernelERKNSE_10TensorBaseESI_lENKUlvE_clEvENKUlvE2_clEvEUlS7_S7_E_S7_EEDaPvRmT3_T4_T5_mT6_P12ihipStream_tbENKUlT_T0_E_clISt17integral_constantIbLb0EESY_IbLb1EEEEDaSU_SV_EUlSU_E0_NS1_11comp_targetILNS1_3genE4ELNS1_11target_archE910ELNS1_3gpuE8ELNS1_3repE0EEENS1_30default_config_static_selectorELNS0_4arch9wavefront6targetE0EEEvT1_,"axG",@progbits,_ZN7rocprim17ROCPRIM_400000_NS6detail17trampoline_kernelINS0_14default_configENS1_20scan_config_selectorIN3c107complexIfEEEEZZNS1_9scan_implILNS1_25lookback_scan_determinismE0ELb0ELb0ES3_PKS7_PS7_S7_ZZZN2at6native31launch_logcumsumexp_cuda_kernelERKNSE_10TensorBaseESI_lENKUlvE_clEvENKUlvE2_clEvEUlS7_S7_E_S7_EEDaPvRmT3_T4_T5_mT6_P12ihipStream_tbENKUlT_T0_E_clISt17integral_constantIbLb0EESY_IbLb1EEEEDaSU_SV_EUlSU_E0_NS1_11comp_targetILNS1_3genE4ELNS1_11target_archE910ELNS1_3gpuE8ELNS1_3repE0EEENS1_30default_config_static_selectorELNS0_4arch9wavefront6targetE0EEEvT1_,comdat
.Lfunc_end340:
	.size	_ZN7rocprim17ROCPRIM_400000_NS6detail17trampoline_kernelINS0_14default_configENS1_20scan_config_selectorIN3c107complexIfEEEEZZNS1_9scan_implILNS1_25lookback_scan_determinismE0ELb0ELb0ES3_PKS7_PS7_S7_ZZZN2at6native31launch_logcumsumexp_cuda_kernelERKNSE_10TensorBaseESI_lENKUlvE_clEvENKUlvE2_clEvEUlS7_S7_E_S7_EEDaPvRmT3_T4_T5_mT6_P12ihipStream_tbENKUlT_T0_E_clISt17integral_constantIbLb0EESY_IbLb1EEEEDaSU_SV_EUlSU_E0_NS1_11comp_targetILNS1_3genE4ELNS1_11target_archE910ELNS1_3gpuE8ELNS1_3repE0EEENS1_30default_config_static_selectorELNS0_4arch9wavefront6targetE0EEEvT1_, .Lfunc_end340-_ZN7rocprim17ROCPRIM_400000_NS6detail17trampoline_kernelINS0_14default_configENS1_20scan_config_selectorIN3c107complexIfEEEEZZNS1_9scan_implILNS1_25lookback_scan_determinismE0ELb0ELb0ES3_PKS7_PS7_S7_ZZZN2at6native31launch_logcumsumexp_cuda_kernelERKNSE_10TensorBaseESI_lENKUlvE_clEvENKUlvE2_clEvEUlS7_S7_E_S7_EEDaPvRmT3_T4_T5_mT6_P12ihipStream_tbENKUlT_T0_E_clISt17integral_constantIbLb0EESY_IbLb1EEEEDaSU_SV_EUlSU_E0_NS1_11comp_targetILNS1_3genE4ELNS1_11target_archE910ELNS1_3gpuE8ELNS1_3repE0EEENS1_30default_config_static_selectorELNS0_4arch9wavefront6targetE0EEEvT1_
                                        ; -- End function
	.set _ZN7rocprim17ROCPRIM_400000_NS6detail17trampoline_kernelINS0_14default_configENS1_20scan_config_selectorIN3c107complexIfEEEEZZNS1_9scan_implILNS1_25lookback_scan_determinismE0ELb0ELb0ES3_PKS7_PS7_S7_ZZZN2at6native31launch_logcumsumexp_cuda_kernelERKNSE_10TensorBaseESI_lENKUlvE_clEvENKUlvE2_clEvEUlS7_S7_E_S7_EEDaPvRmT3_T4_T5_mT6_P12ihipStream_tbENKUlT_T0_E_clISt17integral_constantIbLb0EESY_IbLb1EEEEDaSU_SV_EUlSU_E0_NS1_11comp_targetILNS1_3genE4ELNS1_11target_archE910ELNS1_3gpuE8ELNS1_3repE0EEENS1_30default_config_static_selectorELNS0_4arch9wavefront6targetE0EEEvT1_.num_vgpr, 0
	.set _ZN7rocprim17ROCPRIM_400000_NS6detail17trampoline_kernelINS0_14default_configENS1_20scan_config_selectorIN3c107complexIfEEEEZZNS1_9scan_implILNS1_25lookback_scan_determinismE0ELb0ELb0ES3_PKS7_PS7_S7_ZZZN2at6native31launch_logcumsumexp_cuda_kernelERKNSE_10TensorBaseESI_lENKUlvE_clEvENKUlvE2_clEvEUlS7_S7_E_S7_EEDaPvRmT3_T4_T5_mT6_P12ihipStream_tbENKUlT_T0_E_clISt17integral_constantIbLb0EESY_IbLb1EEEEDaSU_SV_EUlSU_E0_NS1_11comp_targetILNS1_3genE4ELNS1_11target_archE910ELNS1_3gpuE8ELNS1_3repE0EEENS1_30default_config_static_selectorELNS0_4arch9wavefront6targetE0EEEvT1_.num_agpr, 0
	.set _ZN7rocprim17ROCPRIM_400000_NS6detail17trampoline_kernelINS0_14default_configENS1_20scan_config_selectorIN3c107complexIfEEEEZZNS1_9scan_implILNS1_25lookback_scan_determinismE0ELb0ELb0ES3_PKS7_PS7_S7_ZZZN2at6native31launch_logcumsumexp_cuda_kernelERKNSE_10TensorBaseESI_lENKUlvE_clEvENKUlvE2_clEvEUlS7_S7_E_S7_EEDaPvRmT3_T4_T5_mT6_P12ihipStream_tbENKUlT_T0_E_clISt17integral_constantIbLb0EESY_IbLb1EEEEDaSU_SV_EUlSU_E0_NS1_11comp_targetILNS1_3genE4ELNS1_11target_archE910ELNS1_3gpuE8ELNS1_3repE0EEENS1_30default_config_static_selectorELNS0_4arch9wavefront6targetE0EEEvT1_.numbered_sgpr, 0
	.set _ZN7rocprim17ROCPRIM_400000_NS6detail17trampoline_kernelINS0_14default_configENS1_20scan_config_selectorIN3c107complexIfEEEEZZNS1_9scan_implILNS1_25lookback_scan_determinismE0ELb0ELb0ES3_PKS7_PS7_S7_ZZZN2at6native31launch_logcumsumexp_cuda_kernelERKNSE_10TensorBaseESI_lENKUlvE_clEvENKUlvE2_clEvEUlS7_S7_E_S7_EEDaPvRmT3_T4_T5_mT6_P12ihipStream_tbENKUlT_T0_E_clISt17integral_constantIbLb0EESY_IbLb1EEEEDaSU_SV_EUlSU_E0_NS1_11comp_targetILNS1_3genE4ELNS1_11target_archE910ELNS1_3gpuE8ELNS1_3repE0EEENS1_30default_config_static_selectorELNS0_4arch9wavefront6targetE0EEEvT1_.num_named_barrier, 0
	.set _ZN7rocprim17ROCPRIM_400000_NS6detail17trampoline_kernelINS0_14default_configENS1_20scan_config_selectorIN3c107complexIfEEEEZZNS1_9scan_implILNS1_25lookback_scan_determinismE0ELb0ELb0ES3_PKS7_PS7_S7_ZZZN2at6native31launch_logcumsumexp_cuda_kernelERKNSE_10TensorBaseESI_lENKUlvE_clEvENKUlvE2_clEvEUlS7_S7_E_S7_EEDaPvRmT3_T4_T5_mT6_P12ihipStream_tbENKUlT_T0_E_clISt17integral_constantIbLb0EESY_IbLb1EEEEDaSU_SV_EUlSU_E0_NS1_11comp_targetILNS1_3genE4ELNS1_11target_archE910ELNS1_3gpuE8ELNS1_3repE0EEENS1_30default_config_static_selectorELNS0_4arch9wavefront6targetE0EEEvT1_.private_seg_size, 0
	.set _ZN7rocprim17ROCPRIM_400000_NS6detail17trampoline_kernelINS0_14default_configENS1_20scan_config_selectorIN3c107complexIfEEEEZZNS1_9scan_implILNS1_25lookback_scan_determinismE0ELb0ELb0ES3_PKS7_PS7_S7_ZZZN2at6native31launch_logcumsumexp_cuda_kernelERKNSE_10TensorBaseESI_lENKUlvE_clEvENKUlvE2_clEvEUlS7_S7_E_S7_EEDaPvRmT3_T4_T5_mT6_P12ihipStream_tbENKUlT_T0_E_clISt17integral_constantIbLb0EESY_IbLb1EEEEDaSU_SV_EUlSU_E0_NS1_11comp_targetILNS1_3genE4ELNS1_11target_archE910ELNS1_3gpuE8ELNS1_3repE0EEENS1_30default_config_static_selectorELNS0_4arch9wavefront6targetE0EEEvT1_.uses_vcc, 0
	.set _ZN7rocprim17ROCPRIM_400000_NS6detail17trampoline_kernelINS0_14default_configENS1_20scan_config_selectorIN3c107complexIfEEEEZZNS1_9scan_implILNS1_25lookback_scan_determinismE0ELb0ELb0ES3_PKS7_PS7_S7_ZZZN2at6native31launch_logcumsumexp_cuda_kernelERKNSE_10TensorBaseESI_lENKUlvE_clEvENKUlvE2_clEvEUlS7_S7_E_S7_EEDaPvRmT3_T4_T5_mT6_P12ihipStream_tbENKUlT_T0_E_clISt17integral_constantIbLb0EESY_IbLb1EEEEDaSU_SV_EUlSU_E0_NS1_11comp_targetILNS1_3genE4ELNS1_11target_archE910ELNS1_3gpuE8ELNS1_3repE0EEENS1_30default_config_static_selectorELNS0_4arch9wavefront6targetE0EEEvT1_.uses_flat_scratch, 0
	.set _ZN7rocprim17ROCPRIM_400000_NS6detail17trampoline_kernelINS0_14default_configENS1_20scan_config_selectorIN3c107complexIfEEEEZZNS1_9scan_implILNS1_25lookback_scan_determinismE0ELb0ELb0ES3_PKS7_PS7_S7_ZZZN2at6native31launch_logcumsumexp_cuda_kernelERKNSE_10TensorBaseESI_lENKUlvE_clEvENKUlvE2_clEvEUlS7_S7_E_S7_EEDaPvRmT3_T4_T5_mT6_P12ihipStream_tbENKUlT_T0_E_clISt17integral_constantIbLb0EESY_IbLb1EEEEDaSU_SV_EUlSU_E0_NS1_11comp_targetILNS1_3genE4ELNS1_11target_archE910ELNS1_3gpuE8ELNS1_3repE0EEENS1_30default_config_static_selectorELNS0_4arch9wavefront6targetE0EEEvT1_.has_dyn_sized_stack, 0
	.set _ZN7rocprim17ROCPRIM_400000_NS6detail17trampoline_kernelINS0_14default_configENS1_20scan_config_selectorIN3c107complexIfEEEEZZNS1_9scan_implILNS1_25lookback_scan_determinismE0ELb0ELb0ES3_PKS7_PS7_S7_ZZZN2at6native31launch_logcumsumexp_cuda_kernelERKNSE_10TensorBaseESI_lENKUlvE_clEvENKUlvE2_clEvEUlS7_S7_E_S7_EEDaPvRmT3_T4_T5_mT6_P12ihipStream_tbENKUlT_T0_E_clISt17integral_constantIbLb0EESY_IbLb1EEEEDaSU_SV_EUlSU_E0_NS1_11comp_targetILNS1_3genE4ELNS1_11target_archE910ELNS1_3gpuE8ELNS1_3repE0EEENS1_30default_config_static_selectorELNS0_4arch9wavefront6targetE0EEEvT1_.has_recursion, 0
	.set _ZN7rocprim17ROCPRIM_400000_NS6detail17trampoline_kernelINS0_14default_configENS1_20scan_config_selectorIN3c107complexIfEEEEZZNS1_9scan_implILNS1_25lookback_scan_determinismE0ELb0ELb0ES3_PKS7_PS7_S7_ZZZN2at6native31launch_logcumsumexp_cuda_kernelERKNSE_10TensorBaseESI_lENKUlvE_clEvENKUlvE2_clEvEUlS7_S7_E_S7_EEDaPvRmT3_T4_T5_mT6_P12ihipStream_tbENKUlT_T0_E_clISt17integral_constantIbLb0EESY_IbLb1EEEEDaSU_SV_EUlSU_E0_NS1_11comp_targetILNS1_3genE4ELNS1_11target_archE910ELNS1_3gpuE8ELNS1_3repE0EEENS1_30default_config_static_selectorELNS0_4arch9wavefront6targetE0EEEvT1_.has_indirect_call, 0
	.section	.AMDGPU.csdata,"",@progbits
; Kernel info:
; codeLenInByte = 0
; TotalNumSgprs: 0
; NumVgprs: 0
; ScratchSize: 0
; MemoryBound: 0
; FloatMode: 240
; IeeeMode: 1
; LDSByteSize: 0 bytes/workgroup (compile time only)
; SGPRBlocks: 0
; VGPRBlocks: 0
; NumSGPRsForWavesPerEU: 1
; NumVGPRsForWavesPerEU: 1
; Occupancy: 16
; WaveLimiterHint : 0
; COMPUTE_PGM_RSRC2:SCRATCH_EN: 0
; COMPUTE_PGM_RSRC2:USER_SGPR: 2
; COMPUTE_PGM_RSRC2:TRAP_HANDLER: 0
; COMPUTE_PGM_RSRC2:TGID_X_EN: 1
; COMPUTE_PGM_RSRC2:TGID_Y_EN: 0
; COMPUTE_PGM_RSRC2:TGID_Z_EN: 0
; COMPUTE_PGM_RSRC2:TIDIG_COMP_CNT: 0
	.section	.text._ZN7rocprim17ROCPRIM_400000_NS6detail17trampoline_kernelINS0_14default_configENS1_20scan_config_selectorIN3c107complexIfEEEEZZNS1_9scan_implILNS1_25lookback_scan_determinismE0ELb0ELb0ES3_PKS7_PS7_S7_ZZZN2at6native31launch_logcumsumexp_cuda_kernelERKNSE_10TensorBaseESI_lENKUlvE_clEvENKUlvE2_clEvEUlS7_S7_E_S7_EEDaPvRmT3_T4_T5_mT6_P12ihipStream_tbENKUlT_T0_E_clISt17integral_constantIbLb0EESY_IbLb1EEEEDaSU_SV_EUlSU_E0_NS1_11comp_targetILNS1_3genE3ELNS1_11target_archE908ELNS1_3gpuE7ELNS1_3repE0EEENS1_30default_config_static_selectorELNS0_4arch9wavefront6targetE0EEEvT1_,"axG",@progbits,_ZN7rocprim17ROCPRIM_400000_NS6detail17trampoline_kernelINS0_14default_configENS1_20scan_config_selectorIN3c107complexIfEEEEZZNS1_9scan_implILNS1_25lookback_scan_determinismE0ELb0ELb0ES3_PKS7_PS7_S7_ZZZN2at6native31launch_logcumsumexp_cuda_kernelERKNSE_10TensorBaseESI_lENKUlvE_clEvENKUlvE2_clEvEUlS7_S7_E_S7_EEDaPvRmT3_T4_T5_mT6_P12ihipStream_tbENKUlT_T0_E_clISt17integral_constantIbLb0EESY_IbLb1EEEEDaSU_SV_EUlSU_E0_NS1_11comp_targetILNS1_3genE3ELNS1_11target_archE908ELNS1_3gpuE7ELNS1_3repE0EEENS1_30default_config_static_selectorELNS0_4arch9wavefront6targetE0EEEvT1_,comdat
	.globl	_ZN7rocprim17ROCPRIM_400000_NS6detail17trampoline_kernelINS0_14default_configENS1_20scan_config_selectorIN3c107complexIfEEEEZZNS1_9scan_implILNS1_25lookback_scan_determinismE0ELb0ELb0ES3_PKS7_PS7_S7_ZZZN2at6native31launch_logcumsumexp_cuda_kernelERKNSE_10TensorBaseESI_lENKUlvE_clEvENKUlvE2_clEvEUlS7_S7_E_S7_EEDaPvRmT3_T4_T5_mT6_P12ihipStream_tbENKUlT_T0_E_clISt17integral_constantIbLb0EESY_IbLb1EEEEDaSU_SV_EUlSU_E0_NS1_11comp_targetILNS1_3genE3ELNS1_11target_archE908ELNS1_3gpuE7ELNS1_3repE0EEENS1_30default_config_static_selectorELNS0_4arch9wavefront6targetE0EEEvT1_ ; -- Begin function _ZN7rocprim17ROCPRIM_400000_NS6detail17trampoline_kernelINS0_14default_configENS1_20scan_config_selectorIN3c107complexIfEEEEZZNS1_9scan_implILNS1_25lookback_scan_determinismE0ELb0ELb0ES3_PKS7_PS7_S7_ZZZN2at6native31launch_logcumsumexp_cuda_kernelERKNSE_10TensorBaseESI_lENKUlvE_clEvENKUlvE2_clEvEUlS7_S7_E_S7_EEDaPvRmT3_T4_T5_mT6_P12ihipStream_tbENKUlT_T0_E_clISt17integral_constantIbLb0EESY_IbLb1EEEEDaSU_SV_EUlSU_E0_NS1_11comp_targetILNS1_3genE3ELNS1_11target_archE908ELNS1_3gpuE7ELNS1_3repE0EEENS1_30default_config_static_selectorELNS0_4arch9wavefront6targetE0EEEvT1_
	.p2align	8
	.type	_ZN7rocprim17ROCPRIM_400000_NS6detail17trampoline_kernelINS0_14default_configENS1_20scan_config_selectorIN3c107complexIfEEEEZZNS1_9scan_implILNS1_25lookback_scan_determinismE0ELb0ELb0ES3_PKS7_PS7_S7_ZZZN2at6native31launch_logcumsumexp_cuda_kernelERKNSE_10TensorBaseESI_lENKUlvE_clEvENKUlvE2_clEvEUlS7_S7_E_S7_EEDaPvRmT3_T4_T5_mT6_P12ihipStream_tbENKUlT_T0_E_clISt17integral_constantIbLb0EESY_IbLb1EEEEDaSU_SV_EUlSU_E0_NS1_11comp_targetILNS1_3genE3ELNS1_11target_archE908ELNS1_3gpuE7ELNS1_3repE0EEENS1_30default_config_static_selectorELNS0_4arch9wavefront6targetE0EEEvT1_,@function
_ZN7rocprim17ROCPRIM_400000_NS6detail17trampoline_kernelINS0_14default_configENS1_20scan_config_selectorIN3c107complexIfEEEEZZNS1_9scan_implILNS1_25lookback_scan_determinismE0ELb0ELb0ES3_PKS7_PS7_S7_ZZZN2at6native31launch_logcumsumexp_cuda_kernelERKNSE_10TensorBaseESI_lENKUlvE_clEvENKUlvE2_clEvEUlS7_S7_E_S7_EEDaPvRmT3_T4_T5_mT6_P12ihipStream_tbENKUlT_T0_E_clISt17integral_constantIbLb0EESY_IbLb1EEEEDaSU_SV_EUlSU_E0_NS1_11comp_targetILNS1_3genE3ELNS1_11target_archE908ELNS1_3gpuE7ELNS1_3repE0EEENS1_30default_config_static_selectorELNS0_4arch9wavefront6targetE0EEEvT1_: ; @_ZN7rocprim17ROCPRIM_400000_NS6detail17trampoline_kernelINS0_14default_configENS1_20scan_config_selectorIN3c107complexIfEEEEZZNS1_9scan_implILNS1_25lookback_scan_determinismE0ELb0ELb0ES3_PKS7_PS7_S7_ZZZN2at6native31launch_logcumsumexp_cuda_kernelERKNSE_10TensorBaseESI_lENKUlvE_clEvENKUlvE2_clEvEUlS7_S7_E_S7_EEDaPvRmT3_T4_T5_mT6_P12ihipStream_tbENKUlT_T0_E_clISt17integral_constantIbLb0EESY_IbLb1EEEEDaSU_SV_EUlSU_E0_NS1_11comp_targetILNS1_3genE3ELNS1_11target_archE908ELNS1_3gpuE7ELNS1_3repE0EEENS1_30default_config_static_selectorELNS0_4arch9wavefront6targetE0EEEvT1_
; %bb.0:
	.section	.rodata,"a",@progbits
	.p2align	6, 0x0
	.amdhsa_kernel _ZN7rocprim17ROCPRIM_400000_NS6detail17trampoline_kernelINS0_14default_configENS1_20scan_config_selectorIN3c107complexIfEEEEZZNS1_9scan_implILNS1_25lookback_scan_determinismE0ELb0ELb0ES3_PKS7_PS7_S7_ZZZN2at6native31launch_logcumsumexp_cuda_kernelERKNSE_10TensorBaseESI_lENKUlvE_clEvENKUlvE2_clEvEUlS7_S7_E_S7_EEDaPvRmT3_T4_T5_mT6_P12ihipStream_tbENKUlT_T0_E_clISt17integral_constantIbLb0EESY_IbLb1EEEEDaSU_SV_EUlSU_E0_NS1_11comp_targetILNS1_3genE3ELNS1_11target_archE908ELNS1_3gpuE7ELNS1_3repE0EEENS1_30default_config_static_selectorELNS0_4arch9wavefront6targetE0EEEvT1_
		.amdhsa_group_segment_fixed_size 0
		.amdhsa_private_segment_fixed_size 0
		.amdhsa_kernarg_size 40
		.amdhsa_user_sgpr_count 2
		.amdhsa_user_sgpr_dispatch_ptr 0
		.amdhsa_user_sgpr_queue_ptr 0
		.amdhsa_user_sgpr_kernarg_segment_ptr 1
		.amdhsa_user_sgpr_dispatch_id 0
		.amdhsa_user_sgpr_private_segment_size 0
		.amdhsa_wavefront_size32 1
		.amdhsa_uses_dynamic_stack 0
		.amdhsa_enable_private_segment 0
		.amdhsa_system_sgpr_workgroup_id_x 1
		.amdhsa_system_sgpr_workgroup_id_y 0
		.amdhsa_system_sgpr_workgroup_id_z 0
		.amdhsa_system_sgpr_workgroup_info 0
		.amdhsa_system_vgpr_workitem_id 0
		.amdhsa_next_free_vgpr 1
		.amdhsa_next_free_sgpr 1
		.amdhsa_reserve_vcc 0
		.amdhsa_float_round_mode_32 0
		.amdhsa_float_round_mode_16_64 0
		.amdhsa_float_denorm_mode_32 3
		.amdhsa_float_denorm_mode_16_64 3
		.amdhsa_fp16_overflow 0
		.amdhsa_workgroup_processor_mode 1
		.amdhsa_memory_ordered 1
		.amdhsa_forward_progress 1
		.amdhsa_inst_pref_size 0
		.amdhsa_round_robin_scheduling 0
		.amdhsa_exception_fp_ieee_invalid_op 0
		.amdhsa_exception_fp_denorm_src 0
		.amdhsa_exception_fp_ieee_div_zero 0
		.amdhsa_exception_fp_ieee_overflow 0
		.amdhsa_exception_fp_ieee_underflow 0
		.amdhsa_exception_fp_ieee_inexact 0
		.amdhsa_exception_int_div_zero 0
	.end_amdhsa_kernel
	.section	.text._ZN7rocprim17ROCPRIM_400000_NS6detail17trampoline_kernelINS0_14default_configENS1_20scan_config_selectorIN3c107complexIfEEEEZZNS1_9scan_implILNS1_25lookback_scan_determinismE0ELb0ELb0ES3_PKS7_PS7_S7_ZZZN2at6native31launch_logcumsumexp_cuda_kernelERKNSE_10TensorBaseESI_lENKUlvE_clEvENKUlvE2_clEvEUlS7_S7_E_S7_EEDaPvRmT3_T4_T5_mT6_P12ihipStream_tbENKUlT_T0_E_clISt17integral_constantIbLb0EESY_IbLb1EEEEDaSU_SV_EUlSU_E0_NS1_11comp_targetILNS1_3genE3ELNS1_11target_archE908ELNS1_3gpuE7ELNS1_3repE0EEENS1_30default_config_static_selectorELNS0_4arch9wavefront6targetE0EEEvT1_,"axG",@progbits,_ZN7rocprim17ROCPRIM_400000_NS6detail17trampoline_kernelINS0_14default_configENS1_20scan_config_selectorIN3c107complexIfEEEEZZNS1_9scan_implILNS1_25lookback_scan_determinismE0ELb0ELb0ES3_PKS7_PS7_S7_ZZZN2at6native31launch_logcumsumexp_cuda_kernelERKNSE_10TensorBaseESI_lENKUlvE_clEvENKUlvE2_clEvEUlS7_S7_E_S7_EEDaPvRmT3_T4_T5_mT6_P12ihipStream_tbENKUlT_T0_E_clISt17integral_constantIbLb0EESY_IbLb1EEEEDaSU_SV_EUlSU_E0_NS1_11comp_targetILNS1_3genE3ELNS1_11target_archE908ELNS1_3gpuE7ELNS1_3repE0EEENS1_30default_config_static_selectorELNS0_4arch9wavefront6targetE0EEEvT1_,comdat
.Lfunc_end341:
	.size	_ZN7rocprim17ROCPRIM_400000_NS6detail17trampoline_kernelINS0_14default_configENS1_20scan_config_selectorIN3c107complexIfEEEEZZNS1_9scan_implILNS1_25lookback_scan_determinismE0ELb0ELb0ES3_PKS7_PS7_S7_ZZZN2at6native31launch_logcumsumexp_cuda_kernelERKNSE_10TensorBaseESI_lENKUlvE_clEvENKUlvE2_clEvEUlS7_S7_E_S7_EEDaPvRmT3_T4_T5_mT6_P12ihipStream_tbENKUlT_T0_E_clISt17integral_constantIbLb0EESY_IbLb1EEEEDaSU_SV_EUlSU_E0_NS1_11comp_targetILNS1_3genE3ELNS1_11target_archE908ELNS1_3gpuE7ELNS1_3repE0EEENS1_30default_config_static_selectorELNS0_4arch9wavefront6targetE0EEEvT1_, .Lfunc_end341-_ZN7rocprim17ROCPRIM_400000_NS6detail17trampoline_kernelINS0_14default_configENS1_20scan_config_selectorIN3c107complexIfEEEEZZNS1_9scan_implILNS1_25lookback_scan_determinismE0ELb0ELb0ES3_PKS7_PS7_S7_ZZZN2at6native31launch_logcumsumexp_cuda_kernelERKNSE_10TensorBaseESI_lENKUlvE_clEvENKUlvE2_clEvEUlS7_S7_E_S7_EEDaPvRmT3_T4_T5_mT6_P12ihipStream_tbENKUlT_T0_E_clISt17integral_constantIbLb0EESY_IbLb1EEEEDaSU_SV_EUlSU_E0_NS1_11comp_targetILNS1_3genE3ELNS1_11target_archE908ELNS1_3gpuE7ELNS1_3repE0EEENS1_30default_config_static_selectorELNS0_4arch9wavefront6targetE0EEEvT1_
                                        ; -- End function
	.set _ZN7rocprim17ROCPRIM_400000_NS6detail17trampoline_kernelINS0_14default_configENS1_20scan_config_selectorIN3c107complexIfEEEEZZNS1_9scan_implILNS1_25lookback_scan_determinismE0ELb0ELb0ES3_PKS7_PS7_S7_ZZZN2at6native31launch_logcumsumexp_cuda_kernelERKNSE_10TensorBaseESI_lENKUlvE_clEvENKUlvE2_clEvEUlS7_S7_E_S7_EEDaPvRmT3_T4_T5_mT6_P12ihipStream_tbENKUlT_T0_E_clISt17integral_constantIbLb0EESY_IbLb1EEEEDaSU_SV_EUlSU_E0_NS1_11comp_targetILNS1_3genE3ELNS1_11target_archE908ELNS1_3gpuE7ELNS1_3repE0EEENS1_30default_config_static_selectorELNS0_4arch9wavefront6targetE0EEEvT1_.num_vgpr, 0
	.set _ZN7rocprim17ROCPRIM_400000_NS6detail17trampoline_kernelINS0_14default_configENS1_20scan_config_selectorIN3c107complexIfEEEEZZNS1_9scan_implILNS1_25lookback_scan_determinismE0ELb0ELb0ES3_PKS7_PS7_S7_ZZZN2at6native31launch_logcumsumexp_cuda_kernelERKNSE_10TensorBaseESI_lENKUlvE_clEvENKUlvE2_clEvEUlS7_S7_E_S7_EEDaPvRmT3_T4_T5_mT6_P12ihipStream_tbENKUlT_T0_E_clISt17integral_constantIbLb0EESY_IbLb1EEEEDaSU_SV_EUlSU_E0_NS1_11comp_targetILNS1_3genE3ELNS1_11target_archE908ELNS1_3gpuE7ELNS1_3repE0EEENS1_30default_config_static_selectorELNS0_4arch9wavefront6targetE0EEEvT1_.num_agpr, 0
	.set _ZN7rocprim17ROCPRIM_400000_NS6detail17trampoline_kernelINS0_14default_configENS1_20scan_config_selectorIN3c107complexIfEEEEZZNS1_9scan_implILNS1_25lookback_scan_determinismE0ELb0ELb0ES3_PKS7_PS7_S7_ZZZN2at6native31launch_logcumsumexp_cuda_kernelERKNSE_10TensorBaseESI_lENKUlvE_clEvENKUlvE2_clEvEUlS7_S7_E_S7_EEDaPvRmT3_T4_T5_mT6_P12ihipStream_tbENKUlT_T0_E_clISt17integral_constantIbLb0EESY_IbLb1EEEEDaSU_SV_EUlSU_E0_NS1_11comp_targetILNS1_3genE3ELNS1_11target_archE908ELNS1_3gpuE7ELNS1_3repE0EEENS1_30default_config_static_selectorELNS0_4arch9wavefront6targetE0EEEvT1_.numbered_sgpr, 0
	.set _ZN7rocprim17ROCPRIM_400000_NS6detail17trampoline_kernelINS0_14default_configENS1_20scan_config_selectorIN3c107complexIfEEEEZZNS1_9scan_implILNS1_25lookback_scan_determinismE0ELb0ELb0ES3_PKS7_PS7_S7_ZZZN2at6native31launch_logcumsumexp_cuda_kernelERKNSE_10TensorBaseESI_lENKUlvE_clEvENKUlvE2_clEvEUlS7_S7_E_S7_EEDaPvRmT3_T4_T5_mT6_P12ihipStream_tbENKUlT_T0_E_clISt17integral_constantIbLb0EESY_IbLb1EEEEDaSU_SV_EUlSU_E0_NS1_11comp_targetILNS1_3genE3ELNS1_11target_archE908ELNS1_3gpuE7ELNS1_3repE0EEENS1_30default_config_static_selectorELNS0_4arch9wavefront6targetE0EEEvT1_.num_named_barrier, 0
	.set _ZN7rocprim17ROCPRIM_400000_NS6detail17trampoline_kernelINS0_14default_configENS1_20scan_config_selectorIN3c107complexIfEEEEZZNS1_9scan_implILNS1_25lookback_scan_determinismE0ELb0ELb0ES3_PKS7_PS7_S7_ZZZN2at6native31launch_logcumsumexp_cuda_kernelERKNSE_10TensorBaseESI_lENKUlvE_clEvENKUlvE2_clEvEUlS7_S7_E_S7_EEDaPvRmT3_T4_T5_mT6_P12ihipStream_tbENKUlT_T0_E_clISt17integral_constantIbLb0EESY_IbLb1EEEEDaSU_SV_EUlSU_E0_NS1_11comp_targetILNS1_3genE3ELNS1_11target_archE908ELNS1_3gpuE7ELNS1_3repE0EEENS1_30default_config_static_selectorELNS0_4arch9wavefront6targetE0EEEvT1_.private_seg_size, 0
	.set _ZN7rocprim17ROCPRIM_400000_NS6detail17trampoline_kernelINS0_14default_configENS1_20scan_config_selectorIN3c107complexIfEEEEZZNS1_9scan_implILNS1_25lookback_scan_determinismE0ELb0ELb0ES3_PKS7_PS7_S7_ZZZN2at6native31launch_logcumsumexp_cuda_kernelERKNSE_10TensorBaseESI_lENKUlvE_clEvENKUlvE2_clEvEUlS7_S7_E_S7_EEDaPvRmT3_T4_T5_mT6_P12ihipStream_tbENKUlT_T0_E_clISt17integral_constantIbLb0EESY_IbLb1EEEEDaSU_SV_EUlSU_E0_NS1_11comp_targetILNS1_3genE3ELNS1_11target_archE908ELNS1_3gpuE7ELNS1_3repE0EEENS1_30default_config_static_selectorELNS0_4arch9wavefront6targetE0EEEvT1_.uses_vcc, 0
	.set _ZN7rocprim17ROCPRIM_400000_NS6detail17trampoline_kernelINS0_14default_configENS1_20scan_config_selectorIN3c107complexIfEEEEZZNS1_9scan_implILNS1_25lookback_scan_determinismE0ELb0ELb0ES3_PKS7_PS7_S7_ZZZN2at6native31launch_logcumsumexp_cuda_kernelERKNSE_10TensorBaseESI_lENKUlvE_clEvENKUlvE2_clEvEUlS7_S7_E_S7_EEDaPvRmT3_T4_T5_mT6_P12ihipStream_tbENKUlT_T0_E_clISt17integral_constantIbLb0EESY_IbLb1EEEEDaSU_SV_EUlSU_E0_NS1_11comp_targetILNS1_3genE3ELNS1_11target_archE908ELNS1_3gpuE7ELNS1_3repE0EEENS1_30default_config_static_selectorELNS0_4arch9wavefront6targetE0EEEvT1_.uses_flat_scratch, 0
	.set _ZN7rocprim17ROCPRIM_400000_NS6detail17trampoline_kernelINS0_14default_configENS1_20scan_config_selectorIN3c107complexIfEEEEZZNS1_9scan_implILNS1_25lookback_scan_determinismE0ELb0ELb0ES3_PKS7_PS7_S7_ZZZN2at6native31launch_logcumsumexp_cuda_kernelERKNSE_10TensorBaseESI_lENKUlvE_clEvENKUlvE2_clEvEUlS7_S7_E_S7_EEDaPvRmT3_T4_T5_mT6_P12ihipStream_tbENKUlT_T0_E_clISt17integral_constantIbLb0EESY_IbLb1EEEEDaSU_SV_EUlSU_E0_NS1_11comp_targetILNS1_3genE3ELNS1_11target_archE908ELNS1_3gpuE7ELNS1_3repE0EEENS1_30default_config_static_selectorELNS0_4arch9wavefront6targetE0EEEvT1_.has_dyn_sized_stack, 0
	.set _ZN7rocprim17ROCPRIM_400000_NS6detail17trampoline_kernelINS0_14default_configENS1_20scan_config_selectorIN3c107complexIfEEEEZZNS1_9scan_implILNS1_25lookback_scan_determinismE0ELb0ELb0ES3_PKS7_PS7_S7_ZZZN2at6native31launch_logcumsumexp_cuda_kernelERKNSE_10TensorBaseESI_lENKUlvE_clEvENKUlvE2_clEvEUlS7_S7_E_S7_EEDaPvRmT3_T4_T5_mT6_P12ihipStream_tbENKUlT_T0_E_clISt17integral_constantIbLb0EESY_IbLb1EEEEDaSU_SV_EUlSU_E0_NS1_11comp_targetILNS1_3genE3ELNS1_11target_archE908ELNS1_3gpuE7ELNS1_3repE0EEENS1_30default_config_static_selectorELNS0_4arch9wavefront6targetE0EEEvT1_.has_recursion, 0
	.set _ZN7rocprim17ROCPRIM_400000_NS6detail17trampoline_kernelINS0_14default_configENS1_20scan_config_selectorIN3c107complexIfEEEEZZNS1_9scan_implILNS1_25lookback_scan_determinismE0ELb0ELb0ES3_PKS7_PS7_S7_ZZZN2at6native31launch_logcumsumexp_cuda_kernelERKNSE_10TensorBaseESI_lENKUlvE_clEvENKUlvE2_clEvEUlS7_S7_E_S7_EEDaPvRmT3_T4_T5_mT6_P12ihipStream_tbENKUlT_T0_E_clISt17integral_constantIbLb0EESY_IbLb1EEEEDaSU_SV_EUlSU_E0_NS1_11comp_targetILNS1_3genE3ELNS1_11target_archE908ELNS1_3gpuE7ELNS1_3repE0EEENS1_30default_config_static_selectorELNS0_4arch9wavefront6targetE0EEEvT1_.has_indirect_call, 0
	.section	.AMDGPU.csdata,"",@progbits
; Kernel info:
; codeLenInByte = 0
; TotalNumSgprs: 0
; NumVgprs: 0
; ScratchSize: 0
; MemoryBound: 0
; FloatMode: 240
; IeeeMode: 1
; LDSByteSize: 0 bytes/workgroup (compile time only)
; SGPRBlocks: 0
; VGPRBlocks: 0
; NumSGPRsForWavesPerEU: 1
; NumVGPRsForWavesPerEU: 1
; Occupancy: 16
; WaveLimiterHint : 0
; COMPUTE_PGM_RSRC2:SCRATCH_EN: 0
; COMPUTE_PGM_RSRC2:USER_SGPR: 2
; COMPUTE_PGM_RSRC2:TRAP_HANDLER: 0
; COMPUTE_PGM_RSRC2:TGID_X_EN: 1
; COMPUTE_PGM_RSRC2:TGID_Y_EN: 0
; COMPUTE_PGM_RSRC2:TGID_Z_EN: 0
; COMPUTE_PGM_RSRC2:TIDIG_COMP_CNT: 0
	.section	.text._ZN7rocprim17ROCPRIM_400000_NS6detail17trampoline_kernelINS0_14default_configENS1_20scan_config_selectorIN3c107complexIfEEEEZZNS1_9scan_implILNS1_25lookback_scan_determinismE0ELb0ELb0ES3_PKS7_PS7_S7_ZZZN2at6native31launch_logcumsumexp_cuda_kernelERKNSE_10TensorBaseESI_lENKUlvE_clEvENKUlvE2_clEvEUlS7_S7_E_S7_EEDaPvRmT3_T4_T5_mT6_P12ihipStream_tbENKUlT_T0_E_clISt17integral_constantIbLb0EESY_IbLb1EEEEDaSU_SV_EUlSU_E0_NS1_11comp_targetILNS1_3genE2ELNS1_11target_archE906ELNS1_3gpuE6ELNS1_3repE0EEENS1_30default_config_static_selectorELNS0_4arch9wavefront6targetE0EEEvT1_,"axG",@progbits,_ZN7rocprim17ROCPRIM_400000_NS6detail17trampoline_kernelINS0_14default_configENS1_20scan_config_selectorIN3c107complexIfEEEEZZNS1_9scan_implILNS1_25lookback_scan_determinismE0ELb0ELb0ES3_PKS7_PS7_S7_ZZZN2at6native31launch_logcumsumexp_cuda_kernelERKNSE_10TensorBaseESI_lENKUlvE_clEvENKUlvE2_clEvEUlS7_S7_E_S7_EEDaPvRmT3_T4_T5_mT6_P12ihipStream_tbENKUlT_T0_E_clISt17integral_constantIbLb0EESY_IbLb1EEEEDaSU_SV_EUlSU_E0_NS1_11comp_targetILNS1_3genE2ELNS1_11target_archE906ELNS1_3gpuE6ELNS1_3repE0EEENS1_30default_config_static_selectorELNS0_4arch9wavefront6targetE0EEEvT1_,comdat
	.globl	_ZN7rocprim17ROCPRIM_400000_NS6detail17trampoline_kernelINS0_14default_configENS1_20scan_config_selectorIN3c107complexIfEEEEZZNS1_9scan_implILNS1_25lookback_scan_determinismE0ELb0ELb0ES3_PKS7_PS7_S7_ZZZN2at6native31launch_logcumsumexp_cuda_kernelERKNSE_10TensorBaseESI_lENKUlvE_clEvENKUlvE2_clEvEUlS7_S7_E_S7_EEDaPvRmT3_T4_T5_mT6_P12ihipStream_tbENKUlT_T0_E_clISt17integral_constantIbLb0EESY_IbLb1EEEEDaSU_SV_EUlSU_E0_NS1_11comp_targetILNS1_3genE2ELNS1_11target_archE906ELNS1_3gpuE6ELNS1_3repE0EEENS1_30default_config_static_selectorELNS0_4arch9wavefront6targetE0EEEvT1_ ; -- Begin function _ZN7rocprim17ROCPRIM_400000_NS6detail17trampoline_kernelINS0_14default_configENS1_20scan_config_selectorIN3c107complexIfEEEEZZNS1_9scan_implILNS1_25lookback_scan_determinismE0ELb0ELb0ES3_PKS7_PS7_S7_ZZZN2at6native31launch_logcumsumexp_cuda_kernelERKNSE_10TensorBaseESI_lENKUlvE_clEvENKUlvE2_clEvEUlS7_S7_E_S7_EEDaPvRmT3_T4_T5_mT6_P12ihipStream_tbENKUlT_T0_E_clISt17integral_constantIbLb0EESY_IbLb1EEEEDaSU_SV_EUlSU_E0_NS1_11comp_targetILNS1_3genE2ELNS1_11target_archE906ELNS1_3gpuE6ELNS1_3repE0EEENS1_30default_config_static_selectorELNS0_4arch9wavefront6targetE0EEEvT1_
	.p2align	8
	.type	_ZN7rocprim17ROCPRIM_400000_NS6detail17trampoline_kernelINS0_14default_configENS1_20scan_config_selectorIN3c107complexIfEEEEZZNS1_9scan_implILNS1_25lookback_scan_determinismE0ELb0ELb0ES3_PKS7_PS7_S7_ZZZN2at6native31launch_logcumsumexp_cuda_kernelERKNSE_10TensorBaseESI_lENKUlvE_clEvENKUlvE2_clEvEUlS7_S7_E_S7_EEDaPvRmT3_T4_T5_mT6_P12ihipStream_tbENKUlT_T0_E_clISt17integral_constantIbLb0EESY_IbLb1EEEEDaSU_SV_EUlSU_E0_NS1_11comp_targetILNS1_3genE2ELNS1_11target_archE906ELNS1_3gpuE6ELNS1_3repE0EEENS1_30default_config_static_selectorELNS0_4arch9wavefront6targetE0EEEvT1_,@function
_ZN7rocprim17ROCPRIM_400000_NS6detail17trampoline_kernelINS0_14default_configENS1_20scan_config_selectorIN3c107complexIfEEEEZZNS1_9scan_implILNS1_25lookback_scan_determinismE0ELb0ELb0ES3_PKS7_PS7_S7_ZZZN2at6native31launch_logcumsumexp_cuda_kernelERKNSE_10TensorBaseESI_lENKUlvE_clEvENKUlvE2_clEvEUlS7_S7_E_S7_EEDaPvRmT3_T4_T5_mT6_P12ihipStream_tbENKUlT_T0_E_clISt17integral_constantIbLb0EESY_IbLb1EEEEDaSU_SV_EUlSU_E0_NS1_11comp_targetILNS1_3genE2ELNS1_11target_archE906ELNS1_3gpuE6ELNS1_3repE0EEENS1_30default_config_static_selectorELNS0_4arch9wavefront6targetE0EEEvT1_: ; @_ZN7rocprim17ROCPRIM_400000_NS6detail17trampoline_kernelINS0_14default_configENS1_20scan_config_selectorIN3c107complexIfEEEEZZNS1_9scan_implILNS1_25lookback_scan_determinismE0ELb0ELb0ES3_PKS7_PS7_S7_ZZZN2at6native31launch_logcumsumexp_cuda_kernelERKNSE_10TensorBaseESI_lENKUlvE_clEvENKUlvE2_clEvEUlS7_S7_E_S7_EEDaPvRmT3_T4_T5_mT6_P12ihipStream_tbENKUlT_T0_E_clISt17integral_constantIbLb0EESY_IbLb1EEEEDaSU_SV_EUlSU_E0_NS1_11comp_targetILNS1_3genE2ELNS1_11target_archE906ELNS1_3gpuE6ELNS1_3repE0EEENS1_30default_config_static_selectorELNS0_4arch9wavefront6targetE0EEEvT1_
; %bb.0:
	.section	.rodata,"a",@progbits
	.p2align	6, 0x0
	.amdhsa_kernel _ZN7rocprim17ROCPRIM_400000_NS6detail17trampoline_kernelINS0_14default_configENS1_20scan_config_selectorIN3c107complexIfEEEEZZNS1_9scan_implILNS1_25lookback_scan_determinismE0ELb0ELb0ES3_PKS7_PS7_S7_ZZZN2at6native31launch_logcumsumexp_cuda_kernelERKNSE_10TensorBaseESI_lENKUlvE_clEvENKUlvE2_clEvEUlS7_S7_E_S7_EEDaPvRmT3_T4_T5_mT6_P12ihipStream_tbENKUlT_T0_E_clISt17integral_constantIbLb0EESY_IbLb1EEEEDaSU_SV_EUlSU_E0_NS1_11comp_targetILNS1_3genE2ELNS1_11target_archE906ELNS1_3gpuE6ELNS1_3repE0EEENS1_30default_config_static_selectorELNS0_4arch9wavefront6targetE0EEEvT1_
		.amdhsa_group_segment_fixed_size 0
		.amdhsa_private_segment_fixed_size 0
		.amdhsa_kernarg_size 40
		.amdhsa_user_sgpr_count 2
		.amdhsa_user_sgpr_dispatch_ptr 0
		.amdhsa_user_sgpr_queue_ptr 0
		.amdhsa_user_sgpr_kernarg_segment_ptr 1
		.amdhsa_user_sgpr_dispatch_id 0
		.amdhsa_user_sgpr_private_segment_size 0
		.amdhsa_wavefront_size32 1
		.amdhsa_uses_dynamic_stack 0
		.amdhsa_enable_private_segment 0
		.amdhsa_system_sgpr_workgroup_id_x 1
		.amdhsa_system_sgpr_workgroup_id_y 0
		.amdhsa_system_sgpr_workgroup_id_z 0
		.amdhsa_system_sgpr_workgroup_info 0
		.amdhsa_system_vgpr_workitem_id 0
		.amdhsa_next_free_vgpr 1
		.amdhsa_next_free_sgpr 1
		.amdhsa_reserve_vcc 0
		.amdhsa_float_round_mode_32 0
		.amdhsa_float_round_mode_16_64 0
		.amdhsa_float_denorm_mode_32 3
		.amdhsa_float_denorm_mode_16_64 3
		.amdhsa_fp16_overflow 0
		.amdhsa_workgroup_processor_mode 1
		.amdhsa_memory_ordered 1
		.amdhsa_forward_progress 1
		.amdhsa_inst_pref_size 0
		.amdhsa_round_robin_scheduling 0
		.amdhsa_exception_fp_ieee_invalid_op 0
		.amdhsa_exception_fp_denorm_src 0
		.amdhsa_exception_fp_ieee_div_zero 0
		.amdhsa_exception_fp_ieee_overflow 0
		.amdhsa_exception_fp_ieee_underflow 0
		.amdhsa_exception_fp_ieee_inexact 0
		.amdhsa_exception_int_div_zero 0
	.end_amdhsa_kernel
	.section	.text._ZN7rocprim17ROCPRIM_400000_NS6detail17trampoline_kernelINS0_14default_configENS1_20scan_config_selectorIN3c107complexIfEEEEZZNS1_9scan_implILNS1_25lookback_scan_determinismE0ELb0ELb0ES3_PKS7_PS7_S7_ZZZN2at6native31launch_logcumsumexp_cuda_kernelERKNSE_10TensorBaseESI_lENKUlvE_clEvENKUlvE2_clEvEUlS7_S7_E_S7_EEDaPvRmT3_T4_T5_mT6_P12ihipStream_tbENKUlT_T0_E_clISt17integral_constantIbLb0EESY_IbLb1EEEEDaSU_SV_EUlSU_E0_NS1_11comp_targetILNS1_3genE2ELNS1_11target_archE906ELNS1_3gpuE6ELNS1_3repE0EEENS1_30default_config_static_selectorELNS0_4arch9wavefront6targetE0EEEvT1_,"axG",@progbits,_ZN7rocprim17ROCPRIM_400000_NS6detail17trampoline_kernelINS0_14default_configENS1_20scan_config_selectorIN3c107complexIfEEEEZZNS1_9scan_implILNS1_25lookback_scan_determinismE0ELb0ELb0ES3_PKS7_PS7_S7_ZZZN2at6native31launch_logcumsumexp_cuda_kernelERKNSE_10TensorBaseESI_lENKUlvE_clEvENKUlvE2_clEvEUlS7_S7_E_S7_EEDaPvRmT3_T4_T5_mT6_P12ihipStream_tbENKUlT_T0_E_clISt17integral_constantIbLb0EESY_IbLb1EEEEDaSU_SV_EUlSU_E0_NS1_11comp_targetILNS1_3genE2ELNS1_11target_archE906ELNS1_3gpuE6ELNS1_3repE0EEENS1_30default_config_static_selectorELNS0_4arch9wavefront6targetE0EEEvT1_,comdat
.Lfunc_end342:
	.size	_ZN7rocprim17ROCPRIM_400000_NS6detail17trampoline_kernelINS0_14default_configENS1_20scan_config_selectorIN3c107complexIfEEEEZZNS1_9scan_implILNS1_25lookback_scan_determinismE0ELb0ELb0ES3_PKS7_PS7_S7_ZZZN2at6native31launch_logcumsumexp_cuda_kernelERKNSE_10TensorBaseESI_lENKUlvE_clEvENKUlvE2_clEvEUlS7_S7_E_S7_EEDaPvRmT3_T4_T5_mT6_P12ihipStream_tbENKUlT_T0_E_clISt17integral_constantIbLb0EESY_IbLb1EEEEDaSU_SV_EUlSU_E0_NS1_11comp_targetILNS1_3genE2ELNS1_11target_archE906ELNS1_3gpuE6ELNS1_3repE0EEENS1_30default_config_static_selectorELNS0_4arch9wavefront6targetE0EEEvT1_, .Lfunc_end342-_ZN7rocprim17ROCPRIM_400000_NS6detail17trampoline_kernelINS0_14default_configENS1_20scan_config_selectorIN3c107complexIfEEEEZZNS1_9scan_implILNS1_25lookback_scan_determinismE0ELb0ELb0ES3_PKS7_PS7_S7_ZZZN2at6native31launch_logcumsumexp_cuda_kernelERKNSE_10TensorBaseESI_lENKUlvE_clEvENKUlvE2_clEvEUlS7_S7_E_S7_EEDaPvRmT3_T4_T5_mT6_P12ihipStream_tbENKUlT_T0_E_clISt17integral_constantIbLb0EESY_IbLb1EEEEDaSU_SV_EUlSU_E0_NS1_11comp_targetILNS1_3genE2ELNS1_11target_archE906ELNS1_3gpuE6ELNS1_3repE0EEENS1_30default_config_static_selectorELNS0_4arch9wavefront6targetE0EEEvT1_
                                        ; -- End function
	.set _ZN7rocprim17ROCPRIM_400000_NS6detail17trampoline_kernelINS0_14default_configENS1_20scan_config_selectorIN3c107complexIfEEEEZZNS1_9scan_implILNS1_25lookback_scan_determinismE0ELb0ELb0ES3_PKS7_PS7_S7_ZZZN2at6native31launch_logcumsumexp_cuda_kernelERKNSE_10TensorBaseESI_lENKUlvE_clEvENKUlvE2_clEvEUlS7_S7_E_S7_EEDaPvRmT3_T4_T5_mT6_P12ihipStream_tbENKUlT_T0_E_clISt17integral_constantIbLb0EESY_IbLb1EEEEDaSU_SV_EUlSU_E0_NS1_11comp_targetILNS1_3genE2ELNS1_11target_archE906ELNS1_3gpuE6ELNS1_3repE0EEENS1_30default_config_static_selectorELNS0_4arch9wavefront6targetE0EEEvT1_.num_vgpr, 0
	.set _ZN7rocprim17ROCPRIM_400000_NS6detail17trampoline_kernelINS0_14default_configENS1_20scan_config_selectorIN3c107complexIfEEEEZZNS1_9scan_implILNS1_25lookback_scan_determinismE0ELb0ELb0ES3_PKS7_PS7_S7_ZZZN2at6native31launch_logcumsumexp_cuda_kernelERKNSE_10TensorBaseESI_lENKUlvE_clEvENKUlvE2_clEvEUlS7_S7_E_S7_EEDaPvRmT3_T4_T5_mT6_P12ihipStream_tbENKUlT_T0_E_clISt17integral_constantIbLb0EESY_IbLb1EEEEDaSU_SV_EUlSU_E0_NS1_11comp_targetILNS1_3genE2ELNS1_11target_archE906ELNS1_3gpuE6ELNS1_3repE0EEENS1_30default_config_static_selectorELNS0_4arch9wavefront6targetE0EEEvT1_.num_agpr, 0
	.set _ZN7rocprim17ROCPRIM_400000_NS6detail17trampoline_kernelINS0_14default_configENS1_20scan_config_selectorIN3c107complexIfEEEEZZNS1_9scan_implILNS1_25lookback_scan_determinismE0ELb0ELb0ES3_PKS7_PS7_S7_ZZZN2at6native31launch_logcumsumexp_cuda_kernelERKNSE_10TensorBaseESI_lENKUlvE_clEvENKUlvE2_clEvEUlS7_S7_E_S7_EEDaPvRmT3_T4_T5_mT6_P12ihipStream_tbENKUlT_T0_E_clISt17integral_constantIbLb0EESY_IbLb1EEEEDaSU_SV_EUlSU_E0_NS1_11comp_targetILNS1_3genE2ELNS1_11target_archE906ELNS1_3gpuE6ELNS1_3repE0EEENS1_30default_config_static_selectorELNS0_4arch9wavefront6targetE0EEEvT1_.numbered_sgpr, 0
	.set _ZN7rocprim17ROCPRIM_400000_NS6detail17trampoline_kernelINS0_14default_configENS1_20scan_config_selectorIN3c107complexIfEEEEZZNS1_9scan_implILNS1_25lookback_scan_determinismE0ELb0ELb0ES3_PKS7_PS7_S7_ZZZN2at6native31launch_logcumsumexp_cuda_kernelERKNSE_10TensorBaseESI_lENKUlvE_clEvENKUlvE2_clEvEUlS7_S7_E_S7_EEDaPvRmT3_T4_T5_mT6_P12ihipStream_tbENKUlT_T0_E_clISt17integral_constantIbLb0EESY_IbLb1EEEEDaSU_SV_EUlSU_E0_NS1_11comp_targetILNS1_3genE2ELNS1_11target_archE906ELNS1_3gpuE6ELNS1_3repE0EEENS1_30default_config_static_selectorELNS0_4arch9wavefront6targetE0EEEvT1_.num_named_barrier, 0
	.set _ZN7rocprim17ROCPRIM_400000_NS6detail17trampoline_kernelINS0_14default_configENS1_20scan_config_selectorIN3c107complexIfEEEEZZNS1_9scan_implILNS1_25lookback_scan_determinismE0ELb0ELb0ES3_PKS7_PS7_S7_ZZZN2at6native31launch_logcumsumexp_cuda_kernelERKNSE_10TensorBaseESI_lENKUlvE_clEvENKUlvE2_clEvEUlS7_S7_E_S7_EEDaPvRmT3_T4_T5_mT6_P12ihipStream_tbENKUlT_T0_E_clISt17integral_constantIbLb0EESY_IbLb1EEEEDaSU_SV_EUlSU_E0_NS1_11comp_targetILNS1_3genE2ELNS1_11target_archE906ELNS1_3gpuE6ELNS1_3repE0EEENS1_30default_config_static_selectorELNS0_4arch9wavefront6targetE0EEEvT1_.private_seg_size, 0
	.set _ZN7rocprim17ROCPRIM_400000_NS6detail17trampoline_kernelINS0_14default_configENS1_20scan_config_selectorIN3c107complexIfEEEEZZNS1_9scan_implILNS1_25lookback_scan_determinismE0ELb0ELb0ES3_PKS7_PS7_S7_ZZZN2at6native31launch_logcumsumexp_cuda_kernelERKNSE_10TensorBaseESI_lENKUlvE_clEvENKUlvE2_clEvEUlS7_S7_E_S7_EEDaPvRmT3_T4_T5_mT6_P12ihipStream_tbENKUlT_T0_E_clISt17integral_constantIbLb0EESY_IbLb1EEEEDaSU_SV_EUlSU_E0_NS1_11comp_targetILNS1_3genE2ELNS1_11target_archE906ELNS1_3gpuE6ELNS1_3repE0EEENS1_30default_config_static_selectorELNS0_4arch9wavefront6targetE0EEEvT1_.uses_vcc, 0
	.set _ZN7rocprim17ROCPRIM_400000_NS6detail17trampoline_kernelINS0_14default_configENS1_20scan_config_selectorIN3c107complexIfEEEEZZNS1_9scan_implILNS1_25lookback_scan_determinismE0ELb0ELb0ES3_PKS7_PS7_S7_ZZZN2at6native31launch_logcumsumexp_cuda_kernelERKNSE_10TensorBaseESI_lENKUlvE_clEvENKUlvE2_clEvEUlS7_S7_E_S7_EEDaPvRmT3_T4_T5_mT6_P12ihipStream_tbENKUlT_T0_E_clISt17integral_constantIbLb0EESY_IbLb1EEEEDaSU_SV_EUlSU_E0_NS1_11comp_targetILNS1_3genE2ELNS1_11target_archE906ELNS1_3gpuE6ELNS1_3repE0EEENS1_30default_config_static_selectorELNS0_4arch9wavefront6targetE0EEEvT1_.uses_flat_scratch, 0
	.set _ZN7rocprim17ROCPRIM_400000_NS6detail17trampoline_kernelINS0_14default_configENS1_20scan_config_selectorIN3c107complexIfEEEEZZNS1_9scan_implILNS1_25lookback_scan_determinismE0ELb0ELb0ES3_PKS7_PS7_S7_ZZZN2at6native31launch_logcumsumexp_cuda_kernelERKNSE_10TensorBaseESI_lENKUlvE_clEvENKUlvE2_clEvEUlS7_S7_E_S7_EEDaPvRmT3_T4_T5_mT6_P12ihipStream_tbENKUlT_T0_E_clISt17integral_constantIbLb0EESY_IbLb1EEEEDaSU_SV_EUlSU_E0_NS1_11comp_targetILNS1_3genE2ELNS1_11target_archE906ELNS1_3gpuE6ELNS1_3repE0EEENS1_30default_config_static_selectorELNS0_4arch9wavefront6targetE0EEEvT1_.has_dyn_sized_stack, 0
	.set _ZN7rocprim17ROCPRIM_400000_NS6detail17trampoline_kernelINS0_14default_configENS1_20scan_config_selectorIN3c107complexIfEEEEZZNS1_9scan_implILNS1_25lookback_scan_determinismE0ELb0ELb0ES3_PKS7_PS7_S7_ZZZN2at6native31launch_logcumsumexp_cuda_kernelERKNSE_10TensorBaseESI_lENKUlvE_clEvENKUlvE2_clEvEUlS7_S7_E_S7_EEDaPvRmT3_T4_T5_mT6_P12ihipStream_tbENKUlT_T0_E_clISt17integral_constantIbLb0EESY_IbLb1EEEEDaSU_SV_EUlSU_E0_NS1_11comp_targetILNS1_3genE2ELNS1_11target_archE906ELNS1_3gpuE6ELNS1_3repE0EEENS1_30default_config_static_selectorELNS0_4arch9wavefront6targetE0EEEvT1_.has_recursion, 0
	.set _ZN7rocprim17ROCPRIM_400000_NS6detail17trampoline_kernelINS0_14default_configENS1_20scan_config_selectorIN3c107complexIfEEEEZZNS1_9scan_implILNS1_25lookback_scan_determinismE0ELb0ELb0ES3_PKS7_PS7_S7_ZZZN2at6native31launch_logcumsumexp_cuda_kernelERKNSE_10TensorBaseESI_lENKUlvE_clEvENKUlvE2_clEvEUlS7_S7_E_S7_EEDaPvRmT3_T4_T5_mT6_P12ihipStream_tbENKUlT_T0_E_clISt17integral_constantIbLb0EESY_IbLb1EEEEDaSU_SV_EUlSU_E0_NS1_11comp_targetILNS1_3genE2ELNS1_11target_archE906ELNS1_3gpuE6ELNS1_3repE0EEENS1_30default_config_static_selectorELNS0_4arch9wavefront6targetE0EEEvT1_.has_indirect_call, 0
	.section	.AMDGPU.csdata,"",@progbits
; Kernel info:
; codeLenInByte = 0
; TotalNumSgprs: 0
; NumVgprs: 0
; ScratchSize: 0
; MemoryBound: 0
; FloatMode: 240
; IeeeMode: 1
; LDSByteSize: 0 bytes/workgroup (compile time only)
; SGPRBlocks: 0
; VGPRBlocks: 0
; NumSGPRsForWavesPerEU: 1
; NumVGPRsForWavesPerEU: 1
; Occupancy: 16
; WaveLimiterHint : 0
; COMPUTE_PGM_RSRC2:SCRATCH_EN: 0
; COMPUTE_PGM_RSRC2:USER_SGPR: 2
; COMPUTE_PGM_RSRC2:TRAP_HANDLER: 0
; COMPUTE_PGM_RSRC2:TGID_X_EN: 1
; COMPUTE_PGM_RSRC2:TGID_Y_EN: 0
; COMPUTE_PGM_RSRC2:TGID_Z_EN: 0
; COMPUTE_PGM_RSRC2:TIDIG_COMP_CNT: 0
	.section	.text._ZN7rocprim17ROCPRIM_400000_NS6detail17trampoline_kernelINS0_14default_configENS1_20scan_config_selectorIN3c107complexIfEEEEZZNS1_9scan_implILNS1_25lookback_scan_determinismE0ELb0ELb0ES3_PKS7_PS7_S7_ZZZN2at6native31launch_logcumsumexp_cuda_kernelERKNSE_10TensorBaseESI_lENKUlvE_clEvENKUlvE2_clEvEUlS7_S7_E_S7_EEDaPvRmT3_T4_T5_mT6_P12ihipStream_tbENKUlT_T0_E_clISt17integral_constantIbLb0EESY_IbLb1EEEEDaSU_SV_EUlSU_E0_NS1_11comp_targetILNS1_3genE10ELNS1_11target_archE1201ELNS1_3gpuE5ELNS1_3repE0EEENS1_30default_config_static_selectorELNS0_4arch9wavefront6targetE0EEEvT1_,"axG",@progbits,_ZN7rocprim17ROCPRIM_400000_NS6detail17trampoline_kernelINS0_14default_configENS1_20scan_config_selectorIN3c107complexIfEEEEZZNS1_9scan_implILNS1_25lookback_scan_determinismE0ELb0ELb0ES3_PKS7_PS7_S7_ZZZN2at6native31launch_logcumsumexp_cuda_kernelERKNSE_10TensorBaseESI_lENKUlvE_clEvENKUlvE2_clEvEUlS7_S7_E_S7_EEDaPvRmT3_T4_T5_mT6_P12ihipStream_tbENKUlT_T0_E_clISt17integral_constantIbLb0EESY_IbLb1EEEEDaSU_SV_EUlSU_E0_NS1_11comp_targetILNS1_3genE10ELNS1_11target_archE1201ELNS1_3gpuE5ELNS1_3repE0EEENS1_30default_config_static_selectorELNS0_4arch9wavefront6targetE0EEEvT1_,comdat
	.globl	_ZN7rocprim17ROCPRIM_400000_NS6detail17trampoline_kernelINS0_14default_configENS1_20scan_config_selectorIN3c107complexIfEEEEZZNS1_9scan_implILNS1_25lookback_scan_determinismE0ELb0ELb0ES3_PKS7_PS7_S7_ZZZN2at6native31launch_logcumsumexp_cuda_kernelERKNSE_10TensorBaseESI_lENKUlvE_clEvENKUlvE2_clEvEUlS7_S7_E_S7_EEDaPvRmT3_T4_T5_mT6_P12ihipStream_tbENKUlT_T0_E_clISt17integral_constantIbLb0EESY_IbLb1EEEEDaSU_SV_EUlSU_E0_NS1_11comp_targetILNS1_3genE10ELNS1_11target_archE1201ELNS1_3gpuE5ELNS1_3repE0EEENS1_30default_config_static_selectorELNS0_4arch9wavefront6targetE0EEEvT1_ ; -- Begin function _ZN7rocprim17ROCPRIM_400000_NS6detail17trampoline_kernelINS0_14default_configENS1_20scan_config_selectorIN3c107complexIfEEEEZZNS1_9scan_implILNS1_25lookback_scan_determinismE0ELb0ELb0ES3_PKS7_PS7_S7_ZZZN2at6native31launch_logcumsumexp_cuda_kernelERKNSE_10TensorBaseESI_lENKUlvE_clEvENKUlvE2_clEvEUlS7_S7_E_S7_EEDaPvRmT3_T4_T5_mT6_P12ihipStream_tbENKUlT_T0_E_clISt17integral_constantIbLb0EESY_IbLb1EEEEDaSU_SV_EUlSU_E0_NS1_11comp_targetILNS1_3genE10ELNS1_11target_archE1201ELNS1_3gpuE5ELNS1_3repE0EEENS1_30default_config_static_selectorELNS0_4arch9wavefront6targetE0EEEvT1_
	.p2align	8
	.type	_ZN7rocprim17ROCPRIM_400000_NS6detail17trampoline_kernelINS0_14default_configENS1_20scan_config_selectorIN3c107complexIfEEEEZZNS1_9scan_implILNS1_25lookback_scan_determinismE0ELb0ELb0ES3_PKS7_PS7_S7_ZZZN2at6native31launch_logcumsumexp_cuda_kernelERKNSE_10TensorBaseESI_lENKUlvE_clEvENKUlvE2_clEvEUlS7_S7_E_S7_EEDaPvRmT3_T4_T5_mT6_P12ihipStream_tbENKUlT_T0_E_clISt17integral_constantIbLb0EESY_IbLb1EEEEDaSU_SV_EUlSU_E0_NS1_11comp_targetILNS1_3genE10ELNS1_11target_archE1201ELNS1_3gpuE5ELNS1_3repE0EEENS1_30default_config_static_selectorELNS0_4arch9wavefront6targetE0EEEvT1_,@function
_ZN7rocprim17ROCPRIM_400000_NS6detail17trampoline_kernelINS0_14default_configENS1_20scan_config_selectorIN3c107complexIfEEEEZZNS1_9scan_implILNS1_25lookback_scan_determinismE0ELb0ELb0ES3_PKS7_PS7_S7_ZZZN2at6native31launch_logcumsumexp_cuda_kernelERKNSE_10TensorBaseESI_lENKUlvE_clEvENKUlvE2_clEvEUlS7_S7_E_S7_EEDaPvRmT3_T4_T5_mT6_P12ihipStream_tbENKUlT_T0_E_clISt17integral_constantIbLb0EESY_IbLb1EEEEDaSU_SV_EUlSU_E0_NS1_11comp_targetILNS1_3genE10ELNS1_11target_archE1201ELNS1_3gpuE5ELNS1_3repE0EEENS1_30default_config_static_selectorELNS0_4arch9wavefront6targetE0EEEvT1_: ; @_ZN7rocprim17ROCPRIM_400000_NS6detail17trampoline_kernelINS0_14default_configENS1_20scan_config_selectorIN3c107complexIfEEEEZZNS1_9scan_implILNS1_25lookback_scan_determinismE0ELb0ELb0ES3_PKS7_PS7_S7_ZZZN2at6native31launch_logcumsumexp_cuda_kernelERKNSE_10TensorBaseESI_lENKUlvE_clEvENKUlvE2_clEvEUlS7_S7_E_S7_EEDaPvRmT3_T4_T5_mT6_P12ihipStream_tbENKUlT_T0_E_clISt17integral_constantIbLb0EESY_IbLb1EEEEDaSU_SV_EUlSU_E0_NS1_11comp_targetILNS1_3genE10ELNS1_11target_archE1201ELNS1_3gpuE5ELNS1_3repE0EEENS1_30default_config_static_selectorELNS0_4arch9wavefront6targetE0EEEvT1_
; %bb.0:
	s_load_b128 s[4:7], s[0:1], 0x0
	s_mov_b32 s32, 0
	s_wait_kmcnt 0x0
	s_load_b64 s[2:3], s[4:5], 0x0
	s_wait_kmcnt 0x0
	v_dual_mov_b32 v84, v0 :: v_dual_mov_b32 v1, s3
	s_delay_alu instid0(VALU_DEP_1)
	v_cmp_gt_u32_e64 s7, s6, v84
	v_dual_mov_b32 v0, s2 :: v_dual_lshlrev_b32 v91, 3, v84
	s_and_saveexec_b32 s8, s7
	s_cbranch_execz .LBB343_2
; %bb.1:
	global_load_b64 v[0:1], v91, s[4:5]
.LBB343_2:
	s_or_b32 exec_lo, exec_lo, s8
	v_or_b32_e32 v32, 0x100, v84
	v_dual_mov_b32 v3, s3 :: v_dual_mov_b32 v2, s2
	s_delay_alu instid0(VALU_DEP_2)
	v_cmp_gt_u32_e64 s8, s6, v32
	s_and_saveexec_b32 s9, s8
	s_cbranch_execz .LBB343_4
; %bb.3:
	global_load_b64 v[2:3], v91, s[4:5] offset:2048
.LBB343_4:
	s_or_b32 exec_lo, exec_lo, s9
	v_or_b32_e32 v33, 0x200, v84
	v_dual_mov_b32 v5, s3 :: v_dual_mov_b32 v4, s2
	s_delay_alu instid0(VALU_DEP_2)
	v_cmp_gt_u32_e64 s9, s6, v33
	s_and_saveexec_b32 s10, s9
	s_cbranch_execz .LBB343_6
; %bb.5:
	global_load_b64 v[4:5], v91, s[4:5] offset:4096
.LBB343_6:
	;; [unrolled: 10-line block ×15, first 2 shown]
	s_wait_alu 0xfffe
	s_or_b32 exec_lo, exec_lo, s2
	v_lshrrev_b32_e32 v47, 2, v84
	v_lshrrev_b32_e32 v33, 2, v33
	;; [unrolled: 1-line block ×5, first 2 shown]
	v_and_b32_e32 v47, 56, v47
	v_and_b32_e32 v33, 0xf8, v33
	v_and_b32_e32 v32, 0x78, v32
	v_and_b32_e32 v34, 0xf8, v34
	s_load_b64 s[24:25], s[0:1], 0x20
	v_add_nc_u32_e32 v92, v47, v91
	v_add_nc_u32_e32 v94, v33, v91
	v_and_b32_e32 v33, 0x1f8, v35
	v_lshrrev_b32_e32 v35, 2, v38
	v_add_nc_u32_e32 v93, v32, v91
	v_add_nc_u32_e32 v95, v34, v91
	s_wait_loadcnt 0x0
	ds_store_b64 v92, v[0:1]
	ds_store_b64 v93, v[2:3] offset:2048
	ds_store_b64 v94, v[4:5] offset:4096
	ds_store_b64 v95, v[8:9] offset:6144
	v_and_b32_e32 v0, 0x1f8, v35
	v_lshrrev_b32_e32 v1, 2, v39
	v_lshrrev_b32_e32 v2, 2, v40
	;; [unrolled: 1-line block ×4, first 2 shown]
	v_add_nc_u32_e32 v99, v0, v91
	v_and_b32_e32 v0, 0x3f8, v1
	v_and_b32_e32 v1, 0x3f8, v2
	;; [unrolled: 1-line block ×4, first 2 shown]
	v_lshlrev_b32_e32 v4, 2, v84
	v_add_nc_u32_e32 v100, v0, v91
	v_add_nc_u32_e32 v101, v1, v91
	v_lshrrev_b32_e32 v0, 2, v43
	v_lshrrev_b32_e32 v1, 2, v44
	;; [unrolled: 1-line block ×4, first 2 shown]
	v_add_nc_u32_e32 v102, v2, v91
	v_and_b32_e32 v0, 0x3f8, v0
	v_and_b32_e32 v1, 0x3f8, v1
	v_lshrrev_b32_e32 v2, 2, v45
	v_add_nc_u32_e32 v103, v3, v91
	v_lshrrev_b32_e32 v3, 2, v46
	v_add_nc_u32_e32 v104, v0, v91
	v_add_nc_u32_e32 v105, v1, v91
	v_and_b32_e32 v0, 0x3f8, v4
	v_lshlrev_b32_e32 v1, 7, v84
	v_and_b32_e32 v32, 0x1f8, v32
	v_and_b32_e32 v34, 0x1f8, v36
	;; [unrolled: 1-line block ×4, first 2 shown]
	v_add_nc_u32_e32 v96, v33, v91
	v_add_nc_u32_e32 v108, v0, v1
	;; [unrolled: 1-line block ×6, first 2 shown]
	ds_store_b64 v96, v[6:7] offset:8192
	ds_store_b64 v97, v[10:11] offset:10240
	;; [unrolled: 1-line block ×12, first 2 shown]
	s_wait_dscnt 0x0
	s_barrier_signal -1
	s_barrier_wait -1
	global_inv scope:SCOPE_SE
	ds_load_2addr_b64 v[22:25], v108 offset1:1
	ds_load_2addr_b64 v[50:53], v108 offset0:2 offset1:3
	ds_load_2addr_b64 v[46:49], v108 offset0:4 offset1:5
	ds_load_2addr_b64 v[42:45], v108 offset0:6 offset1:7
	ds_load_2addr_b64 v[38:41], v108 offset0:8 offset1:9
	ds_load_2addr_b64 v[34:37], v108 offset0:10 offset1:11
	ds_load_2addr_b64 v[30:33], v108 offset0:12 offset1:13
	ds_load_2addr_b64 v[26:29], v108 offset0:14 offset1:15
	s_getpc_b64 s[26:27]
	s_sext_i32_i16 s27, s27
	s_add_co_u32 s26, s26, _ZZZZN2at6native31launch_logcumsumexp_cuda_kernelERKNS_10TensorBaseES3_lENKUlvE_clEvENKUlvE2_clEvENKUlN3c107complexIfEES8_E_clES8_S8_@rel32@lo+8
	s_add_co_ci_u32 s27, s27, _ZZZZN2at6native31launch_logcumsumexp_cuda_kernelERKNS_10TensorBaseES3_lENKUlvE_clEvENKUlvE2_clEvENKUlN3c107complexIfEES8_E_clES8_S8_@rel32@hi+16
	s_wait_loadcnt_dscnt 0x0
	s_barrier_signal -1
	s_barrier_wait -1
	global_inv scope:SCOPE_SE
	v_dual_mov_b32 v0, v22 :: v_dual_mov_b32 v1, v23
	v_dual_mov_b32 v2, v24 :: v_dual_mov_b32 v3, v25
	s_swappc_b64 s[30:31], s[26:27]
	v_dual_mov_b32 v2, v50 :: v_dual_mov_b32 v3, v51
	s_delay_alu instid0(VALU_DEP_3)
	v_dual_mov_b32 v85, v0 :: v_dual_mov_b32 v86, v1
	s_wait_alu 0xfffe
	s_swappc_b64 s[30:31], s[26:27]
	v_dual_mov_b32 v2, v52 :: v_dual_mov_b32 v3, v53
	v_dual_mov_b32 v54, v0 :: v_dual_mov_b32 v55, v1
	s_wait_alu 0xfffe
	s_swappc_b64 s[30:31], s[26:27]
	v_dual_mov_b32 v2, v46 :: v_dual_mov_b32 v3, v47
	;; [unrolled: 4-line block ×14, first 2 shown]
	s_mov_b32 s23, exec_lo
	ds_store_b64 v92, v[80:81]
	s_wait_storecnt_dscnt 0x0
	s_barrier_signal -1
	s_barrier_wait -1
	global_inv scope:SCOPE_SE
	v_cmpx_gt_u32_e32 32, v84
	s_cbranch_execz .LBB343_44
; %bb.33:
	v_lshlrev_b32_e32 v0, 1, v84
	v_lshlrev_b32_e32 v1, 6, v84
	s_delay_alu instid0(VALU_DEP_2) | instskip(NEXT) | instid1(VALU_DEP_1)
	v_and_b32_e32 v0, 0x1f8, v0
	v_add_nc_u32_e32 v109, v0, v1
	ds_load_b64 v[82:83], v109
	ds_load_2addr_b64 v[87:90], v109 offset0:1 offset1:2
	s_wait_dscnt 0x1
	v_dual_mov_b32 v0, v82 :: v_dual_mov_b32 v1, v83
	s_wait_dscnt 0x0
	v_dual_mov_b32 v2, v87 :: v_dual_mov_b32 v3, v88
	s_wait_alu 0xfffe
	s_swappc_b64 s[30:31], s[26:27]
	v_dual_mov_b32 v2, v89 :: v_dual_mov_b32 v3, v90
	s_wait_alu 0xfffe
	s_swappc_b64 s[30:31], s[26:27]
	ds_load_2addr_b64 v[87:90], v109 offset0:3 offset1:4
	s_wait_dscnt 0x0
	v_dual_mov_b32 v2, v87 :: v_dual_mov_b32 v3, v88
	s_wait_alu 0xfffe
	s_swappc_b64 s[30:31], s[26:27]
	v_dual_mov_b32 v2, v89 :: v_dual_mov_b32 v3, v90
	s_wait_alu 0xfffe
	s_swappc_b64 s[30:31], s[26:27]
	ds_load_2addr_b64 v[87:90], v109 offset0:5 offset1:6
	s_wait_dscnt 0x0
	v_dual_mov_b32 v2, v87 :: v_dual_mov_b32 v3, v88
	s_wait_alu 0xfffe
	s_swappc_b64 s[30:31], s[26:27]
	v_dual_mov_b32 v2, v89 :: v_dual_mov_b32 v3, v90
	s_wait_alu 0xfffe
	s_swappc_b64 s[30:31], s[26:27]
	ds_load_b64 v[2:3], v109 offset:56
	s_wait_alu 0xfffe
	s_swappc_b64 s[30:31], s[26:27]
	v_dual_mov_b32 v2, v0 :: v_dual_mov_b32 v3, v1
	v_mbcnt_lo_u32_b32 v87, -1, 0
	s_mov_b32 s26, exec_lo
	s_delay_alu instid0(VALU_DEP_2) | instskip(NEXT) | instid1(VALU_DEP_3)
	v_mov_b32_dpp v0, v2 row_shr:1 row_mask:0xf bank_mask:0xf
	v_mov_b32_dpp v1, v3 row_shr:1 row_mask:0xf bank_mask:0xf
	s_delay_alu instid0(VALU_DEP_3) | instskip(NEXT) | instid1(VALU_DEP_1)
	v_and_b32_e32 v88, 15, v87
	v_cmpx_ne_u32_e32 0, v88
	s_cbranch_execz .LBB343_35
; %bb.34:
	s_getpc_b64 s[0:1]
	s_wait_alu 0xfffe
	s_sext_i32_i16 s1, s1
	s_add_co_u32 s0, s0, _ZZZZN2at6native31launch_logcumsumexp_cuda_kernelERKNS_10TensorBaseES3_lENKUlvE_clEvENKUlvE2_clEvENKUlN3c107complexIfEES8_E_clES8_S8_@rel32@lo+12
	s_wait_alu 0xfffe
	s_add_co_ci_u32 s1, s1, _ZZZZN2at6native31launch_logcumsumexp_cuda_kernelERKNS_10TensorBaseES3_lENKUlvE_clEvENKUlvE2_clEvENKUlN3c107complexIfEES8_E_clES8_S8_@rel32@hi+24
	s_wait_alu 0xfffe
	s_swappc_b64 s[30:31], s[0:1]
	v_dual_mov_b32 v2, v0 :: v_dual_mov_b32 v3, v1
.LBB343_35:
	s_wait_alu 0xfffe
	s_or_b32 exec_lo, exec_lo, s26
	s_delay_alu instid0(VALU_DEP_1) | instskip(NEXT) | instid1(VALU_DEP_2)
	v_mov_b32_dpp v0, v2 row_shr:2 row_mask:0xf bank_mask:0xf
	v_mov_b32_dpp v1, v3 row_shr:2 row_mask:0xf bank_mask:0xf
	s_mov_b32 s26, exec_lo
	v_cmpx_lt_u32_e32 1, v88
	s_cbranch_execz .LBB343_37
; %bb.36:
	s_getpc_b64 s[0:1]
	s_wait_alu 0xfffe
	s_sext_i32_i16 s1, s1
	s_add_co_u32 s0, s0, _ZZZZN2at6native31launch_logcumsumexp_cuda_kernelERKNS_10TensorBaseES3_lENKUlvE_clEvENKUlvE2_clEvENKUlN3c107complexIfEES8_E_clES8_S8_@rel32@lo+12
	s_wait_alu 0xfffe
	s_add_co_ci_u32 s1, s1, _ZZZZN2at6native31launch_logcumsumexp_cuda_kernelERKNS_10TensorBaseES3_lENKUlvE_clEvENKUlvE2_clEvENKUlN3c107complexIfEES8_E_clES8_S8_@rel32@hi+24
	s_wait_alu 0xfffe
	s_swappc_b64 s[30:31], s[0:1]
	v_dual_mov_b32 v2, v0 :: v_dual_mov_b32 v3, v1
.LBB343_37:
	s_wait_alu 0xfffe
	s_or_b32 exec_lo, exec_lo, s26
	s_delay_alu instid0(VALU_DEP_1) | instskip(NEXT) | instid1(VALU_DEP_2)
	v_mov_b32_dpp v0, v2 row_shr:4 row_mask:0xf bank_mask:0xf
	v_mov_b32_dpp v1, v3 row_shr:4 row_mask:0xf bank_mask:0xf
	s_mov_b32 s26, exec_lo
	v_cmpx_lt_u32_e32 3, v88
	;; [unrolled: 19-line block ×3, first 2 shown]
	s_cbranch_execz .LBB343_41
; %bb.40:
	s_getpc_b64 s[0:1]
	s_wait_alu 0xfffe
	s_sext_i32_i16 s1, s1
	s_add_co_u32 s0, s0, _ZZZZN2at6native31launch_logcumsumexp_cuda_kernelERKNS_10TensorBaseES3_lENKUlvE_clEvENKUlvE2_clEvENKUlN3c107complexIfEES8_E_clES8_S8_@rel32@lo+12
	s_wait_alu 0xfffe
	s_add_co_ci_u32 s1, s1, _ZZZZN2at6native31launch_logcumsumexp_cuda_kernelERKNS_10TensorBaseES3_lENKUlvE_clEvENKUlvE2_clEvENKUlN3c107complexIfEES8_E_clES8_S8_@rel32@hi+24
	s_wait_alu 0xfffe
	s_swappc_b64 s[30:31], s[0:1]
	v_dual_mov_b32 v2, v0 :: v_dual_mov_b32 v3, v1
.LBB343_41:
	s_wait_alu 0xfffe
	s_or_b32 exec_lo, exec_lo, s26
	ds_swizzle_b32 v0, v2 offset:swizzle(BROADCAST,32,15)
	ds_swizzle_b32 v1, v3 offset:swizzle(BROADCAST,32,15)
	v_and_b32_e32 v4, 16, v87
	s_mov_b32 s26, exec_lo
	s_delay_alu instid0(VALU_DEP_1)
	v_cmpx_ne_u32_e32 0, v4
	s_cbranch_execz .LBB343_43
; %bb.42:
	s_getpc_b64 s[0:1]
	s_wait_alu 0xfffe
	s_sext_i32_i16 s1, s1
	s_add_co_u32 s0, s0, _ZZZZN2at6native31launch_logcumsumexp_cuda_kernelERKNS_10TensorBaseES3_lENKUlvE_clEvENKUlvE2_clEvENKUlN3c107complexIfEES8_E_clES8_S8_@rel32@lo+12
	s_wait_alu 0xfffe
	s_add_co_ci_u32 s1, s1, _ZZZZN2at6native31launch_logcumsumexp_cuda_kernelERKNS_10TensorBaseES3_lENKUlvE_clEvENKUlvE2_clEvENKUlN3c107complexIfEES8_E_clES8_S8_@rel32@hi+24
	s_wait_alu 0xfffe
	s_swappc_b64 s[30:31], s[0:1]
	v_dual_mov_b32 v2, v0 :: v_dual_mov_b32 v3, v1
.LBB343_43:
	s_wait_alu 0xfffe
	s_or_b32 exec_lo, exec_lo, s26
	s_wait_dscnt 0x1
	v_add_nc_u32_e32 v0, -1, v87
	s_getpc_b64 s[26:27]
	s_wait_alu 0xfffe
	s_sext_i32_i16 s27, s27
	s_add_co_u32 s26, s26, _ZZZZN2at6native31launch_logcumsumexp_cuda_kernelERKNS_10TensorBaseES3_lENKUlvE_clEvENKUlvE2_clEvENKUlN3c107complexIfEES8_E_clES8_S8_@rel32@lo+12
	s_wait_alu 0xfffe
	s_add_co_ci_u32 s27, s27, _ZZZZN2at6native31launch_logcumsumexp_cuda_kernelERKNS_10TensorBaseES3_lENKUlvE_clEvENKUlvE2_clEvENKUlN3c107complexIfEES8_E_clES8_S8_@rel32@hi+24
	v_cmp_gt_i32_e32 vcc_lo, 0, v0
	s_wait_alu 0xfffd
	v_cndmask_b32_e32 v0, v0, v87, vcc_lo
	s_wait_dscnt 0x0
	s_delay_alu instid0(VALU_DEP_1)
	v_lshlrev_b32_e32 v1, 2, v0
	ds_bpermute_b32 v0, v1, v2
	v_mov_b32_e32 v2, v82
	ds_bpermute_b32 v1, v1, v3
	v_mov_b32_e32 v3, v83
	s_wait_alu 0xfffe
	s_swappc_b64 s[30:31], s[26:27]
	v_cmp_eq_u32_e32 vcc_lo, 0, v84
	; wave barrier
	s_wait_alu 0xfffd
	v_dual_cndmask_b32 v0, v0, v80 :: v_dual_cndmask_b32 v1, v1, v81
	ds_store_b64 v109, v[0:1]
	; wave barrier
	ds_load_2addr_b64 v[87:90], v109 offset0:1 offset1:2
	s_wait_dscnt 0x0
	v_dual_mov_b32 v2, v87 :: v_dual_mov_b32 v3, v88
	s_wait_alu 0xfffe
	s_swappc_b64 s[30:31], s[26:27]
	v_dual_mov_b32 v2, v89 :: v_dual_mov_b32 v3, v90
	v_dual_mov_b32 v82, v0 :: v_dual_mov_b32 v83, v1
	s_wait_alu 0xfffe
	s_swappc_b64 s[30:31], s[26:27]
	ds_load_2addr_b64 v[87:90], v109 offset0:3 offset1:4
	ds_store_2addr_b64 v109, v[82:83], v[0:1] offset0:1 offset1:2
	s_wait_dscnt 0x1
	v_dual_mov_b32 v2, v87 :: v_dual_mov_b32 v3, v88
	s_wait_alu 0xfffe
	s_swappc_b64 s[30:31], s[26:27]
	v_dual_mov_b32 v2, v89 :: v_dual_mov_b32 v3, v90
	v_dual_mov_b32 v82, v0 :: v_dual_mov_b32 v83, v1
	s_wait_alu 0xfffe
	s_swappc_b64 s[30:31], s[26:27]
	ds_load_2addr_b64 v[87:90], v109 offset0:5 offset1:6
	ds_store_2addr_b64 v109, v[82:83], v[0:1] offset0:3 offset1:4
	s_wait_dscnt 0x1
	v_dual_mov_b32 v2, v87 :: v_dual_mov_b32 v3, v88
	s_wait_alu 0xfffe
	s_swappc_b64 s[30:31], s[26:27]
	v_dual_mov_b32 v2, v89 :: v_dual_mov_b32 v3, v90
	v_dual_mov_b32 v82, v0 :: v_dual_mov_b32 v83, v1
	s_wait_alu 0xfffe
	s_swappc_b64 s[30:31], s[26:27]
	ds_load_b64 v[2:3], v109 offset:56
	ds_store_2addr_b64 v109, v[82:83], v[0:1] offset0:5 offset1:6
	s_wait_alu 0xfffe
	s_swappc_b64 s[30:31], s[26:27]
	ds_store_b64 v109, v[0:1] offset:56
.LBB343_44:
	s_wait_alu 0xfffe
	s_or_b32 exec_lo, exec_lo, s23
	s_delay_alu instid0(SALU_CYCLE_1)
	s_mov_b32 s23, exec_lo
	s_wait_storecnt 0x0
	s_wait_loadcnt_dscnt 0x0
	s_barrier_signal -1
	s_barrier_wait -1
	global_inv scope:SCOPE_SE
	v_cmpx_ne_u32_e32 0, v84
	s_cbranch_execz .LBB343_46
; %bb.45:
	v_dual_mov_b32 v3, v23 :: v_dual_add_nc_u32 v0, -1, v84
	s_getpc_b64 s[26:27]
	s_wait_alu 0xfffe
	s_sext_i32_i16 s27, s27
	s_add_co_u32 s26, s26, _ZZZZN2at6native31launch_logcumsumexp_cuda_kernelERKNS_10TensorBaseES3_lENKUlvE_clEvENKUlvE2_clEvENKUlN3c107complexIfEES8_E_clES8_S8_@rel32@lo+12
	s_wait_alu 0xfffe
	s_add_co_ci_u32 s27, s27, _ZZZZN2at6native31launch_logcumsumexp_cuda_kernelERKNS_10TensorBaseES3_lENKUlvE_clEvENKUlvE2_clEvENKUlN3c107complexIfEES8_E_clES8_S8_@rel32@hi+24
	v_mov_b32_e32 v2, v22
	v_lshrrev_b32_e32 v1, 2, v0
	s_delay_alu instid0(VALU_DEP_1) | instskip(NEXT) | instid1(VALU_DEP_1)
	v_and_b32_e32 v1, 0x3ffffff8, v1
	v_lshl_add_u32 v0, v0, 3, v1
	ds_load_b64 v[0:1], v0
	s_wait_alu 0xfffe
	s_swappc_b64 s[30:31], s[26:27]
	v_dual_mov_b32 v2, v24 :: v_dual_mov_b32 v3, v25
	v_dual_mov_b32 v22, v0 :: v_dual_mov_b32 v23, v1
	;;#ASMSTART
	;;#ASMEND
	s_wait_alu 0xfffe
	s_swappc_b64 s[30:31], s[26:27]
	v_dual_mov_b32 v2, v50 :: v_dual_mov_b32 v3, v51
	v_dual_mov_b32 v85, v0 :: v_dual_mov_b32 v86, v1
	s_wait_alu 0xfffe
	s_swappc_b64 s[30:31], s[26:27]
	v_dual_mov_b32 v2, v52 :: v_dual_mov_b32 v3, v53
	v_dual_mov_b32 v54, v0 :: v_dual_mov_b32 v55, v1
	s_wait_alu 0xfffe
	s_swappc_b64 s[30:31], s[26:27]
	v_dual_mov_b32 v2, v46 :: v_dual_mov_b32 v3, v47
	v_dual_mov_b32 v56, v0 :: v_dual_mov_b32 v57, v1
	s_wait_alu 0xfffe
	s_swappc_b64 s[30:31], s[26:27]
	v_dual_mov_b32 v2, v48 :: v_dual_mov_b32 v3, v49
	v_dual_mov_b32 v58, v0 :: v_dual_mov_b32 v59, v1
	s_wait_alu 0xfffe
	s_swappc_b64 s[30:31], s[26:27]
	v_dual_mov_b32 v2, v42 :: v_dual_mov_b32 v3, v43
	v_dual_mov_b32 v60, v0 :: v_dual_mov_b32 v61, v1
	s_wait_alu 0xfffe
	s_swappc_b64 s[30:31], s[26:27]
	v_dual_mov_b32 v2, v44 :: v_dual_mov_b32 v3, v45
	v_dual_mov_b32 v62, v0 :: v_dual_mov_b32 v63, v1
	s_wait_alu 0xfffe
	s_swappc_b64 s[30:31], s[26:27]
	v_dual_mov_b32 v2, v38 :: v_dual_mov_b32 v3, v39
	v_dual_mov_b32 v64, v0 :: v_dual_mov_b32 v65, v1
	s_wait_alu 0xfffe
	s_swappc_b64 s[30:31], s[26:27]
	v_dual_mov_b32 v2, v40 :: v_dual_mov_b32 v3, v41
	v_dual_mov_b32 v66, v0 :: v_dual_mov_b32 v67, v1
	s_wait_alu 0xfffe
	s_swappc_b64 s[30:31], s[26:27]
	v_dual_mov_b32 v2, v34 :: v_dual_mov_b32 v3, v35
	v_dual_mov_b32 v68, v0 :: v_dual_mov_b32 v69, v1
	s_wait_alu 0xfffe
	s_swappc_b64 s[30:31], s[26:27]
	v_dual_mov_b32 v2, v36 :: v_dual_mov_b32 v3, v37
	v_dual_mov_b32 v70, v0 :: v_dual_mov_b32 v71, v1
	s_wait_alu 0xfffe
	s_swappc_b64 s[30:31], s[26:27]
	v_dual_mov_b32 v2, v30 :: v_dual_mov_b32 v3, v31
	v_dual_mov_b32 v72, v0 :: v_dual_mov_b32 v73, v1
	s_wait_alu 0xfffe
	s_swappc_b64 s[30:31], s[26:27]
	v_dual_mov_b32 v2, v32 :: v_dual_mov_b32 v3, v33
	v_dual_mov_b32 v74, v0 :: v_dual_mov_b32 v75, v1
	s_wait_alu 0xfffe
	s_swappc_b64 s[30:31], s[26:27]
	v_dual_mov_b32 v2, v26 :: v_dual_mov_b32 v3, v27
	v_dual_mov_b32 v76, v0 :: v_dual_mov_b32 v77, v1
	s_wait_alu 0xfffe
	s_swappc_b64 s[30:31], s[26:27]
	v_dual_mov_b32 v2, v28 :: v_dual_mov_b32 v3, v29
	v_dual_mov_b32 v78, v0 :: v_dual_mov_b32 v79, v1
	s_wait_alu 0xfffe
	s_swappc_b64 s[30:31], s[26:27]
	v_dual_mov_b32 v80, v0 :: v_dual_mov_b32 v81, v1
.LBB343_46:
	s_wait_alu 0xfffe
	s_or_b32 exec_lo, exec_lo, s23
	v_dual_mov_b32 v0, v85 :: v_dual_mov_b32 v1, v86
	s_wait_loadcnt 0x0
	s_wait_storecnt 0x0
	s_barrier_signal -1
	s_barrier_wait -1
	global_inv scope:SCOPE_SE
	ds_store_2addr_b64 v108, v[22:23], v[0:1] offset1:1
	ds_store_2addr_b64 v108, v[54:55], v[56:57] offset0:2 offset1:3
	ds_store_2addr_b64 v108, v[58:59], v[60:61] offset0:4 offset1:5
	;; [unrolled: 1-line block ×7, first 2 shown]
	s_wait_loadcnt_dscnt 0x0
	s_barrier_signal -1
	s_barrier_wait -1
	global_inv scope:SCOPE_SE
	ds_load_b64 v[30:31], v93 offset:2048
	ds_load_b64 v[28:29], v94 offset:4096
	;; [unrolled: 1-line block ×15, first 2 shown]
	v_add_co_u32 v2, s0, s24, v91
	s_wait_alu 0xf1ff
	v_add_co_ci_u32_e64 v3, null, s25, 0, s0
	s_and_saveexec_b32 s0, s7
	s_cbranch_execnz .LBB343_63
; %bb.47:
	s_wait_alu 0xfffe
	s_or_b32 exec_lo, exec_lo, s0
	s_and_saveexec_b32 s0, s8
	s_cbranch_execnz .LBB343_64
.LBB343_48:
	s_wait_alu 0xfffe
	s_or_b32 exec_lo, exec_lo, s0
	s_and_saveexec_b32 s0, s9
	s_cbranch_execnz .LBB343_65
.LBB343_49:
	s_wait_alu 0xfffe
	s_or_b32 exec_lo, exec_lo, s0
	s_and_saveexec_b32 s0, s10
	s_cbranch_execnz .LBB343_66
.LBB343_50:
	s_wait_alu 0xfffe
	s_or_b32 exec_lo, exec_lo, s0
	s_and_saveexec_b32 s0, s11
	s_cbranch_execnz .LBB343_67
.LBB343_51:
	s_wait_alu 0xfffe
	s_or_b32 exec_lo, exec_lo, s0
	s_and_saveexec_b32 s0, s12
	s_cbranch_execnz .LBB343_68
.LBB343_52:
	s_wait_alu 0xfffe
	s_or_b32 exec_lo, exec_lo, s0
	s_and_saveexec_b32 s0, s13
	s_cbranch_execnz .LBB343_69
.LBB343_53:
	s_wait_alu 0xfffe
	s_or_b32 exec_lo, exec_lo, s0
	s_and_saveexec_b32 s0, s14
	s_cbranch_execnz .LBB343_70
.LBB343_54:
	s_wait_alu 0xfffe
	s_or_b32 exec_lo, exec_lo, s0
	s_and_saveexec_b32 s0, s15
	s_cbranch_execnz .LBB343_71
.LBB343_55:
	s_wait_alu 0xfffe
	s_or_b32 exec_lo, exec_lo, s0
	s_and_saveexec_b32 s0, s16
	s_cbranch_execnz .LBB343_72
.LBB343_56:
	s_wait_alu 0xfffe
	s_or_b32 exec_lo, exec_lo, s0
	s_and_saveexec_b32 s0, s17
	s_cbranch_execnz .LBB343_73
.LBB343_57:
	s_wait_alu 0xfffe
	s_or_b32 exec_lo, exec_lo, s0
	s_and_saveexec_b32 s0, s18
	s_cbranch_execnz .LBB343_74
.LBB343_58:
	s_wait_alu 0xfffe
	s_or_b32 exec_lo, exec_lo, s0
	s_and_saveexec_b32 s0, s19
	s_cbranch_execnz .LBB343_75
.LBB343_59:
	s_wait_alu 0xfffe
	s_or_b32 exec_lo, exec_lo, s0
	s_and_saveexec_b32 s0, s20
	s_cbranch_execnz .LBB343_76
.LBB343_60:
	s_wait_alu 0xfffe
	s_or_b32 exec_lo, exec_lo, s0
	s_and_saveexec_b32 s0, s21
	s_cbranch_execnz .LBB343_77
.LBB343_61:
	s_wait_alu 0xfffe
	s_or_b32 exec_lo, exec_lo, s0
	s_and_saveexec_b32 s0, s22
	s_cbranch_execnz .LBB343_78
.LBB343_62:
	s_nop 0
	s_sendmsg sendmsg(MSG_DEALLOC_VGPRS)
	s_endpgm
.LBB343_63:
	ds_load_b64 v[32:33], v92
	s_wait_dscnt 0x0
	global_store_b64 v[2:3], v[32:33], off
	s_wait_alu 0xfffe
	s_or_b32 exec_lo, exec_lo, s0
	s_and_saveexec_b32 s0, s8
	s_cbranch_execz .LBB343_48
.LBB343_64:
	s_wait_dscnt 0xe
	global_store_b64 v[2:3], v[30:31], off offset:2048
	s_wait_alu 0xfffe
	s_or_b32 exec_lo, exec_lo, s0
	s_and_saveexec_b32 s0, s9
	s_cbranch_execz .LBB343_49
.LBB343_65:
	s_wait_dscnt 0xd
	global_store_b64 v[2:3], v[28:29], off offset:4096
	s_wait_alu 0xfffe
	s_or_b32 exec_lo, exec_lo, s0
	s_and_saveexec_b32 s0, s10
	s_cbranch_execz .LBB343_50
.LBB343_66:
	s_wait_dscnt 0xc
	global_store_b64 v[2:3], v[26:27], off offset:6144
	s_wait_alu 0xfffe
	s_or_b32 exec_lo, exec_lo, s0
	s_and_saveexec_b32 s0, s11
	s_cbranch_execz .LBB343_51
.LBB343_67:
	s_wait_dscnt 0xb
	global_store_b64 v[2:3], v[24:25], off offset:8192
	s_wait_alu 0xfffe
	s_or_b32 exec_lo, exec_lo, s0
	s_and_saveexec_b32 s0, s12
	s_cbranch_execz .LBB343_52
.LBB343_68:
	s_wait_dscnt 0xa
	global_store_b64 v[2:3], v[22:23], off offset:10240
	s_wait_alu 0xfffe
	s_or_b32 exec_lo, exec_lo, s0
	s_and_saveexec_b32 s0, s13
	s_cbranch_execz .LBB343_53
.LBB343_69:
	s_wait_dscnt 0x9
	global_store_b64 v[2:3], v[20:21], off offset:12288
	s_wait_alu 0xfffe
	s_or_b32 exec_lo, exec_lo, s0
	s_and_saveexec_b32 s0, s14
	s_cbranch_execz .LBB343_54
.LBB343_70:
	s_wait_dscnt 0x8
	global_store_b64 v[2:3], v[18:19], off offset:14336
	s_wait_alu 0xfffe
	s_or_b32 exec_lo, exec_lo, s0
	s_and_saveexec_b32 s0, s15
	s_cbranch_execz .LBB343_55
.LBB343_71:
	s_wait_dscnt 0x7
	global_store_b64 v[2:3], v[16:17], off offset:16384
	s_wait_alu 0xfffe
	s_or_b32 exec_lo, exec_lo, s0
	s_and_saveexec_b32 s0, s16
	s_cbranch_execz .LBB343_56
.LBB343_72:
	s_wait_dscnt 0x6
	global_store_b64 v[2:3], v[14:15], off offset:18432
	s_wait_alu 0xfffe
	s_or_b32 exec_lo, exec_lo, s0
	s_and_saveexec_b32 s0, s17
	s_cbranch_execz .LBB343_57
.LBB343_73:
	s_wait_dscnt 0x5
	global_store_b64 v[2:3], v[12:13], off offset:20480
	s_wait_alu 0xfffe
	s_or_b32 exec_lo, exec_lo, s0
	s_and_saveexec_b32 s0, s18
	s_cbranch_execz .LBB343_58
.LBB343_74:
	s_wait_dscnt 0x4
	global_store_b64 v[2:3], v[10:11], off offset:22528
	s_wait_alu 0xfffe
	s_or_b32 exec_lo, exec_lo, s0
	s_and_saveexec_b32 s0, s19
	s_cbranch_execz .LBB343_59
.LBB343_75:
	s_wait_dscnt 0x3
	global_store_b64 v[2:3], v[8:9], off offset:24576
	s_wait_alu 0xfffe
	s_or_b32 exec_lo, exec_lo, s0
	s_and_saveexec_b32 s0, s20
	s_cbranch_execz .LBB343_60
.LBB343_76:
	s_wait_dscnt 0x2
	global_store_b64 v[2:3], v[6:7], off offset:26624
	s_wait_alu 0xfffe
	s_or_b32 exec_lo, exec_lo, s0
	s_and_saveexec_b32 s0, s21
	s_cbranch_execz .LBB343_61
.LBB343_77:
	s_wait_dscnt 0x1
	global_store_b64 v[2:3], v[4:5], off offset:28672
	s_wait_alu 0xfffe
	s_or_b32 exec_lo, exec_lo, s0
	s_and_saveexec_b32 s0, s22
	s_cbranch_execz .LBB343_62
.LBB343_78:
	s_wait_dscnt 0x0
	global_store_b64 v[2:3], v[0:1], off offset:30720
	s_nop 0
	s_sendmsg sendmsg(MSG_DEALLOC_VGPRS)
	s_endpgm
	.section	.rodata,"a",@progbits
	.p2align	6, 0x0
	.amdhsa_kernel _ZN7rocprim17ROCPRIM_400000_NS6detail17trampoline_kernelINS0_14default_configENS1_20scan_config_selectorIN3c107complexIfEEEEZZNS1_9scan_implILNS1_25lookback_scan_determinismE0ELb0ELb0ES3_PKS7_PS7_S7_ZZZN2at6native31launch_logcumsumexp_cuda_kernelERKNSE_10TensorBaseESI_lENKUlvE_clEvENKUlvE2_clEvEUlS7_S7_E_S7_EEDaPvRmT3_T4_T5_mT6_P12ihipStream_tbENKUlT_T0_E_clISt17integral_constantIbLb0EESY_IbLb1EEEEDaSU_SV_EUlSU_E0_NS1_11comp_targetILNS1_3genE10ELNS1_11target_archE1201ELNS1_3gpuE5ELNS1_3repE0EEENS1_30default_config_static_selectorELNS0_4arch9wavefront6targetE0EEEvT1_
		.amdhsa_group_segment_fixed_size 33792
		.amdhsa_private_segment_fixed_size 0
		.amdhsa_kernarg_size 40
		.amdhsa_user_sgpr_count 2
		.amdhsa_user_sgpr_dispatch_ptr 0
		.amdhsa_user_sgpr_queue_ptr 0
		.amdhsa_user_sgpr_kernarg_segment_ptr 1
		.amdhsa_user_sgpr_dispatch_id 0
		.amdhsa_user_sgpr_private_segment_size 0
		.amdhsa_wavefront_size32 1
		.amdhsa_uses_dynamic_stack 0
		.amdhsa_enable_private_segment 0
		.amdhsa_system_sgpr_workgroup_id_x 1
		.amdhsa_system_sgpr_workgroup_id_y 0
		.amdhsa_system_sgpr_workgroup_id_z 0
		.amdhsa_system_sgpr_workgroup_info 0
		.amdhsa_system_vgpr_workitem_id 0
		.amdhsa_next_free_vgpr 217
		.amdhsa_next_free_sgpr 33
		.amdhsa_reserve_vcc 1
		.amdhsa_float_round_mode_32 0
		.amdhsa_float_round_mode_16_64 0
		.amdhsa_float_denorm_mode_32 3
		.amdhsa_float_denorm_mode_16_64 3
		.amdhsa_fp16_overflow 0
		.amdhsa_workgroup_processor_mode 1
		.amdhsa_memory_ordered 1
		.amdhsa_forward_progress 1
		.amdhsa_inst_pref_size 35
		.amdhsa_round_robin_scheduling 0
		.amdhsa_exception_fp_ieee_invalid_op 0
		.amdhsa_exception_fp_denorm_src 0
		.amdhsa_exception_fp_ieee_div_zero 0
		.amdhsa_exception_fp_ieee_overflow 0
		.amdhsa_exception_fp_ieee_underflow 0
		.amdhsa_exception_fp_ieee_inexact 0
		.amdhsa_exception_int_div_zero 0
	.end_amdhsa_kernel
	.section	.text._ZN7rocprim17ROCPRIM_400000_NS6detail17trampoline_kernelINS0_14default_configENS1_20scan_config_selectorIN3c107complexIfEEEEZZNS1_9scan_implILNS1_25lookback_scan_determinismE0ELb0ELb0ES3_PKS7_PS7_S7_ZZZN2at6native31launch_logcumsumexp_cuda_kernelERKNSE_10TensorBaseESI_lENKUlvE_clEvENKUlvE2_clEvEUlS7_S7_E_S7_EEDaPvRmT3_T4_T5_mT6_P12ihipStream_tbENKUlT_T0_E_clISt17integral_constantIbLb0EESY_IbLb1EEEEDaSU_SV_EUlSU_E0_NS1_11comp_targetILNS1_3genE10ELNS1_11target_archE1201ELNS1_3gpuE5ELNS1_3repE0EEENS1_30default_config_static_selectorELNS0_4arch9wavefront6targetE0EEEvT1_,"axG",@progbits,_ZN7rocprim17ROCPRIM_400000_NS6detail17trampoline_kernelINS0_14default_configENS1_20scan_config_selectorIN3c107complexIfEEEEZZNS1_9scan_implILNS1_25lookback_scan_determinismE0ELb0ELb0ES3_PKS7_PS7_S7_ZZZN2at6native31launch_logcumsumexp_cuda_kernelERKNSE_10TensorBaseESI_lENKUlvE_clEvENKUlvE2_clEvEUlS7_S7_E_S7_EEDaPvRmT3_T4_T5_mT6_P12ihipStream_tbENKUlT_T0_E_clISt17integral_constantIbLb0EESY_IbLb1EEEEDaSU_SV_EUlSU_E0_NS1_11comp_targetILNS1_3genE10ELNS1_11target_archE1201ELNS1_3gpuE5ELNS1_3repE0EEENS1_30default_config_static_selectorELNS0_4arch9wavefront6targetE0EEEvT1_,comdat
.Lfunc_end343:
	.size	_ZN7rocprim17ROCPRIM_400000_NS6detail17trampoline_kernelINS0_14default_configENS1_20scan_config_selectorIN3c107complexIfEEEEZZNS1_9scan_implILNS1_25lookback_scan_determinismE0ELb0ELb0ES3_PKS7_PS7_S7_ZZZN2at6native31launch_logcumsumexp_cuda_kernelERKNSE_10TensorBaseESI_lENKUlvE_clEvENKUlvE2_clEvEUlS7_S7_E_S7_EEDaPvRmT3_T4_T5_mT6_P12ihipStream_tbENKUlT_T0_E_clISt17integral_constantIbLb0EESY_IbLb1EEEEDaSU_SV_EUlSU_E0_NS1_11comp_targetILNS1_3genE10ELNS1_11target_archE1201ELNS1_3gpuE5ELNS1_3repE0EEENS1_30default_config_static_selectorELNS0_4arch9wavefront6targetE0EEEvT1_, .Lfunc_end343-_ZN7rocprim17ROCPRIM_400000_NS6detail17trampoline_kernelINS0_14default_configENS1_20scan_config_selectorIN3c107complexIfEEEEZZNS1_9scan_implILNS1_25lookback_scan_determinismE0ELb0ELb0ES3_PKS7_PS7_S7_ZZZN2at6native31launch_logcumsumexp_cuda_kernelERKNSE_10TensorBaseESI_lENKUlvE_clEvENKUlvE2_clEvEUlS7_S7_E_S7_EEDaPvRmT3_T4_T5_mT6_P12ihipStream_tbENKUlT_T0_E_clISt17integral_constantIbLb0EESY_IbLb1EEEEDaSU_SV_EUlSU_E0_NS1_11comp_targetILNS1_3genE10ELNS1_11target_archE1201ELNS1_3gpuE5ELNS1_3repE0EEENS1_30default_config_static_selectorELNS0_4arch9wavefront6targetE0EEEvT1_
                                        ; -- End function
	.set _ZN7rocprim17ROCPRIM_400000_NS6detail17trampoline_kernelINS0_14default_configENS1_20scan_config_selectorIN3c107complexIfEEEEZZNS1_9scan_implILNS1_25lookback_scan_determinismE0ELb0ELb0ES3_PKS7_PS7_S7_ZZZN2at6native31launch_logcumsumexp_cuda_kernelERKNSE_10TensorBaseESI_lENKUlvE_clEvENKUlvE2_clEvEUlS7_S7_E_S7_EEDaPvRmT3_T4_T5_mT6_P12ihipStream_tbENKUlT_T0_E_clISt17integral_constantIbLb0EESY_IbLb1EEEEDaSU_SV_EUlSU_E0_NS1_11comp_targetILNS1_3genE10ELNS1_11target_archE1201ELNS1_3gpuE5ELNS1_3repE0EEENS1_30default_config_static_selectorELNS0_4arch9wavefront6targetE0EEEvT1_.num_vgpr, max(110, .L_ZZZZN2at6native31launch_logcumsumexp_cuda_kernelERKNS_10TensorBaseES3_lENKUlvE_clEvENKUlvE2_clEvENKUlN3c107complexIfEES8_E_clES8_S8_.num_vgpr)
	.set _ZN7rocprim17ROCPRIM_400000_NS6detail17trampoline_kernelINS0_14default_configENS1_20scan_config_selectorIN3c107complexIfEEEEZZNS1_9scan_implILNS1_25lookback_scan_determinismE0ELb0ELb0ES3_PKS7_PS7_S7_ZZZN2at6native31launch_logcumsumexp_cuda_kernelERKNSE_10TensorBaseESI_lENKUlvE_clEvENKUlvE2_clEvEUlS7_S7_E_S7_EEDaPvRmT3_T4_T5_mT6_P12ihipStream_tbENKUlT_T0_E_clISt17integral_constantIbLb0EESY_IbLb1EEEEDaSU_SV_EUlSU_E0_NS1_11comp_targetILNS1_3genE10ELNS1_11target_archE1201ELNS1_3gpuE5ELNS1_3repE0EEENS1_30default_config_static_selectorELNS0_4arch9wavefront6targetE0EEEvT1_.num_agpr, max(0, .L_ZZZZN2at6native31launch_logcumsumexp_cuda_kernelERKNS_10TensorBaseES3_lENKUlvE_clEvENKUlvE2_clEvENKUlN3c107complexIfEES8_E_clES8_S8_.num_agpr)
	.set _ZN7rocprim17ROCPRIM_400000_NS6detail17trampoline_kernelINS0_14default_configENS1_20scan_config_selectorIN3c107complexIfEEEEZZNS1_9scan_implILNS1_25lookback_scan_determinismE0ELb0ELb0ES3_PKS7_PS7_S7_ZZZN2at6native31launch_logcumsumexp_cuda_kernelERKNSE_10TensorBaseESI_lENKUlvE_clEvENKUlvE2_clEvEUlS7_S7_E_S7_EEDaPvRmT3_T4_T5_mT6_P12ihipStream_tbENKUlT_T0_E_clISt17integral_constantIbLb0EESY_IbLb1EEEEDaSU_SV_EUlSU_E0_NS1_11comp_targetILNS1_3genE10ELNS1_11target_archE1201ELNS1_3gpuE5ELNS1_3repE0EEENS1_30default_config_static_selectorELNS0_4arch9wavefront6targetE0EEEvT1_.numbered_sgpr, max(33, .L_ZZZZN2at6native31launch_logcumsumexp_cuda_kernelERKNS_10TensorBaseES3_lENKUlvE_clEvENKUlvE2_clEvENKUlN3c107complexIfEES8_E_clES8_S8_.numbered_sgpr)
	.set _ZN7rocprim17ROCPRIM_400000_NS6detail17trampoline_kernelINS0_14default_configENS1_20scan_config_selectorIN3c107complexIfEEEEZZNS1_9scan_implILNS1_25lookback_scan_determinismE0ELb0ELb0ES3_PKS7_PS7_S7_ZZZN2at6native31launch_logcumsumexp_cuda_kernelERKNSE_10TensorBaseESI_lENKUlvE_clEvENKUlvE2_clEvEUlS7_S7_E_S7_EEDaPvRmT3_T4_T5_mT6_P12ihipStream_tbENKUlT_T0_E_clISt17integral_constantIbLb0EESY_IbLb1EEEEDaSU_SV_EUlSU_E0_NS1_11comp_targetILNS1_3genE10ELNS1_11target_archE1201ELNS1_3gpuE5ELNS1_3repE0EEENS1_30default_config_static_selectorELNS0_4arch9wavefront6targetE0EEEvT1_.num_named_barrier, max(0, .L_ZZZZN2at6native31launch_logcumsumexp_cuda_kernelERKNS_10TensorBaseES3_lENKUlvE_clEvENKUlvE2_clEvENKUlN3c107complexIfEES8_E_clES8_S8_.num_named_barrier)
	.set _ZN7rocprim17ROCPRIM_400000_NS6detail17trampoline_kernelINS0_14default_configENS1_20scan_config_selectorIN3c107complexIfEEEEZZNS1_9scan_implILNS1_25lookback_scan_determinismE0ELb0ELb0ES3_PKS7_PS7_S7_ZZZN2at6native31launch_logcumsumexp_cuda_kernelERKNSE_10TensorBaseESI_lENKUlvE_clEvENKUlvE2_clEvEUlS7_S7_E_S7_EEDaPvRmT3_T4_T5_mT6_P12ihipStream_tbENKUlT_T0_E_clISt17integral_constantIbLb0EESY_IbLb1EEEEDaSU_SV_EUlSU_E0_NS1_11comp_targetILNS1_3genE10ELNS1_11target_archE1201ELNS1_3gpuE5ELNS1_3repE0EEENS1_30default_config_static_selectorELNS0_4arch9wavefront6targetE0EEEvT1_.private_seg_size, 0+max(.L_ZZZZN2at6native31launch_logcumsumexp_cuda_kernelERKNS_10TensorBaseES3_lENKUlvE_clEvENKUlvE2_clEvENKUlN3c107complexIfEES8_E_clES8_S8_.private_seg_size)
	.set _ZN7rocprim17ROCPRIM_400000_NS6detail17trampoline_kernelINS0_14default_configENS1_20scan_config_selectorIN3c107complexIfEEEEZZNS1_9scan_implILNS1_25lookback_scan_determinismE0ELb0ELb0ES3_PKS7_PS7_S7_ZZZN2at6native31launch_logcumsumexp_cuda_kernelERKNSE_10TensorBaseESI_lENKUlvE_clEvENKUlvE2_clEvEUlS7_S7_E_S7_EEDaPvRmT3_T4_T5_mT6_P12ihipStream_tbENKUlT_T0_E_clISt17integral_constantIbLb0EESY_IbLb1EEEEDaSU_SV_EUlSU_E0_NS1_11comp_targetILNS1_3genE10ELNS1_11target_archE1201ELNS1_3gpuE5ELNS1_3repE0EEENS1_30default_config_static_selectorELNS0_4arch9wavefront6targetE0EEEvT1_.uses_vcc, or(1, .L_ZZZZN2at6native31launch_logcumsumexp_cuda_kernelERKNS_10TensorBaseES3_lENKUlvE_clEvENKUlvE2_clEvENKUlN3c107complexIfEES8_E_clES8_S8_.uses_vcc)
	.set _ZN7rocprim17ROCPRIM_400000_NS6detail17trampoline_kernelINS0_14default_configENS1_20scan_config_selectorIN3c107complexIfEEEEZZNS1_9scan_implILNS1_25lookback_scan_determinismE0ELb0ELb0ES3_PKS7_PS7_S7_ZZZN2at6native31launch_logcumsumexp_cuda_kernelERKNSE_10TensorBaseESI_lENKUlvE_clEvENKUlvE2_clEvEUlS7_S7_E_S7_EEDaPvRmT3_T4_T5_mT6_P12ihipStream_tbENKUlT_T0_E_clISt17integral_constantIbLb0EESY_IbLb1EEEEDaSU_SV_EUlSU_E0_NS1_11comp_targetILNS1_3genE10ELNS1_11target_archE1201ELNS1_3gpuE5ELNS1_3repE0EEENS1_30default_config_static_selectorELNS0_4arch9wavefront6targetE0EEEvT1_.uses_flat_scratch, or(0, .L_ZZZZN2at6native31launch_logcumsumexp_cuda_kernelERKNS_10TensorBaseES3_lENKUlvE_clEvENKUlvE2_clEvENKUlN3c107complexIfEES8_E_clES8_S8_.uses_flat_scratch)
	.set _ZN7rocprim17ROCPRIM_400000_NS6detail17trampoline_kernelINS0_14default_configENS1_20scan_config_selectorIN3c107complexIfEEEEZZNS1_9scan_implILNS1_25lookback_scan_determinismE0ELb0ELb0ES3_PKS7_PS7_S7_ZZZN2at6native31launch_logcumsumexp_cuda_kernelERKNSE_10TensorBaseESI_lENKUlvE_clEvENKUlvE2_clEvEUlS7_S7_E_S7_EEDaPvRmT3_T4_T5_mT6_P12ihipStream_tbENKUlT_T0_E_clISt17integral_constantIbLb0EESY_IbLb1EEEEDaSU_SV_EUlSU_E0_NS1_11comp_targetILNS1_3genE10ELNS1_11target_archE1201ELNS1_3gpuE5ELNS1_3repE0EEENS1_30default_config_static_selectorELNS0_4arch9wavefront6targetE0EEEvT1_.has_dyn_sized_stack, or(0, .L_ZZZZN2at6native31launch_logcumsumexp_cuda_kernelERKNS_10TensorBaseES3_lENKUlvE_clEvENKUlvE2_clEvENKUlN3c107complexIfEES8_E_clES8_S8_.has_dyn_sized_stack)
	.set _ZN7rocprim17ROCPRIM_400000_NS6detail17trampoline_kernelINS0_14default_configENS1_20scan_config_selectorIN3c107complexIfEEEEZZNS1_9scan_implILNS1_25lookback_scan_determinismE0ELb0ELb0ES3_PKS7_PS7_S7_ZZZN2at6native31launch_logcumsumexp_cuda_kernelERKNSE_10TensorBaseESI_lENKUlvE_clEvENKUlvE2_clEvEUlS7_S7_E_S7_EEDaPvRmT3_T4_T5_mT6_P12ihipStream_tbENKUlT_T0_E_clISt17integral_constantIbLb0EESY_IbLb1EEEEDaSU_SV_EUlSU_E0_NS1_11comp_targetILNS1_3genE10ELNS1_11target_archE1201ELNS1_3gpuE5ELNS1_3repE0EEENS1_30default_config_static_selectorELNS0_4arch9wavefront6targetE0EEEvT1_.has_recursion, or(0, .L_ZZZZN2at6native31launch_logcumsumexp_cuda_kernelERKNS_10TensorBaseES3_lENKUlvE_clEvENKUlvE2_clEvENKUlN3c107complexIfEES8_E_clES8_S8_.has_recursion)
	.set _ZN7rocprim17ROCPRIM_400000_NS6detail17trampoline_kernelINS0_14default_configENS1_20scan_config_selectorIN3c107complexIfEEEEZZNS1_9scan_implILNS1_25lookback_scan_determinismE0ELb0ELb0ES3_PKS7_PS7_S7_ZZZN2at6native31launch_logcumsumexp_cuda_kernelERKNSE_10TensorBaseESI_lENKUlvE_clEvENKUlvE2_clEvEUlS7_S7_E_S7_EEDaPvRmT3_T4_T5_mT6_P12ihipStream_tbENKUlT_T0_E_clISt17integral_constantIbLb0EESY_IbLb1EEEEDaSU_SV_EUlSU_E0_NS1_11comp_targetILNS1_3genE10ELNS1_11target_archE1201ELNS1_3gpuE5ELNS1_3repE0EEENS1_30default_config_static_selectorELNS0_4arch9wavefront6targetE0EEEvT1_.has_indirect_call, or(0, .L_ZZZZN2at6native31launch_logcumsumexp_cuda_kernelERKNS_10TensorBaseES3_lENKUlvE_clEvENKUlvE2_clEvENKUlN3c107complexIfEES8_E_clES8_S8_.has_indirect_call)
	.section	.AMDGPU.csdata,"",@progbits
; Kernel info:
; codeLenInByte = 4360
; TotalNumSgprs: 35
; NumVgprs: 110
; ScratchSize: 0
; MemoryBound: 0
; FloatMode: 240
; IeeeMode: 1
; LDSByteSize: 33792 bytes/workgroup (compile time only)
; SGPRBlocks: 0
; VGPRBlocks: 27
; NumSGPRsForWavesPerEU: 35
; NumVGPRsForWavesPerEU: 217
; Occupancy: 6
; WaveLimiterHint : 0
; COMPUTE_PGM_RSRC2:SCRATCH_EN: 0
; COMPUTE_PGM_RSRC2:USER_SGPR: 2
; COMPUTE_PGM_RSRC2:TRAP_HANDLER: 0
; COMPUTE_PGM_RSRC2:TGID_X_EN: 1
; COMPUTE_PGM_RSRC2:TGID_Y_EN: 0
; COMPUTE_PGM_RSRC2:TGID_Z_EN: 0
; COMPUTE_PGM_RSRC2:TIDIG_COMP_CNT: 0
	.section	.text._ZN7rocprim17ROCPRIM_400000_NS6detail17trampoline_kernelINS0_14default_configENS1_20scan_config_selectorIN3c107complexIfEEEEZZNS1_9scan_implILNS1_25lookback_scan_determinismE0ELb0ELb0ES3_PKS7_PS7_S7_ZZZN2at6native31launch_logcumsumexp_cuda_kernelERKNSE_10TensorBaseESI_lENKUlvE_clEvENKUlvE2_clEvEUlS7_S7_E_S7_EEDaPvRmT3_T4_T5_mT6_P12ihipStream_tbENKUlT_T0_E_clISt17integral_constantIbLb0EESY_IbLb1EEEEDaSU_SV_EUlSU_E0_NS1_11comp_targetILNS1_3genE10ELNS1_11target_archE1200ELNS1_3gpuE4ELNS1_3repE0EEENS1_30default_config_static_selectorELNS0_4arch9wavefront6targetE0EEEvT1_,"axG",@progbits,_ZN7rocprim17ROCPRIM_400000_NS6detail17trampoline_kernelINS0_14default_configENS1_20scan_config_selectorIN3c107complexIfEEEEZZNS1_9scan_implILNS1_25lookback_scan_determinismE0ELb0ELb0ES3_PKS7_PS7_S7_ZZZN2at6native31launch_logcumsumexp_cuda_kernelERKNSE_10TensorBaseESI_lENKUlvE_clEvENKUlvE2_clEvEUlS7_S7_E_S7_EEDaPvRmT3_T4_T5_mT6_P12ihipStream_tbENKUlT_T0_E_clISt17integral_constantIbLb0EESY_IbLb1EEEEDaSU_SV_EUlSU_E0_NS1_11comp_targetILNS1_3genE10ELNS1_11target_archE1200ELNS1_3gpuE4ELNS1_3repE0EEENS1_30default_config_static_selectorELNS0_4arch9wavefront6targetE0EEEvT1_,comdat
	.globl	_ZN7rocprim17ROCPRIM_400000_NS6detail17trampoline_kernelINS0_14default_configENS1_20scan_config_selectorIN3c107complexIfEEEEZZNS1_9scan_implILNS1_25lookback_scan_determinismE0ELb0ELb0ES3_PKS7_PS7_S7_ZZZN2at6native31launch_logcumsumexp_cuda_kernelERKNSE_10TensorBaseESI_lENKUlvE_clEvENKUlvE2_clEvEUlS7_S7_E_S7_EEDaPvRmT3_T4_T5_mT6_P12ihipStream_tbENKUlT_T0_E_clISt17integral_constantIbLb0EESY_IbLb1EEEEDaSU_SV_EUlSU_E0_NS1_11comp_targetILNS1_3genE10ELNS1_11target_archE1200ELNS1_3gpuE4ELNS1_3repE0EEENS1_30default_config_static_selectorELNS0_4arch9wavefront6targetE0EEEvT1_ ; -- Begin function _ZN7rocprim17ROCPRIM_400000_NS6detail17trampoline_kernelINS0_14default_configENS1_20scan_config_selectorIN3c107complexIfEEEEZZNS1_9scan_implILNS1_25lookback_scan_determinismE0ELb0ELb0ES3_PKS7_PS7_S7_ZZZN2at6native31launch_logcumsumexp_cuda_kernelERKNSE_10TensorBaseESI_lENKUlvE_clEvENKUlvE2_clEvEUlS7_S7_E_S7_EEDaPvRmT3_T4_T5_mT6_P12ihipStream_tbENKUlT_T0_E_clISt17integral_constantIbLb0EESY_IbLb1EEEEDaSU_SV_EUlSU_E0_NS1_11comp_targetILNS1_3genE10ELNS1_11target_archE1200ELNS1_3gpuE4ELNS1_3repE0EEENS1_30default_config_static_selectorELNS0_4arch9wavefront6targetE0EEEvT1_
	.p2align	8
	.type	_ZN7rocprim17ROCPRIM_400000_NS6detail17trampoline_kernelINS0_14default_configENS1_20scan_config_selectorIN3c107complexIfEEEEZZNS1_9scan_implILNS1_25lookback_scan_determinismE0ELb0ELb0ES3_PKS7_PS7_S7_ZZZN2at6native31launch_logcumsumexp_cuda_kernelERKNSE_10TensorBaseESI_lENKUlvE_clEvENKUlvE2_clEvEUlS7_S7_E_S7_EEDaPvRmT3_T4_T5_mT6_P12ihipStream_tbENKUlT_T0_E_clISt17integral_constantIbLb0EESY_IbLb1EEEEDaSU_SV_EUlSU_E0_NS1_11comp_targetILNS1_3genE10ELNS1_11target_archE1200ELNS1_3gpuE4ELNS1_3repE0EEENS1_30default_config_static_selectorELNS0_4arch9wavefront6targetE0EEEvT1_,@function
_ZN7rocprim17ROCPRIM_400000_NS6detail17trampoline_kernelINS0_14default_configENS1_20scan_config_selectorIN3c107complexIfEEEEZZNS1_9scan_implILNS1_25lookback_scan_determinismE0ELb0ELb0ES3_PKS7_PS7_S7_ZZZN2at6native31launch_logcumsumexp_cuda_kernelERKNSE_10TensorBaseESI_lENKUlvE_clEvENKUlvE2_clEvEUlS7_S7_E_S7_EEDaPvRmT3_T4_T5_mT6_P12ihipStream_tbENKUlT_T0_E_clISt17integral_constantIbLb0EESY_IbLb1EEEEDaSU_SV_EUlSU_E0_NS1_11comp_targetILNS1_3genE10ELNS1_11target_archE1200ELNS1_3gpuE4ELNS1_3repE0EEENS1_30default_config_static_selectorELNS0_4arch9wavefront6targetE0EEEvT1_: ; @_ZN7rocprim17ROCPRIM_400000_NS6detail17trampoline_kernelINS0_14default_configENS1_20scan_config_selectorIN3c107complexIfEEEEZZNS1_9scan_implILNS1_25lookback_scan_determinismE0ELb0ELb0ES3_PKS7_PS7_S7_ZZZN2at6native31launch_logcumsumexp_cuda_kernelERKNSE_10TensorBaseESI_lENKUlvE_clEvENKUlvE2_clEvEUlS7_S7_E_S7_EEDaPvRmT3_T4_T5_mT6_P12ihipStream_tbENKUlT_T0_E_clISt17integral_constantIbLb0EESY_IbLb1EEEEDaSU_SV_EUlSU_E0_NS1_11comp_targetILNS1_3genE10ELNS1_11target_archE1200ELNS1_3gpuE4ELNS1_3repE0EEENS1_30default_config_static_selectorELNS0_4arch9wavefront6targetE0EEEvT1_
; %bb.0:
	.section	.rodata,"a",@progbits
	.p2align	6, 0x0
	.amdhsa_kernel _ZN7rocprim17ROCPRIM_400000_NS6detail17trampoline_kernelINS0_14default_configENS1_20scan_config_selectorIN3c107complexIfEEEEZZNS1_9scan_implILNS1_25lookback_scan_determinismE0ELb0ELb0ES3_PKS7_PS7_S7_ZZZN2at6native31launch_logcumsumexp_cuda_kernelERKNSE_10TensorBaseESI_lENKUlvE_clEvENKUlvE2_clEvEUlS7_S7_E_S7_EEDaPvRmT3_T4_T5_mT6_P12ihipStream_tbENKUlT_T0_E_clISt17integral_constantIbLb0EESY_IbLb1EEEEDaSU_SV_EUlSU_E0_NS1_11comp_targetILNS1_3genE10ELNS1_11target_archE1200ELNS1_3gpuE4ELNS1_3repE0EEENS1_30default_config_static_selectorELNS0_4arch9wavefront6targetE0EEEvT1_
		.amdhsa_group_segment_fixed_size 0
		.amdhsa_private_segment_fixed_size 0
		.amdhsa_kernarg_size 40
		.amdhsa_user_sgpr_count 2
		.amdhsa_user_sgpr_dispatch_ptr 0
		.amdhsa_user_sgpr_queue_ptr 0
		.amdhsa_user_sgpr_kernarg_segment_ptr 1
		.amdhsa_user_sgpr_dispatch_id 0
		.amdhsa_user_sgpr_private_segment_size 0
		.amdhsa_wavefront_size32 1
		.amdhsa_uses_dynamic_stack 0
		.amdhsa_enable_private_segment 0
		.amdhsa_system_sgpr_workgroup_id_x 1
		.amdhsa_system_sgpr_workgroup_id_y 0
		.amdhsa_system_sgpr_workgroup_id_z 0
		.amdhsa_system_sgpr_workgroup_info 0
		.amdhsa_system_vgpr_workitem_id 0
		.amdhsa_next_free_vgpr 1
		.amdhsa_next_free_sgpr 1
		.amdhsa_reserve_vcc 0
		.amdhsa_float_round_mode_32 0
		.amdhsa_float_round_mode_16_64 0
		.amdhsa_float_denorm_mode_32 3
		.amdhsa_float_denorm_mode_16_64 3
		.amdhsa_fp16_overflow 0
		.amdhsa_workgroup_processor_mode 1
		.amdhsa_memory_ordered 1
		.amdhsa_forward_progress 1
		.amdhsa_inst_pref_size 0
		.amdhsa_round_robin_scheduling 0
		.amdhsa_exception_fp_ieee_invalid_op 0
		.amdhsa_exception_fp_denorm_src 0
		.amdhsa_exception_fp_ieee_div_zero 0
		.amdhsa_exception_fp_ieee_overflow 0
		.amdhsa_exception_fp_ieee_underflow 0
		.amdhsa_exception_fp_ieee_inexact 0
		.amdhsa_exception_int_div_zero 0
	.end_amdhsa_kernel
	.section	.text._ZN7rocprim17ROCPRIM_400000_NS6detail17trampoline_kernelINS0_14default_configENS1_20scan_config_selectorIN3c107complexIfEEEEZZNS1_9scan_implILNS1_25lookback_scan_determinismE0ELb0ELb0ES3_PKS7_PS7_S7_ZZZN2at6native31launch_logcumsumexp_cuda_kernelERKNSE_10TensorBaseESI_lENKUlvE_clEvENKUlvE2_clEvEUlS7_S7_E_S7_EEDaPvRmT3_T4_T5_mT6_P12ihipStream_tbENKUlT_T0_E_clISt17integral_constantIbLb0EESY_IbLb1EEEEDaSU_SV_EUlSU_E0_NS1_11comp_targetILNS1_3genE10ELNS1_11target_archE1200ELNS1_3gpuE4ELNS1_3repE0EEENS1_30default_config_static_selectorELNS0_4arch9wavefront6targetE0EEEvT1_,"axG",@progbits,_ZN7rocprim17ROCPRIM_400000_NS6detail17trampoline_kernelINS0_14default_configENS1_20scan_config_selectorIN3c107complexIfEEEEZZNS1_9scan_implILNS1_25lookback_scan_determinismE0ELb0ELb0ES3_PKS7_PS7_S7_ZZZN2at6native31launch_logcumsumexp_cuda_kernelERKNSE_10TensorBaseESI_lENKUlvE_clEvENKUlvE2_clEvEUlS7_S7_E_S7_EEDaPvRmT3_T4_T5_mT6_P12ihipStream_tbENKUlT_T0_E_clISt17integral_constantIbLb0EESY_IbLb1EEEEDaSU_SV_EUlSU_E0_NS1_11comp_targetILNS1_3genE10ELNS1_11target_archE1200ELNS1_3gpuE4ELNS1_3repE0EEENS1_30default_config_static_selectorELNS0_4arch9wavefront6targetE0EEEvT1_,comdat
.Lfunc_end344:
	.size	_ZN7rocprim17ROCPRIM_400000_NS6detail17trampoline_kernelINS0_14default_configENS1_20scan_config_selectorIN3c107complexIfEEEEZZNS1_9scan_implILNS1_25lookback_scan_determinismE0ELb0ELb0ES3_PKS7_PS7_S7_ZZZN2at6native31launch_logcumsumexp_cuda_kernelERKNSE_10TensorBaseESI_lENKUlvE_clEvENKUlvE2_clEvEUlS7_S7_E_S7_EEDaPvRmT3_T4_T5_mT6_P12ihipStream_tbENKUlT_T0_E_clISt17integral_constantIbLb0EESY_IbLb1EEEEDaSU_SV_EUlSU_E0_NS1_11comp_targetILNS1_3genE10ELNS1_11target_archE1200ELNS1_3gpuE4ELNS1_3repE0EEENS1_30default_config_static_selectorELNS0_4arch9wavefront6targetE0EEEvT1_, .Lfunc_end344-_ZN7rocprim17ROCPRIM_400000_NS6detail17trampoline_kernelINS0_14default_configENS1_20scan_config_selectorIN3c107complexIfEEEEZZNS1_9scan_implILNS1_25lookback_scan_determinismE0ELb0ELb0ES3_PKS7_PS7_S7_ZZZN2at6native31launch_logcumsumexp_cuda_kernelERKNSE_10TensorBaseESI_lENKUlvE_clEvENKUlvE2_clEvEUlS7_S7_E_S7_EEDaPvRmT3_T4_T5_mT6_P12ihipStream_tbENKUlT_T0_E_clISt17integral_constantIbLb0EESY_IbLb1EEEEDaSU_SV_EUlSU_E0_NS1_11comp_targetILNS1_3genE10ELNS1_11target_archE1200ELNS1_3gpuE4ELNS1_3repE0EEENS1_30default_config_static_selectorELNS0_4arch9wavefront6targetE0EEEvT1_
                                        ; -- End function
	.set _ZN7rocprim17ROCPRIM_400000_NS6detail17trampoline_kernelINS0_14default_configENS1_20scan_config_selectorIN3c107complexIfEEEEZZNS1_9scan_implILNS1_25lookback_scan_determinismE0ELb0ELb0ES3_PKS7_PS7_S7_ZZZN2at6native31launch_logcumsumexp_cuda_kernelERKNSE_10TensorBaseESI_lENKUlvE_clEvENKUlvE2_clEvEUlS7_S7_E_S7_EEDaPvRmT3_T4_T5_mT6_P12ihipStream_tbENKUlT_T0_E_clISt17integral_constantIbLb0EESY_IbLb1EEEEDaSU_SV_EUlSU_E0_NS1_11comp_targetILNS1_3genE10ELNS1_11target_archE1200ELNS1_3gpuE4ELNS1_3repE0EEENS1_30default_config_static_selectorELNS0_4arch9wavefront6targetE0EEEvT1_.num_vgpr, 0
	.set _ZN7rocprim17ROCPRIM_400000_NS6detail17trampoline_kernelINS0_14default_configENS1_20scan_config_selectorIN3c107complexIfEEEEZZNS1_9scan_implILNS1_25lookback_scan_determinismE0ELb0ELb0ES3_PKS7_PS7_S7_ZZZN2at6native31launch_logcumsumexp_cuda_kernelERKNSE_10TensorBaseESI_lENKUlvE_clEvENKUlvE2_clEvEUlS7_S7_E_S7_EEDaPvRmT3_T4_T5_mT6_P12ihipStream_tbENKUlT_T0_E_clISt17integral_constantIbLb0EESY_IbLb1EEEEDaSU_SV_EUlSU_E0_NS1_11comp_targetILNS1_3genE10ELNS1_11target_archE1200ELNS1_3gpuE4ELNS1_3repE0EEENS1_30default_config_static_selectorELNS0_4arch9wavefront6targetE0EEEvT1_.num_agpr, 0
	.set _ZN7rocprim17ROCPRIM_400000_NS6detail17trampoline_kernelINS0_14default_configENS1_20scan_config_selectorIN3c107complexIfEEEEZZNS1_9scan_implILNS1_25lookback_scan_determinismE0ELb0ELb0ES3_PKS7_PS7_S7_ZZZN2at6native31launch_logcumsumexp_cuda_kernelERKNSE_10TensorBaseESI_lENKUlvE_clEvENKUlvE2_clEvEUlS7_S7_E_S7_EEDaPvRmT3_T4_T5_mT6_P12ihipStream_tbENKUlT_T0_E_clISt17integral_constantIbLb0EESY_IbLb1EEEEDaSU_SV_EUlSU_E0_NS1_11comp_targetILNS1_3genE10ELNS1_11target_archE1200ELNS1_3gpuE4ELNS1_3repE0EEENS1_30default_config_static_selectorELNS0_4arch9wavefront6targetE0EEEvT1_.numbered_sgpr, 0
	.set _ZN7rocprim17ROCPRIM_400000_NS6detail17trampoline_kernelINS0_14default_configENS1_20scan_config_selectorIN3c107complexIfEEEEZZNS1_9scan_implILNS1_25lookback_scan_determinismE0ELb0ELb0ES3_PKS7_PS7_S7_ZZZN2at6native31launch_logcumsumexp_cuda_kernelERKNSE_10TensorBaseESI_lENKUlvE_clEvENKUlvE2_clEvEUlS7_S7_E_S7_EEDaPvRmT3_T4_T5_mT6_P12ihipStream_tbENKUlT_T0_E_clISt17integral_constantIbLb0EESY_IbLb1EEEEDaSU_SV_EUlSU_E0_NS1_11comp_targetILNS1_3genE10ELNS1_11target_archE1200ELNS1_3gpuE4ELNS1_3repE0EEENS1_30default_config_static_selectorELNS0_4arch9wavefront6targetE0EEEvT1_.num_named_barrier, 0
	.set _ZN7rocprim17ROCPRIM_400000_NS6detail17trampoline_kernelINS0_14default_configENS1_20scan_config_selectorIN3c107complexIfEEEEZZNS1_9scan_implILNS1_25lookback_scan_determinismE0ELb0ELb0ES3_PKS7_PS7_S7_ZZZN2at6native31launch_logcumsumexp_cuda_kernelERKNSE_10TensorBaseESI_lENKUlvE_clEvENKUlvE2_clEvEUlS7_S7_E_S7_EEDaPvRmT3_T4_T5_mT6_P12ihipStream_tbENKUlT_T0_E_clISt17integral_constantIbLb0EESY_IbLb1EEEEDaSU_SV_EUlSU_E0_NS1_11comp_targetILNS1_3genE10ELNS1_11target_archE1200ELNS1_3gpuE4ELNS1_3repE0EEENS1_30default_config_static_selectorELNS0_4arch9wavefront6targetE0EEEvT1_.private_seg_size, 0
	.set _ZN7rocprim17ROCPRIM_400000_NS6detail17trampoline_kernelINS0_14default_configENS1_20scan_config_selectorIN3c107complexIfEEEEZZNS1_9scan_implILNS1_25lookback_scan_determinismE0ELb0ELb0ES3_PKS7_PS7_S7_ZZZN2at6native31launch_logcumsumexp_cuda_kernelERKNSE_10TensorBaseESI_lENKUlvE_clEvENKUlvE2_clEvEUlS7_S7_E_S7_EEDaPvRmT3_T4_T5_mT6_P12ihipStream_tbENKUlT_T0_E_clISt17integral_constantIbLb0EESY_IbLb1EEEEDaSU_SV_EUlSU_E0_NS1_11comp_targetILNS1_3genE10ELNS1_11target_archE1200ELNS1_3gpuE4ELNS1_3repE0EEENS1_30default_config_static_selectorELNS0_4arch9wavefront6targetE0EEEvT1_.uses_vcc, 0
	.set _ZN7rocprim17ROCPRIM_400000_NS6detail17trampoline_kernelINS0_14default_configENS1_20scan_config_selectorIN3c107complexIfEEEEZZNS1_9scan_implILNS1_25lookback_scan_determinismE0ELb0ELb0ES3_PKS7_PS7_S7_ZZZN2at6native31launch_logcumsumexp_cuda_kernelERKNSE_10TensorBaseESI_lENKUlvE_clEvENKUlvE2_clEvEUlS7_S7_E_S7_EEDaPvRmT3_T4_T5_mT6_P12ihipStream_tbENKUlT_T0_E_clISt17integral_constantIbLb0EESY_IbLb1EEEEDaSU_SV_EUlSU_E0_NS1_11comp_targetILNS1_3genE10ELNS1_11target_archE1200ELNS1_3gpuE4ELNS1_3repE0EEENS1_30default_config_static_selectorELNS0_4arch9wavefront6targetE0EEEvT1_.uses_flat_scratch, 0
	.set _ZN7rocprim17ROCPRIM_400000_NS6detail17trampoline_kernelINS0_14default_configENS1_20scan_config_selectorIN3c107complexIfEEEEZZNS1_9scan_implILNS1_25lookback_scan_determinismE0ELb0ELb0ES3_PKS7_PS7_S7_ZZZN2at6native31launch_logcumsumexp_cuda_kernelERKNSE_10TensorBaseESI_lENKUlvE_clEvENKUlvE2_clEvEUlS7_S7_E_S7_EEDaPvRmT3_T4_T5_mT6_P12ihipStream_tbENKUlT_T0_E_clISt17integral_constantIbLb0EESY_IbLb1EEEEDaSU_SV_EUlSU_E0_NS1_11comp_targetILNS1_3genE10ELNS1_11target_archE1200ELNS1_3gpuE4ELNS1_3repE0EEENS1_30default_config_static_selectorELNS0_4arch9wavefront6targetE0EEEvT1_.has_dyn_sized_stack, 0
	.set _ZN7rocprim17ROCPRIM_400000_NS6detail17trampoline_kernelINS0_14default_configENS1_20scan_config_selectorIN3c107complexIfEEEEZZNS1_9scan_implILNS1_25lookback_scan_determinismE0ELb0ELb0ES3_PKS7_PS7_S7_ZZZN2at6native31launch_logcumsumexp_cuda_kernelERKNSE_10TensorBaseESI_lENKUlvE_clEvENKUlvE2_clEvEUlS7_S7_E_S7_EEDaPvRmT3_T4_T5_mT6_P12ihipStream_tbENKUlT_T0_E_clISt17integral_constantIbLb0EESY_IbLb1EEEEDaSU_SV_EUlSU_E0_NS1_11comp_targetILNS1_3genE10ELNS1_11target_archE1200ELNS1_3gpuE4ELNS1_3repE0EEENS1_30default_config_static_selectorELNS0_4arch9wavefront6targetE0EEEvT1_.has_recursion, 0
	.set _ZN7rocprim17ROCPRIM_400000_NS6detail17trampoline_kernelINS0_14default_configENS1_20scan_config_selectorIN3c107complexIfEEEEZZNS1_9scan_implILNS1_25lookback_scan_determinismE0ELb0ELb0ES3_PKS7_PS7_S7_ZZZN2at6native31launch_logcumsumexp_cuda_kernelERKNSE_10TensorBaseESI_lENKUlvE_clEvENKUlvE2_clEvEUlS7_S7_E_S7_EEDaPvRmT3_T4_T5_mT6_P12ihipStream_tbENKUlT_T0_E_clISt17integral_constantIbLb0EESY_IbLb1EEEEDaSU_SV_EUlSU_E0_NS1_11comp_targetILNS1_3genE10ELNS1_11target_archE1200ELNS1_3gpuE4ELNS1_3repE0EEENS1_30default_config_static_selectorELNS0_4arch9wavefront6targetE0EEEvT1_.has_indirect_call, 0
	.section	.AMDGPU.csdata,"",@progbits
; Kernel info:
; codeLenInByte = 0
; TotalNumSgprs: 0
; NumVgprs: 0
; ScratchSize: 0
; MemoryBound: 0
; FloatMode: 240
; IeeeMode: 1
; LDSByteSize: 0 bytes/workgroup (compile time only)
; SGPRBlocks: 0
; VGPRBlocks: 0
; NumSGPRsForWavesPerEU: 1
; NumVGPRsForWavesPerEU: 1
; Occupancy: 16
; WaveLimiterHint : 0
; COMPUTE_PGM_RSRC2:SCRATCH_EN: 0
; COMPUTE_PGM_RSRC2:USER_SGPR: 2
; COMPUTE_PGM_RSRC2:TRAP_HANDLER: 0
; COMPUTE_PGM_RSRC2:TGID_X_EN: 1
; COMPUTE_PGM_RSRC2:TGID_Y_EN: 0
; COMPUTE_PGM_RSRC2:TGID_Z_EN: 0
; COMPUTE_PGM_RSRC2:TIDIG_COMP_CNT: 0
	.section	.text._ZN7rocprim17ROCPRIM_400000_NS6detail17trampoline_kernelINS0_14default_configENS1_20scan_config_selectorIN3c107complexIfEEEEZZNS1_9scan_implILNS1_25lookback_scan_determinismE0ELb0ELb0ES3_PKS7_PS7_S7_ZZZN2at6native31launch_logcumsumexp_cuda_kernelERKNSE_10TensorBaseESI_lENKUlvE_clEvENKUlvE2_clEvEUlS7_S7_E_S7_EEDaPvRmT3_T4_T5_mT6_P12ihipStream_tbENKUlT_T0_E_clISt17integral_constantIbLb0EESY_IbLb1EEEEDaSU_SV_EUlSU_E0_NS1_11comp_targetILNS1_3genE9ELNS1_11target_archE1100ELNS1_3gpuE3ELNS1_3repE0EEENS1_30default_config_static_selectorELNS0_4arch9wavefront6targetE0EEEvT1_,"axG",@progbits,_ZN7rocprim17ROCPRIM_400000_NS6detail17trampoline_kernelINS0_14default_configENS1_20scan_config_selectorIN3c107complexIfEEEEZZNS1_9scan_implILNS1_25lookback_scan_determinismE0ELb0ELb0ES3_PKS7_PS7_S7_ZZZN2at6native31launch_logcumsumexp_cuda_kernelERKNSE_10TensorBaseESI_lENKUlvE_clEvENKUlvE2_clEvEUlS7_S7_E_S7_EEDaPvRmT3_T4_T5_mT6_P12ihipStream_tbENKUlT_T0_E_clISt17integral_constantIbLb0EESY_IbLb1EEEEDaSU_SV_EUlSU_E0_NS1_11comp_targetILNS1_3genE9ELNS1_11target_archE1100ELNS1_3gpuE3ELNS1_3repE0EEENS1_30default_config_static_selectorELNS0_4arch9wavefront6targetE0EEEvT1_,comdat
	.globl	_ZN7rocprim17ROCPRIM_400000_NS6detail17trampoline_kernelINS0_14default_configENS1_20scan_config_selectorIN3c107complexIfEEEEZZNS1_9scan_implILNS1_25lookback_scan_determinismE0ELb0ELb0ES3_PKS7_PS7_S7_ZZZN2at6native31launch_logcumsumexp_cuda_kernelERKNSE_10TensorBaseESI_lENKUlvE_clEvENKUlvE2_clEvEUlS7_S7_E_S7_EEDaPvRmT3_T4_T5_mT6_P12ihipStream_tbENKUlT_T0_E_clISt17integral_constantIbLb0EESY_IbLb1EEEEDaSU_SV_EUlSU_E0_NS1_11comp_targetILNS1_3genE9ELNS1_11target_archE1100ELNS1_3gpuE3ELNS1_3repE0EEENS1_30default_config_static_selectorELNS0_4arch9wavefront6targetE0EEEvT1_ ; -- Begin function _ZN7rocprim17ROCPRIM_400000_NS6detail17trampoline_kernelINS0_14default_configENS1_20scan_config_selectorIN3c107complexIfEEEEZZNS1_9scan_implILNS1_25lookback_scan_determinismE0ELb0ELb0ES3_PKS7_PS7_S7_ZZZN2at6native31launch_logcumsumexp_cuda_kernelERKNSE_10TensorBaseESI_lENKUlvE_clEvENKUlvE2_clEvEUlS7_S7_E_S7_EEDaPvRmT3_T4_T5_mT6_P12ihipStream_tbENKUlT_T0_E_clISt17integral_constantIbLb0EESY_IbLb1EEEEDaSU_SV_EUlSU_E0_NS1_11comp_targetILNS1_3genE9ELNS1_11target_archE1100ELNS1_3gpuE3ELNS1_3repE0EEENS1_30default_config_static_selectorELNS0_4arch9wavefront6targetE0EEEvT1_
	.p2align	8
	.type	_ZN7rocprim17ROCPRIM_400000_NS6detail17trampoline_kernelINS0_14default_configENS1_20scan_config_selectorIN3c107complexIfEEEEZZNS1_9scan_implILNS1_25lookback_scan_determinismE0ELb0ELb0ES3_PKS7_PS7_S7_ZZZN2at6native31launch_logcumsumexp_cuda_kernelERKNSE_10TensorBaseESI_lENKUlvE_clEvENKUlvE2_clEvEUlS7_S7_E_S7_EEDaPvRmT3_T4_T5_mT6_P12ihipStream_tbENKUlT_T0_E_clISt17integral_constantIbLb0EESY_IbLb1EEEEDaSU_SV_EUlSU_E0_NS1_11comp_targetILNS1_3genE9ELNS1_11target_archE1100ELNS1_3gpuE3ELNS1_3repE0EEENS1_30default_config_static_selectorELNS0_4arch9wavefront6targetE0EEEvT1_,@function
_ZN7rocprim17ROCPRIM_400000_NS6detail17trampoline_kernelINS0_14default_configENS1_20scan_config_selectorIN3c107complexIfEEEEZZNS1_9scan_implILNS1_25lookback_scan_determinismE0ELb0ELb0ES3_PKS7_PS7_S7_ZZZN2at6native31launch_logcumsumexp_cuda_kernelERKNSE_10TensorBaseESI_lENKUlvE_clEvENKUlvE2_clEvEUlS7_S7_E_S7_EEDaPvRmT3_T4_T5_mT6_P12ihipStream_tbENKUlT_T0_E_clISt17integral_constantIbLb0EESY_IbLb1EEEEDaSU_SV_EUlSU_E0_NS1_11comp_targetILNS1_3genE9ELNS1_11target_archE1100ELNS1_3gpuE3ELNS1_3repE0EEENS1_30default_config_static_selectorELNS0_4arch9wavefront6targetE0EEEvT1_: ; @_ZN7rocprim17ROCPRIM_400000_NS6detail17trampoline_kernelINS0_14default_configENS1_20scan_config_selectorIN3c107complexIfEEEEZZNS1_9scan_implILNS1_25lookback_scan_determinismE0ELb0ELb0ES3_PKS7_PS7_S7_ZZZN2at6native31launch_logcumsumexp_cuda_kernelERKNSE_10TensorBaseESI_lENKUlvE_clEvENKUlvE2_clEvEUlS7_S7_E_S7_EEDaPvRmT3_T4_T5_mT6_P12ihipStream_tbENKUlT_T0_E_clISt17integral_constantIbLb0EESY_IbLb1EEEEDaSU_SV_EUlSU_E0_NS1_11comp_targetILNS1_3genE9ELNS1_11target_archE1100ELNS1_3gpuE3ELNS1_3repE0EEENS1_30default_config_static_selectorELNS0_4arch9wavefront6targetE0EEEvT1_
; %bb.0:
	.section	.rodata,"a",@progbits
	.p2align	6, 0x0
	.amdhsa_kernel _ZN7rocprim17ROCPRIM_400000_NS6detail17trampoline_kernelINS0_14default_configENS1_20scan_config_selectorIN3c107complexIfEEEEZZNS1_9scan_implILNS1_25lookback_scan_determinismE0ELb0ELb0ES3_PKS7_PS7_S7_ZZZN2at6native31launch_logcumsumexp_cuda_kernelERKNSE_10TensorBaseESI_lENKUlvE_clEvENKUlvE2_clEvEUlS7_S7_E_S7_EEDaPvRmT3_T4_T5_mT6_P12ihipStream_tbENKUlT_T0_E_clISt17integral_constantIbLb0EESY_IbLb1EEEEDaSU_SV_EUlSU_E0_NS1_11comp_targetILNS1_3genE9ELNS1_11target_archE1100ELNS1_3gpuE3ELNS1_3repE0EEENS1_30default_config_static_selectorELNS0_4arch9wavefront6targetE0EEEvT1_
		.amdhsa_group_segment_fixed_size 0
		.amdhsa_private_segment_fixed_size 0
		.amdhsa_kernarg_size 40
		.amdhsa_user_sgpr_count 2
		.amdhsa_user_sgpr_dispatch_ptr 0
		.amdhsa_user_sgpr_queue_ptr 0
		.amdhsa_user_sgpr_kernarg_segment_ptr 1
		.amdhsa_user_sgpr_dispatch_id 0
		.amdhsa_user_sgpr_private_segment_size 0
		.amdhsa_wavefront_size32 1
		.amdhsa_uses_dynamic_stack 0
		.amdhsa_enable_private_segment 0
		.amdhsa_system_sgpr_workgroup_id_x 1
		.amdhsa_system_sgpr_workgroup_id_y 0
		.amdhsa_system_sgpr_workgroup_id_z 0
		.amdhsa_system_sgpr_workgroup_info 0
		.amdhsa_system_vgpr_workitem_id 0
		.amdhsa_next_free_vgpr 1
		.amdhsa_next_free_sgpr 1
		.amdhsa_reserve_vcc 0
		.amdhsa_float_round_mode_32 0
		.amdhsa_float_round_mode_16_64 0
		.amdhsa_float_denorm_mode_32 3
		.amdhsa_float_denorm_mode_16_64 3
		.amdhsa_fp16_overflow 0
		.amdhsa_workgroup_processor_mode 1
		.amdhsa_memory_ordered 1
		.amdhsa_forward_progress 1
		.amdhsa_inst_pref_size 0
		.amdhsa_round_robin_scheduling 0
		.amdhsa_exception_fp_ieee_invalid_op 0
		.amdhsa_exception_fp_denorm_src 0
		.amdhsa_exception_fp_ieee_div_zero 0
		.amdhsa_exception_fp_ieee_overflow 0
		.amdhsa_exception_fp_ieee_underflow 0
		.amdhsa_exception_fp_ieee_inexact 0
		.amdhsa_exception_int_div_zero 0
	.end_amdhsa_kernel
	.section	.text._ZN7rocprim17ROCPRIM_400000_NS6detail17trampoline_kernelINS0_14default_configENS1_20scan_config_selectorIN3c107complexIfEEEEZZNS1_9scan_implILNS1_25lookback_scan_determinismE0ELb0ELb0ES3_PKS7_PS7_S7_ZZZN2at6native31launch_logcumsumexp_cuda_kernelERKNSE_10TensorBaseESI_lENKUlvE_clEvENKUlvE2_clEvEUlS7_S7_E_S7_EEDaPvRmT3_T4_T5_mT6_P12ihipStream_tbENKUlT_T0_E_clISt17integral_constantIbLb0EESY_IbLb1EEEEDaSU_SV_EUlSU_E0_NS1_11comp_targetILNS1_3genE9ELNS1_11target_archE1100ELNS1_3gpuE3ELNS1_3repE0EEENS1_30default_config_static_selectorELNS0_4arch9wavefront6targetE0EEEvT1_,"axG",@progbits,_ZN7rocprim17ROCPRIM_400000_NS6detail17trampoline_kernelINS0_14default_configENS1_20scan_config_selectorIN3c107complexIfEEEEZZNS1_9scan_implILNS1_25lookback_scan_determinismE0ELb0ELb0ES3_PKS7_PS7_S7_ZZZN2at6native31launch_logcumsumexp_cuda_kernelERKNSE_10TensorBaseESI_lENKUlvE_clEvENKUlvE2_clEvEUlS7_S7_E_S7_EEDaPvRmT3_T4_T5_mT6_P12ihipStream_tbENKUlT_T0_E_clISt17integral_constantIbLb0EESY_IbLb1EEEEDaSU_SV_EUlSU_E0_NS1_11comp_targetILNS1_3genE9ELNS1_11target_archE1100ELNS1_3gpuE3ELNS1_3repE0EEENS1_30default_config_static_selectorELNS0_4arch9wavefront6targetE0EEEvT1_,comdat
.Lfunc_end345:
	.size	_ZN7rocprim17ROCPRIM_400000_NS6detail17trampoline_kernelINS0_14default_configENS1_20scan_config_selectorIN3c107complexIfEEEEZZNS1_9scan_implILNS1_25lookback_scan_determinismE0ELb0ELb0ES3_PKS7_PS7_S7_ZZZN2at6native31launch_logcumsumexp_cuda_kernelERKNSE_10TensorBaseESI_lENKUlvE_clEvENKUlvE2_clEvEUlS7_S7_E_S7_EEDaPvRmT3_T4_T5_mT6_P12ihipStream_tbENKUlT_T0_E_clISt17integral_constantIbLb0EESY_IbLb1EEEEDaSU_SV_EUlSU_E0_NS1_11comp_targetILNS1_3genE9ELNS1_11target_archE1100ELNS1_3gpuE3ELNS1_3repE0EEENS1_30default_config_static_selectorELNS0_4arch9wavefront6targetE0EEEvT1_, .Lfunc_end345-_ZN7rocprim17ROCPRIM_400000_NS6detail17trampoline_kernelINS0_14default_configENS1_20scan_config_selectorIN3c107complexIfEEEEZZNS1_9scan_implILNS1_25lookback_scan_determinismE0ELb0ELb0ES3_PKS7_PS7_S7_ZZZN2at6native31launch_logcumsumexp_cuda_kernelERKNSE_10TensorBaseESI_lENKUlvE_clEvENKUlvE2_clEvEUlS7_S7_E_S7_EEDaPvRmT3_T4_T5_mT6_P12ihipStream_tbENKUlT_T0_E_clISt17integral_constantIbLb0EESY_IbLb1EEEEDaSU_SV_EUlSU_E0_NS1_11comp_targetILNS1_3genE9ELNS1_11target_archE1100ELNS1_3gpuE3ELNS1_3repE0EEENS1_30default_config_static_selectorELNS0_4arch9wavefront6targetE0EEEvT1_
                                        ; -- End function
	.set _ZN7rocprim17ROCPRIM_400000_NS6detail17trampoline_kernelINS0_14default_configENS1_20scan_config_selectorIN3c107complexIfEEEEZZNS1_9scan_implILNS1_25lookback_scan_determinismE0ELb0ELb0ES3_PKS7_PS7_S7_ZZZN2at6native31launch_logcumsumexp_cuda_kernelERKNSE_10TensorBaseESI_lENKUlvE_clEvENKUlvE2_clEvEUlS7_S7_E_S7_EEDaPvRmT3_T4_T5_mT6_P12ihipStream_tbENKUlT_T0_E_clISt17integral_constantIbLb0EESY_IbLb1EEEEDaSU_SV_EUlSU_E0_NS1_11comp_targetILNS1_3genE9ELNS1_11target_archE1100ELNS1_3gpuE3ELNS1_3repE0EEENS1_30default_config_static_selectorELNS0_4arch9wavefront6targetE0EEEvT1_.num_vgpr, 0
	.set _ZN7rocprim17ROCPRIM_400000_NS6detail17trampoline_kernelINS0_14default_configENS1_20scan_config_selectorIN3c107complexIfEEEEZZNS1_9scan_implILNS1_25lookback_scan_determinismE0ELb0ELb0ES3_PKS7_PS7_S7_ZZZN2at6native31launch_logcumsumexp_cuda_kernelERKNSE_10TensorBaseESI_lENKUlvE_clEvENKUlvE2_clEvEUlS7_S7_E_S7_EEDaPvRmT3_T4_T5_mT6_P12ihipStream_tbENKUlT_T0_E_clISt17integral_constantIbLb0EESY_IbLb1EEEEDaSU_SV_EUlSU_E0_NS1_11comp_targetILNS1_3genE9ELNS1_11target_archE1100ELNS1_3gpuE3ELNS1_3repE0EEENS1_30default_config_static_selectorELNS0_4arch9wavefront6targetE0EEEvT1_.num_agpr, 0
	.set _ZN7rocprim17ROCPRIM_400000_NS6detail17trampoline_kernelINS0_14default_configENS1_20scan_config_selectorIN3c107complexIfEEEEZZNS1_9scan_implILNS1_25lookback_scan_determinismE0ELb0ELb0ES3_PKS7_PS7_S7_ZZZN2at6native31launch_logcumsumexp_cuda_kernelERKNSE_10TensorBaseESI_lENKUlvE_clEvENKUlvE2_clEvEUlS7_S7_E_S7_EEDaPvRmT3_T4_T5_mT6_P12ihipStream_tbENKUlT_T0_E_clISt17integral_constantIbLb0EESY_IbLb1EEEEDaSU_SV_EUlSU_E0_NS1_11comp_targetILNS1_3genE9ELNS1_11target_archE1100ELNS1_3gpuE3ELNS1_3repE0EEENS1_30default_config_static_selectorELNS0_4arch9wavefront6targetE0EEEvT1_.numbered_sgpr, 0
	.set _ZN7rocprim17ROCPRIM_400000_NS6detail17trampoline_kernelINS0_14default_configENS1_20scan_config_selectorIN3c107complexIfEEEEZZNS1_9scan_implILNS1_25lookback_scan_determinismE0ELb0ELb0ES3_PKS7_PS7_S7_ZZZN2at6native31launch_logcumsumexp_cuda_kernelERKNSE_10TensorBaseESI_lENKUlvE_clEvENKUlvE2_clEvEUlS7_S7_E_S7_EEDaPvRmT3_T4_T5_mT6_P12ihipStream_tbENKUlT_T0_E_clISt17integral_constantIbLb0EESY_IbLb1EEEEDaSU_SV_EUlSU_E0_NS1_11comp_targetILNS1_3genE9ELNS1_11target_archE1100ELNS1_3gpuE3ELNS1_3repE0EEENS1_30default_config_static_selectorELNS0_4arch9wavefront6targetE0EEEvT1_.num_named_barrier, 0
	.set _ZN7rocprim17ROCPRIM_400000_NS6detail17trampoline_kernelINS0_14default_configENS1_20scan_config_selectorIN3c107complexIfEEEEZZNS1_9scan_implILNS1_25lookback_scan_determinismE0ELb0ELb0ES3_PKS7_PS7_S7_ZZZN2at6native31launch_logcumsumexp_cuda_kernelERKNSE_10TensorBaseESI_lENKUlvE_clEvENKUlvE2_clEvEUlS7_S7_E_S7_EEDaPvRmT3_T4_T5_mT6_P12ihipStream_tbENKUlT_T0_E_clISt17integral_constantIbLb0EESY_IbLb1EEEEDaSU_SV_EUlSU_E0_NS1_11comp_targetILNS1_3genE9ELNS1_11target_archE1100ELNS1_3gpuE3ELNS1_3repE0EEENS1_30default_config_static_selectorELNS0_4arch9wavefront6targetE0EEEvT1_.private_seg_size, 0
	.set _ZN7rocprim17ROCPRIM_400000_NS6detail17trampoline_kernelINS0_14default_configENS1_20scan_config_selectorIN3c107complexIfEEEEZZNS1_9scan_implILNS1_25lookback_scan_determinismE0ELb0ELb0ES3_PKS7_PS7_S7_ZZZN2at6native31launch_logcumsumexp_cuda_kernelERKNSE_10TensorBaseESI_lENKUlvE_clEvENKUlvE2_clEvEUlS7_S7_E_S7_EEDaPvRmT3_T4_T5_mT6_P12ihipStream_tbENKUlT_T0_E_clISt17integral_constantIbLb0EESY_IbLb1EEEEDaSU_SV_EUlSU_E0_NS1_11comp_targetILNS1_3genE9ELNS1_11target_archE1100ELNS1_3gpuE3ELNS1_3repE0EEENS1_30default_config_static_selectorELNS0_4arch9wavefront6targetE0EEEvT1_.uses_vcc, 0
	.set _ZN7rocprim17ROCPRIM_400000_NS6detail17trampoline_kernelINS0_14default_configENS1_20scan_config_selectorIN3c107complexIfEEEEZZNS1_9scan_implILNS1_25lookback_scan_determinismE0ELb0ELb0ES3_PKS7_PS7_S7_ZZZN2at6native31launch_logcumsumexp_cuda_kernelERKNSE_10TensorBaseESI_lENKUlvE_clEvENKUlvE2_clEvEUlS7_S7_E_S7_EEDaPvRmT3_T4_T5_mT6_P12ihipStream_tbENKUlT_T0_E_clISt17integral_constantIbLb0EESY_IbLb1EEEEDaSU_SV_EUlSU_E0_NS1_11comp_targetILNS1_3genE9ELNS1_11target_archE1100ELNS1_3gpuE3ELNS1_3repE0EEENS1_30default_config_static_selectorELNS0_4arch9wavefront6targetE0EEEvT1_.uses_flat_scratch, 0
	.set _ZN7rocprim17ROCPRIM_400000_NS6detail17trampoline_kernelINS0_14default_configENS1_20scan_config_selectorIN3c107complexIfEEEEZZNS1_9scan_implILNS1_25lookback_scan_determinismE0ELb0ELb0ES3_PKS7_PS7_S7_ZZZN2at6native31launch_logcumsumexp_cuda_kernelERKNSE_10TensorBaseESI_lENKUlvE_clEvENKUlvE2_clEvEUlS7_S7_E_S7_EEDaPvRmT3_T4_T5_mT6_P12ihipStream_tbENKUlT_T0_E_clISt17integral_constantIbLb0EESY_IbLb1EEEEDaSU_SV_EUlSU_E0_NS1_11comp_targetILNS1_3genE9ELNS1_11target_archE1100ELNS1_3gpuE3ELNS1_3repE0EEENS1_30default_config_static_selectorELNS0_4arch9wavefront6targetE0EEEvT1_.has_dyn_sized_stack, 0
	.set _ZN7rocprim17ROCPRIM_400000_NS6detail17trampoline_kernelINS0_14default_configENS1_20scan_config_selectorIN3c107complexIfEEEEZZNS1_9scan_implILNS1_25lookback_scan_determinismE0ELb0ELb0ES3_PKS7_PS7_S7_ZZZN2at6native31launch_logcumsumexp_cuda_kernelERKNSE_10TensorBaseESI_lENKUlvE_clEvENKUlvE2_clEvEUlS7_S7_E_S7_EEDaPvRmT3_T4_T5_mT6_P12ihipStream_tbENKUlT_T0_E_clISt17integral_constantIbLb0EESY_IbLb1EEEEDaSU_SV_EUlSU_E0_NS1_11comp_targetILNS1_3genE9ELNS1_11target_archE1100ELNS1_3gpuE3ELNS1_3repE0EEENS1_30default_config_static_selectorELNS0_4arch9wavefront6targetE0EEEvT1_.has_recursion, 0
	.set _ZN7rocprim17ROCPRIM_400000_NS6detail17trampoline_kernelINS0_14default_configENS1_20scan_config_selectorIN3c107complexIfEEEEZZNS1_9scan_implILNS1_25lookback_scan_determinismE0ELb0ELb0ES3_PKS7_PS7_S7_ZZZN2at6native31launch_logcumsumexp_cuda_kernelERKNSE_10TensorBaseESI_lENKUlvE_clEvENKUlvE2_clEvEUlS7_S7_E_S7_EEDaPvRmT3_T4_T5_mT6_P12ihipStream_tbENKUlT_T0_E_clISt17integral_constantIbLb0EESY_IbLb1EEEEDaSU_SV_EUlSU_E0_NS1_11comp_targetILNS1_3genE9ELNS1_11target_archE1100ELNS1_3gpuE3ELNS1_3repE0EEENS1_30default_config_static_selectorELNS0_4arch9wavefront6targetE0EEEvT1_.has_indirect_call, 0
	.section	.AMDGPU.csdata,"",@progbits
; Kernel info:
; codeLenInByte = 0
; TotalNumSgprs: 0
; NumVgprs: 0
; ScratchSize: 0
; MemoryBound: 0
; FloatMode: 240
; IeeeMode: 1
; LDSByteSize: 0 bytes/workgroup (compile time only)
; SGPRBlocks: 0
; VGPRBlocks: 0
; NumSGPRsForWavesPerEU: 1
; NumVGPRsForWavesPerEU: 1
; Occupancy: 16
; WaveLimiterHint : 0
; COMPUTE_PGM_RSRC2:SCRATCH_EN: 0
; COMPUTE_PGM_RSRC2:USER_SGPR: 2
; COMPUTE_PGM_RSRC2:TRAP_HANDLER: 0
; COMPUTE_PGM_RSRC2:TGID_X_EN: 1
; COMPUTE_PGM_RSRC2:TGID_Y_EN: 0
; COMPUTE_PGM_RSRC2:TGID_Z_EN: 0
; COMPUTE_PGM_RSRC2:TIDIG_COMP_CNT: 0
	.section	.text._ZN7rocprim17ROCPRIM_400000_NS6detail17trampoline_kernelINS0_14default_configENS1_20scan_config_selectorIN3c107complexIfEEEEZZNS1_9scan_implILNS1_25lookback_scan_determinismE0ELb0ELb0ES3_PKS7_PS7_S7_ZZZN2at6native31launch_logcumsumexp_cuda_kernelERKNSE_10TensorBaseESI_lENKUlvE_clEvENKUlvE2_clEvEUlS7_S7_E_S7_EEDaPvRmT3_T4_T5_mT6_P12ihipStream_tbENKUlT_T0_E_clISt17integral_constantIbLb0EESY_IbLb1EEEEDaSU_SV_EUlSU_E0_NS1_11comp_targetILNS1_3genE8ELNS1_11target_archE1030ELNS1_3gpuE2ELNS1_3repE0EEENS1_30default_config_static_selectorELNS0_4arch9wavefront6targetE0EEEvT1_,"axG",@progbits,_ZN7rocprim17ROCPRIM_400000_NS6detail17trampoline_kernelINS0_14default_configENS1_20scan_config_selectorIN3c107complexIfEEEEZZNS1_9scan_implILNS1_25lookback_scan_determinismE0ELb0ELb0ES3_PKS7_PS7_S7_ZZZN2at6native31launch_logcumsumexp_cuda_kernelERKNSE_10TensorBaseESI_lENKUlvE_clEvENKUlvE2_clEvEUlS7_S7_E_S7_EEDaPvRmT3_T4_T5_mT6_P12ihipStream_tbENKUlT_T0_E_clISt17integral_constantIbLb0EESY_IbLb1EEEEDaSU_SV_EUlSU_E0_NS1_11comp_targetILNS1_3genE8ELNS1_11target_archE1030ELNS1_3gpuE2ELNS1_3repE0EEENS1_30default_config_static_selectorELNS0_4arch9wavefront6targetE0EEEvT1_,comdat
	.globl	_ZN7rocprim17ROCPRIM_400000_NS6detail17trampoline_kernelINS0_14default_configENS1_20scan_config_selectorIN3c107complexIfEEEEZZNS1_9scan_implILNS1_25lookback_scan_determinismE0ELb0ELb0ES3_PKS7_PS7_S7_ZZZN2at6native31launch_logcumsumexp_cuda_kernelERKNSE_10TensorBaseESI_lENKUlvE_clEvENKUlvE2_clEvEUlS7_S7_E_S7_EEDaPvRmT3_T4_T5_mT6_P12ihipStream_tbENKUlT_T0_E_clISt17integral_constantIbLb0EESY_IbLb1EEEEDaSU_SV_EUlSU_E0_NS1_11comp_targetILNS1_3genE8ELNS1_11target_archE1030ELNS1_3gpuE2ELNS1_3repE0EEENS1_30default_config_static_selectorELNS0_4arch9wavefront6targetE0EEEvT1_ ; -- Begin function _ZN7rocprim17ROCPRIM_400000_NS6detail17trampoline_kernelINS0_14default_configENS1_20scan_config_selectorIN3c107complexIfEEEEZZNS1_9scan_implILNS1_25lookback_scan_determinismE0ELb0ELb0ES3_PKS7_PS7_S7_ZZZN2at6native31launch_logcumsumexp_cuda_kernelERKNSE_10TensorBaseESI_lENKUlvE_clEvENKUlvE2_clEvEUlS7_S7_E_S7_EEDaPvRmT3_T4_T5_mT6_P12ihipStream_tbENKUlT_T0_E_clISt17integral_constantIbLb0EESY_IbLb1EEEEDaSU_SV_EUlSU_E0_NS1_11comp_targetILNS1_3genE8ELNS1_11target_archE1030ELNS1_3gpuE2ELNS1_3repE0EEENS1_30default_config_static_selectorELNS0_4arch9wavefront6targetE0EEEvT1_
	.p2align	8
	.type	_ZN7rocprim17ROCPRIM_400000_NS6detail17trampoline_kernelINS0_14default_configENS1_20scan_config_selectorIN3c107complexIfEEEEZZNS1_9scan_implILNS1_25lookback_scan_determinismE0ELb0ELb0ES3_PKS7_PS7_S7_ZZZN2at6native31launch_logcumsumexp_cuda_kernelERKNSE_10TensorBaseESI_lENKUlvE_clEvENKUlvE2_clEvEUlS7_S7_E_S7_EEDaPvRmT3_T4_T5_mT6_P12ihipStream_tbENKUlT_T0_E_clISt17integral_constantIbLb0EESY_IbLb1EEEEDaSU_SV_EUlSU_E0_NS1_11comp_targetILNS1_3genE8ELNS1_11target_archE1030ELNS1_3gpuE2ELNS1_3repE0EEENS1_30default_config_static_selectorELNS0_4arch9wavefront6targetE0EEEvT1_,@function
_ZN7rocprim17ROCPRIM_400000_NS6detail17trampoline_kernelINS0_14default_configENS1_20scan_config_selectorIN3c107complexIfEEEEZZNS1_9scan_implILNS1_25lookback_scan_determinismE0ELb0ELb0ES3_PKS7_PS7_S7_ZZZN2at6native31launch_logcumsumexp_cuda_kernelERKNSE_10TensorBaseESI_lENKUlvE_clEvENKUlvE2_clEvEUlS7_S7_E_S7_EEDaPvRmT3_T4_T5_mT6_P12ihipStream_tbENKUlT_T0_E_clISt17integral_constantIbLb0EESY_IbLb1EEEEDaSU_SV_EUlSU_E0_NS1_11comp_targetILNS1_3genE8ELNS1_11target_archE1030ELNS1_3gpuE2ELNS1_3repE0EEENS1_30default_config_static_selectorELNS0_4arch9wavefront6targetE0EEEvT1_: ; @_ZN7rocprim17ROCPRIM_400000_NS6detail17trampoline_kernelINS0_14default_configENS1_20scan_config_selectorIN3c107complexIfEEEEZZNS1_9scan_implILNS1_25lookback_scan_determinismE0ELb0ELb0ES3_PKS7_PS7_S7_ZZZN2at6native31launch_logcumsumexp_cuda_kernelERKNSE_10TensorBaseESI_lENKUlvE_clEvENKUlvE2_clEvEUlS7_S7_E_S7_EEDaPvRmT3_T4_T5_mT6_P12ihipStream_tbENKUlT_T0_E_clISt17integral_constantIbLb0EESY_IbLb1EEEEDaSU_SV_EUlSU_E0_NS1_11comp_targetILNS1_3genE8ELNS1_11target_archE1030ELNS1_3gpuE2ELNS1_3repE0EEENS1_30default_config_static_selectorELNS0_4arch9wavefront6targetE0EEEvT1_
; %bb.0:
	.section	.rodata,"a",@progbits
	.p2align	6, 0x0
	.amdhsa_kernel _ZN7rocprim17ROCPRIM_400000_NS6detail17trampoline_kernelINS0_14default_configENS1_20scan_config_selectorIN3c107complexIfEEEEZZNS1_9scan_implILNS1_25lookback_scan_determinismE0ELb0ELb0ES3_PKS7_PS7_S7_ZZZN2at6native31launch_logcumsumexp_cuda_kernelERKNSE_10TensorBaseESI_lENKUlvE_clEvENKUlvE2_clEvEUlS7_S7_E_S7_EEDaPvRmT3_T4_T5_mT6_P12ihipStream_tbENKUlT_T0_E_clISt17integral_constantIbLb0EESY_IbLb1EEEEDaSU_SV_EUlSU_E0_NS1_11comp_targetILNS1_3genE8ELNS1_11target_archE1030ELNS1_3gpuE2ELNS1_3repE0EEENS1_30default_config_static_selectorELNS0_4arch9wavefront6targetE0EEEvT1_
		.amdhsa_group_segment_fixed_size 0
		.amdhsa_private_segment_fixed_size 0
		.amdhsa_kernarg_size 40
		.amdhsa_user_sgpr_count 2
		.amdhsa_user_sgpr_dispatch_ptr 0
		.amdhsa_user_sgpr_queue_ptr 0
		.amdhsa_user_sgpr_kernarg_segment_ptr 1
		.amdhsa_user_sgpr_dispatch_id 0
		.amdhsa_user_sgpr_private_segment_size 0
		.amdhsa_wavefront_size32 1
		.amdhsa_uses_dynamic_stack 0
		.amdhsa_enable_private_segment 0
		.amdhsa_system_sgpr_workgroup_id_x 1
		.amdhsa_system_sgpr_workgroup_id_y 0
		.amdhsa_system_sgpr_workgroup_id_z 0
		.amdhsa_system_sgpr_workgroup_info 0
		.amdhsa_system_vgpr_workitem_id 0
		.amdhsa_next_free_vgpr 1
		.amdhsa_next_free_sgpr 1
		.amdhsa_reserve_vcc 0
		.amdhsa_float_round_mode_32 0
		.amdhsa_float_round_mode_16_64 0
		.amdhsa_float_denorm_mode_32 3
		.amdhsa_float_denorm_mode_16_64 3
		.amdhsa_fp16_overflow 0
		.amdhsa_workgroup_processor_mode 1
		.amdhsa_memory_ordered 1
		.amdhsa_forward_progress 1
		.amdhsa_inst_pref_size 0
		.amdhsa_round_robin_scheduling 0
		.amdhsa_exception_fp_ieee_invalid_op 0
		.amdhsa_exception_fp_denorm_src 0
		.amdhsa_exception_fp_ieee_div_zero 0
		.amdhsa_exception_fp_ieee_overflow 0
		.amdhsa_exception_fp_ieee_underflow 0
		.amdhsa_exception_fp_ieee_inexact 0
		.amdhsa_exception_int_div_zero 0
	.end_amdhsa_kernel
	.section	.text._ZN7rocprim17ROCPRIM_400000_NS6detail17trampoline_kernelINS0_14default_configENS1_20scan_config_selectorIN3c107complexIfEEEEZZNS1_9scan_implILNS1_25lookback_scan_determinismE0ELb0ELb0ES3_PKS7_PS7_S7_ZZZN2at6native31launch_logcumsumexp_cuda_kernelERKNSE_10TensorBaseESI_lENKUlvE_clEvENKUlvE2_clEvEUlS7_S7_E_S7_EEDaPvRmT3_T4_T5_mT6_P12ihipStream_tbENKUlT_T0_E_clISt17integral_constantIbLb0EESY_IbLb1EEEEDaSU_SV_EUlSU_E0_NS1_11comp_targetILNS1_3genE8ELNS1_11target_archE1030ELNS1_3gpuE2ELNS1_3repE0EEENS1_30default_config_static_selectorELNS0_4arch9wavefront6targetE0EEEvT1_,"axG",@progbits,_ZN7rocprim17ROCPRIM_400000_NS6detail17trampoline_kernelINS0_14default_configENS1_20scan_config_selectorIN3c107complexIfEEEEZZNS1_9scan_implILNS1_25lookback_scan_determinismE0ELb0ELb0ES3_PKS7_PS7_S7_ZZZN2at6native31launch_logcumsumexp_cuda_kernelERKNSE_10TensorBaseESI_lENKUlvE_clEvENKUlvE2_clEvEUlS7_S7_E_S7_EEDaPvRmT3_T4_T5_mT6_P12ihipStream_tbENKUlT_T0_E_clISt17integral_constantIbLb0EESY_IbLb1EEEEDaSU_SV_EUlSU_E0_NS1_11comp_targetILNS1_3genE8ELNS1_11target_archE1030ELNS1_3gpuE2ELNS1_3repE0EEENS1_30default_config_static_selectorELNS0_4arch9wavefront6targetE0EEEvT1_,comdat
.Lfunc_end346:
	.size	_ZN7rocprim17ROCPRIM_400000_NS6detail17trampoline_kernelINS0_14default_configENS1_20scan_config_selectorIN3c107complexIfEEEEZZNS1_9scan_implILNS1_25lookback_scan_determinismE0ELb0ELb0ES3_PKS7_PS7_S7_ZZZN2at6native31launch_logcumsumexp_cuda_kernelERKNSE_10TensorBaseESI_lENKUlvE_clEvENKUlvE2_clEvEUlS7_S7_E_S7_EEDaPvRmT3_T4_T5_mT6_P12ihipStream_tbENKUlT_T0_E_clISt17integral_constantIbLb0EESY_IbLb1EEEEDaSU_SV_EUlSU_E0_NS1_11comp_targetILNS1_3genE8ELNS1_11target_archE1030ELNS1_3gpuE2ELNS1_3repE0EEENS1_30default_config_static_selectorELNS0_4arch9wavefront6targetE0EEEvT1_, .Lfunc_end346-_ZN7rocprim17ROCPRIM_400000_NS6detail17trampoline_kernelINS0_14default_configENS1_20scan_config_selectorIN3c107complexIfEEEEZZNS1_9scan_implILNS1_25lookback_scan_determinismE0ELb0ELb0ES3_PKS7_PS7_S7_ZZZN2at6native31launch_logcumsumexp_cuda_kernelERKNSE_10TensorBaseESI_lENKUlvE_clEvENKUlvE2_clEvEUlS7_S7_E_S7_EEDaPvRmT3_T4_T5_mT6_P12ihipStream_tbENKUlT_T0_E_clISt17integral_constantIbLb0EESY_IbLb1EEEEDaSU_SV_EUlSU_E0_NS1_11comp_targetILNS1_3genE8ELNS1_11target_archE1030ELNS1_3gpuE2ELNS1_3repE0EEENS1_30default_config_static_selectorELNS0_4arch9wavefront6targetE0EEEvT1_
                                        ; -- End function
	.set _ZN7rocprim17ROCPRIM_400000_NS6detail17trampoline_kernelINS0_14default_configENS1_20scan_config_selectorIN3c107complexIfEEEEZZNS1_9scan_implILNS1_25lookback_scan_determinismE0ELb0ELb0ES3_PKS7_PS7_S7_ZZZN2at6native31launch_logcumsumexp_cuda_kernelERKNSE_10TensorBaseESI_lENKUlvE_clEvENKUlvE2_clEvEUlS7_S7_E_S7_EEDaPvRmT3_T4_T5_mT6_P12ihipStream_tbENKUlT_T0_E_clISt17integral_constantIbLb0EESY_IbLb1EEEEDaSU_SV_EUlSU_E0_NS1_11comp_targetILNS1_3genE8ELNS1_11target_archE1030ELNS1_3gpuE2ELNS1_3repE0EEENS1_30default_config_static_selectorELNS0_4arch9wavefront6targetE0EEEvT1_.num_vgpr, 0
	.set _ZN7rocprim17ROCPRIM_400000_NS6detail17trampoline_kernelINS0_14default_configENS1_20scan_config_selectorIN3c107complexIfEEEEZZNS1_9scan_implILNS1_25lookback_scan_determinismE0ELb0ELb0ES3_PKS7_PS7_S7_ZZZN2at6native31launch_logcumsumexp_cuda_kernelERKNSE_10TensorBaseESI_lENKUlvE_clEvENKUlvE2_clEvEUlS7_S7_E_S7_EEDaPvRmT3_T4_T5_mT6_P12ihipStream_tbENKUlT_T0_E_clISt17integral_constantIbLb0EESY_IbLb1EEEEDaSU_SV_EUlSU_E0_NS1_11comp_targetILNS1_3genE8ELNS1_11target_archE1030ELNS1_3gpuE2ELNS1_3repE0EEENS1_30default_config_static_selectorELNS0_4arch9wavefront6targetE0EEEvT1_.num_agpr, 0
	.set _ZN7rocprim17ROCPRIM_400000_NS6detail17trampoline_kernelINS0_14default_configENS1_20scan_config_selectorIN3c107complexIfEEEEZZNS1_9scan_implILNS1_25lookback_scan_determinismE0ELb0ELb0ES3_PKS7_PS7_S7_ZZZN2at6native31launch_logcumsumexp_cuda_kernelERKNSE_10TensorBaseESI_lENKUlvE_clEvENKUlvE2_clEvEUlS7_S7_E_S7_EEDaPvRmT3_T4_T5_mT6_P12ihipStream_tbENKUlT_T0_E_clISt17integral_constantIbLb0EESY_IbLb1EEEEDaSU_SV_EUlSU_E0_NS1_11comp_targetILNS1_3genE8ELNS1_11target_archE1030ELNS1_3gpuE2ELNS1_3repE0EEENS1_30default_config_static_selectorELNS0_4arch9wavefront6targetE0EEEvT1_.numbered_sgpr, 0
	.set _ZN7rocprim17ROCPRIM_400000_NS6detail17trampoline_kernelINS0_14default_configENS1_20scan_config_selectorIN3c107complexIfEEEEZZNS1_9scan_implILNS1_25lookback_scan_determinismE0ELb0ELb0ES3_PKS7_PS7_S7_ZZZN2at6native31launch_logcumsumexp_cuda_kernelERKNSE_10TensorBaseESI_lENKUlvE_clEvENKUlvE2_clEvEUlS7_S7_E_S7_EEDaPvRmT3_T4_T5_mT6_P12ihipStream_tbENKUlT_T0_E_clISt17integral_constantIbLb0EESY_IbLb1EEEEDaSU_SV_EUlSU_E0_NS1_11comp_targetILNS1_3genE8ELNS1_11target_archE1030ELNS1_3gpuE2ELNS1_3repE0EEENS1_30default_config_static_selectorELNS0_4arch9wavefront6targetE0EEEvT1_.num_named_barrier, 0
	.set _ZN7rocprim17ROCPRIM_400000_NS6detail17trampoline_kernelINS0_14default_configENS1_20scan_config_selectorIN3c107complexIfEEEEZZNS1_9scan_implILNS1_25lookback_scan_determinismE0ELb0ELb0ES3_PKS7_PS7_S7_ZZZN2at6native31launch_logcumsumexp_cuda_kernelERKNSE_10TensorBaseESI_lENKUlvE_clEvENKUlvE2_clEvEUlS7_S7_E_S7_EEDaPvRmT3_T4_T5_mT6_P12ihipStream_tbENKUlT_T0_E_clISt17integral_constantIbLb0EESY_IbLb1EEEEDaSU_SV_EUlSU_E0_NS1_11comp_targetILNS1_3genE8ELNS1_11target_archE1030ELNS1_3gpuE2ELNS1_3repE0EEENS1_30default_config_static_selectorELNS0_4arch9wavefront6targetE0EEEvT1_.private_seg_size, 0
	.set _ZN7rocprim17ROCPRIM_400000_NS6detail17trampoline_kernelINS0_14default_configENS1_20scan_config_selectorIN3c107complexIfEEEEZZNS1_9scan_implILNS1_25lookback_scan_determinismE0ELb0ELb0ES3_PKS7_PS7_S7_ZZZN2at6native31launch_logcumsumexp_cuda_kernelERKNSE_10TensorBaseESI_lENKUlvE_clEvENKUlvE2_clEvEUlS7_S7_E_S7_EEDaPvRmT3_T4_T5_mT6_P12ihipStream_tbENKUlT_T0_E_clISt17integral_constantIbLb0EESY_IbLb1EEEEDaSU_SV_EUlSU_E0_NS1_11comp_targetILNS1_3genE8ELNS1_11target_archE1030ELNS1_3gpuE2ELNS1_3repE0EEENS1_30default_config_static_selectorELNS0_4arch9wavefront6targetE0EEEvT1_.uses_vcc, 0
	.set _ZN7rocprim17ROCPRIM_400000_NS6detail17trampoline_kernelINS0_14default_configENS1_20scan_config_selectorIN3c107complexIfEEEEZZNS1_9scan_implILNS1_25lookback_scan_determinismE0ELb0ELb0ES3_PKS7_PS7_S7_ZZZN2at6native31launch_logcumsumexp_cuda_kernelERKNSE_10TensorBaseESI_lENKUlvE_clEvENKUlvE2_clEvEUlS7_S7_E_S7_EEDaPvRmT3_T4_T5_mT6_P12ihipStream_tbENKUlT_T0_E_clISt17integral_constantIbLb0EESY_IbLb1EEEEDaSU_SV_EUlSU_E0_NS1_11comp_targetILNS1_3genE8ELNS1_11target_archE1030ELNS1_3gpuE2ELNS1_3repE0EEENS1_30default_config_static_selectorELNS0_4arch9wavefront6targetE0EEEvT1_.uses_flat_scratch, 0
	.set _ZN7rocprim17ROCPRIM_400000_NS6detail17trampoline_kernelINS0_14default_configENS1_20scan_config_selectorIN3c107complexIfEEEEZZNS1_9scan_implILNS1_25lookback_scan_determinismE0ELb0ELb0ES3_PKS7_PS7_S7_ZZZN2at6native31launch_logcumsumexp_cuda_kernelERKNSE_10TensorBaseESI_lENKUlvE_clEvENKUlvE2_clEvEUlS7_S7_E_S7_EEDaPvRmT3_T4_T5_mT6_P12ihipStream_tbENKUlT_T0_E_clISt17integral_constantIbLb0EESY_IbLb1EEEEDaSU_SV_EUlSU_E0_NS1_11comp_targetILNS1_3genE8ELNS1_11target_archE1030ELNS1_3gpuE2ELNS1_3repE0EEENS1_30default_config_static_selectorELNS0_4arch9wavefront6targetE0EEEvT1_.has_dyn_sized_stack, 0
	.set _ZN7rocprim17ROCPRIM_400000_NS6detail17trampoline_kernelINS0_14default_configENS1_20scan_config_selectorIN3c107complexIfEEEEZZNS1_9scan_implILNS1_25lookback_scan_determinismE0ELb0ELb0ES3_PKS7_PS7_S7_ZZZN2at6native31launch_logcumsumexp_cuda_kernelERKNSE_10TensorBaseESI_lENKUlvE_clEvENKUlvE2_clEvEUlS7_S7_E_S7_EEDaPvRmT3_T4_T5_mT6_P12ihipStream_tbENKUlT_T0_E_clISt17integral_constantIbLb0EESY_IbLb1EEEEDaSU_SV_EUlSU_E0_NS1_11comp_targetILNS1_3genE8ELNS1_11target_archE1030ELNS1_3gpuE2ELNS1_3repE0EEENS1_30default_config_static_selectorELNS0_4arch9wavefront6targetE0EEEvT1_.has_recursion, 0
	.set _ZN7rocprim17ROCPRIM_400000_NS6detail17trampoline_kernelINS0_14default_configENS1_20scan_config_selectorIN3c107complexIfEEEEZZNS1_9scan_implILNS1_25lookback_scan_determinismE0ELb0ELb0ES3_PKS7_PS7_S7_ZZZN2at6native31launch_logcumsumexp_cuda_kernelERKNSE_10TensorBaseESI_lENKUlvE_clEvENKUlvE2_clEvEUlS7_S7_E_S7_EEDaPvRmT3_T4_T5_mT6_P12ihipStream_tbENKUlT_T0_E_clISt17integral_constantIbLb0EESY_IbLb1EEEEDaSU_SV_EUlSU_E0_NS1_11comp_targetILNS1_3genE8ELNS1_11target_archE1030ELNS1_3gpuE2ELNS1_3repE0EEENS1_30default_config_static_selectorELNS0_4arch9wavefront6targetE0EEEvT1_.has_indirect_call, 0
	.section	.AMDGPU.csdata,"",@progbits
; Kernel info:
; codeLenInByte = 0
; TotalNumSgprs: 0
; NumVgprs: 0
; ScratchSize: 0
; MemoryBound: 0
; FloatMode: 240
; IeeeMode: 1
; LDSByteSize: 0 bytes/workgroup (compile time only)
; SGPRBlocks: 0
; VGPRBlocks: 0
; NumSGPRsForWavesPerEU: 1
; NumVGPRsForWavesPerEU: 1
; Occupancy: 16
; WaveLimiterHint : 0
; COMPUTE_PGM_RSRC2:SCRATCH_EN: 0
; COMPUTE_PGM_RSRC2:USER_SGPR: 2
; COMPUTE_PGM_RSRC2:TRAP_HANDLER: 0
; COMPUTE_PGM_RSRC2:TGID_X_EN: 1
; COMPUTE_PGM_RSRC2:TGID_Y_EN: 0
; COMPUTE_PGM_RSRC2:TGID_Z_EN: 0
; COMPUTE_PGM_RSRC2:TIDIG_COMP_CNT: 0
	.section	.text._ZN2at6native32tensor_kernel_scan_innermost_dimIN3c107complexIfEEZZZNS0_31launch_logcumsumexp_cuda_kernelERKNS_10TensorBaseES7_lENKUlvE_clEvENKUlvE2_clEvEUlS4_S4_E_EEvPT_PKSB_jjjSB_T0_,"axG",@progbits,_ZN2at6native32tensor_kernel_scan_innermost_dimIN3c107complexIfEEZZZNS0_31launch_logcumsumexp_cuda_kernelERKNS_10TensorBaseES7_lENKUlvE_clEvENKUlvE2_clEvEUlS4_S4_E_EEvPT_PKSB_jjjSB_T0_,comdat
	.globl	_ZN2at6native32tensor_kernel_scan_innermost_dimIN3c107complexIfEEZZZNS0_31launch_logcumsumexp_cuda_kernelERKNS_10TensorBaseES7_lENKUlvE_clEvENKUlvE2_clEvEUlS4_S4_E_EEvPT_PKSB_jjjSB_T0_ ; -- Begin function _ZN2at6native32tensor_kernel_scan_innermost_dimIN3c107complexIfEEZZZNS0_31launch_logcumsumexp_cuda_kernelERKNS_10TensorBaseES7_lENKUlvE_clEvENKUlvE2_clEvEUlS4_S4_E_EEvPT_PKSB_jjjSB_T0_
	.p2align	8
	.type	_ZN2at6native32tensor_kernel_scan_innermost_dimIN3c107complexIfEEZZZNS0_31launch_logcumsumexp_cuda_kernelERKNS_10TensorBaseES7_lENKUlvE_clEvENKUlvE2_clEvEUlS4_S4_E_EEvPT_PKSB_jjjSB_T0_,@function
_ZN2at6native32tensor_kernel_scan_innermost_dimIN3c107complexIfEEZZZNS0_31launch_logcumsumexp_cuda_kernelERKNS_10TensorBaseES7_lENKUlvE_clEvENKUlvE2_clEvEUlS4_S4_E_EEvPT_PKSB_jjjSB_T0_: ; @_ZN2at6native32tensor_kernel_scan_innermost_dimIN3c107complexIfEEZZZNS0_31launch_logcumsumexp_cuda_kernelERKNS_10TensorBaseES7_lENKUlvE_clEvENKUlvE2_clEvEUlS4_S4_E_EEvPT_PKSB_jjjSB_T0_
; %bb.0:
	s_clause 0x2
	s_load_b96 s[12:14], s[0:1], 0x10
	s_load_b128 s[8:11], s[0:1], 0x0
	s_load_b64 s[16:17], s[0:1], 0x20
	v_bfe_u32 v14, v0, 10, 10
	s_wait_kmcnt 0x0
	s_lshl_b32 s7, 2, s14
	s_mul_hi_u32 s2, s12, s13
	s_delay_alu instid0(VALU_DEP_1) | instskip(SKIP_2) | instid1(VALU_DEP_1)
	v_mul_lo_u32 v1, s7, v14
	s_cmp_lg_u32 s2, 0
	s_mov_b32 s2, -1
	v_lshl_add_u32 v15, v1, 3, 0
	s_cbranch_scc1 .LBB347_126
; %bb.1:
	s_load_u16 s3, s[0:1], 0x3e
	s_wait_kmcnt 0x0
	s_mul_i32 s15, ttmp9, s3
	s_delay_alu instid0(SALU_CYCLE_1)
	s_cmp_ge_u32 s15, s12
	s_cbranch_scc1 .LBB347_125
; %bb.2:
	s_add_nc_u64 s[4:5], s[0:1], 48
	v_dual_mov_b32 v2, 0 :: v_dual_and_b32 v11, 0x3ff, v0
	s_load_b32 s25, s[4:5], 0x0
	s_lshl_b32 s18, 1, s14
	s_cmp_lg_u32 s13, 0
	s_delay_alu instid0(VALU_DEP_1)
	v_lshl_add_u32 v13, v11, 3, v15
	s_cselect_b32 s23, -1, 0
	s_lshl_b32 s4, s7, 3
	v_mov_b32_e32 v12, 0x4016cbe4
	v_cmp_eq_u32_e64 s2, 0, v11
	v_add3_u32 v16, v15, s4, -8
	v_lshl_add_u32 v17, s18, 3, v13
	s_mov_b32 s19, 0x7fffff
	s_mov_b32 s20, 0x37d75334
	;; [unrolled: 1-line block ×4, first 2 shown]
	s_add_co_i32 s24, s14, 1
	s_mov_b32 s26, 0x3b2d2a58
	s_wait_kmcnt 0x0
	s_mul_i32 s25, s25, s3
	s_branch .LBB347_4
.LBB347_3:                              ;   in Loop: Header=BB347_4 Depth=1
	s_add_co_i32 s15, s15, s25
	s_wait_alu 0xfffe
	s_cmp_ge_u32 s15, s12
	s_cbranch_scc1 .LBB347_125
.LBB347_4:                              ; =>This Loop Header: Depth=1
                                        ;     Child Loop BB347_7 Depth 2
                                        ;       Child Loop BB347_73 Depth 3
	s_and_not1_b32 vcc_lo, exec_lo, s23
	s_cbranch_vccnz .LBB347_3
; %bb.5:                                ;   in Loop: Header=BB347_4 Depth=1
	v_dual_mov_b32 v8, s17 :: v_dual_add_nc_u32 v5, s15, v14
	v_mov_b32_e32 v7, s16
	s_mov_b32 s27, 0
	s_delay_alu instid0(VALU_DEP_2) | instskip(SKIP_2) | instid1(VALU_DEP_3)
	v_mul_lo_u32 v1, v5, s13
	v_cmp_le_u32_e64 s3, s12, v5
	v_cmp_gt_u32_e32 vcc_lo, s12, v5
	v_lshlrev_b64_e32 v[3:4], 3, v[1:2]
	s_delay_alu instid0(VALU_DEP_1) | instskip(SKIP_1) | instid1(VALU_DEP_2)
	v_add_co_u32 v18, s4, s10, v3
	s_wait_alu 0xf1ff
	v_add_co_ci_u32_e64 v19, null, s11, v4, s4
	v_add_co_u32 v20, s4, s8, v3
	s_wait_alu 0xf1ff
	v_add_co_ci_u32_e64 v21, null, s9, v4, s4
	s_branch .LBB347_7
.LBB347_6:                              ;   in Loop: Header=BB347_7 Depth=2
	s_wait_alu 0xfffe
	s_or_b32 exec_lo, exec_lo, s5
	ds_load_b64 v[7:8], v16
	s_add_co_i32 s27, s27, s7
	s_wait_storecnt 0x0
	s_wait_loadcnt_dscnt 0x0
	s_wait_alu 0xfffe
	s_cmp_ge_u32 s27, s13
	s_barrier_signal -1
	s_barrier_wait -1
	global_inv scope:SCOPE_SE
	s_cbranch_scc1 .LBB347_3
.LBB347_7:                              ;   Parent Loop BB347_4 Depth=1
                                        ; =>  This Loop Header: Depth=2
                                        ;       Child Loop BB347_73 Depth 3
	s_wait_alu 0xfffe
	v_add_nc_u32_e32 v5, s27, v11
	s_delay_alu instid0(VALU_DEP_1)
	v_add_nc_u32_e32 v3, s18, v5
	s_and_saveexec_b32 s28, vcc_lo
	s_cbranch_execz .LBB347_66
; %bb.8:                                ;   in Loop: Header=BB347_7 Depth=2
	v_cmp_le_u32_e64 s4, s13, v5
	s_and_saveexec_b32 s5, s4
	s_wait_alu 0xfffe
	s_xor_b32 s4, exec_lo, s5
; %bb.9:                                ;   in Loop: Header=BB347_7 Depth=2
	v_dual_mov_b32 v9, s16 :: v_dual_mov_b32 v10, s17
	ds_store_b64 v13, v[9:10]
; %bb.10:                               ;   in Loop: Header=BB347_7 Depth=2
	s_wait_alu 0xfffe
	s_and_not1_saveexec_b32 s5, s4
	s_cbranch_execz .LBB347_12
; %bb.11:                               ;   in Loop: Header=BB347_7 Depth=2
	v_mov_b32_e32 v6, v2
	s_delay_alu instid0(VALU_DEP_1) | instskip(NEXT) | instid1(VALU_DEP_1)
	v_lshlrev_b64_e32 v[9:10], 3, v[5:6]
	v_add_co_u32 v9, s4, v18, v9
	s_wait_alu 0xf1ff
	s_delay_alu instid0(VALU_DEP_2)
	v_add_co_ci_u32_e64 v10, null, v19, v10, s4
	global_load_b64 v[9:10], v[9:10], off
	s_wait_loadcnt 0x0
	ds_store_b64 v13, v[9:10]
.LBB347_12:                             ;   in Loop: Header=BB347_7 Depth=2
	s_wait_alu 0xfffe
	s_or_b32 exec_lo, exec_lo, s5
	v_cmp_le_u32_e64 s4, s13, v3
	s_and_saveexec_b32 s5, s4
	s_wait_alu 0xfffe
	s_xor_b32 s4, exec_lo, s5
	s_cbranch_execz .LBB347_15
; %bb.13:                               ;   in Loop: Header=BB347_7 Depth=2
	v_dual_mov_b32 v9, s16 :: v_dual_mov_b32 v10, s17
	ds_store_b64 v17, v[9:10]
	s_wait_alu 0xfffe
	s_and_not1_saveexec_b32 s5, s4
	s_cbranch_execnz .LBB347_16
.LBB347_14:                             ;   in Loop: Header=BB347_7 Depth=2
	s_wait_alu 0xfffe
	s_or_b32 exec_lo, exec_lo, s5
	s_delay_alu instid0(SALU_CYCLE_1)
	s_and_b32 exec_lo, exec_lo, s2
	s_cbranch_execnz .LBB347_17
	s_branch .LBB347_66
.LBB347_15:                             ;   in Loop: Header=BB347_7 Depth=2
	s_wait_alu 0xfffe
	s_and_not1_saveexec_b32 s5, s4
	s_cbranch_execz .LBB347_14
.LBB347_16:                             ;   in Loop: Header=BB347_7 Depth=2
	v_mov_b32_e32 v4, v2
	s_delay_alu instid0(VALU_DEP_1) | instskip(NEXT) | instid1(VALU_DEP_1)
	v_lshlrev_b64_e32 v[9:10], 3, v[3:4]
	v_add_co_u32 v9, s4, v18, v9
	s_wait_alu 0xf1ff
	s_delay_alu instid0(VALU_DEP_2)
	v_add_co_ci_u32_e64 v10, null, v19, v10, s4
	global_load_b64 v[9:10], v[9:10], off
	s_wait_loadcnt 0x0
	ds_store_b64 v17, v[9:10]
	s_wait_alu 0xfffe
	s_or_b32 exec_lo, exec_lo, s5
	s_delay_alu instid0(SALU_CYCLE_1)
	s_and_b32 exec_lo, exec_lo, s2
	s_cbranch_execz .LBB347_66
.LBB347_17:                             ;   in Loop: Header=BB347_7 Depth=2
	ds_load_b64 v[9:10], v15
	v_cmp_o_f32_e64 s4, v7, v8
	v_mov_b32_e32 v4, v8
	v_mov_b32_e32 v22, v7
	;; [unrolled: 1-line block ×3, first 2 shown]
	s_and_saveexec_b32 s29, s4
	s_cbranch_execz .LBB347_19
; %bb.18:                               ;   in Loop: Header=BB347_7 Depth=2
	s_wait_dscnt 0x0
	v_cmp_u_f32_e64 s5, v9, v10
	v_cmp_lt_f32_e64 s6, v9, v7
	s_or_b32 s5, s6, s5
	s_wait_alu 0xfffe
	v_cndmask_b32_e64 v4, v8, v10, s5
	v_cndmask_b32_e64 v22, v7, v9, s5
	s_delay_alu instid0(VALU_DEP_2)
	v_mov_b32_e32 v6, v4
.LBB347_19:                             ;   in Loop: Header=BB347_7 Depth=2
	s_or_b32 exec_lo, exec_lo, s29
	s_and_saveexec_b32 s6, s4
	s_cbranch_execz .LBB347_21
; %bb.20:                               ;   in Loop: Header=BB347_7 Depth=2
	s_wait_dscnt 0x0
	v_cmp_u_f32_e64 s4, v9, v10
	v_cmp_ge_f32_e64 s5, v9, v7
	s_or_b32 s4, s5, s4
	s_wait_alu 0xfffe
	v_cndmask_b32_e64 v8, v8, v10, s4
	v_cndmask_b32_e64 v7, v7, v9, s4
.LBB347_21:                             ;   in Loop: Header=BB347_7 Depth=2
	s_wait_alu 0xfffe
	s_or_b32 exec_lo, exec_lo, s6
	s_wait_dscnt 0x0
	v_dual_mov_b32 v9, 0x7fc00000 :: v_dual_mov_b32 v10, 0x7fc00000
	s_mov_b32 s29, exec_lo
	v_cmpx_o_f32_e32 v22, v4
	s_cbranch_execz .LBB347_65
; %bb.22:                               ;   in Loop: Header=BB347_7 Depth=2
	v_cmp_class_f32_e64 s5, v22, 0x1f8
	v_cmp_neq_f32_e64 s4, v7, v22
	s_or_b32 s4, s5, s4
	s_wait_alu 0xfffe
	s_and_saveexec_b32 s5, s4
	s_wait_alu 0xfffe
	s_xor_b32 s30, exec_lo, s5
	s_cbranch_execz .LBB347_38
; %bb.23:                               ;   in Loop: Header=BB347_7 Depth=2
	v_sub_f32_e32 v4, v4, v8
                                        ; implicit-def: $vgpr10
                                        ; implicit-def: $vgpr9
	s_delay_alu instid0(VALU_DEP_1) | instskip(SKIP_1) | instid1(VALU_DEP_2)
	v_and_b32_e32 v6, 0x7fffffff, v4
	v_cmp_ngt_f32_e64 s31, 0x48000000, |v4|
	v_lshrrev_b32_e32 v1, 23, v6
	v_and_or_b32 v23, v6, s19, 0x800000
	s_delay_alu instid0(VALU_DEP_2)
	v_add_nc_u32_e32 v24, 0xffffff88, v1
	s_and_saveexec_b32 s4, s31
	s_wait_alu 0xfffe
	s_xor_b32 s33, exec_lo, s4
	s_cbranch_execz .LBB347_25
; %bb.24:                               ;   in Loop: Header=BB347_7 Depth=2
	v_mad_co_u64_u32 v[9:10], null, 0xfe5163ab, v23, 0
	v_cmp_lt_u32_e64 s4, 63, v24
	s_delay_alu instid0(VALU_DEP_2) | instskip(SKIP_1) | instid1(VALU_DEP_2)
	v_mov_b32_e32 v1, v10
	s_wait_alu 0xf1ff
	v_cndmask_b32_e64 v10, 0, 0xffffffc0, s4
	s_delay_alu instid0(VALU_DEP_1) | instskip(NEXT) | instid1(VALU_DEP_1)
	v_add_nc_u32_e32 v10, v10, v24
	v_cmp_lt_u32_e64 s5, 31, v10
	s_wait_alu 0xf1ff
	s_delay_alu instid0(VALU_DEP_1) | instskip(NEXT) | instid1(VALU_DEP_1)
	v_cndmask_b32_e64 v31, 0, 0xffffffe0, s5
	v_add_nc_u32_e32 v10, v31, v10
	v_mad_co_u64_u32 v[25:26], null, 0x3c439041, v23, v[1:2]
	s_delay_alu instid0(VALU_DEP_2) | instskip(NEXT) | instid1(VALU_DEP_2)
	v_cmp_lt_u32_e64 s6, 31, v10
	v_mov_b32_e32 v1, v26
	s_delay_alu instid0(VALU_DEP_1) | instskip(NEXT) | instid1(VALU_DEP_1)
	v_mad_co_u64_u32 v[26:27], null, 0xdb629599, v23, v[1:2]
	v_mov_b32_e32 v1, v27
	s_delay_alu instid0(VALU_DEP_2) | instskip(NEXT) | instid1(VALU_DEP_2)
	v_cndmask_b32_e64 v9, v26, v9, s4
	v_mad_co_u64_u32 v[27:28], null, 0xf534ddc0, v23, v[1:2]
	s_delay_alu instid0(VALU_DEP_1) | instskip(NEXT) | instid1(VALU_DEP_1)
	v_mov_b32_e32 v1, v28
	v_mad_co_u64_u32 v[28:29], null, 0xfc2757d1, v23, v[1:2]
	s_delay_alu instid0(VALU_DEP_1) | instskip(NEXT) | instid1(VALU_DEP_1)
	v_mov_b32_e32 v1, v29
	v_mad_co_u64_u32 v[29:30], null, 0x4e441529, v23, v[1:2]
	s_delay_alu instid0(VALU_DEP_1) | instskip(NEXT) | instid1(VALU_DEP_2)
	v_mov_b32_e32 v1, v30
	v_cndmask_b32_e64 v32, v29, v27, s4
	s_delay_alu instid0(VALU_DEP_2) | instskip(SKIP_2) | instid1(VALU_DEP_1)
	v_mad_co_u64_u32 v[30:31], null, 0xa2f9836e, v23, v[1:2]
	s_wait_alu 0xf1ff
	v_cndmask_b32_e64 v1, 0, 0xffffffe0, s6
	v_add_nc_u32_e32 v1, v1, v10
	s_delay_alu instid0(VALU_DEP_3) | instskip(NEXT) | instid1(VALU_DEP_4)
	v_cndmask_b32_e64 v30, v30, v28, s4
	v_cndmask_b32_e64 v29, v31, v29, s4
	;; [unrolled: 1-line block ×4, first 2 shown]
	v_cmp_eq_u32_e64 s4, 0, v1
	v_cndmask_b32_e64 v25, v30, v32, s5
	v_cndmask_b32_e64 v27, v29, v30, s5
	;; [unrolled: 1-line block ×3, first 2 shown]
	v_sub_nc_u32_e32 v30, 32, v1
	v_cndmask_b32_e64 v28, v28, v10, s5
	v_cndmask_b32_e64 v9, v10, v9, s5
	;; [unrolled: 1-line block ×4, first 2 shown]
	s_delay_alu instid0(VALU_DEP_4) | instskip(NEXT) | instid1(VALU_DEP_4)
	v_cndmask_b32_e64 v29, v29, v28, s6
	v_cndmask_b32_e64 v9, v28, v9, s6
	s_delay_alu instid0(VALU_DEP_3) | instskip(NEXT) | instid1(VALU_DEP_3)
	v_alignbit_b32 v31, v27, v25, v30
	v_alignbit_b32 v26, v25, v29, v30
	s_delay_alu instid0(VALU_DEP_3) | instskip(SKIP_1) | instid1(VALU_DEP_3)
	v_alignbit_b32 v28, v29, v9, v30
	s_wait_alu 0xf1ff
	v_cndmask_b32_e64 v1, v31, v27, s4
	s_delay_alu instid0(VALU_DEP_3) | instskip(NEXT) | instid1(VALU_DEP_3)
	v_cndmask_b32_e64 v10, v26, v25, s4
	v_cndmask_b32_e64 v28, v28, v29, s4
	s_delay_alu instid0(VALU_DEP_3) | instskip(NEXT) | instid1(VALU_DEP_3)
	v_bfe_u32 v25, v1, 29, 1
	v_alignbit_b32 v26, v1, v10, 30
	s_delay_alu instid0(VALU_DEP_3) | instskip(SKIP_1) | instid1(VALU_DEP_4)
	v_alignbit_b32 v10, v10, v28, 30
	v_alignbit_b32 v9, v28, v9, 30
	v_sub_nc_u32_e32 v27, 0, v25
	s_delay_alu instid0(VALU_DEP_1) | instskip(NEXT) | instid1(VALU_DEP_4)
	v_xor_b32_e32 v26, v26, v27
	v_xor_b32_e32 v10, v10, v27
	s_delay_alu instid0(VALU_DEP_4) | instskip(SKIP_3) | instid1(VALU_DEP_1)
	v_xor_b32_e32 v9, v9, v27
	v_lshrrev_b32_e32 v27, 29, v1
	v_lshrrev_b32_e32 v1, 30, v1
	v_clz_i32_u32_e32 v29, v26
	v_min_u32_e32 v29, 32, v29
	s_delay_alu instid0(VALU_DEP_1) | instskip(SKIP_1) | instid1(VALU_DEP_2)
	v_sub_nc_u32_e32 v28, 31, v29
	v_lshlrev_b32_e32 v30, 23, v29
	v_alignbit_b32 v26, v26, v10, v28
	v_alignbit_b32 v9, v10, v9, v28
	v_lshlrev_b32_e32 v10, 31, v27
	s_delay_alu instid0(VALU_DEP_2) | instskip(NEXT) | instid1(VALU_DEP_2)
	v_alignbit_b32 v27, v26, v9, 9
	v_or_b32_e32 v28, 0.5, v10
	v_lshrrev_b32_e32 v26, 9, v26
	v_or_b32_e32 v10, 0x33000000, v10
	s_delay_alu instid0(VALU_DEP_4) | instskip(NEXT) | instid1(VALU_DEP_4)
	v_clz_i32_u32_e32 v31, v27
	v_sub_nc_u32_e32 v28, v28, v30
	s_delay_alu instid0(VALU_DEP_2) | instskip(NEXT) | instid1(VALU_DEP_2)
	v_min_u32_e32 v30, 32, v31
	v_or_b32_e32 v26, v26, v28
	s_delay_alu instid0(VALU_DEP_2) | instskip(NEXT) | instid1(VALU_DEP_2)
	v_not_b32_e32 v28, v30
	v_mul_f32_e32 v31, 0x3fc90fda, v26
	v_add_lshl_u32 v29, v30, v29, 23
	s_delay_alu instid0(VALU_DEP_3) | instskip(NEXT) | instid1(VALU_DEP_3)
	v_alignbit_b32 v9, v27, v9, v28
	v_fma_f32 v27, 0x3fc90fda, v26, -v31
	s_delay_alu instid0(VALU_DEP_3) | instskip(NEXT) | instid1(VALU_DEP_3)
	v_sub_nc_u32_e32 v10, v10, v29
	v_lshrrev_b32_e32 v9, 9, v9
	s_delay_alu instid0(VALU_DEP_3) | instskip(NEXT) | instid1(VALU_DEP_2)
	v_fmac_f32_e32 v27, 0x33a22168, v26
	v_or_b32_e32 v9, v10, v9
	v_add_nc_u32_e32 v10, v25, v1
	s_delay_alu instid0(VALU_DEP_2) | instskip(NEXT) | instid1(VALU_DEP_1)
	v_fmac_f32_e32 v27, 0x3fc90fda, v9
	v_add_f32_e32 v9, v31, v27
.LBB347_25:                             ;   in Loop: Header=BB347_7 Depth=2
	s_or_saveexec_b32 s4, s33
	v_mul_f32_e64 v1, 0x3f22f983, |v4|
	s_delay_alu instid0(VALU_DEP_1)
	v_rndne_f32_e32 v26, v1
	s_wait_alu 0xfffe
	s_xor_b32 exec_lo, exec_lo, s4
; %bb.26:                               ;   in Loop: Header=BB347_7 Depth=2
	s_delay_alu instid0(VALU_DEP_1) | instskip(SKIP_1) | instid1(VALU_DEP_2)
	v_fma_f32 v9, 0xbfc90fda, v26, |v4|
	v_cvt_i32_f32_e32 v10, v26
	v_fmac_f32_e32 v9, 0xb3a22168, v26
	s_delay_alu instid0(VALU_DEP_1)
	v_fmac_f32_e32 v9, 0xa7c234c4, v26
; %bb.27:                               ;   in Loop: Header=BB347_7 Depth=2
	s_or_b32 exec_lo, exec_lo, s4
                                        ; implicit-def: $vgpr25
                                        ; implicit-def: $vgpr1
	s_and_saveexec_b32 s4, s31
	s_wait_alu 0xfffe
	s_xor_b32 s31, exec_lo, s4
	s_cbranch_execz .LBB347_29
; %bb.28:                               ;   in Loop: Header=BB347_7 Depth=2
	v_mad_co_u64_u32 v[25:26], null, 0xfe5163ab, v23, 0
	v_cmp_lt_u32_e64 s4, 63, v24
	s_wait_alu 0xf1ff
	s_delay_alu instid0(VALU_DEP_1) | instskip(NEXT) | instid1(VALU_DEP_1)
	v_cndmask_b32_e64 v31, 0, 0xffffffc0, s4
	v_dual_mov_b32 v1, v26 :: v_dual_add_nc_u32 v24, v31, v24
	s_delay_alu instid0(VALU_DEP_1) | instskip(NEXT) | instid1(VALU_DEP_2)
	v_mad_co_u64_u32 v[26:27], null, 0x3c439041, v23, v[1:2]
	v_cmp_lt_u32_e64 s5, 31, v24
	s_delay_alu instid0(VALU_DEP_2) | instskip(SKIP_1) | instid1(VALU_DEP_2)
	v_mov_b32_e32 v1, v27
	s_wait_alu 0xf1ff
	v_cndmask_b32_e64 v32, 0, 0xffffffe0, s5
	s_delay_alu instid0(VALU_DEP_2) | instskip(NEXT) | instid1(VALU_DEP_1)
	v_mad_co_u64_u32 v[27:28], null, 0xdb629599, v23, v[1:2]
	v_mov_b32_e32 v1, v28
	s_delay_alu instid0(VALU_DEP_2) | instskip(NEXT) | instid1(VALU_DEP_2)
	v_cndmask_b32_e64 v25, v27, v25, s4
	v_mad_co_u64_u32 v[28:29], null, 0xf534ddc0, v23, v[1:2]
	s_delay_alu instid0(VALU_DEP_1) | instskip(NEXT) | instid1(VALU_DEP_2)
	v_mov_b32_e32 v1, v29
	v_cndmask_b32_e64 v26, v28, v26, s4
	s_delay_alu instid0(VALU_DEP_2) | instskip(NEXT) | instid1(VALU_DEP_1)
	v_mad_co_u64_u32 v[29:30], null, 0xfc2757d1, v23, v[1:2]
	v_mov_b32_e32 v1, v30
	s_delay_alu instid0(VALU_DEP_1) | instskip(NEXT) | instid1(VALU_DEP_1)
	v_mad_co_u64_u32 v[30:31], null, 0x4e441529, v23, v[1:2]
	v_mov_b32_e32 v1, v31
	v_add_nc_u32_e32 v31, v32, v24
	s_delay_alu instid0(VALU_DEP_3) | instskip(NEXT) | instid1(VALU_DEP_3)
	v_cndmask_b32_e64 v32, v30, v28, s4
	v_mad_co_u64_u32 v[23:24], null, 0xa2f9836e, v23, v[1:2]
	s_delay_alu instid0(VALU_DEP_3) | instskip(SKIP_1) | instid1(VALU_DEP_1)
	v_cmp_lt_u32_e64 s6, 31, v31
	s_wait_alu 0xf1ff
	v_cndmask_b32_e64 v1, 0, 0xffffffe0, s6
	s_delay_alu instid0(VALU_DEP_3) | instskip(NEXT) | instid1(VALU_DEP_4)
	v_cndmask_b32_e64 v23, v23, v29, s4
	v_cndmask_b32_e64 v24, v24, v30, s4
	;; [unrolled: 1-line block ×3, first 2 shown]
	s_delay_alu instid0(VALU_DEP_4) | instskip(NEXT) | instid1(VALU_DEP_4)
	v_add_nc_u32_e32 v1, v1, v31
	v_cndmask_b32_e64 v28, v23, v32, s5
	s_delay_alu instid0(VALU_DEP_4) | instskip(NEXT) | instid1(VALU_DEP_4)
	v_cndmask_b32_e64 v23, v24, v23, s5
	v_cndmask_b32_e64 v24, v32, v29, s5
	;; [unrolled: 1-line block ×3, first 2 shown]
	v_sub_nc_u32_e32 v30, 32, v1
	v_cmp_eq_u32_e64 s4, 0, v1
	v_cndmask_b32_e64 v23, v23, v28, s6
	v_cndmask_b32_e64 v28, v28, v24, s6
	;; [unrolled: 1-line block ×3, first 2 shown]
	s_delay_alu instid0(VALU_DEP_2) | instskip(NEXT) | instid1(VALU_DEP_2)
	v_alignbit_b32 v31, v23, v28, v30
	v_alignbit_b32 v27, v28, v24, v30
	s_wait_alu 0xf1ff
	s_delay_alu instid0(VALU_DEP_2) | instskip(SKIP_1) | instid1(VALU_DEP_3)
	v_cndmask_b32_e64 v1, v31, v23, s4
	v_cndmask_b32_e64 v23, v26, v25, s5
	;; [unrolled: 1-line block ×3, first 2 shown]
	s_delay_alu instid0(VALU_DEP_3) | instskip(NEXT) | instid1(VALU_DEP_3)
	v_bfe_u32 v26, v1, 29, 1
	v_cndmask_b32_e64 v23, v29, v23, s6
	s_delay_alu instid0(VALU_DEP_3) | instskip(NEXT) | instid1(VALU_DEP_3)
	v_alignbit_b32 v27, v1, v25, 30
	v_sub_nc_u32_e32 v28, 0, v26
	s_delay_alu instid0(VALU_DEP_3) | instskip(NEXT) | instid1(VALU_DEP_2)
	v_alignbit_b32 v29, v24, v23, v30
	v_xor_b32_e32 v27, v27, v28
	s_delay_alu instid0(VALU_DEP_2) | instskip(NEXT) | instid1(VALU_DEP_2)
	v_cndmask_b32_e64 v24, v29, v24, s4
	v_clz_i32_u32_e32 v29, v27
	s_delay_alu instid0(VALU_DEP_2) | instskip(SKIP_1) | instid1(VALU_DEP_3)
	v_alignbit_b32 v25, v25, v24, 30
	v_alignbit_b32 v23, v24, v23, 30
	v_min_u32_e32 v29, 32, v29
	s_delay_alu instid0(VALU_DEP_3) | instskip(NEXT) | instid1(VALU_DEP_3)
	v_xor_b32_e32 v24, v25, v28
	v_xor_b32_e32 v23, v23, v28
	v_lshrrev_b32_e32 v28, 29, v1
	s_delay_alu instid0(VALU_DEP_4) | instskip(SKIP_1) | instid1(VALU_DEP_2)
	v_sub_nc_u32_e32 v25, 31, v29
	v_lshlrev_b32_e32 v30, 23, v29
	v_alignbit_b32 v27, v27, v24, v25
	v_alignbit_b32 v23, v24, v23, v25
	v_lshlrev_b32_e32 v24, 31, v28
	s_delay_alu instid0(VALU_DEP_2) | instskip(NEXT) | instid1(VALU_DEP_2)
	v_alignbit_b32 v25, v27, v23, 9
	v_or_b32_e32 v28, 0.5, v24
	v_lshrrev_b32_e32 v27, 9, v27
	v_or_b32_e32 v24, 0x33000000, v24
	s_delay_alu instid0(VALU_DEP_4) | instskip(NEXT) | instid1(VALU_DEP_4)
	v_clz_i32_u32_e32 v31, v25
	v_sub_nc_u32_e32 v28, v28, v30
	s_delay_alu instid0(VALU_DEP_2) | instskip(NEXT) | instid1(VALU_DEP_2)
	v_min_u32_e32 v30, 32, v31
	v_or_b32_e32 v27, v27, v28
	s_delay_alu instid0(VALU_DEP_2) | instskip(NEXT) | instid1(VALU_DEP_2)
	v_not_b32_e32 v28, v30
	v_mul_f32_e32 v31, 0x3fc90fda, v27
	v_add_lshl_u32 v29, v30, v29, 23
	s_delay_alu instid0(VALU_DEP_3) | instskip(NEXT) | instid1(VALU_DEP_3)
	v_alignbit_b32 v23, v25, v23, v28
	v_fma_f32 v25, 0x3fc90fda, v27, -v31
	s_delay_alu instid0(VALU_DEP_3) | instskip(NEXT) | instid1(VALU_DEP_3)
	v_sub_nc_u32_e32 v24, v24, v29
	v_lshrrev_b32_e32 v23, 9, v23
	s_delay_alu instid0(VALU_DEP_3) | instskip(NEXT) | instid1(VALU_DEP_2)
	v_fmac_f32_e32 v25, 0x33a22168, v27
	v_or_b32_e32 v23, v24, v23
	s_delay_alu instid0(VALU_DEP_1) | instskip(SKIP_1) | instid1(VALU_DEP_2)
	v_fmac_f32_e32 v25, 0x3fc90fda, v23
	v_lshrrev_b32_e32 v23, 30, v1
	v_add_f32_e32 v1, v31, v25
	s_delay_alu instid0(VALU_DEP_2)
	v_add_nc_u32_e32 v25, v26, v23
                                        ; implicit-def: $vgpr26
	s_and_not1_saveexec_b32 s4, s31
	s_cbranch_execnz .LBB347_30
	s_branch .LBB347_31
.LBB347_29:                             ;   in Loop: Header=BB347_7 Depth=2
	s_and_not1_saveexec_b32 s4, s31
.LBB347_30:                             ;   in Loop: Header=BB347_7 Depth=2
	v_fma_f32 v1, 0xbfc90fda, v26, |v4|
	v_cvt_i32_f32_e32 v25, v26
	s_delay_alu instid0(VALU_DEP_2) | instskip(NEXT) | instid1(VALU_DEP_1)
	v_fmac_f32_e32 v1, 0xb3a22168, v26
	v_fmac_f32_e32 v1, 0xa7c234c4, v26
.LBB347_31:                             ;   in Loop: Header=BB347_7 Depth=2
	s_wait_alu 0xfffe
	s_or_b32 exec_lo, exec_lo, s4
	v_dual_sub_f32 v22, v22, v7 :: v_dual_lshlrev_b32 v23, 30, v10
	s_delay_alu instid0(VALU_DEP_2) | instskip(SKIP_1) | instid1(VALU_DEP_3)
	v_dual_mul_f32 v27, v1, v1 :: v_dual_and_b32 v10, 1, v10
	v_mul_f32_e32 v26, v9, v9
	v_mul_f32_e32 v24, 0x3fb8aa3b, v22
	s_delay_alu instid0(VALU_DEP_4)
	v_and_b32_e32 v23, 0x80000000, v23
	v_and_b32_e32 v28, 1, v25
	v_lshlrev_b32_e32 v25, 30, v25
	v_fmaak_f32 v31, s20, v26, 0xbab64f3b
	v_fma_f32 v29, 0x3fb8aa3b, v22, -v24
	v_rndne_f32_e32 v30, v24
	v_fmaak_f32 v32, s21, v26, 0x3c0881c4
	v_cmp_eq_u32_e64 s4, 0, v10
	v_cmp_nlt_f32_e64 s5, 0x42b17218, v22
	v_fmac_f32_e32 v29, 0x32a5705f, v22
	v_dual_sub_f32 v24, v24, v30 :: v_dual_fmaak_f32 v33, s21, v27, 0x3c0881c4
	v_cvt_i32_f32_e32 v30, v30
	v_xor_b32_e32 v6, v6, v4
	s_delay_alu instid0(VALU_DEP_3) | instskip(NEXT) | instid1(VALU_DEP_4)
	v_dual_add_f32 v24, v24, v29 :: v_dual_fmaak_f32 v29, v26, v31, 0x3d2aabf7
	v_dual_fmaak_f32 v31, v26, v32, 0xbe2aaa9d :: v_dual_fmaak_f32 v32, v27, v33, 0xbe2aaa9d
	s_delay_alu instid0(VALU_DEP_2) | instskip(NEXT) | instid1(VALU_DEP_2)
	v_exp_f32_e32 v24, v24
	v_fmaak_f32 v29, v26, v29, 0xbf000004
	s_delay_alu instid0(VALU_DEP_2) | instskip(SKIP_1) | instid1(VALU_DEP_3)
	v_dual_mul_f32 v31, v26, v31 :: v_dual_mul_f32 v32, v27, v32
	v_fmaak_f32 v34, s20, v27, 0xbab64f3b
	v_fma_f32 v26, v26, v29, 1.0
	s_delay_alu instid0(VALU_DEP_3) | instskip(NEXT) | instid1(VALU_DEP_4)
	v_fmac_f32_e32 v9, v9, v31
	v_fmac_f32_e32 v1, v1, v32
	s_delay_alu instid0(VALU_DEP_4) | instskip(NEXT) | instid1(TRANS32_DEP_1)
	v_fmaak_f32 v33, v27, v34, 0x3d2aabf7
	v_ldexp_f32 v24, v24, v30
	s_wait_alu 0xf1ff
	v_cndmask_b32_e64 v9, -v9, v26, s4
	v_cmp_eq_u32_e64 s4, 0, v28
	v_fmaak_f32 v33, v27, v33, 0xbf000004
	s_delay_alu instid0(VALU_DEP_3) | instskip(NEXT) | instid1(VALU_DEP_2)
	v_xor_b32_e32 v9, v23, v9
	v_fma_f32 v27, v27, v33, 1.0
	s_wait_alu 0xf1ff
	s_delay_alu instid0(VALU_DEP_1) | instskip(SKIP_2) | instid1(VALU_DEP_1)
	v_cndmask_b32_e64 v1, v27, v1, s4
	v_cmp_ngt_f32_e64 s4, 0xc2ce8ed0, v22
	s_wait_alu 0xf1ff
	v_cndmask_b32_e64 v10, 0, v24, s4
	v_cmp_class_f32_e64 s4, v4, 0x1f8
	s_delay_alu instid0(VALU_DEP_2) | instskip(SKIP_1) | instid1(VALU_DEP_1)
	v_cndmask_b32_e64 v4, 0x7f800000, v10, s5
	v_and_b32_e32 v25, 0x80000000, v25
	v_xor3_b32 v1, v6, v25, v1
	s_wait_alu 0xf1ff
	v_cndmask_b32_e64 v6, 0x7fc00000, v9, s4
	s_delay_alu instid0(VALU_DEP_2) | instskip(NEXT) | instid1(VALU_DEP_2)
	v_cndmask_b32_e64 v1, 0x7fc00000, v1, s4
	v_mul_f32_e32 v10, v4, v6
	s_delay_alu instid0(VALU_DEP_2) | instskip(SKIP_1) | instid1(VALU_DEP_2)
	v_mul_f32_e32 v1, v4, v1
	v_fma_f32 v4, v4, v6, 1.0
	v_max_num_f32_e64 v9, |v10|, |v1|
	s_delay_alu instid0(VALU_DEP_2) | instskip(NEXT) | instid1(VALU_DEP_2)
	v_max_num_f32_e64 v6, |v4|, |v1|
	v_cvt_f64_f32_e32 v[22:23], v9
	v_cmp_eq_f32_e64 s4, 0x7f800000, v9
	s_delay_alu instid0(VALU_DEP_2) | instskip(NEXT) | instid1(VALU_DEP_1)
	v_frexp_exp_i32_f64_e32 v22, v[22:23]
	v_sub_nc_u32_e32 v23, 0, v22
	s_delay_alu instid0(VALU_DEP_1) | instskip(SKIP_1) | instid1(VALU_DEP_2)
	v_ldexp_f32 v24, |v1|, v23
	v_ldexp_f32 v23, |v10|, v23
	v_mul_f32_e32 v24, v24, v24
	s_delay_alu instid0(VALU_DEP_1) | instskip(NEXT) | instid1(VALU_DEP_1)
	v_fmac_f32_e32 v24, v23, v23
	v_sqrt_f32_e32 v23, v24
	s_delay_alu instid0(TRANS32_DEP_1) | instskip(NEXT) | instid1(VALU_DEP_1)
	v_ldexp_f32 v22, v23, v22
	v_cmp_ngt_f32_e64 s5, 0.5, v22
	s_or_b32 s4, s4, s5
	s_wait_alu 0xfffe
	s_and_saveexec_b32 s5, s4
	s_wait_alu 0xfffe
	s_xor_b32 s6, exec_lo, s5
	s_cbranch_execz .LBB347_33
; %bb.32:                               ;   in Loop: Header=BB347_7 Depth=2
	v_cvt_f64_f32_e32 v[9:10], v6
	v_cmp_neq_f32_e64 s4, 0x7f800000, v6
	s_delay_alu instid0(VALU_DEP_2) | instskip(NEXT) | instid1(VALU_DEP_1)
	v_frexp_exp_i32_f64_e32 v9, v[9:10]
	v_sub_nc_u32_e32 v10, 0, v9
	s_delay_alu instid0(VALU_DEP_1) | instskip(SKIP_1) | instid1(VALU_DEP_2)
	v_ldexp_f32 v22, |v1|, v10
	v_ldexp_f32 v10, |v4|, v10
	v_mul_f32_e32 v22, v22, v22
	s_delay_alu instid0(VALU_DEP_1) | instskip(NEXT) | instid1(VALU_DEP_1)
	v_fmac_f32_e32 v22, v10, v10
	v_sqrt_f32_e32 v10, v22
	s_delay_alu instid0(TRANS32_DEP_1) | instskip(SKIP_1) | instid1(VALU_DEP_1)
	v_ldexp_f32 v9, v10, v9
	s_wait_alu 0xf1ff
	v_cndmask_b32_e64 v9, 0x7f800000, v9, s4
	s_delay_alu instid0(VALU_DEP_1) | instskip(SKIP_1) | instid1(VALU_DEP_1)
	v_cmp_gt_f32_e64 s4, 0x800000, v9
	s_wait_alu 0xf1ff
	v_cndmask_b32_e64 v10, 0, 32, s4
	s_delay_alu instid0(VALU_DEP_1) | instskip(NEXT) | instid1(VALU_DEP_1)
	v_ldexp_f32 v9, v9, v10
	v_log_f32_e32 v9, v9
	s_delay_alu instid0(TRANS32_DEP_1) | instskip(SKIP_1) | instid1(VALU_DEP_2)
	v_mul_f32_e32 v10, 0x3f317217, v9
	v_cmp_gt_f32_e64 s5, 0x7f800000, |v9|
	v_fma_f32 v10, 0x3f317217, v9, -v10
	s_delay_alu instid0(VALU_DEP_1) | instskip(NEXT) | instid1(VALU_DEP_1)
	v_fmac_f32_e32 v10, 0x3377d1cf, v9
	v_fmac_f32_e32 v10, 0x3f317217, v9
	s_wait_alu 0xf1ff
	s_delay_alu instid0(VALU_DEP_1) | instskip(SKIP_1) | instid1(VALU_DEP_1)
	v_cndmask_b32_e64 v9, v9, v10, s5
	v_cndmask_b32_e64 v10, 0, 0x41b17218, s4
	v_sub_f32_e32 v10, v9, v10
.LBB347_33:                             ;   in Loop: Header=BB347_7 Depth=2
	s_wait_alu 0xfffe
	s_and_not1_saveexec_b32 s5, s6
	s_cbranch_execz .LBB347_37
; %bb.34:                               ;   in Loop: Header=BB347_7 Depth=2
	s_delay_alu instid0(VALU_DEP_1) | instskip(SKIP_1) | instid1(VALU_DEP_1)
	v_dual_add_f32 v22, 2.0, v10 :: v_dual_mul_f32 v9, v1, v1
	s_mov_b32 s6, exec_lo
	v_fmac_f32_e32 v9, v10, v22
	s_delay_alu instid0(VALU_DEP_1)
	v_cmpx_neq_f32_e32 0, v9
	s_cbranch_execz .LBB347_36
; %bb.35:                               ;   in Loop: Header=BB347_7 Depth=2
	v_add_f32_e32 v10, 1.0, v9
	s_delay_alu instid0(VALU_DEP_1) | instskip(NEXT) | instid1(VALU_DEP_1)
	v_cvt_f64_f32_e32 v[22:23], v10
	v_frexp_exp_i32_f64_e32 v22, v[22:23]
	v_frexp_mant_f32_e32 v23, v10
	s_delay_alu instid0(VALU_DEP_1) | instskip(SKIP_1) | instid1(VALU_DEP_1)
	v_cmp_gt_f32_e64 s4, 0x3f2aaaab, v23
	v_add_f32_e32 v23, -1.0, v10
	v_sub_f32_e32 v25, v23, v10
	v_sub_f32_e32 v23, v9, v23
	s_wait_alu 0xf1ff
	v_subrev_co_ci_u32_e64 v22, null, 0, v22, s4
	v_cmp_neq_f32_e64 s4, 0x7f800000, v9
	s_delay_alu instid0(VALU_DEP_2) | instskip(SKIP_1) | instid1(VALU_DEP_2)
	v_sub_nc_u32_e32 v24, 0, v22
	v_cvt_f32_i32_e32 v22, v22
	v_ldexp_f32 v10, v10, v24
	s_delay_alu instid0(VALU_DEP_1) | instskip(NEXT) | instid1(VALU_DEP_1)
	v_dual_add_f32 v25, 1.0, v25 :: v_dual_add_f32 v26, 1.0, v10
	v_add_f32_e32 v23, v23, v25
	s_delay_alu instid0(VALU_DEP_2) | instskip(NEXT) | instid1(VALU_DEP_2)
	v_add_f32_e32 v25, -1.0, v26
	v_ldexp_f32 v23, v23, v24
	s_delay_alu instid0(VALU_DEP_2) | instskip(NEXT) | instid1(VALU_DEP_1)
	v_dual_add_f32 v24, -1.0, v10 :: v_dual_sub_f32 v25, v10, v25
	v_add_f32_e32 v27, 1.0, v24
	s_delay_alu instid0(VALU_DEP_1) | instskip(NEXT) | instid1(VALU_DEP_1)
	v_sub_f32_e32 v10, v10, v27
	v_add_f32_e32 v10, v23, v10
	s_delay_alu instid0(VALU_DEP_1) | instskip(NEXT) | instid1(VALU_DEP_1)
	v_dual_add_f32 v28, v24, v10 :: v_dual_add_f32 v25, v23, v25
	v_dual_sub_f32 v24, v28, v24 :: v_dual_add_f32 v27, v26, v25
	s_delay_alu instid0(VALU_DEP_1) | instskip(NEXT) | instid1(VALU_DEP_2)
	v_sub_f32_e32 v10, v10, v24
	v_rcp_f32_e32 v23, v27
	v_sub_f32_e32 v26, v27, v26
	s_delay_alu instid0(VALU_DEP_1) | instskip(NEXT) | instid1(TRANS32_DEP_1)
	v_sub_f32_e32 v25, v25, v26
	v_mul_f32_e32 v29, v28, v23
	s_delay_alu instid0(VALU_DEP_1) | instskip(NEXT) | instid1(VALU_DEP_1)
	v_mul_f32_e32 v30, v27, v29
	v_fma_f32 v26, v29, v27, -v30
	s_delay_alu instid0(VALU_DEP_1) | instskip(NEXT) | instid1(VALU_DEP_1)
	v_fmac_f32_e32 v26, v29, v25
	v_add_f32_e32 v31, v30, v26
	s_delay_alu instid0(VALU_DEP_1) | instskip(SKIP_1) | instid1(VALU_DEP_2)
	v_sub_f32_e32 v32, v28, v31
	v_sub_f32_e32 v24, v31, v30
	;; [unrolled: 1-line block ×3, first 2 shown]
	s_delay_alu instid0(VALU_DEP_2) | instskip(NEXT) | instid1(VALU_DEP_2)
	v_sub_f32_e32 v24, v24, v26
	v_sub_f32_e32 v28, v28, v31
	s_delay_alu instid0(VALU_DEP_1) | instskip(NEXT) | instid1(VALU_DEP_1)
	v_add_f32_e32 v10, v10, v28
	v_add_f32_e32 v10, v24, v10
	s_delay_alu instid0(VALU_DEP_1) | instskip(NEXT) | instid1(VALU_DEP_1)
	v_add_f32_e32 v24, v32, v10
	v_mul_f32_e32 v26, v23, v24
	s_delay_alu instid0(VALU_DEP_1) | instskip(NEXT) | instid1(VALU_DEP_1)
	v_dual_sub_f32 v31, v32, v24 :: v_dual_mul_f32 v28, v27, v26
	v_add_f32_e32 v10, v10, v31
	s_delay_alu instid0(VALU_DEP_2) | instskip(NEXT) | instid1(VALU_DEP_1)
	v_fma_f32 v27, v26, v27, -v28
	v_fmac_f32_e32 v27, v26, v25
	s_delay_alu instid0(VALU_DEP_1) | instskip(NEXT) | instid1(VALU_DEP_1)
	v_add_f32_e32 v25, v28, v27
	v_sub_f32_e32 v30, v24, v25
	s_delay_alu instid0(VALU_DEP_1) | instskip(NEXT) | instid1(VALU_DEP_1)
	v_sub_f32_e32 v24, v24, v30
	v_sub_f32_e32 v24, v24, v25
	s_delay_alu instid0(VALU_DEP_1) | instskip(SKIP_2) | instid1(VALU_DEP_1)
	v_add_f32_e32 v10, v10, v24
	v_add_f32_e32 v24, v29, v26
	v_sub_f32_e32 v28, v25, v28
	v_sub_f32_e32 v25, v28, v27
	s_delay_alu instid0(VALU_DEP_1) | instskip(NEXT) | instid1(VALU_DEP_1)
	v_dual_add_f32 v10, v25, v10 :: v_dual_sub_f32 v25, v24, v29
	v_add_f32_e32 v10, v30, v10
	s_delay_alu instid0(VALU_DEP_1) | instskip(NEXT) | instid1(VALU_DEP_1)
	v_dual_sub_f32 v25, v26, v25 :: v_dual_mul_f32 v10, v23, v10
	v_add_f32_e32 v10, v25, v10
	s_delay_alu instid0(VALU_DEP_1) | instskip(NEXT) | instid1(VALU_DEP_1)
	v_add_f32_e32 v23, v24, v10
	v_mul_f32_e32 v25, v23, v23
	s_delay_alu instid0(VALU_DEP_1) | instskip(SKIP_1) | instid1(VALU_DEP_2)
	v_fmaak_f32 v26, s22, v25, 0x3ecc95a3
	v_mul_f32_e32 v27, v23, v25
	v_fmaak_f32 v25, v25, v26, 0x3f2aaada
	v_ldexp_f32 v26, v23, 1
	v_sub_f32_e32 v23, v23, v24
	s_delay_alu instid0(VALU_DEP_3) | instskip(NEXT) | instid1(VALU_DEP_2)
	v_mul_f32_e32 v25, v27, v25
	v_dual_mul_f32 v27, 0x3f317218, v22 :: v_dual_sub_f32 v10, v10, v23
	s_delay_alu instid0(VALU_DEP_2) | instskip(NEXT) | instid1(VALU_DEP_2)
	v_add_f32_e32 v24, v26, v25
	v_ldexp_f32 v10, v10, 1
	s_delay_alu instid0(VALU_DEP_2) | instskip(NEXT) | instid1(VALU_DEP_4)
	v_sub_f32_e32 v23, v24, v26
	v_fma_f32 v26, 0x3f317218, v22, -v27
	s_delay_alu instid0(VALU_DEP_1) | instskip(NEXT) | instid1(VALU_DEP_1)
	v_dual_sub_f32 v23, v25, v23 :: v_dual_fmac_f32 v26, 0xb102e308, v22
	v_add_f32_e32 v10, v10, v23
	s_delay_alu instid0(VALU_DEP_2) | instskip(NEXT) | instid1(VALU_DEP_2)
	v_add_f32_e32 v22, v27, v26
	v_add_f32_e32 v23, v24, v10
	s_delay_alu instid0(VALU_DEP_2) | instskip(NEXT) | instid1(VALU_DEP_2)
	v_sub_f32_e32 v27, v22, v27
	v_dual_add_f32 v25, v22, v23 :: v_dual_sub_f32 v24, v23, v24
	s_delay_alu instid0(VALU_DEP_2) | instskip(NEXT) | instid1(VALU_DEP_2)
	v_sub_f32_e32 v26, v26, v27
	v_sub_f32_e32 v28, v25, v22
	s_delay_alu instid0(VALU_DEP_3) | instskip(NEXT) | instid1(VALU_DEP_2)
	v_sub_f32_e32 v10, v10, v24
	v_sub_f32_e32 v29, v25, v28
	s_delay_alu instid0(VALU_DEP_2) | instskip(NEXT) | instid1(VALU_DEP_2)
	v_dual_sub_f32 v23, v23, v28 :: v_dual_add_f32 v24, v26, v10
	v_sub_f32_e32 v22, v22, v29
	s_delay_alu instid0(VALU_DEP_1) | instskip(NEXT) | instid1(VALU_DEP_3)
	v_add_f32_e32 v22, v23, v22
	v_sub_f32_e32 v23, v24, v26
	s_delay_alu instid0(VALU_DEP_2) | instskip(NEXT) | instid1(VALU_DEP_2)
	v_add_f32_e32 v22, v24, v22
	v_sub_f32_e32 v24, v24, v23
	s_delay_alu instid0(VALU_DEP_2) | instskip(NEXT) | instid1(VALU_DEP_1)
	v_dual_sub_f32 v10, v10, v23 :: v_dual_add_f32 v27, v25, v22
	v_dual_sub_f32 v24, v26, v24 :: v_dual_sub_f32 v23, v27, v25
	s_delay_alu instid0(VALU_DEP_1) | instskip(NEXT) | instid1(VALU_DEP_2)
	v_add_f32_e32 v10, v10, v24
	v_sub_f32_e32 v22, v22, v23
	s_delay_alu instid0(VALU_DEP_1) | instskip(NEXT) | instid1(VALU_DEP_1)
	v_add_f32_e32 v10, v10, v22
	v_add_f32_e32 v10, v27, v10
	s_wait_alu 0xf1ff
	s_delay_alu instid0(VALU_DEP_1) | instskip(SKIP_2) | instid1(VALU_DEP_1)
	v_cndmask_b32_e64 v10, 0x7f800000, v10, s4
	v_cmp_ngt_f32_e64 s4, -1.0, v9
	s_wait_alu 0xf1ff
	v_cndmask_b32_e64 v10, 0x7fc00000, v10, s4
	v_cmp_neq_f32_e64 s4, -1.0, v9
	s_wait_alu 0xf1ff
	s_delay_alu instid0(VALU_DEP_1) | instskip(SKIP_2) | instid1(VALU_DEP_1)
	v_cndmask_b32_e64 v10, 0xff800000, v10, s4
	v_cmp_gt_f32_e64 s4, 0x33800000, |v9|
	s_wait_alu 0xf1ff
	v_cndmask_b32_e64 v9, v10, v9, s4
	s_delay_alu instid0(VALU_DEP_1)
	v_mul_f32_e32 v10, 0.5, v9
.LBB347_36:                             ;   in Loop: Header=BB347_7 Depth=2
	s_wait_alu 0xfffe
	s_or_b32 exec_lo, exec_lo, s6
.LBB347_37:                             ;   in Loop: Header=BB347_7 Depth=2
	s_wait_alu 0xfffe
	s_or_b32 exec_lo, exec_lo, s5
	v_max_num_f32_e64 v9, |v1|, |v1|
	v_max_num_f32_e64 v22, |v4|, |v4|
	v_frexp_mant_f32_e32 v23, v6
	v_frexp_exp_i32_f32_e32 v6, v6
	v_cmp_gt_f32_e64 s4, |v1|, |v4|
	v_cmp_gt_i32_e64 s5, 0, v4
	v_min_num_f32_e32 v9, v22, v9
	v_rcp_f32_e32 v22, v23
	v_cmp_class_f32_e64 s6, v4, 0x204
	s_delay_alu instid0(VALU_DEP_2)
	v_frexp_mant_f32_e32 v23, v9
	s_delay_alu instid0(TRANS32_DEP_1) | instid1(VALU_DEP_1)
	v_mul_f32_e32 v22, v23, v22
	v_frexp_exp_i32_f32_e32 v9, v9
	s_wait_alu 0xf1ff
	v_cndmask_b32_e64 v23, 0, 0x40490fdb, s5
	v_cmp_class_f32_e64 s5, v1, 0x204
	s_delay_alu instid0(VALU_DEP_3) | instskip(NEXT) | instid1(VALU_DEP_1)
	v_sub_nc_u32_e32 v6, v9, v6
	v_ldexp_f32 v6, v22, v6
	s_delay_alu instid0(VALU_DEP_1) | instskip(NEXT) | instid1(VALU_DEP_1)
	v_mul_f32_e32 v9, v6, v6
	v_fmaak_f32 v22, s26, v9, 0xbc7a590c
	s_delay_alu instid0(VALU_DEP_1) | instskip(NEXT) | instid1(VALU_DEP_1)
	v_fmaak_f32 v22, v9, v22, 0x3d29fb3f
	v_fmaak_f32 v22, v9, v22, 0xbd97d4d7
	s_delay_alu instid0(VALU_DEP_1) | instskip(NEXT) | instid1(VALU_DEP_1)
	v_fmaak_f32 v22, v9, v22, 0x3dd931b2
	;; [unrolled: 3-line block ×3, first 2 shown]
	v_fmaak_f32 v22, v9, v22, 0xbeaaaa62
	s_delay_alu instid0(VALU_DEP_1) | instskip(NEXT) | instid1(VALU_DEP_1)
	v_mul_f32_e32 v9, v9, v22
	v_fmac_f32_e32 v6, v6, v9
	s_delay_alu instid0(VALU_DEP_1) | instskip(NEXT) | instid1(VALU_DEP_1)
	v_sub_f32_e32 v9, 0x3fc90fdb, v6
	v_cndmask_b32_e64 v6, v6, v9, s4
	v_cmp_gt_f32_e64 s4, 0, v4
	s_delay_alu instid0(VALU_DEP_2) | instskip(SKIP_1) | instid1(VALU_DEP_2)
	v_sub_f32_e32 v9, 0x40490fdb, v6
	s_wait_alu 0xf1ff
	v_cndmask_b32_e64 v22, 0x3f490fdb, v12, s4
	s_delay_alu instid0(VALU_DEP_2) | instskip(SKIP_2) | instid1(VALU_DEP_1)
	v_cndmask_b32_e64 v6, v6, v9, s4
	v_cmp_eq_f32_e64 s4, 0, v1
	s_wait_alu 0xf1ff
	v_cndmask_b32_e64 v6, v6, v23, s4
	s_and_b32 s4, s6, s5
	s_wait_alu 0xfffe
	s_delay_alu instid0(VALU_DEP_1) | instskip(SKIP_3) | instid1(VALU_DEP_2)
	v_cndmask_b32_e64 v6, v6, v22, s4
	v_cmp_o_f32_e64 s4, v4, v1
	v_add_f32_e32 v22, v7, v10
	s_wait_alu 0xf1ff
	v_cndmask_b32_e64 v4, 0x7fc00000, v6, s4
                                        ; implicit-def: $vgpr6
	s_delay_alu instid0(VALU_DEP_1) | instskip(NEXT) | instid1(VALU_DEP_1)
	v_bfi_b32 v1, 0x7fffffff, v4, v1
	v_add_f32_e32 v4, v8, v1
                                        ; implicit-def: $vgpr8
.LBB347_38:                             ;   in Loop: Header=BB347_7 Depth=2
	s_and_not1_saveexec_b32 s30, s30
	s_cbranch_execz .LBB347_64
; %bb.39:                               ;   in Loop: Header=BB347_7 Depth=2
	s_mov_b32 s31, exec_lo
	v_cmpx_ngt_f32_e32 0, v22
	s_cbranch_execz .LBB347_63
; %bb.40:                               ;   in Loop: Header=BB347_7 Depth=2
	v_and_b32_e32 v7, 0x7fffffff, v4
	v_cmp_ngt_f32_e64 s33, 0x48000000, |v4|
                                        ; implicit-def: $vgpr10
                                        ; implicit-def: $vgpr9
	s_delay_alu instid0(VALU_DEP_2) | instskip(SKIP_1) | instid1(VALU_DEP_2)
	v_lshrrev_b32_e32 v1, 23, v7
	v_and_or_b32 v23, v7, s19, 0x800000
	v_add_nc_u32_e32 v25, 0xffffff88, v1
	s_and_saveexec_b32 s4, s33
	s_wait_alu 0xfffe
	s_xor_b32 s34, exec_lo, s4
	s_cbranch_execz .LBB347_42
; %bb.41:                               ;   in Loop: Header=BB347_7 Depth=2
	v_mad_co_u64_u32 v[9:10], null, 0xfe5163ab, v23, 0
	v_cmp_lt_u32_e64 s4, 63, v25
	s_delay_alu instid0(VALU_DEP_2) | instskip(SKIP_1) | instid1(VALU_DEP_2)
	v_mov_b32_e32 v1, v10
	s_wait_alu 0xf1ff
	v_cndmask_b32_e64 v10, 0, 0xffffffc0, s4
	s_delay_alu instid0(VALU_DEP_2) | instskip(NEXT) | instid1(VALU_DEP_2)
	v_mad_co_u64_u32 v[26:27], null, 0x3c439041, v23, v[1:2]
	v_add_nc_u32_e32 v10, v10, v25
	s_delay_alu instid0(VALU_DEP_1) | instskip(NEXT) | instid1(VALU_DEP_3)
	v_cmp_lt_u32_e64 s5, 31, v10
	v_mov_b32_e32 v1, v27
	s_wait_alu 0xf1ff
	s_delay_alu instid0(VALU_DEP_2) | instskip(NEXT) | instid1(VALU_DEP_2)
	v_cndmask_b32_e64 v22, 0, 0xffffffe0, s5
	v_mad_co_u64_u32 v[27:28], null, 0xdb629599, v23, v[1:2]
	s_delay_alu instid0(VALU_DEP_1) | instskip(NEXT) | instid1(VALU_DEP_2)
	v_dual_mov_b32 v1, v28 :: v_dual_add_nc_u32 v10, v22, v10
	v_cndmask_b32_e64 v9, v27, v9, s4
	s_delay_alu instid0(VALU_DEP_2) | instskip(NEXT) | instid1(VALU_DEP_3)
	v_cmp_lt_u32_e64 s6, 31, v10
	v_mad_co_u64_u32 v[28:29], null, 0xf534ddc0, v23, v[1:2]
	s_delay_alu instid0(VALU_DEP_1) | instskip(NEXT) | instid1(VALU_DEP_1)
	v_mov_b32_e32 v1, v29
	v_mad_co_u64_u32 v[29:30], null, 0xfc2757d1, v23, v[1:2]
	s_delay_alu instid0(VALU_DEP_1) | instskip(NEXT) | instid1(VALU_DEP_1)
	v_mov_b32_e32 v1, v30
	v_mad_co_u64_u32 v[30:31], null, 0x4e441529, v23, v[1:2]
	s_delay_alu instid0(VALU_DEP_1) | instskip(NEXT) | instid1(VALU_DEP_2)
	v_mov_b32_e32 v1, v31
	v_cndmask_b32_e64 v22, v30, v28, s4
	s_delay_alu instid0(VALU_DEP_2) | instskip(SKIP_2) | instid1(VALU_DEP_1)
	v_mad_co_u64_u32 v[31:32], null, 0xa2f9836e, v23, v[1:2]
	s_wait_alu 0xf1ff
	v_cndmask_b32_e64 v1, 0, 0xffffffe0, s6
	v_add_nc_u32_e32 v1, v1, v10
	s_delay_alu instid0(VALU_DEP_3) | instskip(NEXT) | instid1(VALU_DEP_4)
	v_cndmask_b32_e64 v24, v31, v29, s4
	v_cndmask_b32_e64 v30, v32, v30, s4
	;; [unrolled: 1-line block ×4, first 2 shown]
	v_sub_nc_u32_e32 v28, 32, v1
	v_cndmask_b32_e64 v26, v24, v22, s5
	v_cndmask_b32_e64 v24, v30, v24, s5
	;; [unrolled: 1-line block ×4, first 2 shown]
	v_cmp_eq_u32_e64 s4, 0, v1
	v_cndmask_b32_e64 v9, v10, v9, s5
	v_cndmask_b32_e64 v24, v24, v26, s6
	;; [unrolled: 1-line block ×4, first 2 shown]
	s_delay_alu instid0(VALU_DEP_4) | instskip(NEXT) | instid1(VALU_DEP_3)
	v_cndmask_b32_e64 v9, v29, v9, s6
	v_alignbit_b32 v30, v24, v26, v28
	s_delay_alu instid0(VALU_DEP_3) | instskip(NEXT) | instid1(VALU_DEP_3)
	v_alignbit_b32 v27, v26, v22, v28
	v_alignbit_b32 v28, v22, v9, v28
	s_wait_alu 0xf1ff
	s_delay_alu instid0(VALU_DEP_3) | instskip(NEXT) | instid1(VALU_DEP_3)
	v_cndmask_b32_e64 v1, v30, v24, s4
	v_cndmask_b32_e64 v10, v27, v26, s4
	s_delay_alu instid0(VALU_DEP_3) | instskip(NEXT) | instid1(VALU_DEP_3)
	v_cndmask_b32_e64 v22, v28, v22, s4
	v_bfe_u32 v24, v1, 29, 1
	s_delay_alu instid0(VALU_DEP_3) | instskip(NEXT) | instid1(VALU_DEP_3)
	v_alignbit_b32 v26, v1, v10, 30
	v_alignbit_b32 v10, v10, v22, 30
	;; [unrolled: 1-line block ×3, first 2 shown]
	s_delay_alu instid0(VALU_DEP_4) | instskip(NEXT) | instid1(VALU_DEP_1)
	v_sub_nc_u32_e32 v27, 0, v24
	v_xor_b32_e32 v26, v26, v27
	s_delay_alu instid0(VALU_DEP_4) | instskip(NEXT) | instid1(VALU_DEP_4)
	v_xor_b32_e32 v10, v10, v27
	v_xor_b32_e32 v9, v9, v27
	v_lshrrev_b32_e32 v27, 29, v1
	v_lshrrev_b32_e32 v1, 30, v1
	v_clz_i32_u32_e32 v28, v26
	s_delay_alu instid0(VALU_DEP_1) | instskip(NEXT) | instid1(VALU_DEP_1)
	v_min_u32_e32 v28, 32, v28
	v_sub_nc_u32_e32 v22, 31, v28
	v_lshlrev_b32_e32 v29, 23, v28
	s_delay_alu instid0(VALU_DEP_2) | instskip(SKIP_2) | instid1(VALU_DEP_2)
	v_alignbit_b32 v26, v26, v10, v22
	v_alignbit_b32 v9, v10, v9, v22
	v_lshlrev_b32_e32 v10, 31, v27
	v_alignbit_b32 v22, v26, v9, 9
	s_delay_alu instid0(VALU_DEP_2) | instskip(SKIP_2) | instid1(VALU_DEP_4)
	v_or_b32_e32 v27, 0.5, v10
	v_lshrrev_b32_e32 v26, 9, v26
	v_or_b32_e32 v10, 0x33000000, v10
	v_clz_i32_u32_e32 v30, v22
	s_delay_alu instid0(VALU_DEP_4) | instskip(NEXT) | instid1(VALU_DEP_2)
	v_sub_nc_u32_e32 v27, v27, v29
	v_min_u32_e32 v29, 32, v30
	s_delay_alu instid0(VALU_DEP_2) | instskip(NEXT) | instid1(VALU_DEP_2)
	v_or_b32_e32 v26, v26, v27
	v_not_b32_e32 v27, v29
	s_delay_alu instid0(VALU_DEP_2) | instskip(SKIP_1) | instid1(VALU_DEP_3)
	v_mul_f32_e32 v30, 0x3fc90fda, v26
	v_add_lshl_u32 v28, v29, v28, 23
	v_alignbit_b32 v9, v22, v9, v27
	s_delay_alu instid0(VALU_DEP_3) | instskip(NEXT) | instid1(VALU_DEP_3)
	v_fma_f32 v22, 0x3fc90fda, v26, -v30
	v_sub_nc_u32_e32 v10, v10, v28
	s_delay_alu instid0(VALU_DEP_3) | instskip(NEXT) | instid1(VALU_DEP_3)
	v_lshrrev_b32_e32 v9, 9, v9
	v_fmac_f32_e32 v22, 0x33a22168, v26
	s_delay_alu instid0(VALU_DEP_2) | instskip(SKIP_1) | instid1(VALU_DEP_2)
	v_or_b32_e32 v9, v10, v9
	v_add_nc_u32_e32 v10, v24, v1
	v_fmac_f32_e32 v22, 0x3fc90fda, v9
	s_delay_alu instid0(VALU_DEP_1)
	v_add_f32_e32 v9, v30, v22
.LBB347_42:                             ;   in Loop: Header=BB347_7 Depth=2
	s_or_saveexec_b32 s4, s34
	v_mul_f32_e64 v1, 0x3f22f983, |v4|
	s_delay_alu instid0(VALU_DEP_1)
	v_rndne_f32_e32 v1, v1
	s_wait_alu 0xfffe
	s_xor_b32 exec_lo, exec_lo, s4
; %bb.43:                               ;   in Loop: Header=BB347_7 Depth=2
	s_delay_alu instid0(VALU_DEP_1) | instskip(SKIP_1) | instid1(VALU_DEP_2)
	v_fma_f32 v9, 0xbfc90fda, v1, |v4|
	v_cvt_i32_f32_e32 v10, v1
	v_fmac_f32_e32 v9, 0xb3a22168, v1
	s_delay_alu instid0(VALU_DEP_1)
	v_fmac_f32_e32 v9, 0xa7c234c4, v1
; %bb.44:                               ;   in Loop: Header=BB347_7 Depth=2
	s_or_b32 exec_lo, exec_lo, s4
                                        ; implicit-def: $vgpr24
                                        ; implicit-def: $vgpr22
	s_and_saveexec_b32 s4, s33
	s_wait_alu 0xfffe
	s_xor_b32 s33, exec_lo, s4
	s_cbranch_execz .LBB347_46
; %bb.45:                               ;   in Loop: Header=BB347_7 Depth=2
	v_mad_co_u64_u32 v[26:27], null, 0xfe5163ab, v23, 0
	v_cmp_lt_u32_e64 s4, 63, v25
	s_wait_alu 0xf1ff
	s_delay_alu instid0(VALU_DEP_1) | instskip(NEXT) | instid1(VALU_DEP_1)
	v_cndmask_b32_e64 v22, 0, 0xffffffc0, s4
	v_dual_mov_b32 v1, v27 :: v_dual_add_nc_u32 v22, v22, v25
	s_delay_alu instid0(VALU_DEP_1) | instskip(NEXT) | instid1(VALU_DEP_2)
	v_mad_co_u64_u32 v[27:28], null, 0x3c439041, v23, v[1:2]
	v_cmp_lt_u32_e64 s5, 31, v22
	s_delay_alu instid0(VALU_DEP_2) | instskip(NEXT) | instid1(VALU_DEP_1)
	v_mov_b32_e32 v1, v28
	v_mad_co_u64_u32 v[28:29], null, 0xdb629599, v23, v[1:2]
	s_delay_alu instid0(VALU_DEP_1) | instskip(NEXT) | instid1(VALU_DEP_2)
	v_mov_b32_e32 v1, v29
	v_cndmask_b32_e64 v26, v28, v26, s4
	s_delay_alu instid0(VALU_DEP_2) | instskip(NEXT) | instid1(VALU_DEP_1)
	v_mad_co_u64_u32 v[29:30], null, 0xf534ddc0, v23, v[1:2]
	v_mov_b32_e32 v1, v30
	s_delay_alu instid0(VALU_DEP_1) | instskip(NEXT) | instid1(VALU_DEP_1)
	v_mad_co_u64_u32 v[30:31], null, 0xfc2757d1, v23, v[1:2]
	v_mov_b32_e32 v1, v31
	s_wait_alu 0xf1ff
	v_cndmask_b32_e64 v31, 0, 0xffffffe0, s5
	s_delay_alu instid0(VALU_DEP_2) | instskip(NEXT) | instid1(VALU_DEP_1)
	v_mad_co_u64_u32 v[24:25], null, 0x4e441529, v23, v[1:2]
	v_mov_b32_e32 v1, v25
	s_delay_alu instid0(VALU_DEP_3) | instskip(NEXT) | instid1(VALU_DEP_3)
	v_add_nc_u32_e32 v25, v31, v22
	v_cndmask_b32_e64 v31, v24, v29, s4
	s_delay_alu instid0(VALU_DEP_3) | instskip(NEXT) | instid1(VALU_DEP_3)
	v_mad_co_u64_u32 v[22:23], null, 0xa2f9836e, v23, v[1:2]
	v_cmp_lt_u32_e64 s6, 31, v25
	s_wait_alu 0xf1ff
	s_delay_alu instid0(VALU_DEP_1) | instskip(NEXT) | instid1(VALU_DEP_3)
	v_cndmask_b32_e64 v1, 0, 0xffffffe0, s6
	v_cndmask_b32_e64 v22, v22, v30, s4
	s_delay_alu instid0(VALU_DEP_4) | instskip(SKIP_1) | instid1(VALU_DEP_4)
	v_cndmask_b32_e64 v23, v23, v24, s4
	v_cndmask_b32_e64 v24, v30, v28, s4
	v_add_nc_u32_e32 v1, v1, v25
	v_cndmask_b32_e64 v25, v29, v27, s4
	v_cndmask_b32_e64 v27, v22, v31, s5
	;; [unrolled: 1-line block ×4, first 2 shown]
	v_sub_nc_u32_e32 v29, 32, v1
	v_cndmask_b32_e64 v24, v24, v25, s5
	v_cmp_eq_u32_e64 s4, 0, v1
	v_cndmask_b32_e64 v22, v22, v27, s6
	v_cndmask_b32_e64 v27, v27, v23, s6
	s_delay_alu instid0(VALU_DEP_4) | instskip(NEXT) | instid1(VALU_DEP_2)
	v_cndmask_b32_e64 v23, v23, v24, s6
	v_alignbit_b32 v30, v22, v27, v29
	s_delay_alu instid0(VALU_DEP_2) | instskip(SKIP_1) | instid1(VALU_DEP_2)
	v_alignbit_b32 v28, v27, v23, v29
	s_wait_alu 0xf1ff
	v_cndmask_b32_e64 v1, v30, v22, s4
	v_cndmask_b32_e64 v22, v25, v26, s5
	s_delay_alu instid0(VALU_DEP_3) | instskip(NEXT) | instid1(VALU_DEP_3)
	v_cndmask_b32_e64 v25, v28, v27, s4
	v_bfe_u32 v26, v1, 29, 1
	s_delay_alu instid0(VALU_DEP_3) | instskip(NEXT) | instid1(VALU_DEP_3)
	v_cndmask_b32_e64 v22, v24, v22, s6
	v_alignbit_b32 v24, v1, v25, 30
	s_delay_alu instid0(VALU_DEP_3) | instskip(NEXT) | instid1(VALU_DEP_3)
	v_sub_nc_u32_e32 v27, 0, v26
	v_alignbit_b32 v28, v23, v22, v29
	s_delay_alu instid0(VALU_DEP_2) | instskip(NEXT) | instid1(VALU_DEP_2)
	v_xor_b32_e32 v24, v24, v27
	v_cndmask_b32_e64 v23, v28, v23, s4
	s_delay_alu instid0(VALU_DEP_2) | instskip(NEXT) | instid1(VALU_DEP_2)
	v_clz_i32_u32_e32 v28, v24
	v_alignbit_b32 v25, v25, v23, 30
	v_alignbit_b32 v22, v23, v22, 30
	s_delay_alu instid0(VALU_DEP_3) | instskip(NEXT) | instid1(VALU_DEP_3)
	v_min_u32_e32 v28, 32, v28
	v_xor_b32_e32 v23, v25, v27
	s_delay_alu instid0(VALU_DEP_3) | instskip(SKIP_4) | instid1(VALU_DEP_2)
	v_xor_b32_e32 v22, v22, v27
	v_lshrrev_b32_e32 v27, 29, v1
	v_lshrrev_b32_e32 v1, 30, v1
	v_sub_nc_u32_e32 v25, 31, v28
	v_lshlrev_b32_e32 v29, 23, v28
	v_alignbit_b32 v24, v24, v23, v25
	v_alignbit_b32 v22, v23, v22, v25
	v_lshlrev_b32_e32 v23, 31, v27
	s_delay_alu instid0(VALU_DEP_2) | instskip(NEXT) | instid1(VALU_DEP_2)
	v_alignbit_b32 v25, v24, v22, 9
	v_or_b32_e32 v27, 0.5, v23
	v_lshrrev_b32_e32 v24, 9, v24
	v_or_b32_e32 v23, 0x33000000, v23
	s_delay_alu instid0(VALU_DEP_4) | instskip(NEXT) | instid1(VALU_DEP_4)
	v_clz_i32_u32_e32 v30, v25
	v_sub_nc_u32_e32 v27, v27, v29
	s_delay_alu instid0(VALU_DEP_2) | instskip(NEXT) | instid1(VALU_DEP_2)
	v_min_u32_e32 v29, 32, v30
	v_or_b32_e32 v24, v24, v27
	s_delay_alu instid0(VALU_DEP_2) | instskip(NEXT) | instid1(VALU_DEP_2)
	v_not_b32_e32 v27, v29
	v_mul_f32_e32 v30, 0x3fc90fda, v24
	v_add_lshl_u32 v28, v29, v28, 23
	s_delay_alu instid0(VALU_DEP_3) | instskip(NEXT) | instid1(VALU_DEP_3)
	v_alignbit_b32 v22, v25, v22, v27
	v_fma_f32 v25, 0x3fc90fda, v24, -v30
	s_delay_alu instid0(VALU_DEP_3) | instskip(NEXT) | instid1(VALU_DEP_3)
	v_sub_nc_u32_e32 v23, v23, v28
	v_lshrrev_b32_e32 v22, 9, v22
	s_delay_alu instid0(VALU_DEP_3) | instskip(NEXT) | instid1(VALU_DEP_2)
	v_dual_fmac_f32 v25, 0x33a22168, v24 :: v_dual_add_nc_u32 v24, v26, v1
                                        ; implicit-def: $vgpr1
	v_or_b32_e32 v22, v23, v22
	s_delay_alu instid0(VALU_DEP_1) | instskip(NEXT) | instid1(VALU_DEP_1)
	v_fmac_f32_e32 v25, 0x3fc90fda, v22
	v_add_f32_e32 v22, v30, v25
	s_and_not1_saveexec_b32 s4, s33
	s_cbranch_execnz .LBB347_47
	s_branch .LBB347_48
.LBB347_46:                             ;   in Loop: Header=BB347_7 Depth=2
	s_and_not1_saveexec_b32 s4, s33
.LBB347_47:                             ;   in Loop: Header=BB347_7 Depth=2
	v_fma_f32 v22, 0xbfc90fda, v1, |v4|
	v_cvt_i32_f32_e32 v24, v1
	s_delay_alu instid0(VALU_DEP_2) | instskip(NEXT) | instid1(VALU_DEP_1)
	v_fmac_f32_e32 v22, 0xb3a22168, v1
	v_fmac_f32_e32 v22, 0xa7c234c4, v1
.LBB347_48:                             ;   in Loop: Header=BB347_7 Depth=2
	s_wait_alu 0xfffe
	s_or_b32 exec_lo, exec_lo, s4
	v_and_b32_e32 v23, 0x7fffffff, v8
	v_cmp_ngt_f32_e64 s33, 0x48000000, |v8|
                                        ; implicit-def: $vgpr26
                                        ; implicit-def: $vgpr25
	s_delay_alu instid0(VALU_DEP_2) | instskip(SKIP_1) | instid1(VALU_DEP_2)
	v_lshrrev_b32_e32 v1, 23, v23
	v_and_or_b32 v27, v23, s19, 0x800000
	v_add_nc_u32_e32 v28, 0xffffff88, v1
	s_and_saveexec_b32 s4, s33
	s_wait_alu 0xfffe
	s_xor_b32 s34, exec_lo, s4
	s_cbranch_execz .LBB347_50
; %bb.49:                               ;   in Loop: Header=BB347_7 Depth=2
	v_mad_co_u64_u32 v[25:26], null, 0xfe5163ab, v27, 0
	v_cmp_lt_u32_e64 s4, 63, v28
	s_delay_alu instid0(VALU_DEP_2) | instskip(SKIP_1) | instid1(VALU_DEP_2)
	v_mov_b32_e32 v1, v26
	s_wait_alu 0xf1ff
	v_cndmask_b32_e64 v26, 0, 0xffffffc0, s4
	s_delay_alu instid0(VALU_DEP_1) | instskip(NEXT) | instid1(VALU_DEP_1)
	v_add_nc_u32_e32 v26, v26, v28
	v_cmp_lt_u32_e64 s5, 31, v26
	s_wait_alu 0xf1ff
	s_delay_alu instid0(VALU_DEP_1) | instskip(NEXT) | instid1(VALU_DEP_1)
	v_cndmask_b32_e64 v35, 0, 0xffffffe0, s5
	v_add_nc_u32_e32 v26, v35, v26
	v_mad_co_u64_u32 v[29:30], null, 0x3c439041, v27, v[1:2]
	s_delay_alu instid0(VALU_DEP_2) | instskip(NEXT) | instid1(VALU_DEP_2)
	v_cmp_lt_u32_e64 s6, 31, v26
	v_mov_b32_e32 v1, v30
	s_delay_alu instid0(VALU_DEP_1) | instskip(NEXT) | instid1(VALU_DEP_1)
	v_mad_co_u64_u32 v[30:31], null, 0xdb629599, v27, v[1:2]
	v_mov_b32_e32 v1, v31
	s_delay_alu instid0(VALU_DEP_2) | instskip(NEXT) | instid1(VALU_DEP_2)
	v_cndmask_b32_e64 v25, v30, v25, s4
	v_mad_co_u64_u32 v[31:32], null, 0xf534ddc0, v27, v[1:2]
	s_delay_alu instid0(VALU_DEP_1) | instskip(NEXT) | instid1(VALU_DEP_1)
	v_mov_b32_e32 v1, v32
	v_mad_co_u64_u32 v[32:33], null, 0xfc2757d1, v27, v[1:2]
	s_delay_alu instid0(VALU_DEP_1) | instskip(NEXT) | instid1(VALU_DEP_1)
	v_mov_b32_e32 v1, v33
	v_mad_co_u64_u32 v[33:34], null, 0x4e441529, v27, v[1:2]
	s_delay_alu instid0(VALU_DEP_1) | instskip(NEXT) | instid1(VALU_DEP_2)
	v_mov_b32_e32 v1, v34
	v_cndmask_b32_e64 v36, v33, v31, s4
	s_delay_alu instid0(VALU_DEP_2) | instskip(SKIP_2) | instid1(VALU_DEP_1)
	v_mad_co_u64_u32 v[34:35], null, 0xa2f9836e, v27, v[1:2]
	s_wait_alu 0xf1ff
	v_cndmask_b32_e64 v1, 0, 0xffffffe0, s6
	v_add_nc_u32_e32 v1, v1, v26
	s_delay_alu instid0(VALU_DEP_3) | instskip(NEXT) | instid1(VALU_DEP_4)
	v_cndmask_b32_e64 v34, v34, v32, s4
	v_cndmask_b32_e64 v33, v35, v33, s4
	;; [unrolled: 1-line block ×4, first 2 shown]
	v_cmp_eq_u32_e64 s4, 0, v1
	v_cndmask_b32_e64 v29, v34, v36, s5
	v_cndmask_b32_e64 v31, v33, v34, s5
	;; [unrolled: 1-line block ×3, first 2 shown]
	v_sub_nc_u32_e32 v34, 32, v1
	v_cndmask_b32_e64 v32, v32, v26, s5
	v_cndmask_b32_e64 v25, v26, v25, s5
	;; [unrolled: 1-line block ×4, first 2 shown]
	s_delay_alu instid0(VALU_DEP_4) | instskip(NEXT) | instid1(VALU_DEP_4)
	v_cndmask_b32_e64 v33, v33, v32, s6
	v_cndmask_b32_e64 v25, v32, v25, s6
	s_delay_alu instid0(VALU_DEP_3) | instskip(NEXT) | instid1(VALU_DEP_3)
	v_alignbit_b32 v35, v31, v29, v34
	v_alignbit_b32 v30, v29, v33, v34
	s_delay_alu instid0(VALU_DEP_3) | instskip(SKIP_1) | instid1(VALU_DEP_3)
	v_alignbit_b32 v32, v33, v25, v34
	s_wait_alu 0xf1ff
	v_cndmask_b32_e64 v1, v35, v31, s4
	s_delay_alu instid0(VALU_DEP_3) | instskip(NEXT) | instid1(VALU_DEP_3)
	v_cndmask_b32_e64 v26, v30, v29, s4
	v_cndmask_b32_e64 v32, v32, v33, s4
	s_delay_alu instid0(VALU_DEP_3) | instskip(NEXT) | instid1(VALU_DEP_3)
	v_bfe_u32 v29, v1, 29, 1
	v_alignbit_b32 v30, v1, v26, 30
	s_delay_alu instid0(VALU_DEP_3) | instskip(SKIP_1) | instid1(VALU_DEP_4)
	v_alignbit_b32 v26, v26, v32, 30
	v_alignbit_b32 v25, v32, v25, 30
	v_sub_nc_u32_e32 v31, 0, v29
	s_delay_alu instid0(VALU_DEP_1) | instskip(NEXT) | instid1(VALU_DEP_4)
	v_xor_b32_e32 v30, v30, v31
	v_xor_b32_e32 v26, v26, v31
	s_delay_alu instid0(VALU_DEP_4) | instskip(SKIP_3) | instid1(VALU_DEP_1)
	v_xor_b32_e32 v25, v25, v31
	v_lshrrev_b32_e32 v31, 29, v1
	v_lshrrev_b32_e32 v1, 30, v1
	v_clz_i32_u32_e32 v33, v30
	v_min_u32_e32 v33, 32, v33
	s_delay_alu instid0(VALU_DEP_1) | instskip(SKIP_1) | instid1(VALU_DEP_2)
	v_sub_nc_u32_e32 v32, 31, v33
	v_lshlrev_b32_e32 v34, 23, v33
	v_alignbit_b32 v30, v30, v26, v32
	v_alignbit_b32 v25, v26, v25, v32
	v_lshlrev_b32_e32 v26, 31, v31
	s_delay_alu instid0(VALU_DEP_2) | instskip(NEXT) | instid1(VALU_DEP_2)
	v_alignbit_b32 v31, v30, v25, 9
	v_or_b32_e32 v32, 0.5, v26
	v_lshrrev_b32_e32 v30, 9, v30
	v_or_b32_e32 v26, 0x33000000, v26
	s_delay_alu instid0(VALU_DEP_4) | instskip(NEXT) | instid1(VALU_DEP_4)
	v_clz_i32_u32_e32 v35, v31
	v_sub_nc_u32_e32 v32, v32, v34
	s_delay_alu instid0(VALU_DEP_2) | instskip(NEXT) | instid1(VALU_DEP_2)
	v_min_u32_e32 v34, 32, v35
	v_or_b32_e32 v30, v30, v32
	s_delay_alu instid0(VALU_DEP_2) | instskip(NEXT) | instid1(VALU_DEP_2)
	v_not_b32_e32 v32, v34
	v_mul_f32_e32 v35, 0x3fc90fda, v30
	v_add_lshl_u32 v33, v34, v33, 23
	s_delay_alu instid0(VALU_DEP_3) | instskip(NEXT) | instid1(VALU_DEP_3)
	v_alignbit_b32 v25, v31, v25, v32
	v_fma_f32 v31, 0x3fc90fda, v30, -v35
	s_delay_alu instid0(VALU_DEP_3) | instskip(NEXT) | instid1(VALU_DEP_3)
	v_sub_nc_u32_e32 v26, v26, v33
	v_lshrrev_b32_e32 v25, 9, v25
	s_delay_alu instid0(VALU_DEP_3) | instskip(NEXT) | instid1(VALU_DEP_2)
	v_fmac_f32_e32 v31, 0x33a22168, v30
	v_or_b32_e32 v25, v26, v25
	v_add_nc_u32_e32 v26, v29, v1
	s_delay_alu instid0(VALU_DEP_2) | instskip(NEXT) | instid1(VALU_DEP_1)
	v_fmac_f32_e32 v31, 0x3fc90fda, v25
	v_add_f32_e32 v25, v35, v31
.LBB347_50:                             ;   in Loop: Header=BB347_7 Depth=2
	s_or_saveexec_b32 s4, s34
	v_mul_f32_e64 v1, 0x3f22f983, |v8|
	s_delay_alu instid0(VALU_DEP_1)
	v_rndne_f32_e32 v30, v1
	s_wait_alu 0xfffe
	s_xor_b32 exec_lo, exec_lo, s4
; %bb.51:                               ;   in Loop: Header=BB347_7 Depth=2
	s_delay_alu instid0(VALU_DEP_1) | instskip(SKIP_1) | instid1(VALU_DEP_2)
	v_fma_f32 v25, 0xbfc90fda, v30, |v8|
	v_cvt_i32_f32_e32 v26, v30
	v_fmac_f32_e32 v25, 0xb3a22168, v30
	s_delay_alu instid0(VALU_DEP_1)
	v_fmac_f32_e32 v25, 0xa7c234c4, v30
; %bb.52:                               ;   in Loop: Header=BB347_7 Depth=2
	s_or_b32 exec_lo, exec_lo, s4
                                        ; implicit-def: $vgpr29
                                        ; implicit-def: $vgpr1
	s_and_saveexec_b32 s4, s33
	s_wait_alu 0xfffe
	s_xor_b32 s33, exec_lo, s4
	s_cbranch_execz .LBB347_54
; %bb.53:                               ;   in Loop: Header=BB347_7 Depth=2
	v_mad_co_u64_u32 v[29:30], null, 0xfe5163ab, v27, 0
	v_cmp_lt_u32_e64 s4, 63, v28
	s_wait_alu 0xf1ff
	s_delay_alu instid0(VALU_DEP_1) | instskip(NEXT) | instid1(VALU_DEP_1)
	v_cndmask_b32_e64 v35, 0, 0xffffffc0, s4
	v_dual_mov_b32 v1, v30 :: v_dual_add_nc_u32 v28, v35, v28
	s_delay_alu instid0(VALU_DEP_1) | instskip(NEXT) | instid1(VALU_DEP_2)
	v_mad_co_u64_u32 v[30:31], null, 0x3c439041, v27, v[1:2]
	v_cmp_lt_u32_e64 s5, 31, v28
	s_delay_alu instid0(VALU_DEP_2) | instskip(SKIP_1) | instid1(VALU_DEP_2)
	v_mov_b32_e32 v1, v31
	s_wait_alu 0xf1ff
	v_cndmask_b32_e64 v36, 0, 0xffffffe0, s5
	s_delay_alu instid0(VALU_DEP_2) | instskip(NEXT) | instid1(VALU_DEP_1)
	v_mad_co_u64_u32 v[31:32], null, 0xdb629599, v27, v[1:2]
	v_mov_b32_e32 v1, v32
	s_delay_alu instid0(VALU_DEP_2) | instskip(NEXT) | instid1(VALU_DEP_2)
	v_cndmask_b32_e64 v29, v31, v29, s4
	v_mad_co_u64_u32 v[32:33], null, 0xf534ddc0, v27, v[1:2]
	s_delay_alu instid0(VALU_DEP_1) | instskip(NEXT) | instid1(VALU_DEP_2)
	v_mov_b32_e32 v1, v33
	v_cndmask_b32_e64 v30, v32, v30, s4
	s_delay_alu instid0(VALU_DEP_2) | instskip(NEXT) | instid1(VALU_DEP_1)
	v_mad_co_u64_u32 v[33:34], null, 0xfc2757d1, v27, v[1:2]
	v_mov_b32_e32 v1, v34
	s_delay_alu instid0(VALU_DEP_1) | instskip(NEXT) | instid1(VALU_DEP_1)
	v_mad_co_u64_u32 v[34:35], null, 0x4e441529, v27, v[1:2]
	v_mov_b32_e32 v1, v35
	v_add_nc_u32_e32 v35, v36, v28
	s_delay_alu instid0(VALU_DEP_3) | instskip(NEXT) | instid1(VALU_DEP_3)
	v_cndmask_b32_e64 v36, v34, v32, s4
	v_mad_co_u64_u32 v[27:28], null, 0xa2f9836e, v27, v[1:2]
	s_delay_alu instid0(VALU_DEP_3) | instskip(SKIP_1) | instid1(VALU_DEP_1)
	v_cmp_lt_u32_e64 s6, 31, v35
	s_wait_alu 0xf1ff
	v_cndmask_b32_e64 v1, 0, 0xffffffe0, s6
	s_delay_alu instid0(VALU_DEP_3) | instskip(NEXT) | instid1(VALU_DEP_4)
	v_cndmask_b32_e64 v27, v27, v33, s4
	v_cndmask_b32_e64 v28, v28, v34, s4
	v_cndmask_b32_e64 v33, v33, v31, s4
	s_delay_alu instid0(VALU_DEP_4) | instskip(NEXT) | instid1(VALU_DEP_4)
	v_add_nc_u32_e32 v1, v1, v35
	v_cndmask_b32_e64 v32, v27, v36, s5
	s_delay_alu instid0(VALU_DEP_4) | instskip(NEXT) | instid1(VALU_DEP_4)
	v_cndmask_b32_e64 v27, v28, v27, s5
	v_cndmask_b32_e64 v28, v36, v33, s5
	;; [unrolled: 1-line block ×3, first 2 shown]
	v_sub_nc_u32_e32 v34, 32, v1
	v_cmp_eq_u32_e64 s4, 0, v1
	v_cndmask_b32_e64 v27, v27, v32, s6
	v_cndmask_b32_e64 v32, v32, v28, s6
	;; [unrolled: 1-line block ×3, first 2 shown]
	s_delay_alu instid0(VALU_DEP_2) | instskip(NEXT) | instid1(VALU_DEP_2)
	v_alignbit_b32 v35, v27, v32, v34
	v_alignbit_b32 v31, v32, v28, v34
	s_wait_alu 0xf1ff
	s_delay_alu instid0(VALU_DEP_2) | instskip(SKIP_1) | instid1(VALU_DEP_3)
	v_cndmask_b32_e64 v1, v35, v27, s4
	v_cndmask_b32_e64 v27, v30, v29, s5
	;; [unrolled: 1-line block ×3, first 2 shown]
	s_delay_alu instid0(VALU_DEP_3) | instskip(NEXT) | instid1(VALU_DEP_3)
	v_bfe_u32 v30, v1, 29, 1
	v_cndmask_b32_e64 v27, v33, v27, s6
	s_delay_alu instid0(VALU_DEP_3) | instskip(NEXT) | instid1(VALU_DEP_3)
	v_alignbit_b32 v31, v1, v29, 30
	v_sub_nc_u32_e32 v32, 0, v30
	s_delay_alu instid0(VALU_DEP_3) | instskip(NEXT) | instid1(VALU_DEP_2)
	v_alignbit_b32 v33, v28, v27, v34
	v_xor_b32_e32 v31, v31, v32
	s_delay_alu instid0(VALU_DEP_2) | instskip(NEXT) | instid1(VALU_DEP_2)
	v_cndmask_b32_e64 v28, v33, v28, s4
	v_clz_i32_u32_e32 v33, v31
	s_delay_alu instid0(VALU_DEP_2) | instskip(SKIP_1) | instid1(VALU_DEP_3)
	v_alignbit_b32 v29, v29, v28, 30
	v_alignbit_b32 v27, v28, v27, 30
	v_min_u32_e32 v33, 32, v33
	s_delay_alu instid0(VALU_DEP_3) | instskip(NEXT) | instid1(VALU_DEP_3)
	v_xor_b32_e32 v28, v29, v32
	v_xor_b32_e32 v27, v27, v32
	v_lshrrev_b32_e32 v32, 29, v1
	s_delay_alu instid0(VALU_DEP_4) | instskip(SKIP_1) | instid1(VALU_DEP_2)
	v_sub_nc_u32_e32 v29, 31, v33
	v_lshlrev_b32_e32 v34, 23, v33
	v_alignbit_b32 v31, v31, v28, v29
	v_alignbit_b32 v27, v28, v27, v29
	v_lshlrev_b32_e32 v28, 31, v32
	s_delay_alu instid0(VALU_DEP_2) | instskip(NEXT) | instid1(VALU_DEP_2)
	v_alignbit_b32 v29, v31, v27, 9
	v_or_b32_e32 v32, 0.5, v28
	v_lshrrev_b32_e32 v31, 9, v31
	v_or_b32_e32 v28, 0x33000000, v28
	s_delay_alu instid0(VALU_DEP_4) | instskip(NEXT) | instid1(VALU_DEP_4)
	v_clz_i32_u32_e32 v35, v29
	v_sub_nc_u32_e32 v32, v32, v34
	s_delay_alu instid0(VALU_DEP_2) | instskip(NEXT) | instid1(VALU_DEP_2)
	v_min_u32_e32 v34, 32, v35
	v_or_b32_e32 v31, v31, v32
	s_delay_alu instid0(VALU_DEP_2) | instskip(NEXT) | instid1(VALU_DEP_2)
	v_not_b32_e32 v32, v34
	v_mul_f32_e32 v35, 0x3fc90fda, v31
	v_add_lshl_u32 v33, v34, v33, 23
	s_delay_alu instid0(VALU_DEP_3) | instskip(NEXT) | instid1(VALU_DEP_3)
	v_alignbit_b32 v27, v29, v27, v32
	v_fma_f32 v29, 0x3fc90fda, v31, -v35
	s_delay_alu instid0(VALU_DEP_3) | instskip(NEXT) | instid1(VALU_DEP_3)
	v_sub_nc_u32_e32 v28, v28, v33
	v_lshrrev_b32_e32 v27, 9, v27
	s_delay_alu instid0(VALU_DEP_3) | instskip(NEXT) | instid1(VALU_DEP_2)
	v_fmac_f32_e32 v29, 0x33a22168, v31
	v_or_b32_e32 v27, v28, v27
	s_delay_alu instid0(VALU_DEP_1) | instskip(SKIP_1) | instid1(VALU_DEP_2)
	v_fmac_f32_e32 v29, 0x3fc90fda, v27
	v_lshrrev_b32_e32 v27, 30, v1
	v_add_f32_e32 v1, v35, v29
	s_delay_alu instid0(VALU_DEP_2)
	v_add_nc_u32_e32 v29, v30, v27
                                        ; implicit-def: $vgpr30
	s_and_not1_saveexec_b32 s4, s33
	s_cbranch_execnz .LBB347_55
	s_branch .LBB347_56
.LBB347_54:                             ;   in Loop: Header=BB347_7 Depth=2
	s_and_not1_saveexec_b32 s4, s33
.LBB347_55:                             ;   in Loop: Header=BB347_7 Depth=2
	v_fma_f32 v1, 0xbfc90fda, v30, |v8|
	v_cvt_i32_f32_e32 v29, v30
	s_delay_alu instid0(VALU_DEP_2) | instskip(NEXT) | instid1(VALU_DEP_1)
	v_fmac_f32_e32 v1, 0xb3a22168, v30
	v_fmac_f32_e32 v1, 0xa7c234c4, v30
.LBB347_56:                             ;   in Loop: Header=BB347_7 Depth=2
	s_wait_alu 0xfffe
	s_or_b32 exec_lo, exec_lo, s4
	v_dual_mul_f32 v27, v9, v9 :: v_dual_lshlrev_b32 v28, 30, v10
	v_mul_f32_e32 v30, v22, v22
	v_xor_b32_e32 v6, v7, v6
	v_cmp_class_f32_e64 s5, v8, 0x1f8
	s_delay_alu instid0(VALU_DEP_4) | instskip(NEXT) | instid1(VALU_DEP_4)
	v_fmaak_f32 v31, s21, v27, 0x3c0881c4
	v_dual_fmaak_f32 v32, s20, v27, 0xbab64f3b :: v_dual_fmaak_f32 v33, s20, v30, 0xbab64f3b
	v_and_b32_e32 v10, 1, v10
	v_dual_fmaak_f32 v7, s21, v30, 0x3c0881c4 :: v_dual_and_b32 v34, 1, v24
	s_delay_alu instid0(VALU_DEP_4) | instskip(NEXT) | instid1(VALU_DEP_4)
	v_fmaak_f32 v31, v27, v31, 0xbe2aaa9d
	v_dual_fmaak_f32 v32, v27, v32, 0x3d2aabf7 :: v_dual_fmaak_f32 v33, v30, v33, 0x3d2aabf7
	s_delay_alu instid0(VALU_DEP_3) | instskip(NEXT) | instid1(VALU_DEP_3)
	v_dual_fmaak_f32 v7, v30, v7, 0xbe2aaa9d :: v_dual_lshlrev_b32 v24, 30, v24
	v_dual_mul_f32 v31, v27, v31 :: v_dual_and_b32 v28, 0x80000000, v28
	s_delay_alu instid0(VALU_DEP_2) | instskip(SKIP_2) | instid1(VALU_DEP_4)
	v_dual_fmaak_f32 v32, v27, v32, 0xbf000004 :: v_dual_mul_f32 v7, v30, v7
	v_cmp_eq_u32_e64 s4, 0, v10
	v_mul_f32_e32 v10, v25, v25
	v_fmac_f32_e32 v9, v9, v31
	s_delay_alu instid0(VALU_DEP_4)
	v_fma_f32 v27, v27, v32, 1.0
	v_fmac_f32_e32 v22, v22, v7
	v_xor_b32_e32 v23, v23, v8
	v_lshlrev_b32_e32 v31, 30, v26
	v_and_b32_e32 v26, 1, v26
	s_wait_alu 0xf1ff
	v_cndmask_b32_e64 v9, v27, v9, s4
	v_mul_f32_e32 v27, v1, v1
	v_cmp_eq_u32_e64 s4, 0, v34
	s_delay_alu instid0(VALU_DEP_3) | instskip(NEXT) | instid1(VALU_DEP_3)
	v_xor3_b32 v6, v6, v28, v9
	v_fmaak_f32 v28, s21, v27, 0x3c0881c4
	v_and_b32_e32 v9, 0x80000000, v24
	s_delay_alu instid0(VALU_DEP_2) | instskip(NEXT) | instid1(VALU_DEP_1)
	v_fmaak_f32 v28, v27, v28, 0xbe2aaa9d
	v_dual_fmaak_f32 v33, v30, v33, 0xbf000004 :: v_dual_mul_f32 v28, v27, v28
	s_delay_alu instid0(VALU_DEP_1) | instskip(NEXT) | instid1(VALU_DEP_2)
	v_fma_f32 v7, v30, v33, 1.0
	v_dual_fmaak_f32 v24, s20, v10, 0xbab64f3b :: v_dual_fmac_f32 v1, v1, v28
	s_wait_alu 0xf1ff
	s_delay_alu instid0(VALU_DEP_2) | instskip(SKIP_1) | instid1(VALU_DEP_3)
	v_cndmask_b32_e64 v7, -v22, v7, s4
	v_fmaak_f32 v22, s21, v10, 0x3c0881c4
	v_fmaak_f32 v24, v10, v24, 0x3d2aabf7
	v_cmp_eq_u32_e64 s4, 0, v26
	s_delay_alu instid0(VALU_DEP_3) | instskip(SKIP_1) | instid1(VALU_DEP_4)
	v_fmaak_f32 v22, v10, v22, 0xbe2aaa9d
	v_and_b32_e32 v31, 0x80000000, v31
	v_fmaak_f32 v24, v10, v24, 0xbf000004
	s_delay_alu instid0(VALU_DEP_3) | instskip(SKIP_1) | instid1(VALU_DEP_3)
	v_mul_f32_e32 v22, v10, v22
	v_fmaak_f32 v30, s20, v27, 0xbab64f3b
	v_fma_f32 v10, v10, v24, 1.0
	s_delay_alu instid0(VALU_DEP_3) | instskip(NEXT) | instid1(VALU_DEP_3)
	v_dual_fmac_f32 v25, v25, v22 :: v_dual_and_b32 v24, 1, v29
	v_fmaak_f32 v30, v27, v30, 0x3d2aabf7
	s_wait_alu 0xf1ff
	s_delay_alu instid0(VALU_DEP_2) | instskip(NEXT) | instid1(VALU_DEP_2)
	v_cndmask_b32_e64 v10, v10, v25, s4
	v_fmaak_f32 v30, v27, v30, 0xbf000004
	v_cmp_eq_u32_e64 s4, 0, v24
	s_delay_alu instid0(VALU_DEP_2) | instskip(SKIP_2) | instid1(VALU_DEP_2)
	v_fma_f32 v22, v27, v30, 1.0
	v_lshlrev_b32_e32 v27, 30, v29
	s_wait_alu 0xf1ff
	v_cndmask_b32_e64 v1, -v1, v22, s4
	s_delay_alu instid0(VALU_DEP_2) | instskip(SKIP_3) | instid1(VALU_DEP_4)
	v_and_b32_e32 v22, 0x80000000, v27
	v_cmp_class_f32_e64 s4, v4, 0x1f8
	v_xor_b32_e32 v4, v9, v7
	v_xor3_b32 v7, v23, v31, v10
	v_xor_b32_e32 v1, v22, v1
	s_wait_alu 0xf1ff
	v_cndmask_b32_e64 v6, 0x7fc00000, v6, s4
	v_cndmask_b32_e64 v4, 0x7fc00000, v4, s4
	;; [unrolled: 1-line block ×4, first 2 shown]
	s_delay_alu instid0(VALU_DEP_3) | instskip(SKIP_1) | instid1(VALU_DEP_3)
	v_mul_f32_e32 v8, 0x7f800000, v4
	v_cmp_neq_f32_e64 s4, 0, v4
	v_dual_mul_f32 v10, 0x7f800000, v7 :: v_dual_mul_f32 v9, 0x7f800000, v1
	s_wait_alu 0xf1ff
	s_delay_alu instid0(VALU_DEP_2) | instskip(SKIP_3) | instid1(VALU_DEP_2)
	v_cndmask_b32_e64 v4, 0, v8, s4
	v_cmp_neq_f32_e64 s4, 0, v1
	v_mul_f32_e32 v8, 0x7f800000, v6
	s_wait_alu 0xf1ff
	v_cndmask_b32_e64 v1, 0, v9, s4
	v_cmp_neq_f32_e64 s4, 0, v6
	s_delay_alu instid0(VALU_DEP_2) | instskip(SKIP_1) | instid1(VALU_DEP_2)
	v_add_f32_e32 v4, v4, v1
	s_wait_alu 0xf1ff
	v_cndmask_b32_e64 v6, 0, v8, s4
	v_cmp_neq_f32_e64 s4, 0, v7
	s_delay_alu instid0(VALU_DEP_3) | instskip(SKIP_1) | instid1(VALU_DEP_2)
	v_add_f32_e32 v22, -1.0, v4
	s_wait_alu 0xf1ff
	v_cndmask_b32_e64 v7, 0, v10, s4
	s_delay_alu instid0(VALU_DEP_1) | instskip(NEXT) | instid1(VALU_DEP_1)
	v_add_f32_e32 v1, v6, v7
	v_max_num_f32_e64 v8, |v22|, |v1|
	s_delay_alu instid0(VALU_DEP_1) | instskip(SKIP_1) | instid1(VALU_DEP_2)
	v_cvt_f64_f32_e32 v[6:7], v8
	v_cmp_eq_f32_e64 s4, 0x7f800000, v8
	v_frexp_exp_i32_f64_e32 v4, v[6:7]
	s_delay_alu instid0(VALU_DEP_1) | instskip(NEXT) | instid1(VALU_DEP_1)
	v_sub_nc_u32_e32 v6, 0, v4
	v_ldexp_f32 v7, |v1|, v6
	v_ldexp_f32 v6, |v22|, v6
	s_delay_alu instid0(VALU_DEP_2) | instskip(NEXT) | instid1(VALU_DEP_1)
	v_mul_f32_e32 v7, v7, v7
	v_fmac_f32_e32 v7, v6, v6
	s_delay_alu instid0(VALU_DEP_1) | instskip(NEXT) | instid1(TRANS32_DEP_1)
	v_sqrt_f32_e32 v6, v7
	v_ldexp_f32 v6, v6, v4
	v_add_f32_e32 v4, 1.0, v22
	s_delay_alu instid0(VALU_DEP_2) | instskip(NEXT) | instid1(VALU_DEP_2)
	v_cmp_ngt_f32_e64 s5, 0.5, v6
	v_max_num_f32_e64 v6, |v4|, |v1|
	s_or_b32 s4, s4, s5
	s_wait_alu 0xfffe
	s_and_saveexec_b32 s5, s4
	s_wait_alu 0xfffe
	s_xor_b32 s6, exec_lo, s5
	s_cbranch_execz .LBB347_58
; %bb.57:                               ;   in Loop: Header=BB347_7 Depth=2
	v_cvt_f64_f32_e32 v[7:8], v6
	v_cmp_neq_f32_e64 s4, 0x7f800000, v6
	s_delay_alu instid0(VALU_DEP_2) | instskip(NEXT) | instid1(VALU_DEP_1)
	v_frexp_exp_i32_f64_e32 v7, v[7:8]
	v_sub_nc_u32_e32 v8, 0, v7
	s_delay_alu instid0(VALU_DEP_1) | instskip(SKIP_1) | instid1(VALU_DEP_2)
	v_ldexp_f32 v9, |v1|, v8
	v_ldexp_f32 v8, |v4|, v8
	v_mul_f32_e32 v9, v9, v9
	s_delay_alu instid0(VALU_DEP_1) | instskip(NEXT) | instid1(VALU_DEP_1)
	v_fmac_f32_e32 v9, v8, v8
	v_sqrt_f32_e32 v8, v9
	s_delay_alu instid0(TRANS32_DEP_1) | instskip(SKIP_1) | instid1(VALU_DEP_1)
	v_ldexp_f32 v7, v8, v7
	s_wait_alu 0xf1ff
	v_cndmask_b32_e64 v7, 0x7f800000, v7, s4
	s_delay_alu instid0(VALU_DEP_1) | instskip(SKIP_1) | instid1(VALU_DEP_1)
	v_cmp_gt_f32_e64 s4, 0x800000, v7
	s_wait_alu 0xf1ff
	v_cndmask_b32_e64 v8, 0, 32, s4
	s_delay_alu instid0(VALU_DEP_1) | instskip(NEXT) | instid1(VALU_DEP_1)
	v_ldexp_f32 v7, v7, v8
	v_log_f32_e32 v7, v7
	s_delay_alu instid0(TRANS32_DEP_1) | instskip(SKIP_1) | instid1(VALU_DEP_2)
	v_mul_f32_e32 v8, 0x3f317217, v7
	v_cmp_gt_f32_e64 s5, 0x7f800000, |v7|
	v_fma_f32 v8, 0x3f317217, v7, -v8
	s_delay_alu instid0(VALU_DEP_1) | instskip(NEXT) | instid1(VALU_DEP_1)
	v_fmac_f32_e32 v8, 0x3377d1cf, v7
	v_fmac_f32_e32 v8, 0x3f317217, v7
	s_wait_alu 0xf1ff
	s_delay_alu instid0(VALU_DEP_1) | instskip(SKIP_1) | instid1(VALU_DEP_1)
	v_cndmask_b32_e64 v7, v7, v8, s5
	v_cndmask_b32_e64 v8, 0, 0x41b17218, s4
	v_sub_f32_e32 v22, v7, v8
.LBB347_58:                             ;   in Loop: Header=BB347_7 Depth=2
	s_wait_alu 0xfffe
	s_and_not1_saveexec_b32 s5, s6
	s_cbranch_execz .LBB347_62
; %bb.59:                               ;   in Loop: Header=BB347_7 Depth=2
	s_delay_alu instid0(VALU_DEP_1) | instskip(SKIP_1) | instid1(VALU_DEP_1)
	v_add_f32_e32 v7, 2.0, v22
	s_mov_b32 s6, exec_lo
	v_mul_f32_e32 v7, v22, v7
	s_delay_alu instid0(VALU_DEP_1) | instskip(NEXT) | instid1(VALU_DEP_1)
	v_fmac_f32_e32 v7, v1, v1
	v_cmpx_neq_f32_e32 0, v7
	s_cbranch_execz .LBB347_61
; %bb.60:                               ;   in Loop: Header=BB347_7 Depth=2
	v_add_f32_e32 v10, 1.0, v7
	s_delay_alu instid0(VALU_DEP_1) | instskip(NEXT) | instid1(VALU_DEP_1)
	v_cvt_f64_f32_e32 v[8:9], v10
	v_frexp_exp_i32_f64_e32 v8, v[8:9]
	v_frexp_mant_f32_e32 v9, v10
	s_delay_alu instid0(VALU_DEP_1) | instskip(SKIP_1) | instid1(VALU_DEP_1)
	v_cmp_gt_f32_e64 s4, 0x3f2aaaab, v9
	v_add_f32_e32 v9, -1.0, v10
	v_sub_f32_e32 v23, v9, v10
	v_sub_f32_e32 v9, v7, v9
	s_wait_alu 0xf1ff
	v_subrev_co_ci_u32_e64 v8, null, 0, v8, s4
	v_cmp_neq_f32_e64 s4, 0x7f800000, v7
	s_delay_alu instid0(VALU_DEP_2) | instskip(SKIP_1) | instid1(VALU_DEP_2)
	v_sub_nc_u32_e32 v22, 0, v8
	v_cvt_f32_i32_e32 v8, v8
	v_ldexp_f32 v10, v10, v22
	s_delay_alu instid0(VALU_DEP_1) | instskip(NEXT) | instid1(VALU_DEP_1)
	v_dual_add_f32 v23, 1.0, v23 :: v_dual_add_f32 v24, 1.0, v10
	v_add_f32_e32 v9, v9, v23
	s_delay_alu instid0(VALU_DEP_2) | instskip(NEXT) | instid1(VALU_DEP_2)
	v_add_f32_e32 v23, -1.0, v24
	v_ldexp_f32 v9, v9, v22
	s_delay_alu instid0(VALU_DEP_2) | instskip(NEXT) | instid1(VALU_DEP_1)
	v_dual_add_f32 v22, -1.0, v10 :: v_dual_sub_f32 v23, v10, v23
	v_add_f32_e32 v25, 1.0, v22
	s_delay_alu instid0(VALU_DEP_1) | instskip(NEXT) | instid1(VALU_DEP_1)
	v_dual_add_f32 v23, v9, v23 :: v_dual_sub_f32 v10, v10, v25
	v_add_f32_e32 v9, v9, v10
	s_delay_alu instid0(VALU_DEP_1) | instskip(NEXT) | instid1(VALU_DEP_1)
	v_dual_add_f32 v26, v22, v9 :: v_dual_add_f32 v25, v24, v23
	v_sub_f32_e32 v22, v26, v22
	s_delay_alu instid0(VALU_DEP_2) | instskip(SKIP_1) | instid1(VALU_DEP_1)
	v_rcp_f32_e32 v10, v25
	v_sub_f32_e32 v24, v25, v24
	v_sub_f32_e32 v23, v23, v24
	s_delay_alu instid0(TRANS32_DEP_1) | instskip(NEXT) | instid1(VALU_DEP_1)
	v_mul_f32_e32 v27, v26, v10
	v_mul_f32_e32 v28, v25, v27
	s_delay_alu instid0(VALU_DEP_1) | instskip(NEXT) | instid1(VALU_DEP_1)
	v_fma_f32 v24, v27, v25, -v28
	v_fmac_f32_e32 v24, v27, v23
	s_delay_alu instid0(VALU_DEP_1) | instskip(NEXT) | instid1(VALU_DEP_1)
	v_add_f32_e32 v29, v28, v24
	v_sub_f32_e32 v30, v26, v29
	s_delay_alu instid0(VALU_DEP_1) | instskip(NEXT) | instid1(VALU_DEP_1)
	v_sub_f32_e32 v26, v26, v30
	v_dual_sub_f32 v26, v26, v29 :: v_dual_sub_f32 v9, v9, v22
	v_sub_f32_e32 v22, v29, v28
	s_delay_alu instid0(VALU_DEP_1) | instskip(NEXT) | instid1(VALU_DEP_1)
	v_dual_sub_f32 v22, v22, v24 :: v_dual_add_f32 v9, v9, v26
	v_add_f32_e32 v9, v22, v9
	s_delay_alu instid0(VALU_DEP_1) | instskip(NEXT) | instid1(VALU_DEP_1)
	v_add_f32_e32 v22, v30, v9
	v_sub_f32_e32 v29, v30, v22
	v_mul_f32_e32 v24, v10, v22
	s_delay_alu instid0(VALU_DEP_1) | instskip(NEXT) | instid1(VALU_DEP_3)
	v_mul_f32_e32 v26, v25, v24
	v_add_f32_e32 v9, v9, v29
	s_delay_alu instid0(VALU_DEP_2) | instskip(NEXT) | instid1(VALU_DEP_1)
	v_fma_f32 v25, v24, v25, -v26
	v_fmac_f32_e32 v25, v24, v23
	s_delay_alu instid0(VALU_DEP_1) | instskip(NEXT) | instid1(VALU_DEP_1)
	v_add_f32_e32 v23, v26, v25
	v_sub_f32_e32 v28, v22, v23
	s_delay_alu instid0(VALU_DEP_1) | instskip(NEXT) | instid1(VALU_DEP_1)
	v_sub_f32_e32 v22, v22, v28
	v_sub_f32_e32 v22, v22, v23
	s_delay_alu instid0(VALU_DEP_1) | instskip(SKIP_1) | instid1(VALU_DEP_1)
	v_dual_add_f32 v9, v9, v22 :: v_dual_add_f32 v22, v27, v24
	v_sub_f32_e32 v26, v23, v26
	v_sub_f32_e32 v23, v26, v25
	s_delay_alu instid0(VALU_DEP_1) | instskip(NEXT) | instid1(VALU_DEP_4)
	v_add_f32_e32 v9, v23, v9
	v_sub_f32_e32 v23, v22, v27
	s_delay_alu instid0(VALU_DEP_2) | instskip(NEXT) | instid1(VALU_DEP_2)
	v_add_f32_e32 v9, v28, v9
	v_sub_f32_e32 v23, v24, v23
	s_delay_alu instid0(VALU_DEP_2) | instskip(NEXT) | instid1(VALU_DEP_1)
	v_mul_f32_e32 v9, v10, v9
	v_add_f32_e32 v9, v23, v9
	s_delay_alu instid0(VALU_DEP_1) | instskip(NEXT) | instid1(VALU_DEP_1)
	v_add_f32_e32 v10, v22, v9
	v_mul_f32_e32 v23, v10, v10
	s_delay_alu instid0(VALU_DEP_1) | instskip(SKIP_1) | instid1(VALU_DEP_2)
	v_fmaak_f32 v24, s22, v23, 0x3ecc95a3
	v_mul_f32_e32 v25, v10, v23
	v_fmaak_f32 v23, v23, v24, 0x3f2aaada
	v_ldexp_f32 v24, v10, 1
	s_delay_alu instid0(VALU_DEP_2) | instskip(SKIP_1) | instid1(VALU_DEP_2)
	v_dual_sub_f32 v10, v10, v22 :: v_dual_mul_f32 v23, v25, v23
	v_mul_f32_e32 v25, 0x3f317218, v8
	v_dual_sub_f32 v9, v9, v10 :: v_dual_add_f32 v22, v24, v23
	s_delay_alu instid0(VALU_DEP_1) | instskip(NEXT) | instid1(VALU_DEP_2)
	v_ldexp_f32 v9, v9, 1
	v_sub_f32_e32 v10, v22, v24
	s_delay_alu instid0(VALU_DEP_4) | instskip(NEXT) | instid1(VALU_DEP_2)
	v_fma_f32 v24, 0x3f317218, v8, -v25
	v_sub_f32_e32 v10, v23, v10
	s_delay_alu instid0(VALU_DEP_2) | instskip(NEXT) | instid1(VALU_DEP_2)
	v_fmac_f32_e32 v24, 0xb102e308, v8
	v_add_f32_e32 v8, v9, v10
	s_delay_alu instid0(VALU_DEP_1) | instskip(NEXT) | instid1(VALU_DEP_1)
	v_add_f32_e32 v10, v22, v8
	v_dual_sub_f32 v22, v10, v22 :: v_dual_add_f32 v9, v25, v24
	s_delay_alu instid0(VALU_DEP_1) | instskip(NEXT) | instid1(VALU_DEP_2)
	v_sub_f32_e32 v8, v8, v22
	v_add_f32_e32 v23, v9, v10
	s_delay_alu instid0(VALU_DEP_1) | instskip(NEXT) | instid1(VALU_DEP_1)
	v_sub_f32_e32 v26, v23, v9
	v_dual_sub_f32 v25, v9, v25 :: v_dual_sub_f32 v10, v10, v26
	s_delay_alu instid0(VALU_DEP_1) | instskip(NEXT) | instid1(VALU_DEP_1)
	v_dual_sub_f32 v27, v23, v26 :: v_dual_sub_f32 v24, v24, v25
	v_dual_add_f32 v22, v24, v8 :: v_dual_sub_f32 v9, v9, v27
	s_delay_alu instid0(VALU_DEP_1) | instskip(NEXT) | instid1(VALU_DEP_2)
	v_add_f32_e32 v9, v10, v9
	v_sub_f32_e32 v10, v22, v24
	s_delay_alu instid0(VALU_DEP_1) | instskip(SKIP_1) | instid1(VALU_DEP_1)
	v_dual_add_f32 v9, v22, v9 :: v_dual_sub_f32 v8, v8, v10
	v_sub_f32_e32 v22, v22, v10
	v_dual_sub_f32 v22, v24, v22 :: v_dual_add_f32 v25, v23, v9
	s_delay_alu instid0(VALU_DEP_1) | instskip(NEXT) | instid1(VALU_DEP_2)
	v_add_f32_e32 v8, v8, v22
	v_sub_f32_e32 v10, v25, v23
	s_delay_alu instid0(VALU_DEP_1) | instskip(NEXT) | instid1(VALU_DEP_1)
	v_sub_f32_e32 v9, v9, v10
	v_add_f32_e32 v8, v8, v9
	s_delay_alu instid0(VALU_DEP_1) | instskip(SKIP_1) | instid1(VALU_DEP_1)
	v_add_f32_e32 v8, v25, v8
	s_wait_alu 0xf1ff
	v_cndmask_b32_e64 v8, 0x7f800000, v8, s4
	v_cmp_ngt_f32_e64 s4, -1.0, v7
	s_wait_alu 0xf1ff
	s_delay_alu instid0(VALU_DEP_1) | instskip(SKIP_2) | instid1(VALU_DEP_1)
	v_cndmask_b32_e64 v8, 0x7fc00000, v8, s4
	v_cmp_neq_f32_e64 s4, -1.0, v7
	s_wait_alu 0xf1ff
	v_cndmask_b32_e64 v8, 0xff800000, v8, s4
	v_cmp_gt_f32_e64 s4, 0x33800000, |v7|
	s_wait_alu 0xf1ff
	s_delay_alu instid0(VALU_DEP_1) | instskip(NEXT) | instid1(VALU_DEP_1)
	v_cndmask_b32_e64 v7, v8, v7, s4
	v_mul_f32_e32 v22, 0.5, v7
.LBB347_61:                             ;   in Loop: Header=BB347_7 Depth=2
	s_wait_alu 0xfffe
	s_or_b32 exec_lo, exec_lo, s6
.LBB347_62:                             ;   in Loop: Header=BB347_7 Depth=2
	s_wait_alu 0xfffe
	s_or_b32 exec_lo, exec_lo, s5
	v_max_num_f32_e64 v7, |v1|, |v1|
	v_max_num_f32_e64 v8, |v4|, |v4|
	v_frexp_mant_f32_e32 v9, v6
	v_frexp_exp_i32_f32_e32 v6, v6
	v_cmp_gt_f32_e64 s4, |v1|, |v4|
	v_cmp_gt_i32_e64 s5, 0, v4
	v_min_num_f32_e32 v7, v8, v7
	v_rcp_f32_e32 v8, v9
	v_cmp_class_f32_e64 s6, v4, 0x204
	s_delay_alu instid0(VALU_DEP_2)
	v_frexp_mant_f32_e32 v9, v7
	s_delay_alu instid0(TRANS32_DEP_1) | instid1(VALU_DEP_1)
	v_mul_f32_e32 v8, v9, v8
	v_frexp_exp_i32_f32_e32 v7, v7
	s_wait_alu 0xf1ff
	v_cndmask_b32_e64 v9, 0, 0x40490fdb, s5
	v_cmp_class_f32_e64 s5, v1, 0x204
	s_delay_alu instid0(VALU_DEP_3) | instskip(NEXT) | instid1(VALU_DEP_1)
	v_sub_nc_u32_e32 v6, v7, v6
	v_ldexp_f32 v6, v8, v6
	s_delay_alu instid0(VALU_DEP_1) | instskip(NEXT) | instid1(VALU_DEP_1)
	v_mul_f32_e32 v7, v6, v6
	v_fmaak_f32 v8, s26, v7, 0xbc7a590c
	s_delay_alu instid0(VALU_DEP_1) | instskip(NEXT) | instid1(VALU_DEP_1)
	v_fmaak_f32 v8, v7, v8, 0x3d29fb3f
	v_fmaak_f32 v8, v7, v8, 0xbd97d4d7
	s_delay_alu instid0(VALU_DEP_1) | instskip(NEXT) | instid1(VALU_DEP_1)
	v_fmaak_f32 v8, v7, v8, 0x3dd931b2
	v_fmaak_f32 v8, v7, v8, 0xbe1160e6
	s_delay_alu instid0(VALU_DEP_1) | instskip(NEXT) | instid1(VALU_DEP_1)
	v_fmaak_f32 v8, v7, v8, 0x3e4cb8bf
	v_fmaak_f32 v8, v7, v8, 0xbeaaaa62
	s_delay_alu instid0(VALU_DEP_1) | instskip(NEXT) | instid1(VALU_DEP_1)
	v_mul_f32_e32 v7, v7, v8
	v_fmac_f32_e32 v6, v6, v7
	s_delay_alu instid0(VALU_DEP_1) | instskip(NEXT) | instid1(VALU_DEP_1)
	v_sub_f32_e32 v7, 0x3fc90fdb, v6
	v_cndmask_b32_e64 v6, v6, v7, s4
	v_cmp_gt_f32_e64 s4, 0, v4
	s_delay_alu instid0(VALU_DEP_2) | instskip(SKIP_1) | instid1(VALU_DEP_2)
	v_sub_f32_e32 v7, 0x40490fdb, v6
	s_wait_alu 0xf1ff
	v_cndmask_b32_e64 v8, 0x3f490fdb, v12, s4
	s_delay_alu instid0(VALU_DEP_2) | instskip(SKIP_2) | instid1(VALU_DEP_1)
	v_cndmask_b32_e64 v6, v6, v7, s4
	v_cmp_eq_f32_e64 s4, 0, v1
	s_wait_alu 0xf1ff
	v_cndmask_b32_e64 v6, v6, v9, s4
	s_and_b32 s4, s5, s6
	s_wait_alu 0xfffe
	s_delay_alu instid0(VALU_DEP_1) | instskip(SKIP_2) | instid1(VALU_DEP_1)
	v_cndmask_b32_e64 v6, v6, v8, s4
	v_cmp_o_f32_e64 s4, v4, v1
	s_wait_alu 0xf1ff
	v_cndmask_b32_e64 v4, 0x7fc00000, v6, s4
	s_delay_alu instid0(VALU_DEP_1)
	v_bfi_b32 v4, 0x7fffffff, v4, v1
.LBB347_63:                             ;   in Loop: Header=BB347_7 Depth=2
	s_or_b32 exec_lo, exec_lo, s31
.LBB347_64:                             ;   in Loop: Header=BB347_7 Depth=2
	s_delay_alu instid0(SALU_CYCLE_1) | instskip(NEXT) | instid1(VALU_DEP_1)
	s_or_b32 exec_lo, exec_lo, s30
	v_dual_mov_b32 v9, v22 :: v_dual_mov_b32 v10, v4
.LBB347_65:                             ;   in Loop: Header=BB347_7 Depth=2
	s_or_b32 exec_lo, exec_lo, s29
	ds_store_b64 v15, v[9:10]
.LBB347_66:                             ;   in Loop: Header=BB347_7 Depth=2
	s_or_b32 exec_lo, exec_lo, s28
	v_mov_b32_e32 v1, 0
	s_mov_b32 s28, 0
	s_wait_dscnt 0x0
	s_barrier_signal -1
	s_barrier_wait -1
	global_inv scope:SCOPE_SE
	s_branch .LBB347_73
.LBB347_67:                             ;   in Loop: Header=BB347_73 Depth=3
	s_wait_alu 0xfffe
	s_or_b32 exec_lo, exec_lo, s6
.LBB347_68:                             ;   in Loop: Header=BB347_73 Depth=3
	s_wait_alu 0xfffe
	s_or_b32 exec_lo, exec_lo, s5
	v_max_num_f32_e64 v8, |v1|, |v1|
	v_max_num_f32_e64 v9, |v6|, |v6|
	v_frexp_mant_f32_e32 v22, v7
	v_frexp_exp_i32_f32_e32 v7, v7
	v_cmp_gt_f32_e64 s4, |v1|, |v6|
	v_cmp_gt_i32_e64 s5, 0, v6
	v_min_num_f32_e32 v8, v9, v8
	v_rcp_f32_e32 v9, v22
	v_cmp_class_f32_e64 s6, v6, 0x204
	s_delay_alu instid0(VALU_DEP_2)
	v_frexp_mant_f32_e32 v22, v8
	s_delay_alu instid0(TRANS32_DEP_1) | instid1(VALU_DEP_1)
	v_mul_f32_e32 v9, v22, v9
	v_frexp_exp_i32_f32_e32 v8, v8
	s_wait_alu 0xf1ff
	v_cndmask_b32_e64 v22, 0, 0x40490fdb, s5
	v_cmp_class_f32_e64 s5, v1, 0x204
	s_delay_alu instid0(VALU_DEP_3) | instskip(NEXT) | instid1(VALU_DEP_1)
	v_sub_nc_u32_e32 v7, v8, v7
	v_ldexp_f32 v7, v9, v7
	s_delay_alu instid0(VALU_DEP_1) | instskip(NEXT) | instid1(VALU_DEP_1)
	v_mul_f32_e32 v8, v7, v7
	v_fmaak_f32 v9, s26, v8, 0xbc7a590c
	s_delay_alu instid0(VALU_DEP_1) | instskip(NEXT) | instid1(VALU_DEP_1)
	v_fmaak_f32 v9, v8, v9, 0x3d29fb3f
	v_fmaak_f32 v9, v8, v9, 0xbd97d4d7
	s_delay_alu instid0(VALU_DEP_1) | instskip(NEXT) | instid1(VALU_DEP_1)
	v_fmaak_f32 v9, v8, v9, 0x3dd931b2
	;; [unrolled: 3-line block ×3, first 2 shown]
	v_fmaak_f32 v9, v8, v9, 0xbeaaaa62
	s_delay_alu instid0(VALU_DEP_1) | instskip(NEXT) | instid1(VALU_DEP_1)
	v_mul_f32_e32 v8, v8, v9
	v_fmac_f32_e32 v7, v7, v8
	s_delay_alu instid0(VALU_DEP_1) | instskip(NEXT) | instid1(VALU_DEP_1)
	v_sub_f32_e32 v8, 0x3fc90fdb, v7
	v_cndmask_b32_e64 v7, v7, v8, s4
	v_cmp_gt_f32_e64 s4, 0, v6
	s_delay_alu instid0(VALU_DEP_2) | instskip(SKIP_1) | instid1(VALU_DEP_2)
	v_sub_f32_e32 v8, 0x40490fdb, v7
	s_wait_alu 0xf1ff
	v_cndmask_b32_e64 v9, 0x3f490fdb, v12, s4
	s_delay_alu instid0(VALU_DEP_2) | instskip(SKIP_2) | instid1(VALU_DEP_1)
	v_cndmask_b32_e64 v7, v7, v8, s4
	v_cmp_eq_f32_e64 s4, 0, v1
	s_wait_alu 0xf1ff
	v_cndmask_b32_e64 v7, v7, v22, s4
	s_and_b32 s4, s5, s6
	s_wait_alu 0xfffe
	s_delay_alu instid0(VALU_DEP_1) | instskip(SKIP_2) | instid1(VALU_DEP_1)
	v_cndmask_b32_e64 v7, v7, v9, s4
	v_cmp_o_f32_e64 s4, v6, v1
	s_wait_alu 0xf1ff
	v_cndmask_b32_e64 v6, 0x7fc00000, v7, s4
	s_delay_alu instid0(VALU_DEP_1)
	v_bfi_b32 v22, 0x7fffffff, v6, v1
.LBB347_69:                             ;   in Loop: Header=BB347_73 Depth=3
	s_or_b32 exec_lo, exec_lo, s33
.LBB347_70:                             ;   in Loop: Header=BB347_73 Depth=3
	s_delay_alu instid0(SALU_CYCLE_1) | instskip(NEXT) | instid1(VALU_DEP_1)
	s_or_b32 exec_lo, exec_lo, s31
	v_dual_mov_b32 v8, v24 :: v_dual_mov_b32 v9, v22
.LBB347_71:                             ;   in Loop: Header=BB347_73 Depth=3
	s_or_b32 exec_lo, exec_lo, s30
	ds_store_b64 v10, v[8:9]
.LBB347_72:                             ;   in Loop: Header=BB347_73 Depth=3
	s_or_b32 exec_lo, exec_lo, s29
	v_cmp_eq_u32_e64 s4, s24, v4
	v_mov_b32_e32 v1, v4
	s_wait_loadcnt_dscnt 0x0
	s_barrier_signal -1
	s_barrier_wait -1
	s_or_b32 s28, s4, s28
	global_inv scope:SCOPE_SE
	s_and_not1_b32 exec_lo, exec_lo, s28
	s_cbranch_execz .LBB347_120
.LBB347_73:                             ;   Parent Loop BB347_4 Depth=1
                                        ;     Parent Loop BB347_7 Depth=2
                                        ; =>    This Inner Loop Header: Depth=3
	v_add_nc_u32_e32 v4, 1, v1
	s_and_saveexec_b32 s4, s3
	s_wait_alu 0xfffe
	s_xor_b32 s4, exec_lo, s4
; %bb.74:                               ;   in Loop: Header=BB347_73 Depth=3
	v_add_nc_u32_e32 v4, 1, v1
                                        ; implicit-def: $vgpr1
; %bb.75:                               ;   in Loop: Header=BB347_73 Depth=3
	s_wait_alu 0xfffe
	s_and_not1_saveexec_b32 s29, s4
	s_cbranch_execz .LBB347_72
; %bb.76:                               ;   in Loop: Header=BB347_73 Depth=3
	v_lshlrev_b32_e64 v6, v1, 1
	v_lshrrev_b32_e32 v7, v1, v11
	v_bfm_b32 v1, v1, 0
	s_delay_alu instid0(VALU_DEP_2) | instskip(NEXT) | instid1(VALU_DEP_1)
	v_lshl_or_b32 v6, v7, v4, v6
	v_lshl_add_u32 v8, v6, 3, v15
	s_delay_alu instid0(VALU_DEP_1) | instskip(SKIP_2) | instid1(VALU_DEP_1)
	v_add_nc_u32_e32 v6, -8, v8
	ds_load_b64 v[6:7], v6
	v_and_b32_e32 v1, v1, v11
	v_lshl_add_u32 v10, v1, 3, v8
	ds_load_b64 v[8:9], v10
	s_wait_dscnt 0x1
	v_cmp_o_f32_e64 s4, v6, v7
	v_mov_b32_e32 v22, v7
	v_dual_mov_b32 v24, v6 :: v_dual_mov_b32 v23, v7
	s_and_saveexec_b32 s30, s4
	s_cbranch_execz .LBB347_78
; %bb.77:                               ;   in Loop: Header=BB347_73 Depth=3
	s_wait_dscnt 0x0
	v_cmp_u_f32_e64 s5, v8, v9
	v_cmp_lt_f32_e64 s6, v8, v6
	s_or_b32 s5, s5, s6
	s_wait_alu 0xfffe
	v_cndmask_b32_e64 v22, v7, v9, s5
	v_cndmask_b32_e64 v24, v6, v8, s5
	s_delay_alu instid0(VALU_DEP_2)
	v_mov_b32_e32 v23, v22
.LBB347_78:                             ;   in Loop: Header=BB347_73 Depth=3
	s_or_b32 exec_lo, exec_lo, s30
	s_and_saveexec_b32 s6, s4
	s_cbranch_execz .LBB347_80
; %bb.79:                               ;   in Loop: Header=BB347_73 Depth=3
	s_wait_dscnt 0x0
	v_cmp_u_f32_e64 s4, v8, v9
	v_cmp_ge_f32_e64 s5, v8, v6
	s_or_b32 s4, s4, s5
	s_wait_alu 0xfffe
	v_cndmask_b32_e64 v7, v7, v9, s4
	v_cndmask_b32_e64 v6, v6, v8, s4
.LBB347_80:                             ;   in Loop: Header=BB347_73 Depth=3
	s_wait_alu 0xfffe
	s_or_b32 exec_lo, exec_lo, s6
	s_wait_dscnt 0x0
	v_dual_mov_b32 v8, 0x7fc00000 :: v_dual_mov_b32 v9, 0x7fc00000
	s_mov_b32 s30, exec_lo
	v_cmpx_o_f32_e32 v24, v22
	s_cbranch_execz .LBB347_71
; %bb.81:                               ;   in Loop: Header=BB347_73 Depth=3
	v_cmp_class_f32_e64 s5, v24, 0x1f8
	v_cmp_neq_f32_e64 s4, v6, v24
	s_or_b32 s4, s5, s4
	s_wait_alu 0xfffe
	s_and_saveexec_b32 s5, s4
	s_wait_alu 0xfffe
	s_xor_b32 s31, exec_lo, s5
	s_cbranch_execz .LBB347_97
; %bb.82:                               ;   in Loop: Header=BB347_73 Depth=3
	v_sub_f32_e32 v8, v22, v7
                                        ; implicit-def: $vgpr23
                                        ; implicit-def: $vgpr22
	s_delay_alu instid0(VALU_DEP_1) | instskip(SKIP_1) | instid1(VALU_DEP_2)
	v_and_b32_e32 v9, 0x7fffffff, v8
	v_cmp_ngt_f32_e64 s33, 0x48000000, |v8|
	v_lshrrev_b32_e32 v1, 23, v9
	v_and_or_b32 v25, v9, s19, 0x800000
	s_delay_alu instid0(VALU_DEP_2)
	v_add_nc_u32_e32 v26, 0xffffff88, v1
	s_and_saveexec_b32 s4, s33
	s_wait_alu 0xfffe
	s_xor_b32 s34, exec_lo, s4
	s_cbranch_execz .LBB347_84
; %bb.83:                               ;   in Loop: Header=BB347_73 Depth=3
	v_mad_co_u64_u32 v[22:23], null, 0xfe5163ab, v25, 0
	v_cmp_lt_u32_e64 s4, 63, v26
	s_delay_alu instid0(VALU_DEP_2) | instskip(SKIP_1) | instid1(VALU_DEP_2)
	v_mov_b32_e32 v1, v23
	s_wait_alu 0xf1ff
	v_cndmask_b32_e64 v23, 0, 0xffffffc0, s4
	s_delay_alu instid0(VALU_DEP_2) | instskip(NEXT) | instid1(VALU_DEP_2)
	v_mad_co_u64_u32 v[27:28], null, 0x3c439041, v25, v[1:2]
	v_add_nc_u32_e32 v23, v23, v26
	s_delay_alu instid0(VALU_DEP_1) | instskip(NEXT) | instid1(VALU_DEP_3)
	v_cmp_lt_u32_e64 s5, 31, v23
	v_mov_b32_e32 v1, v28
	s_wait_alu 0xf1ff
	s_delay_alu instid0(VALU_DEP_2) | instskip(NEXT) | instid1(VALU_DEP_2)
	v_cndmask_b32_e64 v33, 0, 0xffffffe0, s5
	v_mad_co_u64_u32 v[28:29], null, 0xdb629599, v25, v[1:2]
	s_delay_alu instid0(VALU_DEP_2) | instskip(NEXT) | instid1(VALU_DEP_2)
	v_add_nc_u32_e32 v23, v33, v23
	v_mov_b32_e32 v1, v29
	s_delay_alu instid0(VALU_DEP_2) | instskip(NEXT) | instid1(VALU_DEP_4)
	v_cmp_lt_u32_e64 s6, 31, v23
	v_cndmask_b32_e64 v22, v28, v22, s4
	s_delay_alu instid0(VALU_DEP_3) | instskip(NEXT) | instid1(VALU_DEP_1)
	v_mad_co_u64_u32 v[29:30], null, 0xf534ddc0, v25, v[1:2]
	v_mov_b32_e32 v1, v30
	s_delay_alu instid0(VALU_DEP_1) | instskip(NEXT) | instid1(VALU_DEP_1)
	v_mad_co_u64_u32 v[30:31], null, 0xfc2757d1, v25, v[1:2]
	v_mov_b32_e32 v1, v31
	s_delay_alu instid0(VALU_DEP_1) | instskip(NEXT) | instid1(VALU_DEP_1)
	v_mad_co_u64_u32 v[31:32], null, 0x4e441529, v25, v[1:2]
	v_mov_b32_e32 v1, v32
	s_delay_alu instid0(VALU_DEP_2) | instskip(NEXT) | instid1(VALU_DEP_2)
	v_cndmask_b32_e64 v34, v31, v29, s4
	v_mad_co_u64_u32 v[32:33], null, 0xa2f9836e, v25, v[1:2]
	s_wait_alu 0xf1ff
	v_cndmask_b32_e64 v1, 0, 0xffffffe0, s6
	s_delay_alu instid0(VALU_DEP_1) | instskip(NEXT) | instid1(VALU_DEP_3)
	v_add_nc_u32_e32 v1, v1, v23
	v_cndmask_b32_e64 v32, v32, v30, s4
	s_delay_alu instid0(VALU_DEP_4)
	v_cndmask_b32_e64 v31, v33, v31, s4
	v_cndmask_b32_e64 v30, v30, v28, s4
	;; [unrolled: 1-line block ×3, first 2 shown]
	v_cmp_eq_u32_e64 s4, 0, v1
	v_cndmask_b32_e64 v27, v32, v34, s5
	v_cndmask_b32_e64 v29, v31, v32, s5
	;; [unrolled: 1-line block ×3, first 2 shown]
	v_sub_nc_u32_e32 v32, 32, v1
	v_cndmask_b32_e64 v30, v30, v23, s5
	v_cndmask_b32_e64 v22, v23, v22, s5
	;; [unrolled: 1-line block ×4, first 2 shown]
	s_delay_alu instid0(VALU_DEP_4) | instskip(NEXT) | instid1(VALU_DEP_4)
	v_cndmask_b32_e64 v31, v31, v30, s6
	v_cndmask_b32_e64 v22, v30, v22, s6
	s_delay_alu instid0(VALU_DEP_3) | instskip(NEXT) | instid1(VALU_DEP_3)
	v_alignbit_b32 v33, v29, v27, v32
	v_alignbit_b32 v28, v27, v31, v32
	s_delay_alu instid0(VALU_DEP_3) | instskip(SKIP_1) | instid1(VALU_DEP_3)
	v_alignbit_b32 v30, v31, v22, v32
	s_wait_alu 0xf1ff
	v_cndmask_b32_e64 v1, v33, v29, s4
	s_delay_alu instid0(VALU_DEP_3) | instskip(NEXT) | instid1(VALU_DEP_3)
	v_cndmask_b32_e64 v23, v28, v27, s4
	v_cndmask_b32_e64 v30, v30, v31, s4
	s_delay_alu instid0(VALU_DEP_3) | instskip(NEXT) | instid1(VALU_DEP_3)
	v_bfe_u32 v27, v1, 29, 1
	v_alignbit_b32 v28, v1, v23, 30
	s_delay_alu instid0(VALU_DEP_3) | instskip(SKIP_1) | instid1(VALU_DEP_4)
	v_alignbit_b32 v23, v23, v30, 30
	v_alignbit_b32 v22, v30, v22, 30
	v_sub_nc_u32_e32 v29, 0, v27
	s_delay_alu instid0(VALU_DEP_1) | instskip(NEXT) | instid1(VALU_DEP_4)
	v_xor_b32_e32 v28, v28, v29
	v_xor_b32_e32 v23, v23, v29
	s_delay_alu instid0(VALU_DEP_4) | instskip(SKIP_3) | instid1(VALU_DEP_1)
	v_xor_b32_e32 v22, v22, v29
	v_lshrrev_b32_e32 v29, 29, v1
	v_lshrrev_b32_e32 v1, 30, v1
	v_clz_i32_u32_e32 v31, v28
	v_min_u32_e32 v31, 32, v31
	s_delay_alu instid0(VALU_DEP_1) | instskip(SKIP_1) | instid1(VALU_DEP_2)
	v_sub_nc_u32_e32 v30, 31, v31
	v_lshlrev_b32_e32 v32, 23, v31
	v_alignbit_b32 v28, v28, v23, v30
	v_alignbit_b32 v22, v23, v22, v30
	v_lshlrev_b32_e32 v23, 31, v29
	s_delay_alu instid0(VALU_DEP_2) | instskip(NEXT) | instid1(VALU_DEP_2)
	v_alignbit_b32 v29, v28, v22, 9
	v_or_b32_e32 v30, 0.5, v23
	v_lshrrev_b32_e32 v28, 9, v28
	v_or_b32_e32 v23, 0x33000000, v23
	s_delay_alu instid0(VALU_DEP_4) | instskip(NEXT) | instid1(VALU_DEP_4)
	v_clz_i32_u32_e32 v33, v29
	v_sub_nc_u32_e32 v30, v30, v32
	s_delay_alu instid0(VALU_DEP_2) | instskip(NEXT) | instid1(VALU_DEP_2)
	v_min_u32_e32 v32, 32, v33
	v_or_b32_e32 v28, v28, v30
	s_delay_alu instid0(VALU_DEP_2) | instskip(NEXT) | instid1(VALU_DEP_2)
	v_not_b32_e32 v30, v32
	v_mul_f32_e32 v33, 0x3fc90fda, v28
	v_add_lshl_u32 v31, v32, v31, 23
	s_delay_alu instid0(VALU_DEP_3) | instskip(NEXT) | instid1(VALU_DEP_3)
	v_alignbit_b32 v22, v29, v22, v30
	v_fma_f32 v29, 0x3fc90fda, v28, -v33
	s_delay_alu instid0(VALU_DEP_3) | instskip(NEXT) | instid1(VALU_DEP_3)
	v_sub_nc_u32_e32 v23, v23, v31
	v_lshrrev_b32_e32 v22, 9, v22
	s_delay_alu instid0(VALU_DEP_3) | instskip(NEXT) | instid1(VALU_DEP_2)
	v_fmac_f32_e32 v29, 0x33a22168, v28
	v_or_b32_e32 v22, v23, v22
	v_add_nc_u32_e32 v23, v27, v1
	s_delay_alu instid0(VALU_DEP_2) | instskip(NEXT) | instid1(VALU_DEP_1)
	v_fmac_f32_e32 v29, 0x3fc90fda, v22
	v_add_f32_e32 v22, v33, v29
.LBB347_84:                             ;   in Loop: Header=BB347_73 Depth=3
	s_or_saveexec_b32 s4, s34
	v_mul_f32_e64 v1, 0x3f22f983, |v8|
	s_delay_alu instid0(VALU_DEP_1)
	v_rndne_f32_e32 v28, v1
	s_wait_alu 0xfffe
	s_xor_b32 exec_lo, exec_lo, s4
; %bb.85:                               ;   in Loop: Header=BB347_73 Depth=3
	s_delay_alu instid0(VALU_DEP_1) | instskip(SKIP_1) | instid1(VALU_DEP_2)
	v_fma_f32 v22, 0xbfc90fda, v28, |v8|
	v_cvt_i32_f32_e32 v23, v28
	v_fmac_f32_e32 v22, 0xb3a22168, v28
	s_delay_alu instid0(VALU_DEP_1)
	v_fmac_f32_e32 v22, 0xa7c234c4, v28
; %bb.86:                               ;   in Loop: Header=BB347_73 Depth=3
	s_or_b32 exec_lo, exec_lo, s4
                                        ; implicit-def: $vgpr27
                                        ; implicit-def: $vgpr1
	s_and_saveexec_b32 s4, s33
	s_wait_alu 0xfffe
	s_xor_b32 s33, exec_lo, s4
	s_cbranch_execz .LBB347_88
; %bb.87:                               ;   in Loop: Header=BB347_73 Depth=3
	v_mad_co_u64_u32 v[27:28], null, 0xfe5163ab, v25, 0
	v_cmp_lt_u32_e64 s4, 63, v26
	s_wait_alu 0xf1ff
	s_delay_alu instid0(VALU_DEP_1) | instskip(NEXT) | instid1(VALU_DEP_1)
	v_cndmask_b32_e64 v33, 0, 0xffffffc0, s4
	v_dual_mov_b32 v1, v28 :: v_dual_add_nc_u32 v26, v33, v26
	s_delay_alu instid0(VALU_DEP_1) | instskip(NEXT) | instid1(VALU_DEP_2)
	v_mad_co_u64_u32 v[28:29], null, 0x3c439041, v25, v[1:2]
	v_cmp_lt_u32_e64 s5, 31, v26
	s_delay_alu instid0(VALU_DEP_2) | instskip(SKIP_1) | instid1(VALU_DEP_2)
	v_mov_b32_e32 v1, v29
	s_wait_alu 0xf1ff
	v_cndmask_b32_e64 v34, 0, 0xffffffe0, s5
	s_delay_alu instid0(VALU_DEP_2) | instskip(NEXT) | instid1(VALU_DEP_1)
	v_mad_co_u64_u32 v[29:30], null, 0xdb629599, v25, v[1:2]
	v_mov_b32_e32 v1, v30
	s_delay_alu instid0(VALU_DEP_2) | instskip(NEXT) | instid1(VALU_DEP_2)
	v_cndmask_b32_e64 v27, v29, v27, s4
	v_mad_co_u64_u32 v[30:31], null, 0xf534ddc0, v25, v[1:2]
	s_delay_alu instid0(VALU_DEP_1) | instskip(NEXT) | instid1(VALU_DEP_2)
	v_mov_b32_e32 v1, v31
	v_cndmask_b32_e64 v28, v30, v28, s4
	s_delay_alu instid0(VALU_DEP_2) | instskip(NEXT) | instid1(VALU_DEP_1)
	v_mad_co_u64_u32 v[31:32], null, 0xfc2757d1, v25, v[1:2]
	v_mov_b32_e32 v1, v32
	s_delay_alu instid0(VALU_DEP_1) | instskip(NEXT) | instid1(VALU_DEP_1)
	v_mad_co_u64_u32 v[32:33], null, 0x4e441529, v25, v[1:2]
	v_mov_b32_e32 v1, v33
	v_add_nc_u32_e32 v33, v34, v26
	s_delay_alu instid0(VALU_DEP_3) | instskip(NEXT) | instid1(VALU_DEP_3)
	v_cndmask_b32_e64 v34, v32, v30, s4
	v_mad_co_u64_u32 v[25:26], null, 0xa2f9836e, v25, v[1:2]
	s_delay_alu instid0(VALU_DEP_3) | instskip(SKIP_1) | instid1(VALU_DEP_1)
	v_cmp_lt_u32_e64 s6, 31, v33
	s_wait_alu 0xf1ff
	v_cndmask_b32_e64 v1, 0, 0xffffffe0, s6
	s_delay_alu instid0(VALU_DEP_3) | instskip(NEXT) | instid1(VALU_DEP_4)
	v_cndmask_b32_e64 v25, v25, v31, s4
	v_cndmask_b32_e64 v26, v26, v32, s4
	;; [unrolled: 1-line block ×3, first 2 shown]
	s_delay_alu instid0(VALU_DEP_4) | instskip(NEXT) | instid1(VALU_DEP_4)
	v_add_nc_u32_e32 v1, v1, v33
	v_cndmask_b32_e64 v30, v25, v34, s5
	s_delay_alu instid0(VALU_DEP_4) | instskip(NEXT) | instid1(VALU_DEP_4)
	v_cndmask_b32_e64 v25, v26, v25, s5
	v_cndmask_b32_e64 v26, v34, v31, s5
	;; [unrolled: 1-line block ×3, first 2 shown]
	v_sub_nc_u32_e32 v32, 32, v1
	v_cmp_eq_u32_e64 s4, 0, v1
	v_cndmask_b32_e64 v25, v25, v30, s6
	v_cndmask_b32_e64 v30, v30, v26, s6
	;; [unrolled: 1-line block ×3, first 2 shown]
	s_delay_alu instid0(VALU_DEP_2) | instskip(NEXT) | instid1(VALU_DEP_2)
	v_alignbit_b32 v33, v25, v30, v32
	v_alignbit_b32 v29, v30, v26, v32
	s_wait_alu 0xf1ff
	s_delay_alu instid0(VALU_DEP_2) | instskip(SKIP_1) | instid1(VALU_DEP_3)
	v_cndmask_b32_e64 v1, v33, v25, s4
	v_cndmask_b32_e64 v25, v28, v27, s5
	;; [unrolled: 1-line block ×3, first 2 shown]
	s_delay_alu instid0(VALU_DEP_3) | instskip(NEXT) | instid1(VALU_DEP_3)
	v_bfe_u32 v28, v1, 29, 1
	v_cndmask_b32_e64 v25, v31, v25, s6
	s_delay_alu instid0(VALU_DEP_3) | instskip(NEXT) | instid1(VALU_DEP_3)
	v_alignbit_b32 v29, v1, v27, 30
	v_sub_nc_u32_e32 v30, 0, v28
	s_delay_alu instid0(VALU_DEP_3) | instskip(NEXT) | instid1(VALU_DEP_2)
	v_alignbit_b32 v31, v26, v25, v32
	v_xor_b32_e32 v29, v29, v30
	s_delay_alu instid0(VALU_DEP_2) | instskip(NEXT) | instid1(VALU_DEP_2)
	v_cndmask_b32_e64 v26, v31, v26, s4
	v_clz_i32_u32_e32 v31, v29
	s_delay_alu instid0(VALU_DEP_2) | instskip(SKIP_1) | instid1(VALU_DEP_3)
	v_alignbit_b32 v27, v27, v26, 30
	v_alignbit_b32 v25, v26, v25, 30
	v_min_u32_e32 v31, 32, v31
	s_delay_alu instid0(VALU_DEP_3) | instskip(NEXT) | instid1(VALU_DEP_3)
	v_xor_b32_e32 v26, v27, v30
	v_xor_b32_e32 v25, v25, v30
	v_lshrrev_b32_e32 v30, 29, v1
	s_delay_alu instid0(VALU_DEP_4) | instskip(SKIP_1) | instid1(VALU_DEP_2)
	v_sub_nc_u32_e32 v27, 31, v31
	v_lshlrev_b32_e32 v32, 23, v31
	v_alignbit_b32 v29, v29, v26, v27
	v_alignbit_b32 v25, v26, v25, v27
	v_lshlrev_b32_e32 v26, 31, v30
	s_delay_alu instid0(VALU_DEP_2) | instskip(NEXT) | instid1(VALU_DEP_2)
	v_alignbit_b32 v27, v29, v25, 9
	v_or_b32_e32 v30, 0.5, v26
	v_lshrrev_b32_e32 v29, 9, v29
	v_or_b32_e32 v26, 0x33000000, v26
	s_delay_alu instid0(VALU_DEP_4) | instskip(NEXT) | instid1(VALU_DEP_4)
	v_clz_i32_u32_e32 v33, v27
	v_sub_nc_u32_e32 v30, v30, v32
	s_delay_alu instid0(VALU_DEP_2) | instskip(NEXT) | instid1(VALU_DEP_2)
	v_min_u32_e32 v32, 32, v33
	v_or_b32_e32 v29, v29, v30
	s_delay_alu instid0(VALU_DEP_2) | instskip(NEXT) | instid1(VALU_DEP_2)
	v_not_b32_e32 v30, v32
	v_mul_f32_e32 v33, 0x3fc90fda, v29
	v_add_lshl_u32 v31, v32, v31, 23
	s_delay_alu instid0(VALU_DEP_3) | instskip(NEXT) | instid1(VALU_DEP_3)
	v_alignbit_b32 v25, v27, v25, v30
	v_fma_f32 v27, 0x3fc90fda, v29, -v33
	s_delay_alu instid0(VALU_DEP_3) | instskip(NEXT) | instid1(VALU_DEP_3)
	v_sub_nc_u32_e32 v26, v26, v31
	v_lshrrev_b32_e32 v25, 9, v25
	s_delay_alu instid0(VALU_DEP_3) | instskip(NEXT) | instid1(VALU_DEP_2)
	v_fmac_f32_e32 v27, 0x33a22168, v29
	v_or_b32_e32 v25, v26, v25
	s_delay_alu instid0(VALU_DEP_1) | instskip(SKIP_1) | instid1(VALU_DEP_2)
	v_fmac_f32_e32 v27, 0x3fc90fda, v25
	v_lshrrev_b32_e32 v25, 30, v1
	v_add_f32_e32 v1, v33, v27
	s_delay_alu instid0(VALU_DEP_2)
	v_add_nc_u32_e32 v27, v28, v25
                                        ; implicit-def: $vgpr28
	s_and_not1_saveexec_b32 s4, s33
	s_cbranch_execnz .LBB347_89
	s_branch .LBB347_90
.LBB347_88:                             ;   in Loop: Header=BB347_73 Depth=3
	s_and_not1_saveexec_b32 s4, s33
.LBB347_89:                             ;   in Loop: Header=BB347_73 Depth=3
	v_fma_f32 v1, 0xbfc90fda, v28, |v8|
	v_cvt_i32_f32_e32 v27, v28
	s_delay_alu instid0(VALU_DEP_2) | instskip(NEXT) | instid1(VALU_DEP_1)
	v_fmac_f32_e32 v1, 0xb3a22168, v28
	v_fmac_f32_e32 v1, 0xa7c234c4, v28
.LBB347_90:                             ;   in Loop: Header=BB347_73 Depth=3
	s_wait_alu 0xfffe
	s_or_b32 exec_lo, exec_lo, s4
	v_dual_sub_f32 v24, v24, v6 :: v_dual_lshlrev_b32 v25, 30, v23
	v_dual_mul_f32 v28, v22, v22 :: v_dual_and_b32 v23, 1, v23
	s_delay_alu instid0(VALU_DEP_2) | instskip(SKIP_1) | instid1(VALU_DEP_3)
	v_dual_mul_f32 v29, v1, v1 :: v_dual_mul_f32 v26, 0x3fb8aa3b, v24
	v_and_b32_e32 v30, 1, v27
	v_cmp_eq_u32_e64 s4, 0, v23
	s_delay_alu instid0(VALU_DEP_4) | instskip(NEXT) | instid1(VALU_DEP_4)
	v_fmaak_f32 v33, s20, v28, 0xbab64f3b
	v_dual_fmaak_f32 v34, s21, v28, 0x3c0881c4 :: v_dual_fmaak_f32 v35, s21, v29, 0x3c0881c4
	v_fma_f32 v31, 0x3fb8aa3b, v24, -v26
	v_rndne_f32_e32 v32, v26
	v_lshlrev_b32_e32 v27, 30, v27
	v_xor_b32_e32 v9, v9, v8
	v_cmp_nlt_f32_e64 s5, 0x42b17218, v24
	v_fmac_f32_e32 v31, 0x32a5705f, v24
	v_dual_sub_f32 v26, v26, v32 :: v_dual_and_b32 v25, 0x80000000, v25
	v_cvt_i32_f32_e32 v32, v32
	s_delay_alu instid0(VALU_DEP_2) | instskip(SKIP_1) | instid1(VALU_DEP_2)
	v_dual_add_f32 v26, v26, v31 :: v_dual_fmaak_f32 v31, v28, v33, 0x3d2aabf7
	v_dual_fmaak_f32 v33, v28, v34, 0xbe2aaa9d :: v_dual_fmaak_f32 v34, v29, v35, 0xbe2aaa9d
	v_exp_f32_e32 v26, v26
	s_delay_alu instid0(VALU_DEP_2) | instskip(NEXT) | instid1(VALU_DEP_2)
	v_fmaak_f32 v31, v28, v31, 0xbf000004
	v_dual_mul_f32 v33, v28, v33 :: v_dual_mul_f32 v34, v29, v34
	v_fmaak_f32 v36, s20, v29, 0xbab64f3b
	v_and_b32_e32 v27, 0x80000000, v27
	s_delay_alu instid0(VALU_DEP_4) | instskip(NEXT) | instid1(VALU_DEP_4)
	v_fma_f32 v28, v28, v31, 1.0
	v_dual_fmac_f32 v22, v22, v33 :: v_dual_fmac_f32 v1, v1, v34
	s_delay_alu instid0(VALU_DEP_4) | instskip(NEXT) | instid1(TRANS32_DEP_1)
	v_fmaak_f32 v35, v29, v36, 0x3d2aabf7
	v_ldexp_f32 v26, v26, v32
	s_wait_alu 0xf1ff
	s_delay_alu instid0(VALU_DEP_3) | instskip(SKIP_2) | instid1(VALU_DEP_3)
	v_cndmask_b32_e64 v22, -v22, v28, s4
	v_cmp_eq_u32_e64 s4, 0, v30
	v_fmaak_f32 v35, v29, v35, 0xbf000004
	v_xor_b32_e32 v22, v25, v22
	s_delay_alu instid0(VALU_DEP_2) | instskip(SKIP_1) | instid1(VALU_DEP_1)
	v_fma_f32 v29, v29, v35, 1.0
	s_wait_alu 0xf1ff
	v_cndmask_b32_e64 v1, v29, v1, s4
	v_cmp_ngt_f32_e64 s4, 0xc2ce8ed0, v24
	s_delay_alu instid0(VALU_DEP_2) | instskip(SKIP_1) | instid1(VALU_DEP_2)
	v_xor3_b32 v1, v9, v27, v1
	s_wait_alu 0xf1ff
	v_cndmask_b32_e64 v23, 0, v26, s4
	v_cmp_class_f32_e64 s4, v8, 0x1f8
	s_delay_alu instid0(VALU_DEP_2) | instskip(SKIP_1) | instid1(VALU_DEP_2)
	v_cndmask_b32_e64 v24, 0x7f800000, v23, s5
	s_wait_alu 0xf1ff
	v_cndmask_b32_e64 v22, 0x7fc00000, v22, s4
	v_cndmask_b32_e64 v1, 0x7fc00000, v1, s4
	s_delay_alu instid0(VALU_DEP_2) | instskip(NEXT) | instid1(VALU_DEP_2)
	v_mul_f32_e32 v23, v24, v22
	v_mul_f32_e32 v1, v24, v1
	s_delay_alu instid0(VALU_DEP_1) | instskip(NEXT) | instid1(VALU_DEP_1)
	v_max_num_f32_e64 v25, |v23|, |v1|
	v_cvt_f64_f32_e32 v[8:9], v25
	v_cmp_eq_f32_e64 s4, 0x7f800000, v25
	s_delay_alu instid0(VALU_DEP_2) | instskip(NEXT) | instid1(VALU_DEP_1)
	v_frexp_exp_i32_f64_e32 v8, v[8:9]
	v_sub_nc_u32_e32 v9, 0, v8
	s_delay_alu instid0(VALU_DEP_1) | instskip(SKIP_1) | instid1(VALU_DEP_2)
	v_ldexp_f32 v26, |v1|, v9
	v_ldexp_f32 v9, |v23|, v9
	v_mul_f32_e32 v26, v26, v26
	s_delay_alu instid0(VALU_DEP_1) | instskip(NEXT) | instid1(VALU_DEP_1)
	v_fmac_f32_e32 v26, v9, v9
	v_sqrt_f32_e32 v9, v26
	s_delay_alu instid0(TRANS32_DEP_1) | instskip(SKIP_1) | instid1(VALU_DEP_2)
	v_ldexp_f32 v9, v9, v8
	v_fma_f32 v8, v24, v22, 1.0
	v_cmp_ngt_f32_e64 s5, 0.5, v9
	s_delay_alu instid0(VALU_DEP_2)
	v_max_num_f32_e64 v9, |v8|, |v1|
	s_or_b32 s4, s4, s5
	s_wait_alu 0xfffe
	s_and_saveexec_b32 s5, s4
	s_wait_alu 0xfffe
	s_xor_b32 s6, exec_lo, s5
	s_cbranch_execz .LBB347_92
; %bb.91:                               ;   in Loop: Header=BB347_73 Depth=3
	v_cvt_f64_f32_e32 v[22:23], v9
	v_cmp_neq_f32_e64 s4, 0x7f800000, v9
	s_delay_alu instid0(VALU_DEP_2) | instskip(NEXT) | instid1(VALU_DEP_1)
	v_frexp_exp_i32_f64_e32 v22, v[22:23]
	v_sub_nc_u32_e32 v23, 0, v22
	s_delay_alu instid0(VALU_DEP_1) | instskip(SKIP_1) | instid1(VALU_DEP_2)
	v_ldexp_f32 v24, |v1|, v23
	v_ldexp_f32 v23, |v8|, v23
	v_mul_f32_e32 v24, v24, v24
	s_delay_alu instid0(VALU_DEP_1) | instskip(NEXT) | instid1(VALU_DEP_1)
	v_fmac_f32_e32 v24, v23, v23
	v_sqrt_f32_e32 v23, v24
	s_delay_alu instid0(TRANS32_DEP_1) | instskip(SKIP_1) | instid1(VALU_DEP_1)
	v_ldexp_f32 v22, v23, v22
	s_wait_alu 0xf1ff
	v_cndmask_b32_e64 v22, 0x7f800000, v22, s4
	s_delay_alu instid0(VALU_DEP_1) | instskip(SKIP_1) | instid1(VALU_DEP_1)
	v_cmp_gt_f32_e64 s4, 0x800000, v22
	s_wait_alu 0xf1ff
	v_cndmask_b32_e64 v23, 0, 32, s4
	s_delay_alu instid0(VALU_DEP_1) | instskip(NEXT) | instid1(VALU_DEP_1)
	v_ldexp_f32 v22, v22, v23
	v_log_f32_e32 v22, v22
	s_delay_alu instid0(TRANS32_DEP_1) | instskip(SKIP_1) | instid1(VALU_DEP_2)
	v_mul_f32_e32 v23, 0x3f317217, v22
	v_cmp_gt_f32_e64 s5, 0x7f800000, |v22|
	v_fma_f32 v23, 0x3f317217, v22, -v23
	s_delay_alu instid0(VALU_DEP_1) | instskip(NEXT) | instid1(VALU_DEP_1)
	v_fmac_f32_e32 v23, 0x3377d1cf, v22
	v_fmac_f32_e32 v23, 0x3f317217, v22
	s_wait_alu 0xf1ff
	s_delay_alu instid0(VALU_DEP_1) | instskip(SKIP_1) | instid1(VALU_DEP_1)
	v_cndmask_b32_e64 v22, v22, v23, s5
	v_cndmask_b32_e64 v23, 0, 0x41b17218, s4
	v_sub_f32_e32 v23, v22, v23
.LBB347_92:                             ;   in Loop: Header=BB347_73 Depth=3
	s_wait_alu 0xfffe
	s_and_not1_saveexec_b32 s5, s6
	s_cbranch_execz .LBB347_96
; %bb.93:                               ;   in Loop: Header=BB347_73 Depth=3
	s_delay_alu instid0(VALU_DEP_1) | instskip(SKIP_2) | instid1(VALU_DEP_1)
	v_add_f32_e32 v24, 2.0, v23
	v_mul_f32_e32 v22, v1, v1
	s_mov_b32 s6, exec_lo
	v_fmac_f32_e32 v22, v23, v24
	s_delay_alu instid0(VALU_DEP_1)
	v_cmpx_neq_f32_e32 0, v22
	s_cbranch_execz .LBB347_95
; %bb.94:                               ;   in Loop: Header=BB347_73 Depth=3
	v_add_f32_e32 v25, 1.0, v22
	s_delay_alu instid0(VALU_DEP_1) | instskip(NEXT) | instid1(VALU_DEP_1)
	v_cvt_f64_f32_e32 v[23:24], v25
	v_frexp_exp_i32_f64_e32 v23, v[23:24]
	v_frexp_mant_f32_e32 v24, v25
	s_delay_alu instid0(VALU_DEP_1) | instskip(SKIP_1) | instid1(VALU_DEP_1)
	v_cmp_gt_f32_e64 s4, 0x3f2aaaab, v24
	v_add_f32_e32 v24, -1.0, v25
	v_sub_f32_e32 v27, v24, v25
	s_delay_alu instid0(VALU_DEP_1) | instskip(SKIP_3) | instid1(VALU_DEP_2)
	v_dual_add_f32 v27, 1.0, v27 :: v_dual_sub_f32 v24, v22, v24
	s_wait_alu 0xf1ff
	v_subrev_co_ci_u32_e64 v23, null, 0, v23, s4
	v_cmp_neq_f32_e64 s4, 0x7f800000, v22
	v_sub_nc_u32_e32 v26, 0, v23
	v_cvt_f32_i32_e32 v23, v23
	s_delay_alu instid0(VALU_DEP_2) | instskip(NEXT) | instid1(VALU_DEP_1)
	v_ldexp_f32 v25, v25, v26
	v_add_f32_e32 v28, 1.0, v25
	s_delay_alu instid0(VALU_DEP_1) | instskip(NEXT) | instid1(VALU_DEP_1)
	v_dual_add_f32 v24, v24, v27 :: v_dual_add_f32 v27, -1.0, v28
	v_ldexp_f32 v24, v24, v26
	s_delay_alu instid0(VALU_DEP_2) | instskip(NEXT) | instid1(VALU_DEP_1)
	v_dual_sub_f32 v27, v25, v27 :: v_dual_add_f32 v26, -1.0, v25
	v_add_f32_e32 v27, v24, v27
	s_delay_alu instid0(VALU_DEP_2) | instskip(NEXT) | instid1(VALU_DEP_1)
	v_add_f32_e32 v29, 1.0, v26
	v_sub_f32_e32 v25, v25, v29
	s_delay_alu instid0(VALU_DEP_1) | instskip(NEXT) | instid1(VALU_DEP_1)
	v_add_f32_e32 v24, v24, v25
	v_dual_add_f32 v30, v26, v24 :: v_dual_add_f32 v29, v28, v27
	s_delay_alu instid0(VALU_DEP_1) | instskip(NEXT) | instid1(VALU_DEP_2)
	v_sub_f32_e32 v26, v30, v26
	v_rcp_f32_e32 v25, v29
	v_sub_f32_e32 v28, v29, v28
	s_delay_alu instid0(VALU_DEP_1) | instskip(NEXT) | instid1(TRANS32_DEP_1)
	v_dual_sub_f32 v24, v24, v26 :: v_dual_sub_f32 v27, v27, v28
	v_mul_f32_e32 v31, v30, v25
	s_delay_alu instid0(VALU_DEP_1) | instskip(NEXT) | instid1(VALU_DEP_1)
	v_mul_f32_e32 v32, v29, v31
	v_fma_f32 v28, v31, v29, -v32
	s_delay_alu instid0(VALU_DEP_1) | instskip(NEXT) | instid1(VALU_DEP_1)
	v_fmac_f32_e32 v28, v31, v27
	v_add_f32_e32 v33, v32, v28
	s_delay_alu instid0(VALU_DEP_1) | instskip(SKIP_1) | instid1(VALU_DEP_2)
	v_sub_f32_e32 v34, v30, v33
	v_sub_f32_e32 v26, v33, v32
	;; [unrolled: 1-line block ×3, first 2 shown]
	s_delay_alu instid0(VALU_DEP_2) | instskip(NEXT) | instid1(VALU_DEP_2)
	v_sub_f32_e32 v26, v26, v28
	v_sub_f32_e32 v30, v30, v33
	s_delay_alu instid0(VALU_DEP_1) | instskip(NEXT) | instid1(VALU_DEP_1)
	v_add_f32_e32 v24, v24, v30
	v_add_f32_e32 v24, v26, v24
	s_delay_alu instid0(VALU_DEP_1) | instskip(NEXT) | instid1(VALU_DEP_1)
	v_add_f32_e32 v26, v34, v24
	v_mul_f32_e32 v28, v25, v26
	s_delay_alu instid0(VALU_DEP_1) | instskip(NEXT) | instid1(VALU_DEP_1)
	v_dual_sub_f32 v33, v34, v26 :: v_dual_mul_f32 v30, v29, v28
	v_add_f32_e32 v24, v24, v33
	s_delay_alu instid0(VALU_DEP_2) | instskip(NEXT) | instid1(VALU_DEP_1)
	v_fma_f32 v29, v28, v29, -v30
	v_fmac_f32_e32 v29, v28, v27
	s_delay_alu instid0(VALU_DEP_1) | instskip(NEXT) | instid1(VALU_DEP_1)
	v_add_f32_e32 v27, v30, v29
	v_sub_f32_e32 v32, v26, v27
	v_sub_f32_e32 v30, v27, v30
	s_delay_alu instid0(VALU_DEP_2) | instskip(NEXT) | instid1(VALU_DEP_1)
	v_sub_f32_e32 v26, v26, v32
	v_sub_f32_e32 v26, v26, v27
	s_delay_alu instid0(VALU_DEP_1) | instskip(SKIP_1) | instid1(VALU_DEP_1)
	v_dual_sub_f32 v27, v30, v29 :: v_dual_add_f32 v24, v24, v26
	v_add_f32_e32 v26, v31, v28
	v_dual_add_f32 v24, v27, v24 :: v_dual_sub_f32 v27, v26, v31
	s_delay_alu instid0(VALU_DEP_1) | instskip(NEXT) | instid1(VALU_DEP_1)
	v_add_f32_e32 v24, v32, v24
	v_dual_sub_f32 v27, v28, v27 :: v_dual_mul_f32 v24, v25, v24
	s_delay_alu instid0(VALU_DEP_1) | instskip(NEXT) | instid1(VALU_DEP_1)
	v_add_f32_e32 v24, v27, v24
	v_add_f32_e32 v25, v26, v24
	s_delay_alu instid0(VALU_DEP_1) | instskip(NEXT) | instid1(VALU_DEP_1)
	v_mul_f32_e32 v27, v25, v25
	v_fmaak_f32 v28, s22, v27, 0x3ecc95a3
	v_mul_f32_e32 v29, v25, v27
	s_delay_alu instid0(VALU_DEP_2) | instskip(SKIP_2) | instid1(VALU_DEP_3)
	v_fmaak_f32 v27, v27, v28, 0x3f2aaada
	v_ldexp_f32 v28, v25, 1
	v_sub_f32_e32 v25, v25, v26
	v_mul_f32_e32 v27, v29, v27
	s_delay_alu instid0(VALU_DEP_2) | instskip(NEXT) | instid1(VALU_DEP_2)
	v_dual_mul_f32 v29, 0x3f317218, v23 :: v_dual_sub_f32 v24, v24, v25
	v_add_f32_e32 v26, v28, v27
	s_delay_alu instid0(VALU_DEP_2) | instskip(NEXT) | instid1(VALU_DEP_2)
	v_ldexp_f32 v24, v24, 1
	v_sub_f32_e32 v25, v26, v28
	s_delay_alu instid0(VALU_DEP_4) | instskip(NEXT) | instid1(VALU_DEP_1)
	v_fma_f32 v28, 0x3f317218, v23, -v29
	v_dual_sub_f32 v25, v27, v25 :: v_dual_fmac_f32 v28, 0xb102e308, v23
	s_delay_alu instid0(VALU_DEP_1) | instskip(NEXT) | instid1(VALU_DEP_1)
	v_add_f32_e32 v23, v24, v25
	v_add_f32_e32 v25, v26, v23
	s_delay_alu instid0(VALU_DEP_1) | instskip(NEXT) | instid1(VALU_DEP_1)
	v_sub_f32_e32 v26, v25, v26
	v_dual_sub_f32 v23, v23, v26 :: v_dual_add_f32 v24, v29, v28
	s_delay_alu instid0(VALU_DEP_1) | instskip(NEXT) | instid1(VALU_DEP_1)
	v_add_f32_e32 v27, v24, v25
	v_dual_sub_f32 v29, v24, v29 :: v_dual_sub_f32 v30, v27, v24
	s_delay_alu instid0(VALU_DEP_1) | instskip(NEXT) | instid1(VALU_DEP_1)
	v_dual_sub_f32 v28, v28, v29 :: v_dual_sub_f32 v31, v27, v30
	v_dual_sub_f32 v25, v25, v30 :: v_dual_add_f32 v26, v28, v23
	s_delay_alu instid0(VALU_DEP_2) | instskip(NEXT) | instid1(VALU_DEP_1)
	v_sub_f32_e32 v24, v24, v31
	v_add_f32_e32 v24, v25, v24
	s_delay_alu instid0(VALU_DEP_3) | instskip(NEXT) | instid1(VALU_DEP_2)
	v_sub_f32_e32 v25, v26, v28
	v_add_f32_e32 v24, v26, v24
	s_delay_alu instid0(VALU_DEP_2) | instskip(SKIP_1) | instid1(VALU_DEP_2)
	v_sub_f32_e32 v26, v26, v25
	v_sub_f32_e32 v23, v23, v25
	v_dual_add_f32 v29, v27, v24 :: v_dual_sub_f32 v26, v28, v26
	s_delay_alu instid0(VALU_DEP_1) | instskip(NEXT) | instid1(VALU_DEP_1)
	v_sub_f32_e32 v25, v29, v27
	v_dual_add_f32 v23, v23, v26 :: v_dual_sub_f32 v24, v24, v25
	s_delay_alu instid0(VALU_DEP_1) | instskip(NEXT) | instid1(VALU_DEP_1)
	v_add_f32_e32 v23, v23, v24
	v_add_f32_e32 v23, v29, v23
	s_wait_alu 0xf1ff
	s_delay_alu instid0(VALU_DEP_1) | instskip(SKIP_2) | instid1(VALU_DEP_1)
	v_cndmask_b32_e64 v23, 0x7f800000, v23, s4
	v_cmp_ngt_f32_e64 s4, -1.0, v22
	s_wait_alu 0xf1ff
	v_cndmask_b32_e64 v23, 0x7fc00000, v23, s4
	v_cmp_neq_f32_e64 s4, -1.0, v22
	s_wait_alu 0xf1ff
	s_delay_alu instid0(VALU_DEP_1) | instskip(SKIP_2) | instid1(VALU_DEP_1)
	v_cndmask_b32_e64 v23, 0xff800000, v23, s4
	v_cmp_gt_f32_e64 s4, 0x33800000, |v22|
	s_wait_alu 0xf1ff
	v_cndmask_b32_e64 v22, v23, v22, s4
	s_delay_alu instid0(VALU_DEP_1)
	v_mul_f32_e32 v23, 0.5, v22
.LBB347_95:                             ;   in Loop: Header=BB347_73 Depth=3
	s_wait_alu 0xfffe
	s_or_b32 exec_lo, exec_lo, s6
.LBB347_96:                             ;   in Loop: Header=BB347_73 Depth=3
	s_wait_alu 0xfffe
	s_or_b32 exec_lo, exec_lo, s5
	v_max_num_f32_e64 v22, |v1|, |v1|
	v_max_num_f32_e64 v24, |v8|, |v8|
	v_frexp_mant_f32_e32 v25, v9
	v_frexp_exp_i32_f32_e32 v9, v9
	v_cmp_gt_f32_e64 s4, |v1|, |v8|
	v_cmp_gt_i32_e64 s5, 0, v8
	v_min_num_f32_e32 v22, v24, v22
	v_rcp_f32_e32 v24, v25
	v_cmp_class_f32_e64 s6, v8, 0x204
	s_delay_alu instid0(VALU_DEP_2)
	v_frexp_mant_f32_e32 v25, v22
	v_frexp_exp_i32_f32_e32 v22, v22
	s_delay_alu instid0(TRANS32_DEP_1) | instid1(VALU_DEP_2)
	v_mul_f32_e32 v24, v25, v24
	s_delay_alu instid0(VALU_DEP_2) | instskip(SKIP_3) | instid1(VALU_DEP_3)
	v_sub_nc_u32_e32 v9, v22, v9
	s_wait_alu 0xf1ff
	v_cndmask_b32_e64 v25, 0, 0x40490fdb, s5
	v_cmp_class_f32_e64 s5, v1, 0x204
	v_ldexp_f32 v9, v24, v9
	s_delay_alu instid0(VALU_DEP_1) | instskip(NEXT) | instid1(VALU_DEP_1)
	v_mul_f32_e32 v22, v9, v9
	v_fmaak_f32 v24, s26, v22, 0xbc7a590c
	s_delay_alu instid0(VALU_DEP_1) | instskip(NEXT) | instid1(VALU_DEP_1)
	v_fmaak_f32 v24, v22, v24, 0x3d29fb3f
	v_fmaak_f32 v24, v22, v24, 0xbd97d4d7
	s_delay_alu instid0(VALU_DEP_1) | instskip(NEXT) | instid1(VALU_DEP_1)
	v_fmaak_f32 v24, v22, v24, 0x3dd931b2
	;; [unrolled: 3-line block ×3, first 2 shown]
	v_fmaak_f32 v24, v22, v24, 0xbeaaaa62
	s_delay_alu instid0(VALU_DEP_1) | instskip(NEXT) | instid1(VALU_DEP_1)
	v_mul_f32_e32 v22, v22, v24
	v_fmac_f32_e32 v9, v9, v22
	s_delay_alu instid0(VALU_DEP_1) | instskip(NEXT) | instid1(VALU_DEP_1)
	v_sub_f32_e32 v22, 0x3fc90fdb, v9
	v_cndmask_b32_e64 v9, v9, v22, s4
	v_cmp_gt_f32_e64 s4, 0, v8
	s_delay_alu instid0(VALU_DEP_2) | instskip(SKIP_1) | instid1(VALU_DEP_2)
	v_sub_f32_e32 v22, 0x40490fdb, v9
	s_wait_alu 0xf1ff
	v_cndmask_b32_e64 v24, 0x3f490fdb, v12, s4
	s_delay_alu instid0(VALU_DEP_2) | instskip(SKIP_2) | instid1(VALU_DEP_1)
	v_cndmask_b32_e64 v9, v9, v22, s4
	v_cmp_eq_f32_e64 s4, 0, v1
	s_wait_alu 0xf1ff
	v_cndmask_b32_e64 v9, v9, v25, s4
	s_and_b32 s4, s6, s5
	s_wait_alu 0xfffe
	s_delay_alu instid0(VALU_DEP_1) | instskip(SKIP_3) | instid1(VALU_DEP_2)
	v_cndmask_b32_e64 v9, v9, v24, s4
	v_cmp_o_f32_e64 s4, v8, v1
	v_add_f32_e32 v24, v6, v23
                                        ; implicit-def: $vgpr23
	s_wait_alu 0xf1ff
	v_cndmask_b32_e64 v8, 0x7fc00000, v9, s4
	s_delay_alu instid0(VALU_DEP_1) | instskip(NEXT) | instid1(VALU_DEP_1)
	v_bfi_b32 v1, 0x7fffffff, v8, v1
	v_add_f32_e32 v22, v7, v1
                                        ; implicit-def: $vgpr7
.LBB347_97:                             ;   in Loop: Header=BB347_73 Depth=3
	s_and_not1_saveexec_b32 s31, s31
	s_cbranch_execz .LBB347_70
; %bb.98:                               ;   in Loop: Header=BB347_73 Depth=3
	s_mov_b32 s33, exec_lo
	v_cmpx_ngt_f32_e32 0, v24
	s_cbranch_execz .LBB347_69
; %bb.99:                               ;   in Loop: Header=BB347_73 Depth=3
	v_and_b32_e32 v6, 0x7fffffff, v22
	v_cmp_ngt_f32_e64 s34, 0x48000000, |v22|
                                        ; implicit-def: $vgpr9
                                        ; implicit-def: $vgpr8
	s_delay_alu instid0(VALU_DEP_2) | instskip(SKIP_1) | instid1(VALU_DEP_2)
	v_lshrrev_b32_e32 v1, 23, v6
	v_and_or_b32 v25, v6, s19, 0x800000
	v_add_nc_u32_e32 v27, 0xffffff88, v1
	s_and_saveexec_b32 s4, s34
	s_wait_alu 0xfffe
	s_xor_b32 s35, exec_lo, s4
	s_cbranch_execz .LBB347_101
; %bb.100:                              ;   in Loop: Header=BB347_73 Depth=3
	v_mad_co_u64_u32 v[8:9], null, 0xfe5163ab, v25, 0
	v_cmp_lt_u32_e64 s4, 63, v27
	s_delay_alu instid0(VALU_DEP_2) | instskip(SKIP_1) | instid1(VALU_DEP_2)
	v_mov_b32_e32 v1, v9
	s_wait_alu 0xf1ff
	v_cndmask_b32_e64 v9, 0, 0xffffffc0, s4
	s_delay_alu instid0(VALU_DEP_2) | instskip(NEXT) | instid1(VALU_DEP_2)
	v_mad_co_u64_u32 v[28:29], null, 0x3c439041, v25, v[1:2]
	v_add_nc_u32_e32 v9, v9, v27
	s_delay_alu instid0(VALU_DEP_1) | instskip(NEXT) | instid1(VALU_DEP_3)
	v_cmp_lt_u32_e64 s5, 31, v9
	v_mov_b32_e32 v1, v29
	s_wait_alu 0xf1ff
	s_delay_alu instid0(VALU_DEP_2) | instskip(NEXT) | instid1(VALU_DEP_2)
	v_cndmask_b32_e64 v24, 0, 0xffffffe0, s5
	v_mad_co_u64_u32 v[29:30], null, 0xdb629599, v25, v[1:2]
	s_delay_alu instid0(VALU_DEP_2) | instskip(NEXT) | instid1(VALU_DEP_2)
	v_add_nc_u32_e32 v9, v24, v9
	v_mov_b32_e32 v1, v30
	s_delay_alu instid0(VALU_DEP_2) | instskip(NEXT) | instid1(VALU_DEP_4)
	v_cmp_lt_u32_e64 s6, 31, v9
	v_cndmask_b32_e64 v8, v29, v8, s4
	s_delay_alu instid0(VALU_DEP_3) | instskip(NEXT) | instid1(VALU_DEP_1)
	v_mad_co_u64_u32 v[30:31], null, 0xf534ddc0, v25, v[1:2]
	v_mov_b32_e32 v1, v31
	s_delay_alu instid0(VALU_DEP_1) | instskip(NEXT) | instid1(VALU_DEP_1)
	v_mad_co_u64_u32 v[31:32], null, 0xfc2757d1, v25, v[1:2]
	v_mov_b32_e32 v1, v32
	s_delay_alu instid0(VALU_DEP_1) | instskip(NEXT) | instid1(VALU_DEP_1)
	v_mad_co_u64_u32 v[32:33], null, 0x4e441529, v25, v[1:2]
	v_mov_b32_e32 v1, v33
	s_delay_alu instid0(VALU_DEP_2) | instskip(NEXT) | instid1(VALU_DEP_2)
	v_cndmask_b32_e64 v24, v32, v30, s4
	v_mad_co_u64_u32 v[33:34], null, 0xa2f9836e, v25, v[1:2]
	s_wait_alu 0xf1ff
	v_cndmask_b32_e64 v1, 0, 0xffffffe0, s6
	s_delay_alu instid0(VALU_DEP_1) | instskip(NEXT) | instid1(VALU_DEP_3)
	v_add_nc_u32_e32 v1, v1, v9
	v_cndmask_b32_e64 v26, v33, v31, s4
	s_delay_alu instid0(VALU_DEP_4)
	v_cndmask_b32_e64 v32, v34, v32, s4
	v_cndmask_b32_e64 v31, v31, v29, s4
	;; [unrolled: 1-line block ×3, first 2 shown]
	v_sub_nc_u32_e32 v30, 32, v1
	v_cndmask_b32_e64 v28, v26, v24, s5
	v_cndmask_b32_e64 v26, v32, v26, s5
	;; [unrolled: 1-line block ×4, first 2 shown]
	v_cmp_eq_u32_e64 s4, 0, v1
	v_cndmask_b32_e64 v8, v9, v8, s5
	v_cndmask_b32_e64 v26, v26, v28, s6
	;; [unrolled: 1-line block ×4, first 2 shown]
	s_delay_alu instid0(VALU_DEP_4) | instskip(NEXT) | instid1(VALU_DEP_3)
	v_cndmask_b32_e64 v8, v31, v8, s6
	v_alignbit_b32 v32, v26, v28, v30
	s_delay_alu instid0(VALU_DEP_3) | instskip(NEXT) | instid1(VALU_DEP_3)
	v_alignbit_b32 v29, v28, v24, v30
	v_alignbit_b32 v30, v24, v8, v30
	s_wait_alu 0xf1ff
	s_delay_alu instid0(VALU_DEP_3) | instskip(NEXT) | instid1(VALU_DEP_3)
	v_cndmask_b32_e64 v1, v32, v26, s4
	v_cndmask_b32_e64 v9, v29, v28, s4
	s_delay_alu instid0(VALU_DEP_3) | instskip(NEXT) | instid1(VALU_DEP_3)
	v_cndmask_b32_e64 v24, v30, v24, s4
	v_bfe_u32 v26, v1, 29, 1
	s_delay_alu instid0(VALU_DEP_3) | instskip(NEXT) | instid1(VALU_DEP_3)
	v_alignbit_b32 v28, v1, v9, 30
	v_alignbit_b32 v9, v9, v24, 30
	;; [unrolled: 1-line block ×3, first 2 shown]
	s_delay_alu instid0(VALU_DEP_4) | instskip(NEXT) | instid1(VALU_DEP_1)
	v_sub_nc_u32_e32 v29, 0, v26
	v_xor_b32_e32 v28, v28, v29
	s_delay_alu instid0(VALU_DEP_4) | instskip(NEXT) | instid1(VALU_DEP_4)
	v_xor_b32_e32 v9, v9, v29
	v_xor_b32_e32 v8, v8, v29
	v_lshrrev_b32_e32 v29, 29, v1
	v_lshrrev_b32_e32 v1, 30, v1
	v_clz_i32_u32_e32 v30, v28
	s_delay_alu instid0(VALU_DEP_1) | instskip(NEXT) | instid1(VALU_DEP_1)
	v_min_u32_e32 v30, 32, v30
	v_sub_nc_u32_e32 v24, 31, v30
	v_lshlrev_b32_e32 v31, 23, v30
	s_delay_alu instid0(VALU_DEP_2) | instskip(SKIP_2) | instid1(VALU_DEP_2)
	v_alignbit_b32 v28, v28, v9, v24
	v_alignbit_b32 v8, v9, v8, v24
	v_lshlrev_b32_e32 v9, 31, v29
	v_alignbit_b32 v24, v28, v8, 9
	s_delay_alu instid0(VALU_DEP_2) | instskip(SKIP_2) | instid1(VALU_DEP_4)
	v_or_b32_e32 v29, 0.5, v9
	v_lshrrev_b32_e32 v28, 9, v28
	v_or_b32_e32 v9, 0x33000000, v9
	v_clz_i32_u32_e32 v32, v24
	s_delay_alu instid0(VALU_DEP_4) | instskip(NEXT) | instid1(VALU_DEP_2)
	v_sub_nc_u32_e32 v29, v29, v31
	v_min_u32_e32 v31, 32, v32
	s_delay_alu instid0(VALU_DEP_2) | instskip(NEXT) | instid1(VALU_DEP_2)
	v_or_b32_e32 v28, v28, v29
	v_not_b32_e32 v29, v31
	s_delay_alu instid0(VALU_DEP_2) | instskip(SKIP_1) | instid1(VALU_DEP_3)
	v_mul_f32_e32 v32, 0x3fc90fda, v28
	v_add_lshl_u32 v30, v31, v30, 23
	v_alignbit_b32 v8, v24, v8, v29
	s_delay_alu instid0(VALU_DEP_3) | instskip(NEXT) | instid1(VALU_DEP_3)
	v_fma_f32 v24, 0x3fc90fda, v28, -v32
	v_sub_nc_u32_e32 v9, v9, v30
	s_delay_alu instid0(VALU_DEP_3) | instskip(NEXT) | instid1(VALU_DEP_3)
	v_lshrrev_b32_e32 v8, 9, v8
	v_fmac_f32_e32 v24, 0x33a22168, v28
	s_delay_alu instid0(VALU_DEP_2) | instskip(NEXT) | instid1(VALU_DEP_1)
	v_or_b32_e32 v8, v9, v8
	v_dual_fmac_f32 v24, 0x3fc90fda, v8 :: v_dual_add_nc_u32 v9, v26, v1
	s_delay_alu instid0(VALU_DEP_1)
	v_add_f32_e32 v8, v32, v24
.LBB347_101:                            ;   in Loop: Header=BB347_73 Depth=3
	s_or_saveexec_b32 s4, s35
	v_mul_f32_e64 v1, 0x3f22f983, |v22|
	s_delay_alu instid0(VALU_DEP_1)
	v_rndne_f32_e32 v1, v1
	s_wait_alu 0xfffe
	s_xor_b32 exec_lo, exec_lo, s4
; %bb.102:                              ;   in Loop: Header=BB347_73 Depth=3
	s_delay_alu instid0(VALU_DEP_1) | instskip(SKIP_1) | instid1(VALU_DEP_2)
	v_fma_f32 v8, 0xbfc90fda, v1, |v22|
	v_cvt_i32_f32_e32 v9, v1
	v_fmac_f32_e32 v8, 0xb3a22168, v1
	s_delay_alu instid0(VALU_DEP_1)
	v_fmac_f32_e32 v8, 0xa7c234c4, v1
; %bb.103:                              ;   in Loop: Header=BB347_73 Depth=3
	s_or_b32 exec_lo, exec_lo, s4
                                        ; implicit-def: $vgpr26
                                        ; implicit-def: $vgpr24
	s_and_saveexec_b32 s4, s34
	s_wait_alu 0xfffe
	s_xor_b32 s34, exec_lo, s4
	s_cbranch_execz .LBB347_105
; %bb.104:                              ;   in Loop: Header=BB347_73 Depth=3
	v_mad_co_u64_u32 v[28:29], null, 0xfe5163ab, v25, 0
	v_cmp_lt_u32_e64 s4, 63, v27
	s_wait_alu 0xf1ff
	s_delay_alu instid0(VALU_DEP_1) | instskip(NEXT) | instid1(VALU_DEP_1)
	v_cndmask_b32_e64 v24, 0, 0xffffffc0, s4
	v_dual_mov_b32 v1, v29 :: v_dual_add_nc_u32 v24, v24, v27
	s_delay_alu instid0(VALU_DEP_1) | instskip(NEXT) | instid1(VALU_DEP_2)
	v_mad_co_u64_u32 v[29:30], null, 0x3c439041, v25, v[1:2]
	v_cmp_lt_u32_e64 s5, 31, v24
	s_delay_alu instid0(VALU_DEP_2) | instskip(NEXT) | instid1(VALU_DEP_1)
	v_mov_b32_e32 v1, v30
	v_mad_co_u64_u32 v[30:31], null, 0xdb629599, v25, v[1:2]
	s_delay_alu instid0(VALU_DEP_1) | instskip(NEXT) | instid1(VALU_DEP_2)
	v_mov_b32_e32 v1, v31
	v_cndmask_b32_e64 v28, v30, v28, s4
	s_delay_alu instid0(VALU_DEP_2) | instskip(NEXT) | instid1(VALU_DEP_1)
	v_mad_co_u64_u32 v[31:32], null, 0xf534ddc0, v25, v[1:2]
	v_mov_b32_e32 v1, v32
	s_delay_alu instid0(VALU_DEP_1) | instskip(NEXT) | instid1(VALU_DEP_1)
	v_mad_co_u64_u32 v[32:33], null, 0xfc2757d1, v25, v[1:2]
	v_mov_b32_e32 v1, v33
	s_wait_alu 0xf1ff
	v_cndmask_b32_e64 v33, 0, 0xffffffe0, s5
	s_delay_alu instid0(VALU_DEP_2) | instskip(NEXT) | instid1(VALU_DEP_1)
	v_mad_co_u64_u32 v[26:27], null, 0x4e441529, v25, v[1:2]
	v_mov_b32_e32 v1, v27
	s_delay_alu instid0(VALU_DEP_3) | instskip(NEXT) | instid1(VALU_DEP_3)
	v_add_nc_u32_e32 v27, v33, v24
	v_cndmask_b32_e64 v33, v26, v31, s4
	s_delay_alu instid0(VALU_DEP_3) | instskip(NEXT) | instid1(VALU_DEP_3)
	v_mad_co_u64_u32 v[24:25], null, 0xa2f9836e, v25, v[1:2]
	v_cmp_lt_u32_e64 s6, 31, v27
	s_wait_alu 0xf1ff
	s_delay_alu instid0(VALU_DEP_1) | instskip(NEXT) | instid1(VALU_DEP_3)
	v_cndmask_b32_e64 v1, 0, 0xffffffe0, s6
	v_cndmask_b32_e64 v24, v24, v32, s4
	s_delay_alu instid0(VALU_DEP_4) | instskip(SKIP_1) | instid1(VALU_DEP_4)
	v_cndmask_b32_e64 v25, v25, v26, s4
	v_cndmask_b32_e64 v26, v32, v30, s4
	v_add_nc_u32_e32 v1, v1, v27
	v_cndmask_b32_e64 v27, v31, v29, s4
	v_cndmask_b32_e64 v29, v24, v33, s5
	;; [unrolled: 1-line block ×4, first 2 shown]
	v_sub_nc_u32_e32 v31, 32, v1
	v_cndmask_b32_e64 v26, v26, v27, s5
	v_cmp_eq_u32_e64 s4, 0, v1
	v_cndmask_b32_e64 v24, v24, v29, s6
	v_cndmask_b32_e64 v29, v29, v25, s6
	s_delay_alu instid0(VALU_DEP_4) | instskip(NEXT) | instid1(VALU_DEP_2)
	v_cndmask_b32_e64 v25, v25, v26, s6
	v_alignbit_b32 v32, v24, v29, v31
	s_delay_alu instid0(VALU_DEP_2) | instskip(SKIP_1) | instid1(VALU_DEP_2)
	v_alignbit_b32 v30, v29, v25, v31
	s_wait_alu 0xf1ff
	v_cndmask_b32_e64 v1, v32, v24, s4
	v_cndmask_b32_e64 v24, v27, v28, s5
	s_delay_alu instid0(VALU_DEP_3) | instskip(NEXT) | instid1(VALU_DEP_3)
	v_cndmask_b32_e64 v27, v30, v29, s4
	v_bfe_u32 v28, v1, 29, 1
	s_delay_alu instid0(VALU_DEP_3) | instskip(NEXT) | instid1(VALU_DEP_3)
	v_cndmask_b32_e64 v24, v26, v24, s6
	v_alignbit_b32 v26, v1, v27, 30
	s_delay_alu instid0(VALU_DEP_3) | instskip(NEXT) | instid1(VALU_DEP_3)
	v_sub_nc_u32_e32 v29, 0, v28
	v_alignbit_b32 v30, v25, v24, v31
	s_delay_alu instid0(VALU_DEP_2) | instskip(NEXT) | instid1(VALU_DEP_2)
	v_xor_b32_e32 v26, v26, v29
	v_cndmask_b32_e64 v25, v30, v25, s4
	s_delay_alu instid0(VALU_DEP_2) | instskip(NEXT) | instid1(VALU_DEP_2)
	v_clz_i32_u32_e32 v30, v26
	v_alignbit_b32 v27, v27, v25, 30
	v_alignbit_b32 v24, v25, v24, 30
	s_delay_alu instid0(VALU_DEP_3) | instskip(NEXT) | instid1(VALU_DEP_3)
	v_min_u32_e32 v30, 32, v30
	v_xor_b32_e32 v25, v27, v29
	s_delay_alu instid0(VALU_DEP_3) | instskip(SKIP_4) | instid1(VALU_DEP_2)
	v_xor_b32_e32 v24, v24, v29
	v_lshrrev_b32_e32 v29, 29, v1
	v_lshrrev_b32_e32 v1, 30, v1
	v_sub_nc_u32_e32 v27, 31, v30
	v_lshlrev_b32_e32 v31, 23, v30
	v_alignbit_b32 v26, v26, v25, v27
	v_alignbit_b32 v24, v25, v24, v27
	v_lshlrev_b32_e32 v25, 31, v29
	s_delay_alu instid0(VALU_DEP_2) | instskip(NEXT) | instid1(VALU_DEP_2)
	v_alignbit_b32 v27, v26, v24, 9
	v_or_b32_e32 v29, 0.5, v25
	v_lshrrev_b32_e32 v26, 9, v26
	v_or_b32_e32 v25, 0x33000000, v25
	s_delay_alu instid0(VALU_DEP_4) | instskip(NEXT) | instid1(VALU_DEP_4)
	v_clz_i32_u32_e32 v32, v27
	v_sub_nc_u32_e32 v29, v29, v31
	s_delay_alu instid0(VALU_DEP_2) | instskip(NEXT) | instid1(VALU_DEP_2)
	v_min_u32_e32 v31, 32, v32
	v_or_b32_e32 v26, v26, v29
	s_delay_alu instid0(VALU_DEP_2) | instskip(NEXT) | instid1(VALU_DEP_2)
	v_not_b32_e32 v29, v31
	v_mul_f32_e32 v32, 0x3fc90fda, v26
	v_add_lshl_u32 v30, v31, v30, 23
	s_delay_alu instid0(VALU_DEP_3) | instskip(NEXT) | instid1(VALU_DEP_3)
	v_alignbit_b32 v24, v27, v24, v29
	v_fma_f32 v27, 0x3fc90fda, v26, -v32
	s_delay_alu instid0(VALU_DEP_3) | instskip(NEXT) | instid1(VALU_DEP_3)
	v_sub_nc_u32_e32 v25, v25, v30
	v_lshrrev_b32_e32 v24, 9, v24
	s_delay_alu instid0(VALU_DEP_3) | instskip(NEXT) | instid1(VALU_DEP_2)
	v_dual_fmac_f32 v27, 0x33a22168, v26 :: v_dual_add_nc_u32 v26, v28, v1
                                        ; implicit-def: $vgpr1
	v_or_b32_e32 v24, v25, v24
	s_delay_alu instid0(VALU_DEP_1) | instskip(NEXT) | instid1(VALU_DEP_1)
	v_fmac_f32_e32 v27, 0x3fc90fda, v24
	v_add_f32_e32 v24, v32, v27
	s_and_not1_saveexec_b32 s4, s34
	s_cbranch_execnz .LBB347_106
	s_branch .LBB347_107
.LBB347_105:                            ;   in Loop: Header=BB347_73 Depth=3
	s_and_not1_saveexec_b32 s4, s34
.LBB347_106:                            ;   in Loop: Header=BB347_73 Depth=3
	v_fma_f32 v24, 0xbfc90fda, v1, |v22|
	v_cvt_i32_f32_e32 v26, v1
	s_delay_alu instid0(VALU_DEP_2) | instskip(NEXT) | instid1(VALU_DEP_1)
	v_fmac_f32_e32 v24, 0xb3a22168, v1
	v_fmac_f32_e32 v24, 0xa7c234c4, v1
.LBB347_107:                            ;   in Loop: Header=BB347_73 Depth=3
	s_wait_alu 0xfffe
	s_or_b32 exec_lo, exec_lo, s4
	v_and_b32_e32 v25, 0x7fffffff, v7
	v_cmp_ngt_f32_e64 s34, 0x48000000, |v7|
                                        ; implicit-def: $vgpr28
                                        ; implicit-def: $vgpr27
	s_delay_alu instid0(VALU_DEP_2) | instskip(SKIP_1) | instid1(VALU_DEP_2)
	v_lshrrev_b32_e32 v1, 23, v25
	v_and_or_b32 v29, v25, s19, 0x800000
	v_add_nc_u32_e32 v30, 0xffffff88, v1
	s_and_saveexec_b32 s4, s34
	s_wait_alu 0xfffe
	s_xor_b32 s35, exec_lo, s4
	s_cbranch_execz .LBB347_109
; %bb.108:                              ;   in Loop: Header=BB347_73 Depth=3
	v_mad_co_u64_u32 v[27:28], null, 0xfe5163ab, v29, 0
	v_cmp_lt_u32_e64 s4, 63, v30
	s_delay_alu instid0(VALU_DEP_2) | instskip(SKIP_1) | instid1(VALU_DEP_2)
	v_mov_b32_e32 v1, v28
	s_wait_alu 0xf1ff
	v_cndmask_b32_e64 v28, 0, 0xffffffc0, s4
	s_delay_alu instid0(VALU_DEP_1) | instskip(NEXT) | instid1(VALU_DEP_1)
	v_add_nc_u32_e32 v28, v28, v30
	v_cmp_lt_u32_e64 s5, 31, v28
	s_wait_alu 0xf1ff
	s_delay_alu instid0(VALU_DEP_1) | instskip(NEXT) | instid1(VALU_DEP_1)
	v_cndmask_b32_e64 v37, 0, 0xffffffe0, s5
	v_add_nc_u32_e32 v28, v37, v28
	v_mad_co_u64_u32 v[31:32], null, 0x3c439041, v29, v[1:2]
	s_delay_alu instid0(VALU_DEP_2) | instskip(NEXT) | instid1(VALU_DEP_2)
	v_cmp_lt_u32_e64 s6, 31, v28
	v_mov_b32_e32 v1, v32
	s_delay_alu instid0(VALU_DEP_1) | instskip(NEXT) | instid1(VALU_DEP_1)
	v_mad_co_u64_u32 v[32:33], null, 0xdb629599, v29, v[1:2]
	v_mov_b32_e32 v1, v33
	s_delay_alu instid0(VALU_DEP_2) | instskip(NEXT) | instid1(VALU_DEP_2)
	v_cndmask_b32_e64 v27, v32, v27, s4
	v_mad_co_u64_u32 v[33:34], null, 0xf534ddc0, v29, v[1:2]
	s_delay_alu instid0(VALU_DEP_1) | instskip(NEXT) | instid1(VALU_DEP_1)
	v_mov_b32_e32 v1, v34
	v_mad_co_u64_u32 v[34:35], null, 0xfc2757d1, v29, v[1:2]
	s_delay_alu instid0(VALU_DEP_1) | instskip(NEXT) | instid1(VALU_DEP_1)
	v_mov_b32_e32 v1, v35
	v_mad_co_u64_u32 v[35:36], null, 0x4e441529, v29, v[1:2]
	s_delay_alu instid0(VALU_DEP_1) | instskip(NEXT) | instid1(VALU_DEP_2)
	v_mov_b32_e32 v1, v36
	v_cndmask_b32_e64 v38, v35, v33, s4
	s_delay_alu instid0(VALU_DEP_2) | instskip(SKIP_2) | instid1(VALU_DEP_1)
	v_mad_co_u64_u32 v[36:37], null, 0xa2f9836e, v29, v[1:2]
	s_wait_alu 0xf1ff
	v_cndmask_b32_e64 v1, 0, 0xffffffe0, s6
	v_add_nc_u32_e32 v1, v1, v28
	s_delay_alu instid0(VALU_DEP_3) | instskip(NEXT) | instid1(VALU_DEP_4)
	v_cndmask_b32_e64 v36, v36, v34, s4
	v_cndmask_b32_e64 v35, v37, v35, s4
	;; [unrolled: 1-line block ×4, first 2 shown]
	v_cmp_eq_u32_e64 s4, 0, v1
	v_cndmask_b32_e64 v31, v36, v38, s5
	v_cndmask_b32_e64 v33, v35, v36, s5
	;; [unrolled: 1-line block ×3, first 2 shown]
	v_sub_nc_u32_e32 v36, 32, v1
	v_cndmask_b32_e64 v34, v34, v28, s5
	v_cndmask_b32_e64 v27, v28, v27, s5
	;; [unrolled: 1-line block ×4, first 2 shown]
	s_delay_alu instid0(VALU_DEP_4) | instskip(NEXT) | instid1(VALU_DEP_4)
	v_cndmask_b32_e64 v35, v35, v34, s6
	v_cndmask_b32_e64 v27, v34, v27, s6
	s_delay_alu instid0(VALU_DEP_3) | instskip(NEXT) | instid1(VALU_DEP_3)
	v_alignbit_b32 v37, v33, v31, v36
	v_alignbit_b32 v32, v31, v35, v36
	s_delay_alu instid0(VALU_DEP_3) | instskip(SKIP_1) | instid1(VALU_DEP_3)
	v_alignbit_b32 v34, v35, v27, v36
	s_wait_alu 0xf1ff
	v_cndmask_b32_e64 v1, v37, v33, s4
	s_delay_alu instid0(VALU_DEP_3) | instskip(NEXT) | instid1(VALU_DEP_3)
	v_cndmask_b32_e64 v28, v32, v31, s4
	v_cndmask_b32_e64 v34, v34, v35, s4
	s_delay_alu instid0(VALU_DEP_3) | instskip(NEXT) | instid1(VALU_DEP_3)
	v_bfe_u32 v31, v1, 29, 1
	v_alignbit_b32 v32, v1, v28, 30
	s_delay_alu instid0(VALU_DEP_3) | instskip(SKIP_1) | instid1(VALU_DEP_4)
	v_alignbit_b32 v28, v28, v34, 30
	v_alignbit_b32 v27, v34, v27, 30
	v_sub_nc_u32_e32 v33, 0, v31
	s_delay_alu instid0(VALU_DEP_1) | instskip(NEXT) | instid1(VALU_DEP_4)
	v_xor_b32_e32 v32, v32, v33
	v_xor_b32_e32 v28, v28, v33
	s_delay_alu instid0(VALU_DEP_4) | instskip(SKIP_3) | instid1(VALU_DEP_1)
	v_xor_b32_e32 v27, v27, v33
	v_lshrrev_b32_e32 v33, 29, v1
	v_lshrrev_b32_e32 v1, 30, v1
	v_clz_i32_u32_e32 v35, v32
	v_min_u32_e32 v35, 32, v35
	s_delay_alu instid0(VALU_DEP_1) | instskip(SKIP_1) | instid1(VALU_DEP_2)
	v_sub_nc_u32_e32 v34, 31, v35
	v_lshlrev_b32_e32 v36, 23, v35
	v_alignbit_b32 v32, v32, v28, v34
	v_alignbit_b32 v27, v28, v27, v34
	v_lshlrev_b32_e32 v28, 31, v33
	s_delay_alu instid0(VALU_DEP_2) | instskip(NEXT) | instid1(VALU_DEP_2)
	v_alignbit_b32 v33, v32, v27, 9
	v_or_b32_e32 v34, 0.5, v28
	v_lshrrev_b32_e32 v32, 9, v32
	v_or_b32_e32 v28, 0x33000000, v28
	s_delay_alu instid0(VALU_DEP_4) | instskip(NEXT) | instid1(VALU_DEP_4)
	v_clz_i32_u32_e32 v37, v33
	v_sub_nc_u32_e32 v34, v34, v36
	s_delay_alu instid0(VALU_DEP_2) | instskip(NEXT) | instid1(VALU_DEP_2)
	v_min_u32_e32 v36, 32, v37
	v_or_b32_e32 v32, v32, v34
	s_delay_alu instid0(VALU_DEP_2) | instskip(NEXT) | instid1(VALU_DEP_2)
	v_not_b32_e32 v34, v36
	v_mul_f32_e32 v37, 0x3fc90fda, v32
	v_add_lshl_u32 v35, v36, v35, 23
	s_delay_alu instid0(VALU_DEP_3) | instskip(NEXT) | instid1(VALU_DEP_3)
	v_alignbit_b32 v27, v33, v27, v34
	v_fma_f32 v33, 0x3fc90fda, v32, -v37
	s_delay_alu instid0(VALU_DEP_3) | instskip(NEXT) | instid1(VALU_DEP_3)
	v_sub_nc_u32_e32 v28, v28, v35
	v_lshrrev_b32_e32 v27, 9, v27
	s_delay_alu instid0(VALU_DEP_3) | instskip(NEXT) | instid1(VALU_DEP_2)
	v_fmac_f32_e32 v33, 0x33a22168, v32
	v_or_b32_e32 v27, v28, v27
	s_delay_alu instid0(VALU_DEP_1) | instskip(NEXT) | instid1(VALU_DEP_1)
	v_dual_fmac_f32 v33, 0x3fc90fda, v27 :: v_dual_add_nc_u32 v28, v31, v1
	v_add_f32_e32 v27, v37, v33
.LBB347_109:                            ;   in Loop: Header=BB347_73 Depth=3
	s_or_saveexec_b32 s4, s35
	v_mul_f32_e64 v1, 0x3f22f983, |v7|
	s_delay_alu instid0(VALU_DEP_1)
	v_rndne_f32_e32 v32, v1
	s_wait_alu 0xfffe
	s_xor_b32 exec_lo, exec_lo, s4
; %bb.110:                              ;   in Loop: Header=BB347_73 Depth=3
	s_delay_alu instid0(VALU_DEP_1) | instskip(SKIP_1) | instid1(VALU_DEP_2)
	v_fma_f32 v27, 0xbfc90fda, v32, |v7|
	v_cvt_i32_f32_e32 v28, v32
	v_fmac_f32_e32 v27, 0xb3a22168, v32
	s_delay_alu instid0(VALU_DEP_1)
	v_fmac_f32_e32 v27, 0xa7c234c4, v32
; %bb.111:                              ;   in Loop: Header=BB347_73 Depth=3
	s_or_b32 exec_lo, exec_lo, s4
                                        ; implicit-def: $vgpr31
                                        ; implicit-def: $vgpr1
	s_and_saveexec_b32 s4, s34
	s_wait_alu 0xfffe
	s_xor_b32 s34, exec_lo, s4
	s_cbranch_execz .LBB347_113
; %bb.112:                              ;   in Loop: Header=BB347_73 Depth=3
	v_mad_co_u64_u32 v[31:32], null, 0xfe5163ab, v29, 0
	v_cmp_lt_u32_e64 s4, 63, v30
	s_wait_alu 0xf1ff
	s_delay_alu instid0(VALU_DEP_1) | instskip(NEXT) | instid1(VALU_DEP_1)
	v_cndmask_b32_e64 v37, 0, 0xffffffc0, s4
	v_dual_mov_b32 v1, v32 :: v_dual_add_nc_u32 v30, v37, v30
	s_delay_alu instid0(VALU_DEP_1) | instskip(NEXT) | instid1(VALU_DEP_2)
	v_mad_co_u64_u32 v[32:33], null, 0x3c439041, v29, v[1:2]
	v_cmp_lt_u32_e64 s5, 31, v30
	s_delay_alu instid0(VALU_DEP_2) | instskip(SKIP_1) | instid1(VALU_DEP_2)
	v_mov_b32_e32 v1, v33
	s_wait_alu 0xf1ff
	v_cndmask_b32_e64 v38, 0, 0xffffffe0, s5
	s_delay_alu instid0(VALU_DEP_2) | instskip(NEXT) | instid1(VALU_DEP_1)
	v_mad_co_u64_u32 v[33:34], null, 0xdb629599, v29, v[1:2]
	v_mov_b32_e32 v1, v34
	s_delay_alu instid0(VALU_DEP_2) | instskip(NEXT) | instid1(VALU_DEP_2)
	v_cndmask_b32_e64 v31, v33, v31, s4
	v_mad_co_u64_u32 v[34:35], null, 0xf534ddc0, v29, v[1:2]
	s_delay_alu instid0(VALU_DEP_1) | instskip(NEXT) | instid1(VALU_DEP_2)
	v_mov_b32_e32 v1, v35
	v_cndmask_b32_e64 v32, v34, v32, s4
	s_delay_alu instid0(VALU_DEP_2) | instskip(NEXT) | instid1(VALU_DEP_1)
	v_mad_co_u64_u32 v[35:36], null, 0xfc2757d1, v29, v[1:2]
	v_mov_b32_e32 v1, v36
	s_delay_alu instid0(VALU_DEP_1) | instskip(NEXT) | instid1(VALU_DEP_1)
	v_mad_co_u64_u32 v[36:37], null, 0x4e441529, v29, v[1:2]
	v_mov_b32_e32 v1, v37
	v_add_nc_u32_e32 v37, v38, v30
	s_delay_alu instid0(VALU_DEP_3) | instskip(NEXT) | instid1(VALU_DEP_3)
	v_cndmask_b32_e64 v38, v36, v34, s4
	v_mad_co_u64_u32 v[29:30], null, 0xa2f9836e, v29, v[1:2]
	s_delay_alu instid0(VALU_DEP_3) | instskip(SKIP_1) | instid1(VALU_DEP_1)
	v_cmp_lt_u32_e64 s6, 31, v37
	s_wait_alu 0xf1ff
	v_cndmask_b32_e64 v1, 0, 0xffffffe0, s6
	s_delay_alu instid0(VALU_DEP_3) | instskip(NEXT) | instid1(VALU_DEP_4)
	v_cndmask_b32_e64 v29, v29, v35, s4
	v_cndmask_b32_e64 v30, v30, v36, s4
	;; [unrolled: 1-line block ×3, first 2 shown]
	s_delay_alu instid0(VALU_DEP_4) | instskip(NEXT) | instid1(VALU_DEP_4)
	v_add_nc_u32_e32 v1, v1, v37
	v_cndmask_b32_e64 v34, v29, v38, s5
	s_delay_alu instid0(VALU_DEP_4) | instskip(NEXT) | instid1(VALU_DEP_4)
	v_cndmask_b32_e64 v29, v30, v29, s5
	v_cndmask_b32_e64 v30, v38, v35, s5
	;; [unrolled: 1-line block ×3, first 2 shown]
	v_sub_nc_u32_e32 v36, 32, v1
	v_cmp_eq_u32_e64 s4, 0, v1
	v_cndmask_b32_e64 v29, v29, v34, s6
	v_cndmask_b32_e64 v34, v34, v30, s6
	;; [unrolled: 1-line block ×3, first 2 shown]
	s_delay_alu instid0(VALU_DEP_2) | instskip(NEXT) | instid1(VALU_DEP_2)
	v_alignbit_b32 v37, v29, v34, v36
	v_alignbit_b32 v33, v34, v30, v36
	s_wait_alu 0xf1ff
	s_delay_alu instid0(VALU_DEP_2) | instskip(SKIP_1) | instid1(VALU_DEP_3)
	v_cndmask_b32_e64 v1, v37, v29, s4
	v_cndmask_b32_e64 v29, v32, v31, s5
	;; [unrolled: 1-line block ×3, first 2 shown]
	s_delay_alu instid0(VALU_DEP_3) | instskip(NEXT) | instid1(VALU_DEP_3)
	v_bfe_u32 v32, v1, 29, 1
	v_cndmask_b32_e64 v29, v35, v29, s6
	s_delay_alu instid0(VALU_DEP_3) | instskip(NEXT) | instid1(VALU_DEP_3)
	v_alignbit_b32 v33, v1, v31, 30
	v_sub_nc_u32_e32 v34, 0, v32
	s_delay_alu instid0(VALU_DEP_3) | instskip(NEXT) | instid1(VALU_DEP_2)
	v_alignbit_b32 v35, v30, v29, v36
	v_xor_b32_e32 v33, v33, v34
	s_delay_alu instid0(VALU_DEP_2) | instskip(NEXT) | instid1(VALU_DEP_2)
	v_cndmask_b32_e64 v30, v35, v30, s4
	v_clz_i32_u32_e32 v35, v33
	s_delay_alu instid0(VALU_DEP_2) | instskip(SKIP_1) | instid1(VALU_DEP_3)
	v_alignbit_b32 v31, v31, v30, 30
	v_alignbit_b32 v29, v30, v29, 30
	v_min_u32_e32 v35, 32, v35
	s_delay_alu instid0(VALU_DEP_3) | instskip(NEXT) | instid1(VALU_DEP_3)
	v_xor_b32_e32 v30, v31, v34
	v_xor_b32_e32 v29, v29, v34
	v_lshrrev_b32_e32 v34, 29, v1
	s_delay_alu instid0(VALU_DEP_4) | instskip(SKIP_1) | instid1(VALU_DEP_2)
	v_sub_nc_u32_e32 v31, 31, v35
	v_lshlrev_b32_e32 v36, 23, v35
	v_alignbit_b32 v33, v33, v30, v31
	v_alignbit_b32 v29, v30, v29, v31
	v_lshlrev_b32_e32 v30, 31, v34
	s_delay_alu instid0(VALU_DEP_2) | instskip(NEXT) | instid1(VALU_DEP_2)
	v_alignbit_b32 v31, v33, v29, 9
	v_or_b32_e32 v34, 0.5, v30
	v_lshrrev_b32_e32 v33, 9, v33
	v_or_b32_e32 v30, 0x33000000, v30
	s_delay_alu instid0(VALU_DEP_4) | instskip(NEXT) | instid1(VALU_DEP_4)
	v_clz_i32_u32_e32 v37, v31
	v_sub_nc_u32_e32 v34, v34, v36
	s_delay_alu instid0(VALU_DEP_2) | instskip(NEXT) | instid1(VALU_DEP_2)
	v_min_u32_e32 v36, 32, v37
	v_or_b32_e32 v33, v33, v34
	s_delay_alu instid0(VALU_DEP_2) | instskip(NEXT) | instid1(VALU_DEP_2)
	v_not_b32_e32 v34, v36
	v_mul_f32_e32 v37, 0x3fc90fda, v33
	v_add_lshl_u32 v35, v36, v35, 23
	s_delay_alu instid0(VALU_DEP_3) | instskip(NEXT) | instid1(VALU_DEP_3)
	v_alignbit_b32 v29, v31, v29, v34
	v_fma_f32 v31, 0x3fc90fda, v33, -v37
	s_delay_alu instid0(VALU_DEP_3) | instskip(NEXT) | instid1(VALU_DEP_3)
	v_sub_nc_u32_e32 v30, v30, v35
	v_lshrrev_b32_e32 v29, 9, v29
	s_delay_alu instid0(VALU_DEP_3) | instskip(NEXT) | instid1(VALU_DEP_2)
	v_fmac_f32_e32 v31, 0x33a22168, v33
	v_or_b32_e32 v29, v30, v29
	s_delay_alu instid0(VALU_DEP_1) | instskip(SKIP_1) | instid1(VALU_DEP_2)
	v_fmac_f32_e32 v31, 0x3fc90fda, v29
	v_lshrrev_b32_e32 v29, 30, v1
	v_add_f32_e32 v1, v37, v31
	s_delay_alu instid0(VALU_DEP_2)
	v_add_nc_u32_e32 v31, v32, v29
                                        ; implicit-def: $vgpr32
	s_and_not1_saveexec_b32 s4, s34
	s_cbranch_execnz .LBB347_114
	s_branch .LBB347_115
.LBB347_113:                            ;   in Loop: Header=BB347_73 Depth=3
	s_and_not1_saveexec_b32 s4, s34
.LBB347_114:                            ;   in Loop: Header=BB347_73 Depth=3
	v_fma_f32 v1, 0xbfc90fda, v32, |v7|
	v_cvt_i32_f32_e32 v31, v32
	s_delay_alu instid0(VALU_DEP_2) | instskip(NEXT) | instid1(VALU_DEP_1)
	v_fmac_f32_e32 v1, 0xb3a22168, v32
	v_fmac_f32_e32 v1, 0xa7c234c4, v32
.LBB347_115:                            ;   in Loop: Header=BB347_73 Depth=3
	s_wait_alu 0xfffe
	s_or_b32 exec_lo, exec_lo, s4
	v_dual_mul_f32 v29, v8, v8 :: v_dual_lshlrev_b32 v30, 30, v9
	v_dual_mul_f32 v32, v24, v24 :: v_dual_and_b32 v9, 1, v9
	v_xor_b32_e32 v6, v6, v23
	s_delay_alu instid0(VALU_DEP_3) | instskip(SKIP_1) | instid1(VALU_DEP_4)
	v_fmaak_f32 v34, s20, v29, 0xbab64f3b
	v_dual_fmaak_f32 v33, s21, v29, 0x3c0881c4 :: v_dual_and_b32 v36, 1, v26
	v_dual_fmaak_f32 v23, s21, v32, 0x3c0881c4 :: v_dual_lshlrev_b32 v26, 30, v26
	v_fmaak_f32 v35, s20, v32, 0xbab64f3b
	s_delay_alu instid0(VALU_DEP_4)
	v_fmaak_f32 v34, v29, v34, 0x3d2aabf7
	v_cmp_eq_u32_e64 s4, 0, v9
	v_mul_f32_e32 v9, v27, v27
	v_fmaak_f32 v23, v32, v23, 0xbe2aaa9d
	v_fmaak_f32 v35, v32, v35, 0x3d2aabf7
	;; [unrolled: 1-line block ×3, first 2 shown]
	v_xor_b32_e32 v25, v25, v7
	v_cmp_class_f32_e64 s5, v7, 0x1f8
	v_mul_f32_e32 v23, v32, v23
	v_fmaak_f32 v33, v29, v33, 0xbe2aaa9d
	v_and_b32_e32 v30, 0x80000000, v30
	s_delay_alu instid0(VALU_DEP_2) | instskip(SKIP_1) | instid1(VALU_DEP_2)
	v_dual_fmac_f32 v24, v24, v23 :: v_dual_mul_f32 v33, v29, v33
	v_fma_f32 v29, v29, v34, 1.0
	v_dual_fmac_f32 v8, v8, v33 :: v_dual_lshlrev_b32 v33, 30, v28
	v_and_b32_e32 v28, 1, v28
	s_wait_alu 0xf1ff
	s_delay_alu instid0(VALU_DEP_2) | instskip(SKIP_2) | instid1(VALU_DEP_3)
	v_cndmask_b32_e64 v8, v29, v8, s4
	v_mul_f32_e32 v29, v1, v1
	v_cmp_eq_u32_e64 s4, 0, v36
	v_xor3_b32 v6, v6, v30, v8
	v_and_b32_e32 v8, 0x80000000, v26
	v_fmaak_f32 v35, v32, v35, 0xbf000004
	v_fmaak_f32 v30, s21, v29, 0x3c0881c4
	s_delay_alu instid0(VALU_DEP_2) | instskip(NEXT) | instid1(VALU_DEP_2)
	v_fma_f32 v23, v32, v35, 1.0
	v_fmaak_f32 v30, v29, v30, 0xbe2aaa9d
	v_and_b32_e32 v33, 0x80000000, v33
	v_fmaak_f32 v32, s20, v29, 0xbab64f3b
	s_wait_alu 0xf1ff
	v_cndmask_b32_e64 v23, -v24, v23, s4
	v_mul_f32_e32 v30, v29, v30
	v_fmaak_f32 v24, s21, v9, 0x3c0881c4
	v_fmaak_f32 v32, v29, v32, 0x3d2aabf7
	v_cmp_eq_u32_e64 s4, 0, v28
	v_xor_b32_e32 v8, v8, v23
	v_fmac_f32_e32 v1, v1, v30
	v_fmaak_f32 v24, v9, v24, 0xbe2aaa9d
	v_fmaak_f32 v32, v29, v32, 0xbf000004
	s_delay_alu instid0(VALU_DEP_2) | instskip(NEXT) | instid1(VALU_DEP_1)
	v_mul_f32_e32 v24, v9, v24
	v_dual_fmaak_f32 v26, s20, v9, 0xbab64f3b :: v_dual_fmac_f32 v27, v27, v24
	s_delay_alu instid0(VALU_DEP_1) | instskip(NEXT) | instid1(VALU_DEP_4)
	v_fmaak_f32 v26, v9, v26, 0x3d2aabf7
	v_fma_f32 v24, v29, v32, 1.0
	s_delay_alu instid0(VALU_DEP_2) | instskip(NEXT) | instid1(VALU_DEP_1)
	v_dual_fmaak_f32 v26, v9, v26, 0xbf000004 :: v_dual_lshlrev_b32 v29, 30, v31
	v_fma_f32 v9, v9, v26, 1.0
	v_and_b32_e32 v26, 1, v31
	s_wait_alu 0xf1ff
	s_delay_alu instid0(VALU_DEP_2) | instskip(NEXT) | instid1(VALU_DEP_2)
	v_cndmask_b32_e64 v9, v9, v27, s4
	v_cmp_eq_u32_e64 s4, 0, v26
	s_delay_alu instid0(VALU_DEP_2) | instskip(SKIP_1) | instid1(VALU_DEP_2)
	v_xor3_b32 v9, v25, v33, v9
	s_wait_alu 0xf1ff
	v_cndmask_b32_e64 v1, -v1, v24, s4
	v_and_b32_e32 v24, 0x80000000, v29
	v_cmp_class_f32_e64 s4, v22, 0x1f8
	s_delay_alu instid0(VALU_DEP_2) | instskip(SKIP_1) | instid1(VALU_DEP_2)
	v_xor_b32_e32 v1, v24, v1
	s_wait_alu 0xf1ff
	v_cndmask_b32_e64 v7, 0x7fc00000, v8, s4
	v_cndmask_b32_e64 v6, 0x7fc00000, v6, s4
	;; [unrolled: 1-line block ×4, first 2 shown]
	s_delay_alu instid0(VALU_DEP_4) | instskip(SKIP_1) | instid1(VALU_DEP_3)
	v_mul_f32_e32 v9, 0x7f800000, v7
	v_cmp_neq_f32_e64 s4, 0, v7
	v_mul_f32_e32 v22, 0x7f800000, v1
	s_wait_alu 0xf1ff
	s_delay_alu instid0(VALU_DEP_2) | instskip(SKIP_3) | instid1(VALU_DEP_2)
	v_cndmask_b32_e64 v7, 0, v9, s4
	v_cmp_neq_f32_e64 s4, 0, v1
	v_mul_f32_e32 v9, 0x7f800000, v6
	s_wait_alu 0xf1ff
	v_cndmask_b32_e64 v1, 0, v22, s4
	v_cmp_neq_f32_e64 s4, 0, v6
	s_delay_alu instid0(VALU_DEP_2) | instskip(SKIP_2) | instid1(VALU_DEP_3)
	v_add_f32_e32 v7, v7, v1
	v_mul_f32_e32 v23, 0x7f800000, v8
	s_wait_alu 0xf1ff
	v_cndmask_b32_e64 v6, 0, v9, s4
	v_cmp_neq_f32_e64 s4, 0, v8
	v_add_f32_e32 v24, -1.0, v7
	s_wait_alu 0xf1ff
	s_delay_alu instid0(VALU_DEP_2) | instskip(NEXT) | instid1(VALU_DEP_1)
	v_cndmask_b32_e64 v8, 0, v23, s4
	v_add_f32_e32 v1, v6, v8
	s_delay_alu instid0(VALU_DEP_1) | instskip(NEXT) | instid1(VALU_DEP_1)
	v_max_num_f32_e64 v8, |v24|, |v1|
	v_cvt_f64_f32_e32 v[6:7], v8
	v_cmp_eq_f32_e64 s4, 0x7f800000, v8
	s_delay_alu instid0(VALU_DEP_2) | instskip(NEXT) | instid1(VALU_DEP_1)
	v_frexp_exp_i32_f64_e32 v6, v[6:7]
	v_sub_nc_u32_e32 v7, 0, v6
	s_delay_alu instid0(VALU_DEP_1) | instskip(SKIP_1) | instid1(VALU_DEP_2)
	v_ldexp_f32 v9, |v1|, v7
	v_ldexp_f32 v7, |v24|, v7
	v_mul_f32_e32 v9, v9, v9
	s_delay_alu instid0(VALU_DEP_1) | instskip(NEXT) | instid1(VALU_DEP_1)
	v_fmac_f32_e32 v9, v7, v7
	v_sqrt_f32_e32 v7, v9
	s_delay_alu instid0(TRANS32_DEP_1) | instskip(SKIP_1) | instid1(VALU_DEP_2)
	v_ldexp_f32 v7, v7, v6
	v_add_f32_e32 v6, 1.0, v24
	v_cmp_ngt_f32_e64 s5, 0.5, v7
	s_delay_alu instid0(VALU_DEP_2)
	v_max_num_f32_e64 v7, |v6|, |v1|
	s_or_b32 s4, s4, s5
	s_wait_alu 0xfffe
	s_and_saveexec_b32 s5, s4
	s_wait_alu 0xfffe
	s_xor_b32 s6, exec_lo, s5
	s_cbranch_execz .LBB347_117
; %bb.116:                              ;   in Loop: Header=BB347_73 Depth=3
	v_cvt_f64_f32_e32 v[8:9], v7
	v_cmp_neq_f32_e64 s4, 0x7f800000, v7
	s_delay_alu instid0(VALU_DEP_2) | instskip(NEXT) | instid1(VALU_DEP_1)
	v_frexp_exp_i32_f64_e32 v8, v[8:9]
	v_sub_nc_u32_e32 v9, 0, v8
	s_delay_alu instid0(VALU_DEP_1) | instskip(SKIP_1) | instid1(VALU_DEP_2)
	v_ldexp_f32 v22, |v1|, v9
	v_ldexp_f32 v9, |v6|, v9
	v_mul_f32_e32 v22, v22, v22
	s_delay_alu instid0(VALU_DEP_1) | instskip(NEXT) | instid1(VALU_DEP_1)
	v_fmac_f32_e32 v22, v9, v9
	v_sqrt_f32_e32 v9, v22
	s_delay_alu instid0(TRANS32_DEP_1) | instskip(SKIP_1) | instid1(VALU_DEP_1)
	v_ldexp_f32 v8, v9, v8
	s_wait_alu 0xf1ff
	v_cndmask_b32_e64 v8, 0x7f800000, v8, s4
	s_delay_alu instid0(VALU_DEP_1) | instskip(SKIP_1) | instid1(VALU_DEP_1)
	v_cmp_gt_f32_e64 s4, 0x800000, v8
	s_wait_alu 0xf1ff
	v_cndmask_b32_e64 v9, 0, 32, s4
	s_delay_alu instid0(VALU_DEP_1) | instskip(NEXT) | instid1(VALU_DEP_1)
	v_ldexp_f32 v8, v8, v9
	v_log_f32_e32 v8, v8
	s_delay_alu instid0(TRANS32_DEP_1) | instskip(SKIP_1) | instid1(VALU_DEP_2)
	v_mul_f32_e32 v9, 0x3f317217, v8
	v_cmp_gt_f32_e64 s5, 0x7f800000, |v8|
	v_fma_f32 v9, 0x3f317217, v8, -v9
	s_delay_alu instid0(VALU_DEP_1) | instskip(NEXT) | instid1(VALU_DEP_1)
	v_fmac_f32_e32 v9, 0x3377d1cf, v8
	v_fmac_f32_e32 v9, 0x3f317217, v8
	s_wait_alu 0xf1ff
	s_delay_alu instid0(VALU_DEP_1) | instskip(SKIP_1) | instid1(VALU_DEP_1)
	v_cndmask_b32_e64 v8, v8, v9, s5
	v_cndmask_b32_e64 v9, 0, 0x41b17218, s4
	v_sub_f32_e32 v24, v8, v9
.LBB347_117:                            ;   in Loop: Header=BB347_73 Depth=3
	s_wait_alu 0xfffe
	s_and_not1_saveexec_b32 s5, s6
	s_cbranch_execz .LBB347_68
; %bb.118:                              ;   in Loop: Header=BB347_73 Depth=3
	s_delay_alu instid0(VALU_DEP_1) | instskip(SKIP_1) | instid1(VALU_DEP_1)
	v_add_f32_e32 v8, 2.0, v24
	s_mov_b32 s6, exec_lo
	v_mul_f32_e32 v8, v24, v8
	s_delay_alu instid0(VALU_DEP_1) | instskip(NEXT) | instid1(VALU_DEP_1)
	v_fmac_f32_e32 v8, v1, v1
	v_cmpx_neq_f32_e32 0, v8
	s_cbranch_execz .LBB347_67
; %bb.119:                              ;   in Loop: Header=BB347_73 Depth=3
	v_add_f32_e32 v9, 1.0, v8
	s_delay_alu instid0(VALU_DEP_1) | instskip(NEXT) | instid1(VALU_DEP_1)
	v_cvt_f64_f32_e32 v[22:23], v9
	v_frexp_exp_i32_f64_e32 v22, v[22:23]
	v_frexp_mant_f32_e32 v23, v9
	s_delay_alu instid0(VALU_DEP_1) | instskip(SKIP_1) | instid1(VALU_DEP_1)
	v_cmp_gt_f32_e64 s4, 0x3f2aaaab, v23
	v_add_f32_e32 v23, -1.0, v9
	v_sub_f32_e32 v25, v23, v9
	s_delay_alu instid0(VALU_DEP_1) | instskip(SKIP_3) | instid1(VALU_DEP_2)
	v_add_f32_e32 v25, 1.0, v25
	s_wait_alu 0xf1ff
	v_subrev_co_ci_u32_e64 v22, null, 0, v22, s4
	v_cmp_neq_f32_e64 s4, 0x7f800000, v8
	v_sub_nc_u32_e32 v24, 0, v22
	v_cvt_f32_i32_e32 v22, v22
	s_delay_alu instid0(VALU_DEP_2) | instskip(NEXT) | instid1(VALU_DEP_1)
	v_ldexp_f32 v9, v9, v24
	v_dual_sub_f32 v23, v8, v23 :: v_dual_add_f32 v26, 1.0, v9
	s_delay_alu instid0(VALU_DEP_1) | instskip(NEXT) | instid1(VALU_DEP_2)
	v_add_f32_e32 v23, v23, v25
	v_add_f32_e32 v25, -1.0, v26
	s_delay_alu instid0(VALU_DEP_2) | instskip(SKIP_1) | instid1(VALU_DEP_3)
	v_ldexp_f32 v23, v23, v24
	v_add_f32_e32 v24, -1.0, v9
	v_sub_f32_e32 v25, v9, v25
	s_delay_alu instid0(VALU_DEP_2) | instskip(NEXT) | instid1(VALU_DEP_2)
	v_add_f32_e32 v27, 1.0, v24
	v_add_f32_e32 v25, v23, v25
	s_delay_alu instid0(VALU_DEP_2) | instskip(NEXT) | instid1(VALU_DEP_2)
	v_sub_f32_e32 v9, v9, v27
	v_add_f32_e32 v27, v26, v25
	s_delay_alu instid0(VALU_DEP_2) | instskip(NEXT) | instid1(VALU_DEP_2)
	v_add_f32_e32 v9, v23, v9
	v_rcp_f32_e32 v23, v27
	v_sub_f32_e32 v26, v27, v26
	s_delay_alu instid0(VALU_DEP_1) | instskip(NEXT) | instid1(VALU_DEP_1)
	v_dual_add_f32 v28, v24, v9 :: v_dual_sub_f32 v25, v25, v26
	v_sub_f32_e32 v24, v28, v24
	s_delay_alu instid0(TRANS32_DEP_1) | instskip(NEXT) | instid1(VALU_DEP_1)
	v_mul_f32_e32 v29, v28, v23
	v_dual_sub_f32 v9, v9, v24 :: v_dual_mul_f32 v30, v27, v29
	s_delay_alu instid0(VALU_DEP_1) | instskip(NEXT) | instid1(VALU_DEP_1)
	v_fma_f32 v26, v29, v27, -v30
	v_fmac_f32_e32 v26, v29, v25
	s_delay_alu instid0(VALU_DEP_1) | instskip(NEXT) | instid1(VALU_DEP_1)
	v_add_f32_e32 v31, v30, v26
	v_sub_f32_e32 v32, v28, v31
	v_sub_f32_e32 v24, v31, v30
	s_delay_alu instid0(VALU_DEP_2) | instskip(NEXT) | instid1(VALU_DEP_2)
	v_sub_f32_e32 v28, v28, v32
	v_sub_f32_e32 v24, v24, v26
	s_delay_alu instid0(VALU_DEP_2) | instskip(NEXT) | instid1(VALU_DEP_1)
	v_sub_f32_e32 v28, v28, v31
	v_add_f32_e32 v9, v9, v28
	s_delay_alu instid0(VALU_DEP_1) | instskip(NEXT) | instid1(VALU_DEP_1)
	v_add_f32_e32 v9, v24, v9
	v_add_f32_e32 v24, v32, v9
	s_delay_alu instid0(VALU_DEP_1) | instskip(NEXT) | instid1(VALU_DEP_1)
	v_mul_f32_e32 v26, v23, v24
	v_dual_sub_f32 v31, v32, v24 :: v_dual_mul_f32 v28, v27, v26
	s_delay_alu instid0(VALU_DEP_1) | instskip(NEXT) | instid1(VALU_DEP_1)
	v_fma_f32 v27, v26, v27, -v28
	v_fmac_f32_e32 v27, v26, v25
	s_delay_alu instid0(VALU_DEP_1) | instskip(NEXT) | instid1(VALU_DEP_1)
	v_add_f32_e32 v25, v28, v27
	v_sub_f32_e32 v30, v24, v25
	v_sub_f32_e32 v28, v25, v28
	s_delay_alu instid0(VALU_DEP_2) | instskip(NEXT) | instid1(VALU_DEP_1)
	v_dual_add_f32 v9, v9, v31 :: v_dual_sub_f32 v24, v24, v30
	v_sub_f32_e32 v24, v24, v25
	s_delay_alu instid0(VALU_DEP_1) | instskip(NEXT) | instid1(VALU_DEP_4)
	v_add_f32_e32 v9, v9, v24
	v_dual_add_f32 v24, v29, v26 :: v_dual_sub_f32 v25, v28, v27
	s_delay_alu instid0(VALU_DEP_1) | instskip(NEXT) | instid1(VALU_DEP_2)
	v_add_f32_e32 v9, v25, v9
	v_sub_f32_e32 v25, v24, v29
	s_delay_alu instid0(VALU_DEP_2) | instskip(NEXT) | instid1(VALU_DEP_2)
	v_add_f32_e32 v9, v30, v9
	v_sub_f32_e32 v25, v26, v25
	s_delay_alu instid0(VALU_DEP_2) | instskip(NEXT) | instid1(VALU_DEP_1)
	v_mul_f32_e32 v9, v23, v9
	v_add_f32_e32 v9, v25, v9
	s_delay_alu instid0(VALU_DEP_1) | instskip(NEXT) | instid1(VALU_DEP_1)
	v_add_f32_e32 v23, v24, v9
	v_mul_f32_e32 v25, v23, v23
	s_delay_alu instid0(VALU_DEP_1) | instskip(SKIP_1) | instid1(VALU_DEP_2)
	v_fmaak_f32 v26, s22, v25, 0x3ecc95a3
	v_mul_f32_e32 v27, v23, v25
	v_fmaak_f32 v25, v25, v26, 0x3f2aaada
	v_ldexp_f32 v26, v23, 1
	v_sub_f32_e32 v23, v23, v24
	s_delay_alu instid0(VALU_DEP_3) | instskip(SKIP_1) | instid1(VALU_DEP_2)
	v_mul_f32_e32 v25, v27, v25
	v_mul_f32_e32 v27, 0x3f317218, v22
	v_dual_sub_f32 v9, v9, v23 :: v_dual_add_f32 v24, v26, v25
	s_delay_alu instid0(VALU_DEP_1) | instskip(NEXT) | instid1(VALU_DEP_2)
	v_ldexp_f32 v9, v9, 1
	v_sub_f32_e32 v23, v24, v26
	s_delay_alu instid0(VALU_DEP_4) | instskip(NEXT) | instid1(VALU_DEP_1)
	v_fma_f32 v26, 0x3f317218, v22, -v27
	v_dual_sub_f32 v23, v25, v23 :: v_dual_fmac_f32 v26, 0xb102e308, v22
	s_delay_alu instid0(VALU_DEP_1) | instskip(NEXT) | instid1(VALU_DEP_1)
	v_dual_add_f32 v9, v9, v23 :: v_dual_add_f32 v22, v27, v26
	v_add_f32_e32 v23, v24, v9
	s_delay_alu instid0(VALU_DEP_2) | instskip(NEXT) | instid1(VALU_DEP_2)
	v_sub_f32_e32 v27, v22, v27
	v_dual_add_f32 v25, v22, v23 :: v_dual_sub_f32 v24, v23, v24
	s_delay_alu instid0(VALU_DEP_2) | instskip(NEXT) | instid1(VALU_DEP_2)
	v_sub_f32_e32 v26, v26, v27
	v_sub_f32_e32 v28, v25, v22
	s_delay_alu instid0(VALU_DEP_3) | instskip(NEXT) | instid1(VALU_DEP_2)
	v_sub_f32_e32 v9, v9, v24
	v_sub_f32_e32 v29, v25, v28
	s_delay_alu instid0(VALU_DEP_2) | instskip(NEXT) | instid1(VALU_DEP_2)
	v_dual_sub_f32 v23, v23, v28 :: v_dual_add_f32 v24, v26, v9
	v_sub_f32_e32 v22, v22, v29
	s_delay_alu instid0(VALU_DEP_1) | instskip(NEXT) | instid1(VALU_DEP_3)
	v_add_f32_e32 v22, v23, v22
	v_sub_f32_e32 v23, v24, v26
	s_delay_alu instid0(VALU_DEP_2) | instskip(NEXT) | instid1(VALU_DEP_2)
	v_add_f32_e32 v22, v24, v22
	v_sub_f32_e32 v24, v24, v23
	v_sub_f32_e32 v9, v9, v23
	s_delay_alu instid0(VALU_DEP_2) | instskip(NEXT) | instid1(VALU_DEP_1)
	v_dual_add_f32 v27, v25, v22 :: v_dual_sub_f32 v24, v26, v24
	v_sub_f32_e32 v23, v27, v25
	s_delay_alu instid0(VALU_DEP_1) | instskip(NEXT) | instid1(VALU_DEP_1)
	v_dual_add_f32 v9, v9, v24 :: v_dual_sub_f32 v22, v22, v23
	v_add_f32_e32 v9, v9, v22
	s_delay_alu instid0(VALU_DEP_1) | instskip(SKIP_1) | instid1(VALU_DEP_1)
	v_add_f32_e32 v9, v27, v9
	s_wait_alu 0xf1ff
	v_cndmask_b32_e64 v9, 0x7f800000, v9, s4
	v_cmp_ngt_f32_e64 s4, -1.0, v8
	s_wait_alu 0xf1ff
	s_delay_alu instid0(VALU_DEP_1) | instskip(SKIP_2) | instid1(VALU_DEP_1)
	v_cndmask_b32_e64 v9, 0x7fc00000, v9, s4
	v_cmp_neq_f32_e64 s4, -1.0, v8
	s_wait_alu 0xf1ff
	v_cndmask_b32_e64 v9, 0xff800000, v9, s4
	v_cmp_gt_f32_e64 s4, 0x33800000, |v8|
	s_wait_alu 0xf1ff
	s_delay_alu instid0(VALU_DEP_1) | instskip(NEXT) | instid1(VALU_DEP_1)
	v_cndmask_b32_e64 v8, v9, v8, s4
	v_mul_f32_e32 v24, 0.5, v8
	s_branch .LBB347_67
.LBB347_120:                            ;   in Loop: Header=BB347_7 Depth=2
	s_or_b32 exec_lo, exec_lo, s28
	s_and_saveexec_b32 s5, vcc_lo
	s_cbranch_execz .LBB347_6
; %bb.121:                              ;   in Loop: Header=BB347_7 Depth=2
	s_mov_b32 s6, exec_lo
	v_cmpx_gt_u32_e64 s13, v5
	s_cbranch_execz .LBB347_123
; %bb.122:                              ;   in Loop: Header=BB347_7 Depth=2
	ds_load_b64 v[7:8], v13
	v_mov_b32_e32 v6, v2
	s_delay_alu instid0(VALU_DEP_1) | instskip(NEXT) | instid1(VALU_DEP_1)
	v_lshlrev_b64_e32 v[4:5], 3, v[5:6]
	v_add_co_u32 v4, s4, v20, v4
	s_wait_alu 0xf1ff
	s_delay_alu instid0(VALU_DEP_2)
	v_add_co_ci_u32_e64 v5, null, v21, v5, s4
	s_wait_dscnt 0x0
	global_store_b64 v[4:5], v[7:8], off
.LBB347_123:                            ;   in Loop: Header=BB347_7 Depth=2
	s_wait_alu 0xfffe
	s_or_b32 exec_lo, exec_lo, s6
	v_cmp_gt_u32_e64 s4, s13, v3
	s_and_b32 exec_lo, exec_lo, s4
	s_cbranch_execz .LBB347_6
; %bb.124:                              ;   in Loop: Header=BB347_7 Depth=2
	ds_load_b64 v[5:6], v17
	v_mov_b32_e32 v4, v2
	s_delay_alu instid0(VALU_DEP_1) | instskip(NEXT) | instid1(VALU_DEP_1)
	v_lshlrev_b64_e32 v[3:4], 3, v[3:4]
	v_add_co_u32 v3, s4, v20, v3
	s_wait_alu 0xf1ff
	s_delay_alu instid0(VALU_DEP_2)
	v_add_co_ci_u32_e64 v4, null, v21, v4, s4
	s_wait_dscnt 0x0
	global_store_b64 v[3:4], v[5:6], off
	s_branch .LBB347_6
.LBB347_125:
	s_mov_b32 s2, 0
.LBB347_126:
	s_delay_alu instid0(SALU_CYCLE_1)
	s_and_not1_b32 vcc_lo, exec_lo, s2
	s_cbranch_vccnz .LBB347_253
; %bb.127:
	v_mov_b32_e32 v1, 0
	s_mov_b32 s7, 0
	s_mov_b32 s6, s12
	global_load_u16 v2, v1, s[0:1] offset:62
	s_wait_loadcnt 0x0
	v_and_b32_e32 v6, 0xffff, v2
	s_delay_alu instid0(VALU_DEP_1) | instskip(SKIP_2) | instid1(VALU_DEP_1)
	v_mul_hi_u32 v3, ttmp9, v6
	v_mul_lo_u32 v2, ttmp9, v6
	s_wait_alu 0xfffe
	v_cmp_le_u64_e32 vcc_lo, s[6:7], v[2:3]
	s_cbranch_vccnz .LBB347_253
; %bb.128:
	s_add_nc_u64 s[0:1], s[0:1], 48
	v_dual_mov_b32 v5, v1 :: v_dual_and_b32 v4, 0x3ff, v0
	s_load_b32 s1, s[0:1], 0x0
	s_lshl_b32 s18, 1, s14
	s_mov_b32 s20, s13
	s_wait_alu 0xfffe
	s_ashr_i32 s19, s18, 31
	s_cmp_lg_u32 s13, 0
	v_lshl_add_u32 v16, v4, 3, v15
	s_cselect_b32 s5, -1, 0
	s_wait_alu 0xfffe
	s_lshl_b64 s[12:13], s[18:19], 1
	v_cmp_eq_u32_e64 s0, 0, v4
	s_wait_alu 0xfffe
	s_lshl_b32 s2, s12, 3
	v_lshl_add_u32 v18, s18, 3, v16
	v_add3_u32 v17, v15, s2, -8
	v_mov_b32_e32 v20, 0x4016cbe4
	s_mov_b32 s21, s7
	s_add_co_i32 s22, s14, 1
	s_mov_b32 s23, 0x7fffff
	s_mov_b32 s24, 0x37d75334
	s_mov_b32 s25, 0xb94c1982
	s_mov_b32 s26, 0x3e9b6dac
	s_mov_b32 s27, 0x3b2d2a58
	s_wait_kmcnt 0x0
	v_mul_lo_u32 v19, s1, v6
	s_branch .LBB347_130
.LBB347_129:                            ;   in Loop: Header=BB347_130 Depth=1
	s_delay_alu instid0(VALU_DEP_1) | instskip(SKIP_2) | instid1(VALU_DEP_1)
	v_add_co_u32 v2, vcc_lo, v2, v19
	s_wait_alu 0xfffd
	v_add_co_ci_u32_e64 v3, null, 0, v3, vcc_lo
	v_cmp_le_u64_e32 vcc_lo, s[6:7], v[2:3]
	s_cbranch_vccnz .LBB347_253
.LBB347_130:                            ; =>This Loop Header: Depth=1
                                        ;     Child Loop BB347_133 Depth 2
                                        ;       Child Loop BB347_199 Depth 3
	s_and_not1_b32 vcc_lo, exec_lo, s5
	s_wait_alu 0xfffe
	s_cbranch_vccnz .LBB347_129
; %bb.131:                              ;   in Loop: Header=BB347_130 Depth=1
	v_add_co_u32 v6, vcc_lo, v2, v14
	s_wait_alu 0xfffd
	v_add_co_ci_u32_e64 v7, null, 0, v3, vcc_lo
	s_mov_b64 s[14:15], 0
	v_mad_co_u64_u32 v[8:9], null, v6, s20, 0
	v_cmp_gt_u64_e64 s1, s[6:7], v[6:7]
	v_cmp_le_u64_e64 s2, s[6:7], v[6:7]
	s_delay_alu instid0(VALU_DEP_3) | instskip(NEXT) | instid1(VALU_DEP_1)
	v_dual_mov_b32 v11, s17 :: v_dual_mov_b32 v0, v9
	v_mad_co_u64_u32 v[9:10], null, v7, s20, v[0:1]
	v_mov_b32_e32 v10, s16
	s_delay_alu instid0(VALU_DEP_2) | instskip(NEXT) | instid1(VALU_DEP_1)
	v_lshlrev_b64_e32 v[8:9], 3, v[8:9]
	v_add_co_u32 v21, vcc_lo, s10, v8
	s_wait_alu 0xfffd
	s_delay_alu instid0(VALU_DEP_2)
	v_add_co_ci_u32_e64 v22, null, s11, v9, vcc_lo
	v_add_co_u32 v23, vcc_lo, s8, v8
	s_wait_alu 0xfffd
	v_add_co_ci_u32_e64 v24, null, s9, v9, vcc_lo
	s_branch .LBB347_133
.LBB347_132:                            ;   in Loop: Header=BB347_133 Depth=2
	s_wait_alu 0xfffe
	s_or_b32 exec_lo, exec_lo, s3
	ds_load_b64 v[10:11], v17
	s_add_nc_u64 s[14:15], s[14:15], s[12:13]
	s_wait_storecnt 0x0
	s_wait_loadcnt_dscnt 0x0
	s_wait_alu 0xfffe
	v_cmp_ge_u64_e64 s3, s[14:15], s[20:21]
	s_barrier_signal -1
	s_barrier_wait -1
	global_inv scope:SCOPE_SE
	s_and_b32 vcc_lo, exec_lo, s3
	s_wait_alu 0xfffe
	s_cbranch_vccnz .LBB347_129
.LBB347_133:                            ;   Parent Loop BB347_130 Depth=1
                                        ; =>  This Loop Header: Depth=2
                                        ;       Child Loop BB347_199 Depth 3
	s_wait_alu 0xfffe
	v_add_co_u32 v8, s3, s14, v4
	s_wait_alu 0xf1ff
	v_add_co_ci_u32_e64 v9, null, s15, 0, s3
	s_delay_alu instid0(VALU_DEP_2) | instskip(SKIP_1) | instid1(VALU_DEP_2)
	v_add_co_u32 v6, vcc_lo, v8, s18
	s_wait_alu 0xfffd
	v_add_co_ci_u32_e64 v7, null, s19, v9, vcc_lo
	s_and_saveexec_b32 s28, s1
	s_cbranch_execz .LBB347_192
; %bb.134:                              ;   in Loop: Header=BB347_133 Depth=2
	s_mov_b32 s3, exec_lo
	v_cmpx_le_u64_e64 s[20:21], v[8:9]
	s_wait_alu 0xfffe
	s_xor_b32 s3, exec_lo, s3
; %bb.135:                              ;   in Loop: Header=BB347_133 Depth=2
	v_dual_mov_b32 v12, s16 :: v_dual_mov_b32 v13, s17
	ds_store_b64 v16, v[12:13]
; %bb.136:                              ;   in Loop: Header=BB347_133 Depth=2
	s_wait_alu 0xfffe
	s_and_not1_saveexec_b32 s3, s3
	s_cbranch_execz .LBB347_138
; %bb.137:                              ;   in Loop: Header=BB347_133 Depth=2
	v_lshlrev_b64_e32 v[12:13], 3, v[8:9]
	s_delay_alu instid0(VALU_DEP_1) | instskip(SKIP_1) | instid1(VALU_DEP_2)
	v_add_co_u32 v12, vcc_lo, v21, v12
	s_wait_alu 0xfffd
	v_add_co_ci_u32_e64 v13, null, v22, v13, vcc_lo
	global_load_b64 v[12:13], v[12:13], off
	s_wait_loadcnt 0x0
	ds_store_b64 v16, v[12:13]
.LBB347_138:                            ;   in Loop: Header=BB347_133 Depth=2
	s_wait_alu 0xfffe
	s_or_b32 exec_lo, exec_lo, s3
	s_delay_alu instid0(SALU_CYCLE_1)
	s_mov_b32 s3, exec_lo
	v_cmpx_le_u64_e64 s[20:21], v[6:7]
	s_wait_alu 0xfffe
	s_xor_b32 s3, exec_lo, s3
	s_cbranch_execz .LBB347_141
; %bb.139:                              ;   in Loop: Header=BB347_133 Depth=2
	v_dual_mov_b32 v12, s16 :: v_dual_mov_b32 v13, s17
	ds_store_b64 v18, v[12:13]
	s_wait_alu 0xfffe
	s_and_not1_saveexec_b32 s3, s3
	s_cbranch_execnz .LBB347_142
.LBB347_140:                            ;   in Loop: Header=BB347_133 Depth=2
	s_wait_alu 0xfffe
	s_or_b32 exec_lo, exec_lo, s3
	s_delay_alu instid0(SALU_CYCLE_1)
	s_and_b32 exec_lo, exec_lo, s0
	s_cbranch_execnz .LBB347_143
	s_branch .LBB347_192
.LBB347_141:                            ;   in Loop: Header=BB347_133 Depth=2
	s_wait_alu 0xfffe
	s_and_not1_saveexec_b32 s3, s3
	s_cbranch_execz .LBB347_140
.LBB347_142:                            ;   in Loop: Header=BB347_133 Depth=2
	v_lshlrev_b64_e32 v[12:13], 3, v[6:7]
	s_delay_alu instid0(VALU_DEP_1) | instskip(SKIP_1) | instid1(VALU_DEP_2)
	v_add_co_u32 v12, vcc_lo, v21, v12
	s_wait_alu 0xfffd
	v_add_co_ci_u32_e64 v13, null, v22, v13, vcc_lo
	global_load_b64 v[12:13], v[12:13], off
	s_wait_loadcnt 0x0
	ds_store_b64 v18, v[12:13]
	s_wait_alu 0xfffe
	s_or_b32 exec_lo, exec_lo, s3
	s_delay_alu instid0(SALU_CYCLE_1)
	s_and_b32 exec_lo, exec_lo, s0
	s_cbranch_execz .LBB347_192
.LBB347_143:                            ;   in Loop: Header=BB347_133 Depth=2
	ds_load_b64 v[12:13], v15
	v_cmp_o_f32_e32 vcc_lo, v10, v11
	v_dual_mov_b32 v25, v11 :: v_dual_mov_b32 v26, v11
	v_mov_b32_e32 v27, v10
	s_and_saveexec_b32 s29, vcc_lo
	s_cbranch_execz .LBB347_145
; %bb.144:                              ;   in Loop: Header=BB347_133 Depth=2
	s_wait_dscnt 0x0
	v_cmp_u_f32_e64 s3, v12, v13
	v_cmp_lt_f32_e64 s4, v12, v10
	s_or_b32 s3, s4, s3
	s_wait_alu 0xfffe
	v_cndmask_b32_e64 v25, v11, v13, s3
	v_cndmask_b32_e64 v27, v10, v12, s3
	s_delay_alu instid0(VALU_DEP_2)
	v_mov_b32_e32 v26, v25
.LBB347_145:                            ;   in Loop: Header=BB347_133 Depth=2
	s_or_b32 exec_lo, exec_lo, s29
	s_and_saveexec_b32 s4, vcc_lo
	s_cbranch_execz .LBB347_147
; %bb.146:                              ;   in Loop: Header=BB347_133 Depth=2
	s_wait_dscnt 0x0
	v_cmp_u_f32_e32 vcc_lo, v12, v13
	v_cmp_ge_f32_e64 s3, v12, v10
	s_or_b32 vcc_lo, s3, vcc_lo
	s_wait_alu 0xfffe
	v_dual_cndmask_b32 v11, v11, v13 :: v_dual_cndmask_b32 v10, v10, v12
.LBB347_147:                            ;   in Loop: Header=BB347_133 Depth=2
	s_wait_alu 0xfffe
	s_or_b32 exec_lo, exec_lo, s4
	s_wait_dscnt 0x0
	v_dual_mov_b32 v12, 0x7fc00000 :: v_dual_mov_b32 v13, 0x7fc00000
	s_mov_b32 s29, exec_lo
	v_cmpx_o_f32_e32 v27, v25
	s_cbranch_execz .LBB347_191
; %bb.148:                              ;   in Loop: Header=BB347_133 Depth=2
	v_cmp_class_f32_e64 s3, v27, 0x1f8
	v_cmp_neq_f32_e32 vcc_lo, v10, v27
	s_or_b32 s3, s3, vcc_lo
	s_wait_alu 0xfffe
	s_and_saveexec_b32 s4, s3
	s_wait_alu 0xfffe
	s_xor_b32 s30, exec_lo, s4
	s_cbranch_execz .LBB347_164
; %bb.149:                              ;   in Loop: Header=BB347_133 Depth=2
	v_sub_f32_e32 v12, v25, v11
                                        ; implicit-def: $vgpr26
                                        ; implicit-def: $vgpr25
	s_delay_alu instid0(VALU_DEP_1) | instskip(NEXT) | instid1(VALU_DEP_1)
	v_and_b32_e32 v13, 0x7fffffff, v12
	v_lshrrev_b32_e32 v0, 23, v13
	v_and_or_b32 v28, v13, s23, 0x800000
	s_delay_alu instid0(VALU_DEP_2)
	v_add_nc_u32_e32 v29, 0xffffff88, v0
	v_cmp_ngt_f32_e64 s31, 0x48000000, |v12|
	s_and_saveexec_b32 s3, s31
	s_wait_alu 0xfffe
	s_xor_b32 s33, exec_lo, s3
	s_cbranch_execz .LBB347_151
; %bb.150:                              ;   in Loop: Header=BB347_133 Depth=2
	v_mad_co_u64_u32 v[25:26], null, 0xfe5163ab, v28, 0
	v_cmp_lt_u32_e32 vcc_lo, 63, v29
	s_delay_alu instid0(VALU_DEP_2) | instskip(SKIP_2) | instid1(VALU_DEP_2)
	v_mov_b32_e32 v0, v26
	s_wait_alu 0xfffd
	v_cndmask_b32_e64 v26, 0, 0xffffffc0, vcc_lo
	v_mad_co_u64_u32 v[30:31], null, 0x3c439041, v28, v[0:1]
	s_delay_alu instid0(VALU_DEP_2) | instskip(NEXT) | instid1(VALU_DEP_1)
	v_add_nc_u32_e32 v26, v26, v29
	v_cmp_lt_u32_e64 s3, 31, v26
	s_delay_alu instid0(VALU_DEP_3) | instskip(SKIP_1) | instid1(VALU_DEP_2)
	v_mov_b32_e32 v0, v31
	s_wait_alu 0xf1ff
	v_cndmask_b32_e64 v36, 0, 0xffffffe0, s3
	s_delay_alu instid0(VALU_DEP_2) | instskip(NEXT) | instid1(VALU_DEP_2)
	v_mad_co_u64_u32 v[31:32], null, 0xdb629599, v28, v[0:1]
	v_add_nc_u32_e32 v26, v36, v26
	s_delay_alu instid0(VALU_DEP_2) | instskip(NEXT) | instid1(VALU_DEP_2)
	v_mov_b32_e32 v0, v32
	v_cmp_lt_u32_e64 s4, 31, v26
	s_delay_alu instid0(VALU_DEP_4) | instskip(NEXT) | instid1(VALU_DEP_3)
	v_cndmask_b32_e32 v25, v31, v25, vcc_lo
	v_mad_co_u64_u32 v[32:33], null, 0xf534ddc0, v28, v[0:1]
	s_delay_alu instid0(VALU_DEP_1) | instskip(NEXT) | instid1(VALU_DEP_1)
	v_mov_b32_e32 v0, v33
	v_mad_co_u64_u32 v[33:34], null, 0xfc2757d1, v28, v[0:1]
	s_delay_alu instid0(VALU_DEP_1) | instskip(NEXT) | instid1(VALU_DEP_1)
	v_mov_b32_e32 v0, v34
	v_mad_co_u64_u32 v[34:35], null, 0x4e441529, v28, v[0:1]
	s_delay_alu instid0(VALU_DEP_1) | instskip(NEXT) | instid1(VALU_DEP_1)
	v_dual_mov_b32 v0, v35 :: v_dual_cndmask_b32 v37, v34, v32
	v_mad_co_u64_u32 v[35:36], null, 0xa2f9836e, v28, v[0:1]
	s_wait_alu 0xf1ff
	v_cndmask_b32_e64 v0, 0, 0xffffffe0, s4
	s_delay_alu instid0(VALU_DEP_1) | instskip(NEXT) | instid1(VALU_DEP_3)
	v_dual_cndmask_b32 v35, v35, v33 :: v_dual_add_nc_u32 v0, v0, v26
	v_dual_cndmask_b32 v34, v36, v34 :: v_dual_cndmask_b32 v33, v33, v31
	v_cndmask_b32_e32 v26, v32, v30, vcc_lo
	s_delay_alu instid0(VALU_DEP_3) | instskip(NEXT) | instid1(VALU_DEP_4)
	v_cmp_eq_u32_e32 vcc_lo, 0, v0
	v_cndmask_b32_e64 v30, v35, v37, s3
	s_delay_alu instid0(VALU_DEP_4)
	v_cndmask_b32_e64 v32, v34, v35, s3
	v_cndmask_b32_e64 v34, v37, v33, s3
	v_sub_nc_u32_e32 v35, 32, v0
	v_cndmask_b32_e64 v33, v33, v26, s3
	v_cndmask_b32_e64 v25, v26, v25, s3
	;; [unrolled: 1-line block ×4, first 2 shown]
	s_delay_alu instid0(VALU_DEP_4) | instskip(NEXT) | instid1(VALU_DEP_4)
	v_cndmask_b32_e64 v34, v34, v33, s4
	v_cndmask_b32_e64 v25, v33, v25, s4
	s_delay_alu instid0(VALU_DEP_3) | instskip(NEXT) | instid1(VALU_DEP_3)
	v_alignbit_b32 v36, v32, v30, v35
	v_alignbit_b32 v31, v30, v34, v35
	s_delay_alu instid0(VALU_DEP_3) | instskip(SKIP_1) | instid1(VALU_DEP_3)
	v_alignbit_b32 v33, v34, v25, v35
	s_wait_alu 0xfffd
	v_cndmask_b32_e32 v0, v36, v32, vcc_lo
	s_delay_alu instid0(VALU_DEP_3) | instskip(NEXT) | instid1(VALU_DEP_3)
	v_cndmask_b32_e32 v26, v31, v30, vcc_lo
	v_cndmask_b32_e32 v33, v33, v34, vcc_lo
	s_delay_alu instid0(VALU_DEP_3) | instskip(NEXT) | instid1(VALU_DEP_3)
	v_bfe_u32 v30, v0, 29, 1
	v_alignbit_b32 v31, v0, v26, 30
	s_delay_alu instid0(VALU_DEP_3) | instskip(SKIP_1) | instid1(VALU_DEP_4)
	v_alignbit_b32 v26, v26, v33, 30
	v_alignbit_b32 v25, v33, v25, 30
	v_sub_nc_u32_e32 v32, 0, v30
	s_delay_alu instid0(VALU_DEP_1) | instskip(NEXT) | instid1(VALU_DEP_4)
	v_xor_b32_e32 v31, v31, v32
	v_xor_b32_e32 v26, v26, v32
	s_delay_alu instid0(VALU_DEP_4) | instskip(SKIP_3) | instid1(VALU_DEP_1)
	v_xor_b32_e32 v25, v25, v32
	v_lshrrev_b32_e32 v32, 29, v0
	v_lshrrev_b32_e32 v0, 30, v0
	v_clz_i32_u32_e32 v34, v31
	v_min_u32_e32 v34, 32, v34
	s_delay_alu instid0(VALU_DEP_1) | instskip(SKIP_1) | instid1(VALU_DEP_2)
	v_sub_nc_u32_e32 v33, 31, v34
	v_lshlrev_b32_e32 v35, 23, v34
	v_alignbit_b32 v31, v31, v26, v33
	v_alignbit_b32 v25, v26, v25, v33
	v_lshlrev_b32_e32 v26, 31, v32
	s_delay_alu instid0(VALU_DEP_2) | instskip(NEXT) | instid1(VALU_DEP_2)
	v_alignbit_b32 v32, v31, v25, 9
	v_or_b32_e32 v33, 0.5, v26
	v_lshrrev_b32_e32 v31, 9, v31
	v_or_b32_e32 v26, 0x33000000, v26
	s_delay_alu instid0(VALU_DEP_4) | instskip(NEXT) | instid1(VALU_DEP_4)
	v_clz_i32_u32_e32 v36, v32
	v_sub_nc_u32_e32 v33, v33, v35
	s_delay_alu instid0(VALU_DEP_2) | instskip(NEXT) | instid1(VALU_DEP_2)
	v_min_u32_e32 v35, 32, v36
	v_or_b32_e32 v31, v31, v33
	s_delay_alu instid0(VALU_DEP_2) | instskip(NEXT) | instid1(VALU_DEP_2)
	v_not_b32_e32 v33, v35
	v_mul_f32_e32 v36, 0x3fc90fda, v31
	v_add_lshl_u32 v34, v35, v34, 23
	s_delay_alu instid0(VALU_DEP_3) | instskip(NEXT) | instid1(VALU_DEP_3)
	v_alignbit_b32 v25, v32, v25, v33
	v_fma_f32 v32, 0x3fc90fda, v31, -v36
	s_delay_alu instid0(VALU_DEP_3) | instskip(NEXT) | instid1(VALU_DEP_3)
	v_sub_nc_u32_e32 v26, v26, v34
	v_lshrrev_b32_e32 v25, 9, v25
	s_delay_alu instid0(VALU_DEP_3) | instskip(NEXT) | instid1(VALU_DEP_2)
	v_fmac_f32_e32 v32, 0x33a22168, v31
	v_or_b32_e32 v25, v26, v25
	v_add_nc_u32_e32 v26, v30, v0
	s_delay_alu instid0(VALU_DEP_2) | instskip(NEXT) | instid1(VALU_DEP_1)
	v_fmac_f32_e32 v32, 0x3fc90fda, v25
	v_add_f32_e32 v25, v36, v32
.LBB347_151:                            ;   in Loop: Header=BB347_133 Depth=2
	s_or_saveexec_b32 s3, s33
	v_mul_f32_e64 v0, 0x3f22f983, |v12|
	s_delay_alu instid0(VALU_DEP_1)
	v_rndne_f32_e32 v31, v0
	s_wait_alu 0xfffe
	s_xor_b32 exec_lo, exec_lo, s3
; %bb.152:                              ;   in Loop: Header=BB347_133 Depth=2
	s_delay_alu instid0(VALU_DEP_1) | instskip(SKIP_1) | instid1(VALU_DEP_2)
	v_fma_f32 v25, 0xbfc90fda, v31, |v12|
	v_cvt_i32_f32_e32 v26, v31
	v_fmac_f32_e32 v25, 0xb3a22168, v31
	s_delay_alu instid0(VALU_DEP_1)
	v_fmac_f32_e32 v25, 0xa7c234c4, v31
; %bb.153:                              ;   in Loop: Header=BB347_133 Depth=2
	s_or_b32 exec_lo, exec_lo, s3
                                        ; implicit-def: $vgpr30
                                        ; implicit-def: $vgpr0
	s_and_saveexec_b32 s3, s31
	s_wait_alu 0xfffe
	s_xor_b32 s31, exec_lo, s3
	s_cbranch_execz .LBB347_155
; %bb.154:                              ;   in Loop: Header=BB347_133 Depth=2
	v_mad_co_u64_u32 v[30:31], null, 0xfe5163ab, v28, 0
	v_cmp_lt_u32_e32 vcc_lo, 63, v29
	s_wait_alu 0xfffd
	v_cndmask_b32_e64 v36, 0, 0xffffffc0, vcc_lo
	s_delay_alu instid0(VALU_DEP_1) | instskip(NEXT) | instid1(VALU_DEP_1)
	v_dual_mov_b32 v0, v31 :: v_dual_add_nc_u32 v29, v36, v29
	v_mad_co_u64_u32 v[31:32], null, 0x3c439041, v28, v[0:1]
	s_delay_alu instid0(VALU_DEP_2) | instskip(NEXT) | instid1(VALU_DEP_2)
	v_cmp_lt_u32_e64 s3, 31, v29
	v_mov_b32_e32 v0, v32
	s_wait_alu 0xf1ff
	s_delay_alu instid0(VALU_DEP_2) | instskip(NEXT) | instid1(VALU_DEP_2)
	v_cndmask_b32_e64 v37, 0, 0xffffffe0, s3
	v_mad_co_u64_u32 v[32:33], null, 0xdb629599, v28, v[0:1]
	s_delay_alu instid0(VALU_DEP_1) | instskip(NEXT) | instid1(VALU_DEP_2)
	v_mov_b32_e32 v0, v33
	v_cndmask_b32_e32 v30, v32, v30, vcc_lo
	s_delay_alu instid0(VALU_DEP_2) | instskip(NEXT) | instid1(VALU_DEP_1)
	v_mad_co_u64_u32 v[33:34], null, 0xf534ddc0, v28, v[0:1]
	v_dual_mov_b32 v0, v34 :: v_dual_cndmask_b32 v31, v33, v31
	s_delay_alu instid0(VALU_DEP_1) | instskip(NEXT) | instid1(VALU_DEP_1)
	v_mad_co_u64_u32 v[34:35], null, 0xfc2757d1, v28, v[0:1]
	v_mov_b32_e32 v0, v35
	s_delay_alu instid0(VALU_DEP_1) | instskip(NEXT) | instid1(VALU_DEP_1)
	v_mad_co_u64_u32 v[35:36], null, 0x4e441529, v28, v[0:1]
	v_mov_b32_e32 v0, v36
	v_add_nc_u32_e32 v36, v37, v29
	s_delay_alu instid0(VALU_DEP_3) | instskip(NEXT) | instid1(VALU_DEP_3)
	v_cndmask_b32_e32 v37, v35, v33, vcc_lo
	v_mad_co_u64_u32 v[28:29], null, 0xa2f9836e, v28, v[0:1]
	s_delay_alu instid0(VALU_DEP_3) | instskip(SKIP_1) | instid1(VALU_DEP_1)
	v_cmp_lt_u32_e64 s4, 31, v36
	s_wait_alu 0xf1ff
	v_cndmask_b32_e64 v0, 0, 0xffffffe0, s4
	s_delay_alu instid0(VALU_DEP_3) | instskip(SKIP_1) | instid1(VALU_DEP_3)
	v_dual_cndmask_b32 v28, v28, v34 :: v_dual_cndmask_b32 v29, v29, v35
	v_cndmask_b32_e32 v34, v34, v32, vcc_lo
	v_add_nc_u32_e32 v0, v0, v36
	s_delay_alu instid0(VALU_DEP_3) | instskip(NEXT) | instid1(VALU_DEP_4)
	v_cndmask_b32_e64 v33, v28, v37, s3
	v_cndmask_b32_e64 v28, v29, v28, s3
	s_delay_alu instid0(VALU_DEP_4)
	v_cndmask_b32_e64 v29, v37, v34, s3
	v_cndmask_b32_e64 v34, v34, v31, s3
	v_sub_nc_u32_e32 v35, 32, v0
	v_cmp_eq_u32_e32 vcc_lo, 0, v0
	v_cndmask_b32_e64 v28, v28, v33, s4
	v_cndmask_b32_e64 v33, v33, v29, s4
	;; [unrolled: 1-line block ×3, first 2 shown]
	s_delay_alu instid0(VALU_DEP_2) | instskip(NEXT) | instid1(VALU_DEP_2)
	v_alignbit_b32 v36, v28, v33, v35
	v_alignbit_b32 v32, v33, v29, v35
	s_wait_alu 0xfffd
	s_delay_alu instid0(VALU_DEP_2) | instskip(SKIP_1) | instid1(VALU_DEP_3)
	v_cndmask_b32_e32 v0, v36, v28, vcc_lo
	v_cndmask_b32_e64 v28, v31, v30, s3
	v_cndmask_b32_e32 v30, v32, v33, vcc_lo
	s_delay_alu instid0(VALU_DEP_3) | instskip(NEXT) | instid1(VALU_DEP_3)
	v_bfe_u32 v31, v0, 29, 1
	v_cndmask_b32_e64 v28, v34, v28, s4
	s_delay_alu instid0(VALU_DEP_3) | instskip(NEXT) | instid1(VALU_DEP_3)
	v_alignbit_b32 v32, v0, v30, 30
	v_sub_nc_u32_e32 v33, 0, v31
	s_delay_alu instid0(VALU_DEP_3) | instskip(NEXT) | instid1(VALU_DEP_2)
	v_alignbit_b32 v34, v29, v28, v35
	v_xor_b32_e32 v32, v32, v33
	s_delay_alu instid0(VALU_DEP_2) | instskip(NEXT) | instid1(VALU_DEP_2)
	v_cndmask_b32_e32 v29, v34, v29, vcc_lo
	v_clz_i32_u32_e32 v34, v32
	s_delay_alu instid0(VALU_DEP_2) | instskip(SKIP_1) | instid1(VALU_DEP_3)
	v_alignbit_b32 v30, v30, v29, 30
	v_alignbit_b32 v28, v29, v28, 30
	v_min_u32_e32 v34, 32, v34
	s_delay_alu instid0(VALU_DEP_3) | instskip(NEXT) | instid1(VALU_DEP_3)
	v_xor_b32_e32 v29, v30, v33
	v_xor_b32_e32 v28, v28, v33
	s_delay_alu instid0(VALU_DEP_3) | instskip(SKIP_2) | instid1(VALU_DEP_3)
	v_sub_nc_u32_e32 v30, 31, v34
	v_lshlrev_b32_e32 v35, 23, v34
	v_lshrrev_b32_e32 v33, 29, v0
	v_alignbit_b32 v32, v32, v29, v30
	v_alignbit_b32 v28, v29, v28, v30
	s_delay_alu instid0(VALU_DEP_3) | instskip(NEXT) | instid1(VALU_DEP_2)
	v_lshlrev_b32_e32 v29, 31, v33
	v_alignbit_b32 v30, v32, v28, 9
	s_delay_alu instid0(VALU_DEP_2) | instskip(SKIP_2) | instid1(VALU_DEP_4)
	v_or_b32_e32 v33, 0.5, v29
	v_lshrrev_b32_e32 v32, 9, v32
	v_or_b32_e32 v29, 0x33000000, v29
	v_clz_i32_u32_e32 v36, v30
	s_delay_alu instid0(VALU_DEP_4) | instskip(NEXT) | instid1(VALU_DEP_2)
	v_sub_nc_u32_e32 v33, v33, v35
	v_min_u32_e32 v35, 32, v36
	s_delay_alu instid0(VALU_DEP_2) | instskip(NEXT) | instid1(VALU_DEP_2)
	v_or_b32_e32 v32, v32, v33
	v_not_b32_e32 v33, v35
	s_delay_alu instid0(VALU_DEP_2) | instskip(SKIP_1) | instid1(VALU_DEP_3)
	v_mul_f32_e32 v36, 0x3fc90fda, v32
	v_add_lshl_u32 v34, v35, v34, 23
	v_alignbit_b32 v28, v30, v28, v33
	s_delay_alu instid0(VALU_DEP_3) | instskip(NEXT) | instid1(VALU_DEP_3)
	v_fma_f32 v30, 0x3fc90fda, v32, -v36
	v_sub_nc_u32_e32 v29, v29, v34
	s_delay_alu instid0(VALU_DEP_3) | instskip(NEXT) | instid1(VALU_DEP_3)
	v_lshrrev_b32_e32 v28, 9, v28
	v_fmac_f32_e32 v30, 0x33a22168, v32
	s_delay_alu instid0(VALU_DEP_2) | instskip(NEXT) | instid1(VALU_DEP_1)
	v_or_b32_e32 v28, v29, v28
	v_fmac_f32_e32 v30, 0x3fc90fda, v28
	v_lshrrev_b32_e32 v28, 30, v0
	s_delay_alu instid0(VALU_DEP_2) | instskip(NEXT) | instid1(VALU_DEP_2)
	v_add_f32_e32 v0, v36, v30
	v_add_nc_u32_e32 v30, v31, v28
                                        ; implicit-def: $vgpr31
	s_and_not1_saveexec_b32 s3, s31
	s_cbranch_execnz .LBB347_156
	s_branch .LBB347_157
.LBB347_155:                            ;   in Loop: Header=BB347_133 Depth=2
	s_and_not1_saveexec_b32 s3, s31
.LBB347_156:                            ;   in Loop: Header=BB347_133 Depth=2
	v_fma_f32 v0, 0xbfc90fda, v31, |v12|
	v_cvt_i32_f32_e32 v30, v31
	s_delay_alu instid0(VALU_DEP_2) | instskip(NEXT) | instid1(VALU_DEP_1)
	v_fmac_f32_e32 v0, 0xb3a22168, v31
	v_fmac_f32_e32 v0, 0xa7c234c4, v31
.LBB347_157:                            ;   in Loop: Header=BB347_133 Depth=2
	s_wait_alu 0xfffe
	s_or_b32 exec_lo, exec_lo, s3
	s_delay_alu instid0(VALU_DEP_1) | instskip(SKIP_2) | instid1(VALU_DEP_3)
	v_dual_sub_f32 v27, v27, v10 :: v_dual_mul_f32 v32, v0, v0
	v_lshlrev_b32_e32 v28, 30, v26
	v_dual_mul_f32 v31, v25, v25 :: v_dual_and_b32 v26, 1, v26
	v_mul_f32_e32 v29, 0x3fb8aa3b, v27
	s_delay_alu instid0(VALU_DEP_4) | instskip(NEXT) | instid1(VALU_DEP_3)
	v_dual_fmaak_f32 v38, s25, v32, 0x3c0881c4 :: v_dual_and_b32 v33, 1, v30
	v_cmp_eq_u32_e32 vcc_lo, 0, v26
	s_delay_alu instid0(VALU_DEP_4) | instskip(NEXT) | instid1(VALU_DEP_4)
	v_fmaak_f32 v36, s24, v31, 0xbab64f3b
	v_fma_f32 v34, 0x3fb8aa3b, v27, -v29
	v_rndne_f32_e32 v35, v29
	v_dual_fmaak_f32 v37, s25, v31, 0x3c0881c4 :: v_dual_lshlrev_b32 v30, 30, v30
	v_xor_b32_e32 v13, v13, v12
	s_delay_alu instid0(VALU_DEP_4) | instskip(NEXT) | instid1(VALU_DEP_4)
	v_fmac_f32_e32 v34, 0x32a5705f, v27
	v_dual_sub_f32 v29, v29, v35 :: v_dual_and_b32 v28, 0x80000000, v28
	v_cvt_i32_f32_e32 v35, v35
	v_cmp_nlt_f32_e64 s3, 0x42b17218, v27
	s_delay_alu instid0(VALU_DEP_3) | instskip(SKIP_1) | instid1(VALU_DEP_2)
	v_dual_add_f32 v29, v29, v34 :: v_dual_fmaak_f32 v34, v31, v36, 0x3d2aabf7
	v_dual_fmaak_f32 v36, v31, v37, 0xbe2aaa9d :: v_dual_fmaak_f32 v37, v32, v38, 0xbe2aaa9d
	v_exp_f32_e32 v29, v29
	s_delay_alu instid0(VALU_DEP_2) | instskip(NEXT) | instid1(VALU_DEP_2)
	v_fmaak_f32 v34, v31, v34, 0xbf000004
	v_dual_mul_f32 v36, v31, v36 :: v_dual_mul_f32 v37, v32, v37
	v_fmaak_f32 v39, s24, v32, 0xbab64f3b
	v_and_b32_e32 v30, 0x80000000, v30
	s_delay_alu instid0(VALU_DEP_4) | instskip(NEXT) | instid1(VALU_DEP_4)
	v_fma_f32 v31, v31, v34, 1.0
	v_dual_fmac_f32 v25, v25, v36 :: v_dual_fmac_f32 v0, v0, v37
	s_delay_alu instid0(VALU_DEP_4) | instskip(NEXT) | instid1(TRANS32_DEP_1)
	v_fmaak_f32 v38, v32, v39, 0x3d2aabf7
	v_ldexp_f32 v29, v29, v35
	s_wait_alu 0xfffd
	s_delay_alu instid0(VALU_DEP_3) | instskip(SKIP_2) | instid1(VALU_DEP_3)
	v_cndmask_b32_e64 v25, -v25, v31, vcc_lo
	v_cmp_eq_u32_e32 vcc_lo, 0, v33
	v_fmaak_f32 v38, v32, v38, 0xbf000004
	v_xor_b32_e32 v25, v28, v25
	s_delay_alu instid0(VALU_DEP_2) | instskip(SKIP_1) | instid1(VALU_DEP_1)
	v_fma_f32 v32, v32, v38, 1.0
	s_wait_alu 0xfffd
	v_cndmask_b32_e32 v0, v32, v0, vcc_lo
	v_cmp_ngt_f32_e32 vcc_lo, 0xc2ce8ed0, v27
	s_delay_alu instid0(VALU_DEP_2) | instskip(SKIP_4) | instid1(VALU_DEP_2)
	v_xor3_b32 v0, v13, v30, v0
	s_wait_alu 0xfffd
	v_cndmask_b32_e32 v26, 0, v29, vcc_lo
	v_cmp_class_f32_e64 vcc_lo, v12, 0x1f8
	s_wait_alu 0xf1ff
	v_cndmask_b32_e64 v27, 0x7f800000, v26, s3
	s_wait_alu 0xfffd
	v_cndmask_b32_e32 v25, 0x7fc00000, v25, vcc_lo
	v_cndmask_b32_e32 v0, 0x7fc00000, v0, vcc_lo
	s_delay_alu instid0(VALU_DEP_2) | instskip(NEXT) | instid1(VALU_DEP_2)
	v_mul_f32_e32 v26, v27, v25
	v_mul_f32_e32 v0, v27, v0
	s_delay_alu instid0(VALU_DEP_1) | instskip(NEXT) | instid1(VALU_DEP_1)
	v_max_num_f32_e64 v28, |v26|, |v0|
	v_cvt_f64_f32_e32 v[12:13], v28
	v_cmp_eq_f32_e32 vcc_lo, 0x7f800000, v28
	s_delay_alu instid0(VALU_DEP_2) | instskip(NEXT) | instid1(VALU_DEP_1)
	v_frexp_exp_i32_f64_e32 v12, v[12:13]
	v_sub_nc_u32_e32 v13, 0, v12
	s_delay_alu instid0(VALU_DEP_1) | instskip(SKIP_1) | instid1(VALU_DEP_2)
	v_ldexp_f32 v29, |v0|, v13
	v_ldexp_f32 v13, |v26|, v13
	v_mul_f32_e32 v29, v29, v29
	s_delay_alu instid0(VALU_DEP_1) | instskip(NEXT) | instid1(VALU_DEP_1)
	v_fmac_f32_e32 v29, v13, v13
	v_sqrt_f32_e32 v13, v29
	s_delay_alu instid0(TRANS32_DEP_1) | instskip(SKIP_1) | instid1(VALU_DEP_2)
	v_ldexp_f32 v13, v13, v12
	v_fma_f32 v12, v27, v25, 1.0
	v_cmp_ngt_f32_e64 s3, 0.5, v13
	s_delay_alu instid0(VALU_DEP_2)
	v_max_num_f32_e64 v13, |v12|, |v0|
	s_or_b32 s3, vcc_lo, s3
	s_wait_alu 0xfffe
	s_and_saveexec_b32 s4, s3
	s_wait_alu 0xfffe
	s_xor_b32 s4, exec_lo, s4
	s_cbranch_execz .LBB347_159
; %bb.158:                              ;   in Loop: Header=BB347_133 Depth=2
	v_cvt_f64_f32_e32 v[25:26], v13
	v_cmp_neq_f32_e32 vcc_lo, 0x7f800000, v13
	s_delay_alu instid0(VALU_DEP_2) | instskip(NEXT) | instid1(VALU_DEP_1)
	v_frexp_exp_i32_f64_e32 v25, v[25:26]
	v_sub_nc_u32_e32 v26, 0, v25
	s_delay_alu instid0(VALU_DEP_1) | instskip(SKIP_1) | instid1(VALU_DEP_2)
	v_ldexp_f32 v27, |v0|, v26
	v_ldexp_f32 v26, |v12|, v26
	v_mul_f32_e32 v27, v27, v27
	s_delay_alu instid0(VALU_DEP_1) | instskip(NEXT) | instid1(VALU_DEP_1)
	v_fmac_f32_e32 v27, v26, v26
	v_sqrt_f32_e32 v26, v27
	s_delay_alu instid0(TRANS32_DEP_1) | instskip(SKIP_1) | instid1(VALU_DEP_1)
	v_ldexp_f32 v25, v26, v25
	s_wait_alu 0xfffd
	v_cndmask_b32_e32 v25, 0x7f800000, v25, vcc_lo
	s_delay_alu instid0(VALU_DEP_1) | instskip(SKIP_2) | instid1(VALU_DEP_1)
	v_cmp_gt_f32_e32 vcc_lo, 0x800000, v25
	s_wait_alu 0xfffd
	v_cndmask_b32_e64 v26, 0, 32, vcc_lo
	v_ldexp_f32 v25, v25, v26
	s_delay_alu instid0(VALU_DEP_1) | instskip(NEXT) | instid1(TRANS32_DEP_1)
	v_log_f32_e32 v25, v25
	v_mul_f32_e32 v26, 0x3f317217, v25
	v_cmp_gt_f32_e64 s3, 0x7f800000, |v25|
	s_delay_alu instid0(VALU_DEP_2) | instskip(NEXT) | instid1(VALU_DEP_1)
	v_fma_f32 v26, 0x3f317217, v25, -v26
	v_fmac_f32_e32 v26, 0x3377d1cf, v25
	s_delay_alu instid0(VALU_DEP_1) | instskip(SKIP_1) | instid1(VALU_DEP_1)
	v_fmac_f32_e32 v26, 0x3f317217, v25
	s_wait_alu 0xf1ff
	v_cndmask_b32_e64 v25, v25, v26, s3
	v_cndmask_b32_e64 v26, 0, 0x41b17218, vcc_lo
	s_delay_alu instid0(VALU_DEP_1)
	v_sub_f32_e32 v26, v25, v26
.LBB347_159:                            ;   in Loop: Header=BB347_133 Depth=2
	s_wait_alu 0xfffe
	s_and_not1_saveexec_b32 s3, s4
	s_cbranch_execz .LBB347_163
; %bb.160:                              ;   in Loop: Header=BB347_133 Depth=2
	s_delay_alu instid0(VALU_DEP_1) | instskip(SKIP_2) | instid1(VALU_DEP_1)
	v_add_f32_e32 v27, 2.0, v26
	v_mul_f32_e32 v25, v0, v0
	s_mov_b32 s4, exec_lo
	v_fmac_f32_e32 v25, v26, v27
	s_delay_alu instid0(VALU_DEP_1)
	v_cmpx_neq_f32_e32 0, v25
	s_cbranch_execz .LBB347_162
; %bb.161:                              ;   in Loop: Header=BB347_133 Depth=2
	v_add_f32_e32 v28, 1.0, v25
	s_delay_alu instid0(VALU_DEP_1) | instskip(NEXT) | instid1(VALU_DEP_1)
	v_cvt_f64_f32_e32 v[26:27], v28
	v_frexp_exp_i32_f64_e32 v26, v[26:27]
	v_frexp_mant_f32_e32 v27, v28
	s_delay_alu instid0(VALU_DEP_1) | instskip(SKIP_1) | instid1(VALU_DEP_1)
	v_cmp_gt_f32_e32 vcc_lo, 0x3f2aaaab, v27
	v_add_f32_e32 v27, -1.0, v28
	v_sub_f32_e32 v30, v27, v28
	s_delay_alu instid0(VALU_DEP_1) | instskip(SKIP_3) | instid1(VALU_DEP_2)
	v_dual_add_f32 v30, 1.0, v30 :: v_dual_sub_f32 v27, v25, v27
	s_wait_alu 0xfffd
	v_subrev_co_ci_u32_e64 v26, null, 0, v26, vcc_lo
	v_cmp_neq_f32_e32 vcc_lo, 0x7f800000, v25
	v_sub_nc_u32_e32 v29, 0, v26
	v_cvt_f32_i32_e32 v26, v26
	s_delay_alu instid0(VALU_DEP_2) | instskip(NEXT) | instid1(VALU_DEP_1)
	v_ldexp_f32 v28, v28, v29
	v_add_f32_e32 v31, 1.0, v28
	s_delay_alu instid0(VALU_DEP_1) | instskip(NEXT) | instid1(VALU_DEP_1)
	v_dual_add_f32 v27, v27, v30 :: v_dual_add_f32 v30, -1.0, v31
	v_ldexp_f32 v27, v27, v29
	s_delay_alu instid0(VALU_DEP_2) | instskip(NEXT) | instid1(VALU_DEP_1)
	v_dual_sub_f32 v30, v28, v30 :: v_dual_add_f32 v29, -1.0, v28
	v_add_f32_e32 v30, v27, v30
	s_delay_alu instid0(VALU_DEP_2) | instskip(NEXT) | instid1(VALU_DEP_1)
	v_add_f32_e32 v32, 1.0, v29
	v_sub_f32_e32 v28, v28, v32
	s_delay_alu instid0(VALU_DEP_1) | instskip(NEXT) | instid1(VALU_DEP_1)
	v_add_f32_e32 v27, v27, v28
	v_dual_add_f32 v33, v29, v27 :: v_dual_add_f32 v32, v31, v30
	s_delay_alu instid0(VALU_DEP_1) | instskip(NEXT) | instid1(VALU_DEP_2)
	v_sub_f32_e32 v29, v33, v29
	v_rcp_f32_e32 v28, v32
	v_sub_f32_e32 v31, v32, v31
	s_delay_alu instid0(VALU_DEP_1) | instskip(NEXT) | instid1(TRANS32_DEP_1)
	v_dual_sub_f32 v27, v27, v29 :: v_dual_sub_f32 v30, v30, v31
	v_mul_f32_e32 v34, v33, v28
	s_delay_alu instid0(VALU_DEP_1) | instskip(NEXT) | instid1(VALU_DEP_1)
	v_mul_f32_e32 v35, v32, v34
	v_fma_f32 v31, v34, v32, -v35
	s_delay_alu instid0(VALU_DEP_1) | instskip(NEXT) | instid1(VALU_DEP_1)
	v_fmac_f32_e32 v31, v34, v30
	v_add_f32_e32 v36, v35, v31
	s_delay_alu instid0(VALU_DEP_1) | instskip(SKIP_1) | instid1(VALU_DEP_2)
	v_sub_f32_e32 v37, v33, v36
	v_sub_f32_e32 v29, v36, v35
	;; [unrolled: 1-line block ×3, first 2 shown]
	s_delay_alu instid0(VALU_DEP_2) | instskip(NEXT) | instid1(VALU_DEP_2)
	v_sub_f32_e32 v29, v29, v31
	v_sub_f32_e32 v33, v33, v36
	s_delay_alu instid0(VALU_DEP_1) | instskip(NEXT) | instid1(VALU_DEP_1)
	v_add_f32_e32 v27, v27, v33
	v_add_f32_e32 v27, v29, v27
	s_delay_alu instid0(VALU_DEP_1) | instskip(NEXT) | instid1(VALU_DEP_1)
	v_add_f32_e32 v29, v37, v27
	v_mul_f32_e32 v31, v28, v29
	s_delay_alu instid0(VALU_DEP_1) | instskip(NEXT) | instid1(VALU_DEP_1)
	v_dual_sub_f32 v36, v37, v29 :: v_dual_mul_f32 v33, v32, v31
	v_add_f32_e32 v27, v27, v36
	s_delay_alu instid0(VALU_DEP_2) | instskip(NEXT) | instid1(VALU_DEP_1)
	v_fma_f32 v32, v31, v32, -v33
	v_fmac_f32_e32 v32, v31, v30
	s_delay_alu instid0(VALU_DEP_1) | instskip(NEXT) | instid1(VALU_DEP_1)
	v_add_f32_e32 v30, v33, v32
	v_sub_f32_e32 v35, v29, v30
	v_sub_f32_e32 v33, v30, v33
	s_delay_alu instid0(VALU_DEP_2) | instskip(NEXT) | instid1(VALU_DEP_1)
	v_sub_f32_e32 v29, v29, v35
	v_sub_f32_e32 v29, v29, v30
	s_delay_alu instid0(VALU_DEP_1) | instskip(SKIP_1) | instid1(VALU_DEP_1)
	v_dual_sub_f32 v30, v33, v32 :: v_dual_add_f32 v27, v27, v29
	v_add_f32_e32 v29, v34, v31
	v_dual_add_f32 v27, v30, v27 :: v_dual_sub_f32 v30, v29, v34
	s_delay_alu instid0(VALU_DEP_1) | instskip(NEXT) | instid1(VALU_DEP_1)
	v_add_f32_e32 v27, v35, v27
	v_dual_sub_f32 v30, v31, v30 :: v_dual_mul_f32 v27, v28, v27
	s_delay_alu instid0(VALU_DEP_1) | instskip(NEXT) | instid1(VALU_DEP_1)
	v_add_f32_e32 v27, v30, v27
	v_add_f32_e32 v28, v29, v27
	s_delay_alu instid0(VALU_DEP_1) | instskip(NEXT) | instid1(VALU_DEP_1)
	v_mul_f32_e32 v30, v28, v28
	v_fmaak_f32 v31, s26, v30, 0x3ecc95a3
	v_mul_f32_e32 v32, v28, v30
	s_delay_alu instid0(VALU_DEP_2) | instskip(SKIP_2) | instid1(VALU_DEP_3)
	v_fmaak_f32 v30, v30, v31, 0x3f2aaada
	v_ldexp_f32 v31, v28, 1
	v_sub_f32_e32 v28, v28, v29
	v_mul_f32_e32 v30, v32, v30
	s_delay_alu instid0(VALU_DEP_2) | instskip(NEXT) | instid1(VALU_DEP_2)
	v_dual_mul_f32 v32, 0x3f317218, v26 :: v_dual_sub_f32 v27, v27, v28
	v_add_f32_e32 v29, v31, v30
	s_delay_alu instid0(VALU_DEP_2) | instskip(NEXT) | instid1(VALU_DEP_2)
	v_ldexp_f32 v27, v27, 1
	v_sub_f32_e32 v28, v29, v31
	s_delay_alu instid0(VALU_DEP_4) | instskip(NEXT) | instid1(VALU_DEP_1)
	v_fma_f32 v31, 0x3f317218, v26, -v32
	v_dual_sub_f32 v28, v30, v28 :: v_dual_fmac_f32 v31, 0xb102e308, v26
	s_delay_alu instid0(VALU_DEP_1) | instskip(NEXT) | instid1(VALU_DEP_1)
	v_add_f32_e32 v26, v27, v28
	v_add_f32_e32 v28, v29, v26
	s_delay_alu instid0(VALU_DEP_1) | instskip(NEXT) | instid1(VALU_DEP_1)
	v_sub_f32_e32 v29, v28, v29
	v_dual_sub_f32 v26, v26, v29 :: v_dual_add_f32 v27, v32, v31
	s_delay_alu instid0(VALU_DEP_1) | instskip(NEXT) | instid1(VALU_DEP_1)
	v_add_f32_e32 v30, v27, v28
	v_dual_sub_f32 v32, v27, v32 :: v_dual_sub_f32 v33, v30, v27
	s_delay_alu instid0(VALU_DEP_1) | instskip(NEXT) | instid1(VALU_DEP_1)
	v_dual_sub_f32 v31, v31, v32 :: v_dual_sub_f32 v34, v30, v33
	v_dual_sub_f32 v28, v28, v33 :: v_dual_add_f32 v29, v31, v26
	s_delay_alu instid0(VALU_DEP_2) | instskip(NEXT) | instid1(VALU_DEP_1)
	v_sub_f32_e32 v27, v27, v34
	v_add_f32_e32 v27, v28, v27
	s_delay_alu instid0(VALU_DEP_3) | instskip(NEXT) | instid1(VALU_DEP_2)
	v_sub_f32_e32 v28, v29, v31
	v_add_f32_e32 v27, v29, v27
	s_delay_alu instid0(VALU_DEP_2) | instskip(SKIP_1) | instid1(VALU_DEP_2)
	v_sub_f32_e32 v29, v29, v28
	v_sub_f32_e32 v26, v26, v28
	v_dual_add_f32 v32, v30, v27 :: v_dual_sub_f32 v29, v31, v29
	s_delay_alu instid0(VALU_DEP_1) | instskip(NEXT) | instid1(VALU_DEP_1)
	v_sub_f32_e32 v28, v32, v30
	v_dual_add_f32 v26, v26, v29 :: v_dual_sub_f32 v27, v27, v28
	s_delay_alu instid0(VALU_DEP_1) | instskip(NEXT) | instid1(VALU_DEP_1)
	v_add_f32_e32 v26, v26, v27
	v_add_f32_e32 v26, v32, v26
	s_wait_alu 0xfffd
	s_delay_alu instid0(VALU_DEP_1) | instskip(SKIP_2) | instid1(VALU_DEP_2)
	v_cndmask_b32_e32 v26, 0x7f800000, v26, vcc_lo
	v_cmp_ngt_f32_e32 vcc_lo, -1.0, v25
	s_wait_alu 0xfffd
	v_cndmask_b32_e32 v26, 0x7fc00000, v26, vcc_lo
	v_cmp_neq_f32_e32 vcc_lo, -1.0, v25
	s_wait_alu 0xfffd
	s_delay_alu instid0(VALU_DEP_2) | instskip(SKIP_2) | instid1(VALU_DEP_2)
	v_cndmask_b32_e32 v26, 0xff800000, v26, vcc_lo
	v_cmp_gt_f32_e64 vcc_lo, 0x33800000, |v25|
	s_wait_alu 0xfffd
	v_cndmask_b32_e32 v25, v26, v25, vcc_lo
	s_delay_alu instid0(VALU_DEP_1)
	v_mul_f32_e32 v26, 0.5, v25
.LBB347_162:                            ;   in Loop: Header=BB347_133 Depth=2
	s_wait_alu 0xfffe
	s_or_b32 exec_lo, exec_lo, s4
.LBB347_163:                            ;   in Loop: Header=BB347_133 Depth=2
	s_wait_alu 0xfffe
	s_or_b32 exec_lo, exec_lo, s3
	v_max_num_f32_e64 v25, |v0|, |v0|
	v_max_num_f32_e64 v27, |v12|, |v12|
	v_frexp_mant_f32_e32 v28, v13
	v_frexp_exp_i32_f32_e32 v13, v13
	v_cmp_gt_f32_e64 vcc_lo, |v0|, |v12|
	v_cmp_gt_i32_e64 s3, 0, v12
	v_min_num_f32_e32 v25, v27, v25
	v_rcp_f32_e32 v27, v28
	v_cmp_class_f32_e64 s4, v12, 0x204
	s_delay_alu instid0(VALU_DEP_2)
	v_frexp_mant_f32_e32 v28, v25
	v_frexp_exp_i32_f32_e32 v25, v25
	s_delay_alu instid0(TRANS32_DEP_1) | instid1(VALU_DEP_2)
	v_mul_f32_e32 v27, v28, v27
	s_delay_alu instid0(VALU_DEP_2) | instskip(SKIP_3) | instid1(VALU_DEP_3)
	v_sub_nc_u32_e32 v13, v25, v13
	s_wait_alu 0xf1ff
	v_cndmask_b32_e64 v28, 0, 0x40490fdb, s3
	v_cmp_class_f32_e64 s3, v0, 0x204
	v_ldexp_f32 v13, v27, v13
	s_delay_alu instid0(VALU_DEP_1) | instskip(NEXT) | instid1(VALU_DEP_1)
	v_mul_f32_e32 v25, v13, v13
	v_fmaak_f32 v27, s27, v25, 0xbc7a590c
	s_delay_alu instid0(VALU_DEP_1) | instskip(NEXT) | instid1(VALU_DEP_1)
	v_fmaak_f32 v27, v25, v27, 0x3d29fb3f
	v_fmaak_f32 v27, v25, v27, 0xbd97d4d7
	s_delay_alu instid0(VALU_DEP_1) | instskip(NEXT) | instid1(VALU_DEP_1)
	v_fmaak_f32 v27, v25, v27, 0x3dd931b2
	;; [unrolled: 3-line block ×3, first 2 shown]
	v_fmaak_f32 v27, v25, v27, 0xbeaaaa62
	s_delay_alu instid0(VALU_DEP_1) | instskip(NEXT) | instid1(VALU_DEP_1)
	v_mul_f32_e32 v25, v25, v27
	v_fmac_f32_e32 v13, v13, v25
	s_delay_alu instid0(VALU_DEP_1) | instskip(SKIP_1) | instid1(VALU_DEP_1)
	v_sub_f32_e32 v25, 0x3fc90fdb, v13
	s_wait_alu 0xfffd
	v_cndmask_b32_e32 v13, v13, v25, vcc_lo
	v_cmp_gt_f32_e32 vcc_lo, 0, v12
	s_delay_alu instid0(VALU_DEP_2) | instskip(SKIP_2) | instid1(VALU_DEP_2)
	v_sub_f32_e32 v25, 0x40490fdb, v13
	s_wait_alu 0xfffd
	v_cndmask_b32_e32 v27, 0x3f490fdb, v20, vcc_lo
	v_cndmask_b32_e32 v13, v13, v25, vcc_lo
	v_cmp_eq_f32_e32 vcc_lo, 0, v0
	s_wait_alu 0xfffd
	s_delay_alu instid0(VALU_DEP_2) | instskip(SKIP_2) | instid1(VALU_DEP_1)
	v_cndmask_b32_e32 v13, v13, v28, vcc_lo
	s_and_b32 vcc_lo, s4, s3
	s_wait_alu 0xfffe
	v_cndmask_b32_e32 v13, v13, v27, vcc_lo
	v_cmp_o_f32_e32 vcc_lo, v12, v0
	v_add_f32_e32 v27, v10, v26
                                        ; implicit-def: $vgpr26
	s_wait_alu 0xfffd
	s_delay_alu instid0(VALU_DEP_3) | instskip(NEXT) | instid1(VALU_DEP_1)
	v_cndmask_b32_e32 v12, 0x7fc00000, v13, vcc_lo
	v_bfi_b32 v0, 0x7fffffff, v12, v0
	s_delay_alu instid0(VALU_DEP_1)
	v_add_f32_e32 v25, v11, v0
                                        ; implicit-def: $vgpr11
.LBB347_164:                            ;   in Loop: Header=BB347_133 Depth=2
	s_and_not1_saveexec_b32 s30, s30
	s_cbranch_execz .LBB347_190
; %bb.165:                              ;   in Loop: Header=BB347_133 Depth=2
	s_mov_b32 s31, exec_lo
	v_cmpx_ngt_f32_e32 0, v27
	s_cbranch_execz .LBB347_189
; %bb.166:                              ;   in Loop: Header=BB347_133 Depth=2
	v_and_b32_e32 v10, 0x7fffffff, v25
	v_cmp_ngt_f32_e64 s33, 0x48000000, |v25|
                                        ; implicit-def: $vgpr13
                                        ; implicit-def: $vgpr12
	s_delay_alu instid0(VALU_DEP_2) | instskip(SKIP_1) | instid1(VALU_DEP_2)
	v_lshrrev_b32_e32 v0, 23, v10
	v_and_or_b32 v28, v10, s23, 0x800000
	v_add_nc_u32_e32 v30, 0xffffff88, v0
	s_and_saveexec_b32 s3, s33
	s_wait_alu 0xfffe
	s_xor_b32 s34, exec_lo, s3
	s_cbranch_execz .LBB347_168
; %bb.167:                              ;   in Loop: Header=BB347_133 Depth=2
	v_mad_co_u64_u32 v[12:13], null, 0xfe5163ab, v28, 0
	v_cmp_lt_u32_e32 vcc_lo, 63, v30
	s_delay_alu instid0(VALU_DEP_2) | instskip(SKIP_2) | instid1(VALU_DEP_1)
	v_mov_b32_e32 v0, v13
	s_wait_alu 0xfffd
	v_cndmask_b32_e64 v13, 0, 0xffffffc0, vcc_lo
	v_add_nc_u32_e32 v13, v13, v30
	s_delay_alu instid0(VALU_DEP_1) | instskip(SKIP_1) | instid1(VALU_DEP_1)
	v_cmp_lt_u32_e64 s3, 31, v13
	s_wait_alu 0xf1ff
	v_cndmask_b32_e64 v27, 0, 0xffffffe0, s3
	s_delay_alu instid0(VALU_DEP_1) | instskip(SKIP_1) | instid1(VALU_DEP_2)
	v_add_nc_u32_e32 v13, v27, v13
	v_mad_co_u64_u32 v[31:32], null, 0x3c439041, v28, v[0:1]
	v_cmp_lt_u32_e64 s4, 31, v13
	s_delay_alu instid0(VALU_DEP_2) | instskip(NEXT) | instid1(VALU_DEP_1)
	v_mov_b32_e32 v0, v32
	v_mad_co_u64_u32 v[32:33], null, 0xdb629599, v28, v[0:1]
	s_delay_alu instid0(VALU_DEP_1) | instskip(NEXT) | instid1(VALU_DEP_2)
	v_mov_b32_e32 v0, v33
	v_cndmask_b32_e32 v12, v32, v12, vcc_lo
	s_delay_alu instid0(VALU_DEP_2) | instskip(NEXT) | instid1(VALU_DEP_1)
	v_mad_co_u64_u32 v[33:34], null, 0xf534ddc0, v28, v[0:1]
	v_mov_b32_e32 v0, v34
	s_delay_alu instid0(VALU_DEP_1) | instskip(NEXT) | instid1(VALU_DEP_1)
	v_mad_co_u64_u32 v[34:35], null, 0xfc2757d1, v28, v[0:1]
	v_mov_b32_e32 v0, v35
	s_delay_alu instid0(VALU_DEP_1) | instskip(NEXT) | instid1(VALU_DEP_1)
	v_mad_co_u64_u32 v[35:36], null, 0x4e441529, v28, v[0:1]
	v_dual_mov_b32 v0, v36 :: v_dual_cndmask_b32 v27, v35, v33
	s_delay_alu instid0(VALU_DEP_1) | instskip(SKIP_2) | instid1(VALU_DEP_1)
	v_mad_co_u64_u32 v[36:37], null, 0xa2f9836e, v28, v[0:1]
	s_wait_alu 0xf1ff
	v_cndmask_b32_e64 v0, 0, 0xffffffe0, s4
	v_add_nc_u32_e32 v0, v0, v13
	s_delay_alu instid0(VALU_DEP_3) | instskip(NEXT) | instid1(VALU_DEP_4)
	v_cndmask_b32_e32 v29, v36, v34, vcc_lo
	v_dual_cndmask_b32 v35, v37, v35 :: v_dual_cndmask_b32 v34, v34, v32
	v_cndmask_b32_e32 v13, v33, v31, vcc_lo
	s_delay_alu instid0(VALU_DEP_4) | instskip(NEXT) | instid1(VALU_DEP_4)
	v_sub_nc_u32_e32 v33, 32, v0
	v_cndmask_b32_e64 v31, v29, v27, s3
	s_delay_alu instid0(VALU_DEP_4)
	v_cndmask_b32_e64 v29, v35, v29, s3
	v_cndmask_b32_e64 v27, v27, v34, s3
	v_cndmask_b32_e64 v34, v34, v13, s3
	v_cmp_eq_u32_e32 vcc_lo, 0, v0
	v_cndmask_b32_e64 v12, v13, v12, s3
	v_cndmask_b32_e64 v29, v29, v31, s4
	;; [unrolled: 1-line block ×4, first 2 shown]
	s_delay_alu instid0(VALU_DEP_4) | instskip(NEXT) | instid1(VALU_DEP_3)
	v_cndmask_b32_e64 v12, v34, v12, s4
	v_alignbit_b32 v35, v29, v31, v33
	s_delay_alu instid0(VALU_DEP_3) | instskip(NEXT) | instid1(VALU_DEP_3)
	v_alignbit_b32 v32, v31, v27, v33
	v_alignbit_b32 v33, v27, v12, v33
	s_wait_alu 0xfffd
	s_delay_alu instid0(VALU_DEP_2) | instskip(NEXT) | instid1(VALU_DEP_2)
	v_dual_cndmask_b32 v0, v35, v29 :: v_dual_cndmask_b32 v13, v32, v31
	v_cndmask_b32_e32 v27, v33, v27, vcc_lo
	s_delay_alu instid0(VALU_DEP_2) | instskip(NEXT) | instid1(VALU_DEP_3)
	v_bfe_u32 v29, v0, 29, 1
	v_alignbit_b32 v31, v0, v13, 30
	s_delay_alu instid0(VALU_DEP_3) | instskip(SKIP_1) | instid1(VALU_DEP_4)
	v_alignbit_b32 v13, v13, v27, 30
	v_alignbit_b32 v12, v27, v12, 30
	v_sub_nc_u32_e32 v32, 0, v29
	s_delay_alu instid0(VALU_DEP_1) | instskip(NEXT) | instid1(VALU_DEP_4)
	v_xor_b32_e32 v31, v31, v32
	v_xor_b32_e32 v13, v13, v32
	s_delay_alu instid0(VALU_DEP_4) | instskip(SKIP_1) | instid1(VALU_DEP_4)
	v_xor_b32_e32 v12, v12, v32
	v_lshrrev_b32_e32 v32, 29, v0
	v_clz_i32_u32_e32 v33, v31
	s_delay_alu instid0(VALU_DEP_1) | instskip(NEXT) | instid1(VALU_DEP_1)
	v_min_u32_e32 v33, 32, v33
	v_sub_nc_u32_e32 v27, 31, v33
	v_lshlrev_b32_e32 v34, 23, v33
	s_delay_alu instid0(VALU_DEP_2) | instskip(SKIP_3) | instid1(VALU_DEP_3)
	v_alignbit_b32 v31, v31, v13, v27
	v_alignbit_b32 v12, v13, v12, v27
	v_lshlrev_b32_e32 v13, 31, v32
	v_lshrrev_b32_e32 v0, 30, v0
	v_alignbit_b32 v27, v31, v12, 9
	s_delay_alu instid0(VALU_DEP_3) | instskip(SKIP_2) | instid1(VALU_DEP_4)
	v_or_b32_e32 v32, 0.5, v13
	v_lshrrev_b32_e32 v31, 9, v31
	v_or_b32_e32 v13, 0x33000000, v13
	v_clz_i32_u32_e32 v35, v27
	s_delay_alu instid0(VALU_DEP_4) | instskip(NEXT) | instid1(VALU_DEP_2)
	v_sub_nc_u32_e32 v32, v32, v34
	v_min_u32_e32 v34, 32, v35
	s_delay_alu instid0(VALU_DEP_2) | instskip(NEXT) | instid1(VALU_DEP_2)
	v_or_b32_e32 v31, v31, v32
	v_not_b32_e32 v32, v34
	s_delay_alu instid0(VALU_DEP_2) | instskip(SKIP_1) | instid1(VALU_DEP_3)
	v_mul_f32_e32 v35, 0x3fc90fda, v31
	v_add_lshl_u32 v33, v34, v33, 23
	v_alignbit_b32 v12, v27, v12, v32
	s_delay_alu instid0(VALU_DEP_3) | instskip(NEXT) | instid1(VALU_DEP_3)
	v_fma_f32 v27, 0x3fc90fda, v31, -v35
	v_sub_nc_u32_e32 v13, v13, v33
	s_delay_alu instid0(VALU_DEP_3) | instskip(NEXT) | instid1(VALU_DEP_3)
	v_lshrrev_b32_e32 v12, 9, v12
	v_fmac_f32_e32 v27, 0x33a22168, v31
	s_delay_alu instid0(VALU_DEP_2) | instskip(SKIP_1) | instid1(VALU_DEP_2)
	v_or_b32_e32 v12, v13, v12
	v_add_nc_u32_e32 v13, v29, v0
	v_fmac_f32_e32 v27, 0x3fc90fda, v12
	s_delay_alu instid0(VALU_DEP_1)
	v_add_f32_e32 v12, v35, v27
.LBB347_168:                            ;   in Loop: Header=BB347_133 Depth=2
	s_or_saveexec_b32 s3, s34
	v_mul_f32_e64 v0, 0x3f22f983, |v25|
	s_delay_alu instid0(VALU_DEP_1)
	v_rndne_f32_e32 v0, v0
	s_wait_alu 0xfffe
	s_xor_b32 exec_lo, exec_lo, s3
; %bb.169:                              ;   in Loop: Header=BB347_133 Depth=2
	s_delay_alu instid0(VALU_DEP_1) | instskip(SKIP_1) | instid1(VALU_DEP_2)
	v_fma_f32 v12, 0xbfc90fda, v0, |v25|
	v_cvt_i32_f32_e32 v13, v0
	v_fmac_f32_e32 v12, 0xb3a22168, v0
	s_delay_alu instid0(VALU_DEP_1)
	v_fmac_f32_e32 v12, 0xa7c234c4, v0
; %bb.170:                              ;   in Loop: Header=BB347_133 Depth=2
	s_or_b32 exec_lo, exec_lo, s3
                                        ; implicit-def: $vgpr29
                                        ; implicit-def: $vgpr27
	s_and_saveexec_b32 s3, s33
	s_wait_alu 0xfffe
	s_xor_b32 s33, exec_lo, s3
	s_cbranch_execz .LBB347_172
; %bb.171:                              ;   in Loop: Header=BB347_133 Depth=2
	v_mad_co_u64_u32 v[31:32], null, 0xfe5163ab, v28, 0
	v_cmp_lt_u32_e32 vcc_lo, 63, v30
	s_wait_alu 0xfffd
	v_cndmask_b32_e64 v27, 0, 0xffffffc0, vcc_lo
	s_delay_alu instid0(VALU_DEP_1) | instskip(NEXT) | instid1(VALU_DEP_1)
	v_dual_mov_b32 v0, v32 :: v_dual_add_nc_u32 v27, v27, v30
	v_mad_co_u64_u32 v[32:33], null, 0x3c439041, v28, v[0:1]
	s_delay_alu instid0(VALU_DEP_2) | instskip(NEXT) | instid1(VALU_DEP_2)
	v_cmp_lt_u32_e64 s3, 31, v27
	v_mov_b32_e32 v0, v33
	s_delay_alu instid0(VALU_DEP_1) | instskip(NEXT) | instid1(VALU_DEP_1)
	v_mad_co_u64_u32 v[33:34], null, 0xdb629599, v28, v[0:1]
	v_dual_mov_b32 v0, v34 :: v_dual_cndmask_b32 v31, v33, v31
	s_delay_alu instid0(VALU_DEP_1) | instskip(NEXT) | instid1(VALU_DEP_1)
	v_mad_co_u64_u32 v[34:35], null, 0xf534ddc0, v28, v[0:1]
	v_mov_b32_e32 v0, v35
	s_delay_alu instid0(VALU_DEP_1) | instskip(NEXT) | instid1(VALU_DEP_1)
	v_mad_co_u64_u32 v[35:36], null, 0xfc2757d1, v28, v[0:1]
	v_mov_b32_e32 v0, v36
	s_wait_alu 0xf1ff
	v_cndmask_b32_e64 v36, 0, 0xffffffe0, s3
	s_delay_alu instid0(VALU_DEP_2) | instskip(NEXT) | instid1(VALU_DEP_1)
	v_mad_co_u64_u32 v[29:30], null, 0x4e441529, v28, v[0:1]
	v_mov_b32_e32 v0, v30
	s_delay_alu instid0(VALU_DEP_3) | instskip(NEXT) | instid1(VALU_DEP_3)
	v_add_nc_u32_e32 v30, v36, v27
	v_cndmask_b32_e32 v36, v29, v34, vcc_lo
	s_delay_alu instid0(VALU_DEP_3) | instskip(NEXT) | instid1(VALU_DEP_3)
	v_mad_co_u64_u32 v[27:28], null, 0xa2f9836e, v28, v[0:1]
	v_cmp_lt_u32_e64 s4, 31, v30
	s_wait_alu 0xf1ff
	s_delay_alu instid0(VALU_DEP_1) | instskip(NEXT) | instid1(VALU_DEP_3)
	v_cndmask_b32_e64 v0, 0, 0xffffffe0, s4
	v_dual_cndmask_b32 v27, v27, v35 :: v_dual_cndmask_b32 v28, v28, v29
	s_delay_alu instid0(VALU_DEP_2) | instskip(SKIP_1) | instid1(VALU_DEP_3)
	v_dual_cndmask_b32 v29, v35, v33 :: v_dual_add_nc_u32 v0, v0, v30
	v_cndmask_b32_e32 v30, v34, v32, vcc_lo
	v_cndmask_b32_e64 v32, v27, v36, s3
	s_delay_alu instid0(VALU_DEP_4) | instskip(NEXT) | instid1(VALU_DEP_4)
	v_cndmask_b32_e64 v27, v28, v27, s3
	v_cndmask_b32_e64 v28, v36, v29, s3
	v_sub_nc_u32_e32 v34, 32, v0
	v_cndmask_b32_e64 v29, v29, v30, s3
	v_cmp_eq_u32_e32 vcc_lo, 0, v0
	v_cndmask_b32_e64 v27, v27, v32, s4
	v_cndmask_b32_e64 v32, v32, v28, s4
	s_delay_alu instid0(VALU_DEP_4) | instskip(NEXT) | instid1(VALU_DEP_2)
	v_cndmask_b32_e64 v28, v28, v29, s4
	v_alignbit_b32 v35, v27, v32, v34
	s_delay_alu instid0(VALU_DEP_2) | instskip(SKIP_1) | instid1(VALU_DEP_2)
	v_alignbit_b32 v33, v32, v28, v34
	s_wait_alu 0xfffd
	v_cndmask_b32_e32 v0, v35, v27, vcc_lo
	v_cndmask_b32_e64 v27, v30, v31, s3
	s_delay_alu instid0(VALU_DEP_3) | instskip(NEXT) | instid1(VALU_DEP_3)
	v_cndmask_b32_e32 v30, v33, v32, vcc_lo
	v_bfe_u32 v31, v0, 29, 1
	s_delay_alu instid0(VALU_DEP_3) | instskip(NEXT) | instid1(VALU_DEP_3)
	v_cndmask_b32_e64 v27, v29, v27, s4
	v_alignbit_b32 v29, v0, v30, 30
	s_delay_alu instid0(VALU_DEP_3) | instskip(NEXT) | instid1(VALU_DEP_3)
	v_sub_nc_u32_e32 v32, 0, v31
	v_alignbit_b32 v33, v28, v27, v34
	s_delay_alu instid0(VALU_DEP_2) | instskip(NEXT) | instid1(VALU_DEP_2)
	v_xor_b32_e32 v29, v29, v32
	v_cndmask_b32_e32 v28, v33, v28, vcc_lo
	s_delay_alu instid0(VALU_DEP_2) | instskip(NEXT) | instid1(VALU_DEP_2)
	v_clz_i32_u32_e32 v33, v29
	v_alignbit_b32 v30, v30, v28, 30
	v_alignbit_b32 v27, v28, v27, 30
	s_delay_alu instid0(VALU_DEP_3) | instskip(NEXT) | instid1(VALU_DEP_3)
	v_min_u32_e32 v33, 32, v33
	v_xor_b32_e32 v28, v30, v32
	s_delay_alu instid0(VALU_DEP_3) | instskip(SKIP_4) | instid1(VALU_DEP_2)
	v_xor_b32_e32 v27, v27, v32
	v_lshrrev_b32_e32 v32, 29, v0
	v_lshrrev_b32_e32 v0, 30, v0
	v_sub_nc_u32_e32 v30, 31, v33
	v_lshlrev_b32_e32 v34, 23, v33
	v_alignbit_b32 v29, v29, v28, v30
	v_alignbit_b32 v27, v28, v27, v30
	v_lshlrev_b32_e32 v28, 31, v32
	s_delay_alu instid0(VALU_DEP_2) | instskip(NEXT) | instid1(VALU_DEP_2)
	v_alignbit_b32 v30, v29, v27, 9
	v_or_b32_e32 v32, 0.5, v28
	v_lshrrev_b32_e32 v29, 9, v29
	v_or_b32_e32 v28, 0x33000000, v28
	s_delay_alu instid0(VALU_DEP_4) | instskip(NEXT) | instid1(VALU_DEP_4)
	v_clz_i32_u32_e32 v35, v30
	v_sub_nc_u32_e32 v32, v32, v34
	s_delay_alu instid0(VALU_DEP_2) | instskip(NEXT) | instid1(VALU_DEP_2)
	v_min_u32_e32 v34, 32, v35
	v_or_b32_e32 v29, v29, v32
	s_delay_alu instid0(VALU_DEP_2) | instskip(NEXT) | instid1(VALU_DEP_2)
	v_not_b32_e32 v32, v34
	v_mul_f32_e32 v35, 0x3fc90fda, v29
	v_add_lshl_u32 v33, v34, v33, 23
	s_delay_alu instid0(VALU_DEP_3) | instskip(NEXT) | instid1(VALU_DEP_3)
	v_alignbit_b32 v27, v30, v27, v32
	v_fma_f32 v30, 0x3fc90fda, v29, -v35
	s_delay_alu instid0(VALU_DEP_3) | instskip(NEXT) | instid1(VALU_DEP_3)
	v_sub_nc_u32_e32 v28, v28, v33
	v_lshrrev_b32_e32 v27, 9, v27
	s_delay_alu instid0(VALU_DEP_3) | instskip(NEXT) | instid1(VALU_DEP_2)
	v_dual_fmac_f32 v30, 0x33a22168, v29 :: v_dual_add_nc_u32 v29, v31, v0
                                        ; implicit-def: $vgpr0
	v_or_b32_e32 v27, v28, v27
	s_delay_alu instid0(VALU_DEP_1) | instskip(NEXT) | instid1(VALU_DEP_1)
	v_fmac_f32_e32 v30, 0x3fc90fda, v27
	v_add_f32_e32 v27, v35, v30
	s_and_not1_saveexec_b32 s3, s33
	s_cbranch_execnz .LBB347_173
	s_branch .LBB347_174
.LBB347_172:                            ;   in Loop: Header=BB347_133 Depth=2
	s_and_not1_saveexec_b32 s3, s33
.LBB347_173:                            ;   in Loop: Header=BB347_133 Depth=2
	v_fma_f32 v27, 0xbfc90fda, v0, |v25|
	v_cvt_i32_f32_e32 v29, v0
	s_delay_alu instid0(VALU_DEP_2) | instskip(NEXT) | instid1(VALU_DEP_1)
	v_fmac_f32_e32 v27, 0xb3a22168, v0
	v_fmac_f32_e32 v27, 0xa7c234c4, v0
.LBB347_174:                            ;   in Loop: Header=BB347_133 Depth=2
	s_wait_alu 0xfffe
	s_or_b32 exec_lo, exec_lo, s3
	v_and_b32_e32 v28, 0x7fffffff, v11
	v_cmp_ngt_f32_e64 s33, 0x48000000, |v11|
                                        ; implicit-def: $vgpr31
                                        ; implicit-def: $vgpr30
	s_delay_alu instid0(VALU_DEP_2) | instskip(SKIP_1) | instid1(VALU_DEP_2)
	v_lshrrev_b32_e32 v0, 23, v28
	v_and_or_b32 v32, v28, s23, 0x800000
	v_add_nc_u32_e32 v33, 0xffffff88, v0
	s_and_saveexec_b32 s3, s33
	s_wait_alu 0xfffe
	s_xor_b32 s34, exec_lo, s3
	s_cbranch_execz .LBB347_176
; %bb.175:                              ;   in Loop: Header=BB347_133 Depth=2
	v_mad_co_u64_u32 v[30:31], null, 0xfe5163ab, v32, 0
	v_cmp_lt_u32_e32 vcc_lo, 63, v33
	s_delay_alu instid0(VALU_DEP_2) | instskip(SKIP_2) | instid1(VALU_DEP_1)
	v_mov_b32_e32 v0, v31
	s_wait_alu 0xfffd
	v_cndmask_b32_e64 v31, 0, 0xffffffc0, vcc_lo
	v_add_nc_u32_e32 v31, v31, v33
	s_delay_alu instid0(VALU_DEP_1) | instskip(SKIP_1) | instid1(VALU_DEP_1)
	v_cmp_lt_u32_e64 s3, 31, v31
	s_wait_alu 0xf1ff
	v_cndmask_b32_e64 v40, 0, 0xffffffe0, s3
	s_delay_alu instid0(VALU_DEP_1) | instskip(SKIP_1) | instid1(VALU_DEP_2)
	v_add_nc_u32_e32 v31, v40, v31
	v_mad_co_u64_u32 v[34:35], null, 0x3c439041, v32, v[0:1]
	v_cmp_lt_u32_e64 s4, 31, v31
	s_delay_alu instid0(VALU_DEP_2) | instskip(NEXT) | instid1(VALU_DEP_1)
	v_mov_b32_e32 v0, v35
	v_mad_co_u64_u32 v[35:36], null, 0xdb629599, v32, v[0:1]
	s_delay_alu instid0(VALU_DEP_1) | instskip(NEXT) | instid1(VALU_DEP_2)
	v_mov_b32_e32 v0, v36
	v_cndmask_b32_e32 v30, v35, v30, vcc_lo
	s_delay_alu instid0(VALU_DEP_2) | instskip(NEXT) | instid1(VALU_DEP_1)
	v_mad_co_u64_u32 v[36:37], null, 0xf534ddc0, v32, v[0:1]
	v_mov_b32_e32 v0, v37
	s_delay_alu instid0(VALU_DEP_1) | instskip(NEXT) | instid1(VALU_DEP_1)
	v_mad_co_u64_u32 v[37:38], null, 0xfc2757d1, v32, v[0:1]
	v_mov_b32_e32 v0, v38
	s_delay_alu instid0(VALU_DEP_1) | instskip(NEXT) | instid1(VALU_DEP_1)
	v_mad_co_u64_u32 v[38:39], null, 0x4e441529, v32, v[0:1]
	v_dual_mov_b32 v0, v39 :: v_dual_cndmask_b32 v41, v38, v36
	s_delay_alu instid0(VALU_DEP_1) | instskip(SKIP_2) | instid1(VALU_DEP_1)
	v_mad_co_u64_u32 v[39:40], null, 0xa2f9836e, v32, v[0:1]
	s_wait_alu 0xf1ff
	v_cndmask_b32_e64 v0, 0, 0xffffffe0, s4
	v_dual_cndmask_b32 v39, v39, v37 :: v_dual_add_nc_u32 v0, v0, v31
	s_delay_alu instid0(VALU_DEP_3) | instskip(SKIP_1) | instid1(VALU_DEP_3)
	v_dual_cndmask_b32 v38, v40, v38 :: v_dual_cndmask_b32 v37, v37, v35
	v_cndmask_b32_e32 v31, v36, v34, vcc_lo
	v_cmp_eq_u32_e32 vcc_lo, 0, v0
	s_delay_alu instid0(VALU_DEP_4) | instskip(NEXT) | instid1(VALU_DEP_4)
	v_cndmask_b32_e64 v34, v39, v41, s3
	v_cndmask_b32_e64 v36, v38, v39, s3
	;; [unrolled: 1-line block ×3, first 2 shown]
	v_sub_nc_u32_e32 v39, 32, v0
	v_cndmask_b32_e64 v37, v37, v31, s3
	v_cndmask_b32_e64 v30, v31, v30, s3
	v_cndmask_b32_e64 v36, v36, v34, s4
	v_cndmask_b32_e64 v34, v34, v38, s4
	s_delay_alu instid0(VALU_DEP_4) | instskip(NEXT) | instid1(VALU_DEP_4)
	v_cndmask_b32_e64 v38, v38, v37, s4
	v_cndmask_b32_e64 v30, v37, v30, s4
	s_delay_alu instid0(VALU_DEP_3) | instskip(NEXT) | instid1(VALU_DEP_3)
	v_alignbit_b32 v40, v36, v34, v39
	v_alignbit_b32 v35, v34, v38, v39
	s_delay_alu instid0(VALU_DEP_3) | instskip(SKIP_1) | instid1(VALU_DEP_2)
	v_alignbit_b32 v37, v38, v30, v39
	s_wait_alu 0xfffd
	v_dual_cndmask_b32 v0, v40, v36 :: v_dual_cndmask_b32 v31, v35, v34
	s_delay_alu instid0(VALU_DEP_2) | instskip(NEXT) | instid1(VALU_DEP_2)
	v_cndmask_b32_e32 v37, v37, v38, vcc_lo
	v_bfe_u32 v34, v0, 29, 1
	s_delay_alu instid0(VALU_DEP_3) | instskip(NEXT) | instid1(VALU_DEP_3)
	v_alignbit_b32 v35, v0, v31, 30
	v_alignbit_b32 v31, v31, v37, 30
	;; [unrolled: 1-line block ×3, first 2 shown]
	s_delay_alu instid0(VALU_DEP_4) | instskip(NEXT) | instid1(VALU_DEP_1)
	v_sub_nc_u32_e32 v36, 0, v34
	v_xor_b32_e32 v35, v35, v36
	s_delay_alu instid0(VALU_DEP_4) | instskip(NEXT) | instid1(VALU_DEP_4)
	v_xor_b32_e32 v31, v31, v36
	v_xor_b32_e32 v30, v30, v36
	s_delay_alu instid0(VALU_DEP_3) | instskip(NEXT) | instid1(VALU_DEP_1)
	v_clz_i32_u32_e32 v38, v35
	v_min_u32_e32 v38, 32, v38
	s_delay_alu instid0(VALU_DEP_1) | instskip(SKIP_3) | instid1(VALU_DEP_4)
	v_sub_nc_u32_e32 v37, 31, v38
	v_lshlrev_b32_e32 v39, 23, v38
	v_lshrrev_b32_e32 v36, 29, v0
	v_lshrrev_b32_e32 v0, 30, v0
	v_alignbit_b32 v35, v35, v31, v37
	v_alignbit_b32 v30, v31, v30, v37
	s_delay_alu instid0(VALU_DEP_4) | instskip(NEXT) | instid1(VALU_DEP_2)
	v_lshlrev_b32_e32 v31, 31, v36
	v_alignbit_b32 v36, v35, v30, 9
	s_delay_alu instid0(VALU_DEP_2) | instskip(SKIP_2) | instid1(VALU_DEP_4)
	v_or_b32_e32 v37, 0.5, v31
	v_lshrrev_b32_e32 v35, 9, v35
	v_or_b32_e32 v31, 0x33000000, v31
	v_clz_i32_u32_e32 v40, v36
	s_delay_alu instid0(VALU_DEP_4) | instskip(NEXT) | instid1(VALU_DEP_2)
	v_sub_nc_u32_e32 v37, v37, v39
	v_min_u32_e32 v39, 32, v40
	s_delay_alu instid0(VALU_DEP_2) | instskip(NEXT) | instid1(VALU_DEP_2)
	v_or_b32_e32 v35, v35, v37
	v_not_b32_e32 v37, v39
	v_add_lshl_u32 v38, v39, v38, 23
	s_delay_alu instid0(VALU_DEP_3) | instskip(NEXT) | instid1(VALU_DEP_3)
	v_mul_f32_e32 v40, 0x3fc90fda, v35
	v_alignbit_b32 v30, v36, v30, v37
	s_delay_alu instid0(VALU_DEP_3) | instskip(NEXT) | instid1(VALU_DEP_2)
	v_sub_nc_u32_e32 v31, v31, v38
	v_lshrrev_b32_e32 v30, 9, v30
	s_delay_alu instid0(VALU_DEP_1) | instskip(SKIP_2) | instid1(VALU_DEP_1)
	v_or_b32_e32 v30, v31, v30
	v_add_nc_u32_e32 v31, v34, v0
	v_fma_f32 v36, 0x3fc90fda, v35, -v40
	v_fmac_f32_e32 v36, 0x33a22168, v35
	s_delay_alu instid0(VALU_DEP_1) | instskip(NEXT) | instid1(VALU_DEP_1)
	v_fmac_f32_e32 v36, 0x3fc90fda, v30
	v_add_f32_e32 v30, v40, v36
.LBB347_176:                            ;   in Loop: Header=BB347_133 Depth=2
	s_or_saveexec_b32 s3, s34
	v_mul_f32_e64 v0, 0x3f22f983, |v11|
	s_delay_alu instid0(VALU_DEP_1)
	v_rndne_f32_e32 v35, v0
	s_wait_alu 0xfffe
	s_xor_b32 exec_lo, exec_lo, s3
; %bb.177:                              ;   in Loop: Header=BB347_133 Depth=2
	s_delay_alu instid0(VALU_DEP_1) | instskip(SKIP_1) | instid1(VALU_DEP_2)
	v_fma_f32 v30, 0xbfc90fda, v35, |v11|
	v_cvt_i32_f32_e32 v31, v35
	v_fmac_f32_e32 v30, 0xb3a22168, v35
	s_delay_alu instid0(VALU_DEP_1)
	v_fmac_f32_e32 v30, 0xa7c234c4, v35
; %bb.178:                              ;   in Loop: Header=BB347_133 Depth=2
	s_or_b32 exec_lo, exec_lo, s3
                                        ; implicit-def: $vgpr34
                                        ; implicit-def: $vgpr0
	s_and_saveexec_b32 s3, s33
	s_wait_alu 0xfffe
	s_xor_b32 s33, exec_lo, s3
	s_cbranch_execz .LBB347_180
; %bb.179:                              ;   in Loop: Header=BB347_133 Depth=2
	v_mad_co_u64_u32 v[34:35], null, 0xfe5163ab, v32, 0
	v_cmp_lt_u32_e32 vcc_lo, 63, v33
	s_wait_alu 0xfffd
	v_cndmask_b32_e64 v40, 0, 0xffffffc0, vcc_lo
	s_delay_alu instid0(VALU_DEP_1) | instskip(NEXT) | instid1(VALU_DEP_1)
	v_dual_mov_b32 v0, v35 :: v_dual_add_nc_u32 v33, v40, v33
	v_mad_co_u64_u32 v[35:36], null, 0x3c439041, v32, v[0:1]
	s_delay_alu instid0(VALU_DEP_2) | instskip(NEXT) | instid1(VALU_DEP_2)
	v_cmp_lt_u32_e64 s3, 31, v33
	v_mov_b32_e32 v0, v36
	s_wait_alu 0xf1ff
	s_delay_alu instid0(VALU_DEP_2) | instskip(NEXT) | instid1(VALU_DEP_2)
	v_cndmask_b32_e64 v41, 0, 0xffffffe0, s3
	v_mad_co_u64_u32 v[36:37], null, 0xdb629599, v32, v[0:1]
	s_delay_alu instid0(VALU_DEP_1) | instskip(NEXT) | instid1(VALU_DEP_2)
	v_mov_b32_e32 v0, v37
	v_cndmask_b32_e32 v34, v36, v34, vcc_lo
	s_delay_alu instid0(VALU_DEP_2) | instskip(NEXT) | instid1(VALU_DEP_1)
	v_mad_co_u64_u32 v[37:38], null, 0xf534ddc0, v32, v[0:1]
	v_dual_mov_b32 v0, v38 :: v_dual_cndmask_b32 v35, v37, v35
	s_delay_alu instid0(VALU_DEP_1) | instskip(NEXT) | instid1(VALU_DEP_1)
	v_mad_co_u64_u32 v[38:39], null, 0xfc2757d1, v32, v[0:1]
	v_mov_b32_e32 v0, v39
	s_delay_alu instid0(VALU_DEP_1) | instskip(NEXT) | instid1(VALU_DEP_1)
	v_mad_co_u64_u32 v[39:40], null, 0x4e441529, v32, v[0:1]
	v_mov_b32_e32 v0, v40
	v_add_nc_u32_e32 v40, v41, v33
	s_delay_alu instid0(VALU_DEP_3) | instskip(NEXT) | instid1(VALU_DEP_3)
	v_cndmask_b32_e32 v41, v39, v37, vcc_lo
	v_mad_co_u64_u32 v[32:33], null, 0xa2f9836e, v32, v[0:1]
	s_delay_alu instid0(VALU_DEP_3) | instskip(SKIP_1) | instid1(VALU_DEP_1)
	v_cmp_lt_u32_e64 s4, 31, v40
	s_wait_alu 0xf1ff
	v_cndmask_b32_e64 v0, 0, 0xffffffe0, s4
	s_delay_alu instid0(VALU_DEP_3) | instskip(SKIP_1) | instid1(VALU_DEP_3)
	v_dual_cndmask_b32 v32, v32, v38 :: v_dual_cndmask_b32 v33, v33, v39
	v_cndmask_b32_e32 v38, v38, v36, vcc_lo
	v_add_nc_u32_e32 v0, v0, v40
	s_delay_alu instid0(VALU_DEP_3) | instskip(NEXT) | instid1(VALU_DEP_4)
	v_cndmask_b32_e64 v37, v32, v41, s3
	v_cndmask_b32_e64 v32, v33, v32, s3
	s_delay_alu instid0(VALU_DEP_4)
	v_cndmask_b32_e64 v33, v41, v38, s3
	v_cndmask_b32_e64 v38, v38, v35, s3
	v_sub_nc_u32_e32 v39, 32, v0
	v_cmp_eq_u32_e32 vcc_lo, 0, v0
	v_cndmask_b32_e64 v32, v32, v37, s4
	v_cndmask_b32_e64 v37, v37, v33, s4
	;; [unrolled: 1-line block ×3, first 2 shown]
	s_delay_alu instid0(VALU_DEP_2) | instskip(NEXT) | instid1(VALU_DEP_2)
	v_alignbit_b32 v40, v32, v37, v39
	v_alignbit_b32 v36, v37, v33, v39
	s_wait_alu 0xfffd
	s_delay_alu instid0(VALU_DEP_2) | instskip(SKIP_1) | instid1(VALU_DEP_3)
	v_cndmask_b32_e32 v0, v40, v32, vcc_lo
	v_cndmask_b32_e64 v32, v35, v34, s3
	v_cndmask_b32_e32 v34, v36, v37, vcc_lo
	s_delay_alu instid0(VALU_DEP_3) | instskip(NEXT) | instid1(VALU_DEP_3)
	v_bfe_u32 v35, v0, 29, 1
	v_cndmask_b32_e64 v32, v38, v32, s4
	s_delay_alu instid0(VALU_DEP_3) | instskip(NEXT) | instid1(VALU_DEP_3)
	v_alignbit_b32 v36, v0, v34, 30
	v_sub_nc_u32_e32 v37, 0, v35
	s_delay_alu instid0(VALU_DEP_3) | instskip(NEXT) | instid1(VALU_DEP_2)
	v_alignbit_b32 v38, v33, v32, v39
	v_xor_b32_e32 v36, v36, v37
	s_delay_alu instid0(VALU_DEP_2) | instskip(NEXT) | instid1(VALU_DEP_2)
	v_cndmask_b32_e32 v33, v38, v33, vcc_lo
	v_clz_i32_u32_e32 v38, v36
	s_delay_alu instid0(VALU_DEP_2) | instskip(SKIP_1) | instid1(VALU_DEP_3)
	v_alignbit_b32 v34, v34, v33, 30
	v_alignbit_b32 v32, v33, v32, 30
	v_min_u32_e32 v38, 32, v38
	s_delay_alu instid0(VALU_DEP_3) | instskip(NEXT) | instid1(VALU_DEP_3)
	v_xor_b32_e32 v33, v34, v37
	v_xor_b32_e32 v32, v32, v37
	s_delay_alu instid0(VALU_DEP_3) | instskip(SKIP_2) | instid1(VALU_DEP_3)
	v_sub_nc_u32_e32 v34, 31, v38
	v_lshlrev_b32_e32 v39, 23, v38
	v_lshrrev_b32_e32 v37, 29, v0
	v_alignbit_b32 v36, v36, v33, v34
	v_alignbit_b32 v32, v33, v32, v34
	s_delay_alu instid0(VALU_DEP_3) | instskip(NEXT) | instid1(VALU_DEP_2)
	v_lshlrev_b32_e32 v33, 31, v37
	v_alignbit_b32 v34, v36, v32, 9
	s_delay_alu instid0(VALU_DEP_2) | instskip(SKIP_2) | instid1(VALU_DEP_4)
	v_or_b32_e32 v37, 0.5, v33
	v_lshrrev_b32_e32 v36, 9, v36
	v_or_b32_e32 v33, 0x33000000, v33
	v_clz_i32_u32_e32 v40, v34
	s_delay_alu instid0(VALU_DEP_4) | instskip(NEXT) | instid1(VALU_DEP_2)
	v_sub_nc_u32_e32 v37, v37, v39
	v_min_u32_e32 v39, 32, v40
	s_delay_alu instid0(VALU_DEP_2) | instskip(NEXT) | instid1(VALU_DEP_2)
	v_or_b32_e32 v36, v36, v37
	v_not_b32_e32 v37, v39
	s_delay_alu instid0(VALU_DEP_2) | instskip(SKIP_1) | instid1(VALU_DEP_3)
	v_mul_f32_e32 v40, 0x3fc90fda, v36
	v_add_lshl_u32 v38, v39, v38, 23
	v_alignbit_b32 v32, v34, v32, v37
	s_delay_alu instid0(VALU_DEP_3) | instskip(NEXT) | instid1(VALU_DEP_3)
	v_fma_f32 v34, 0x3fc90fda, v36, -v40
	v_sub_nc_u32_e32 v33, v33, v38
	s_delay_alu instid0(VALU_DEP_3) | instskip(NEXT) | instid1(VALU_DEP_3)
	v_lshrrev_b32_e32 v32, 9, v32
	v_fmac_f32_e32 v34, 0x33a22168, v36
	s_delay_alu instid0(VALU_DEP_2) | instskip(NEXT) | instid1(VALU_DEP_1)
	v_or_b32_e32 v32, v33, v32
	v_fmac_f32_e32 v34, 0x3fc90fda, v32
	v_lshrrev_b32_e32 v32, 30, v0
	s_delay_alu instid0(VALU_DEP_2) | instskip(NEXT) | instid1(VALU_DEP_2)
	v_add_f32_e32 v0, v40, v34
	v_add_nc_u32_e32 v34, v35, v32
                                        ; implicit-def: $vgpr35
	s_and_not1_saveexec_b32 s3, s33
	s_cbranch_execnz .LBB347_181
	s_branch .LBB347_182
.LBB347_180:                            ;   in Loop: Header=BB347_133 Depth=2
	s_and_not1_saveexec_b32 s3, s33
.LBB347_181:                            ;   in Loop: Header=BB347_133 Depth=2
	v_fma_f32 v0, 0xbfc90fda, v35, |v11|
	v_cvt_i32_f32_e32 v34, v35
	s_delay_alu instid0(VALU_DEP_2) | instskip(NEXT) | instid1(VALU_DEP_1)
	v_fmac_f32_e32 v0, 0xb3a22168, v35
	v_fmac_f32_e32 v0, 0xa7c234c4, v35
.LBB347_182:                            ;   in Loop: Header=BB347_133 Depth=2
	s_wait_alu 0xfffe
	s_or_b32 exec_lo, exec_lo, s3
	v_dual_mul_f32 v32, v12, v12 :: v_dual_lshlrev_b32 v33, 30, v13
	v_mul_f32_e32 v35, v27, v27
	v_xor_b32_e32 v10, v10, v26
	v_xor_b32_e32 v28, v28, v11
	s_delay_alu instid0(VALU_DEP_4) | instskip(NEXT) | instid1(VALU_DEP_4)
	v_fmaak_f32 v36, s25, v32, 0x3c0881c4
	v_dual_fmaak_f32 v37, s24, v32, 0xbab64f3b :: v_dual_fmaak_f32 v38, s24, v35, 0xbab64f3b
	v_dual_fmaak_f32 v26, s25, v35, 0x3c0881c4 :: v_dual_and_b32 v13, 1, v13
	s_delay_alu instid0(VALU_DEP_3) | instskip(NEXT) | instid1(VALU_DEP_3)
	v_dual_fmaak_f32 v36, v32, v36, 0xbe2aaa9d :: v_dual_and_b32 v39, 1, v29
	v_dual_fmaak_f32 v37, v32, v37, 0x3d2aabf7 :: v_dual_fmaak_f32 v38, v35, v38, 0x3d2aabf7
	s_delay_alu instid0(VALU_DEP_3) | instskip(NEXT) | instid1(VALU_DEP_3)
	v_dual_fmaak_f32 v26, v35, v26, 0xbe2aaa9d :: v_dual_lshlrev_b32 v29, 30, v29
	v_dual_mul_f32 v36, v32, v36 :: v_dual_and_b32 v33, 0x80000000, v33
	s_delay_alu instid0(VALU_DEP_2) | instskip(SKIP_1) | instid1(VALU_DEP_3)
	v_dual_fmaak_f32 v37, v32, v37, 0xbf000004 :: v_dual_mul_f32 v26, v35, v26
	v_cmp_eq_u32_e32 vcc_lo, 0, v13
	v_fmac_f32_e32 v12, v12, v36
	v_cmp_class_f32_e64 s3, v11, 0x1f8
	s_delay_alu instid0(VALU_DEP_4)
	v_fma_f32 v32, v32, v37, 1.0
	v_fmac_f32_e32 v27, v27, v26
	v_mul_f32_e32 v13, v30, v30
	v_fmaak_f32 v38, v35, v38, 0xbf000004
	v_lshlrev_b32_e32 v36, 30, v31
	s_wait_alu 0xfffd
	v_cndmask_b32_e32 v12, v32, v12, vcc_lo
	v_mul_f32_e32 v32, v0, v0
	v_cmp_eq_u32_e32 vcc_lo, 0, v39
	v_fma_f32 v26, v35, v38, 1.0
	s_delay_alu instid0(VALU_DEP_4) | instskip(SKIP_2) | instid1(VALU_DEP_3)
	v_xor3_b32 v10, v10, v33, v12
	v_and_b32_e32 v31, 1, v31
	s_wait_alu 0xfffd
	v_cndmask_b32_e64 v26, -v27, v26, vcc_lo
	v_fmaak_f32 v27, s25, v13, 0x3c0881c4
	v_fmaak_f32 v33, s25, v32, 0x3c0881c4
	v_cmp_eq_u32_e32 vcc_lo, 0, v31
	s_delay_alu instid0(VALU_DEP_2) | instskip(NEXT) | instid1(VALU_DEP_1)
	v_fmaak_f32 v33, v32, v33, 0xbe2aaa9d
	v_dual_mul_f32 v33, v32, v33 :: v_dual_and_b32 v36, 0x80000000, v36
	s_delay_alu instid0(VALU_DEP_1) | instskip(NEXT) | instid1(VALU_DEP_1)
	v_dual_fmaak_f32 v27, v13, v27, 0xbe2aaa9d :: v_dual_fmac_f32 v0, v0, v33
	v_mul_f32_e32 v27, v13, v27
	s_delay_alu instid0(VALU_DEP_1) | instskip(NEXT) | instid1(VALU_DEP_1)
	v_dual_fmaak_f32 v35, s24, v32, 0xbab64f3b :: v_dual_fmac_f32 v30, v30, v27
	v_fmaak_f32 v35, v32, v35, 0x3d2aabf7
	v_and_b32_e32 v12, 0x80000000, v29
	v_fmaak_f32 v29, s24, v13, 0xbab64f3b
	s_delay_alu instid0(VALU_DEP_3) | instskip(NEXT) | instid1(VALU_DEP_1)
	v_fmaak_f32 v35, v32, v35, 0xbf000004
	v_fma_f32 v27, v32, v35, 1.0
	s_delay_alu instid0(VALU_DEP_3) | instskip(NEXT) | instid1(VALU_DEP_1)
	v_dual_fmaak_f32 v29, v13, v29, 0x3d2aabf7 :: v_dual_lshlrev_b32 v32, 30, v34
	v_fmaak_f32 v29, v13, v29, 0xbf000004
	s_delay_alu instid0(VALU_DEP_1) | instskip(SKIP_2) | instid1(VALU_DEP_2)
	v_fma_f32 v13, v13, v29, 1.0
	v_and_b32_e32 v29, 1, v34
	s_wait_alu 0xfffd
	v_cndmask_b32_e32 v13, v13, v30, vcc_lo
	s_delay_alu instid0(VALU_DEP_2) | instskip(SKIP_1) | instid1(VALU_DEP_3)
	v_cmp_eq_u32_e32 vcc_lo, 0, v29
	v_xor_b32_e32 v12, v12, v26
	v_xor3_b32 v13, v28, v36, v13
	s_wait_alu 0xfffd
	v_cndmask_b32_e64 v0, -v0, v27, vcc_lo
	v_and_b32_e32 v27, 0x80000000, v32
	v_cmp_class_f32_e64 vcc_lo, v25, 0x1f8
	s_delay_alu instid0(VALU_DEP_2)
	v_xor_b32_e32 v0, v27, v0
	s_wait_alu 0xfffd
	v_cndmask_b32_e32 v11, 0x7fc00000, v12, vcc_lo
	v_cndmask_b32_e32 v10, 0x7fc00000, v10, vcc_lo
	s_wait_alu 0xf1ff
	v_cndmask_b32_e64 v12, 0x7fc00000, v13, s3
	v_cndmask_b32_e64 v0, 0x7fc00000, v0, s3
	v_mul_f32_e32 v13, 0x7f800000, v11
	v_cmp_neq_f32_e32 vcc_lo, 0, v11
	s_delay_alu instid0(VALU_DEP_4) | instskip(NEXT) | instid1(VALU_DEP_4)
	v_mul_f32_e32 v26, 0x7f800000, v12
	v_mul_f32_e32 v25, 0x7f800000, v0
	s_wait_alu 0xfffd
	v_cndmask_b32_e32 v11, 0, v13, vcc_lo
	v_cmp_neq_f32_e32 vcc_lo, 0, v0
	s_wait_alu 0xfffd
	v_dual_mul_f32 v13, 0x7f800000, v10 :: v_dual_cndmask_b32 v0, 0, v25
	v_cmp_neq_f32_e32 vcc_lo, 0, v10
	s_wait_alu 0xfffd
	s_delay_alu instid0(VALU_DEP_2) | instskip(SKIP_2) | instid1(VALU_DEP_2)
	v_dual_add_f32 v11, v11, v0 :: v_dual_cndmask_b32 v10, 0, v13
	v_cmp_neq_f32_e32 vcc_lo, 0, v12
	s_wait_alu 0xfffd
	v_dual_add_f32 v27, -1.0, v11 :: v_dual_cndmask_b32 v12, 0, v26
	s_delay_alu instid0(VALU_DEP_1) | instskip(NEXT) | instid1(VALU_DEP_1)
	v_add_f32_e32 v0, v10, v12
	v_max_num_f32_e64 v12, |v27|, |v0|
	s_delay_alu instid0(VALU_DEP_1) | instskip(SKIP_1) | instid1(VALU_DEP_2)
	v_cvt_f64_f32_e32 v[10:11], v12
	v_cmp_eq_f32_e32 vcc_lo, 0x7f800000, v12
	v_frexp_exp_i32_f64_e32 v10, v[10:11]
	s_delay_alu instid0(VALU_DEP_1) | instskip(NEXT) | instid1(VALU_DEP_1)
	v_sub_nc_u32_e32 v11, 0, v10
	v_ldexp_f32 v13, |v0|, v11
	v_ldexp_f32 v11, |v27|, v11
	s_delay_alu instid0(VALU_DEP_2) | instskip(NEXT) | instid1(VALU_DEP_1)
	v_mul_f32_e32 v13, v13, v13
	v_fmac_f32_e32 v13, v11, v11
	s_delay_alu instid0(VALU_DEP_1) | instskip(NEXT) | instid1(TRANS32_DEP_1)
	v_sqrt_f32_e32 v11, v13
	v_ldexp_f32 v11, v11, v10
	v_add_f32_e32 v10, 1.0, v27
	s_delay_alu instid0(VALU_DEP_2) | instskip(NEXT) | instid1(VALU_DEP_2)
	v_cmp_ngt_f32_e64 s3, 0.5, v11
	v_max_num_f32_e64 v11, |v10|, |v0|
	s_or_b32 s3, vcc_lo, s3
	s_wait_alu 0xfffe
	s_and_saveexec_b32 s4, s3
	s_wait_alu 0xfffe
	s_xor_b32 s4, exec_lo, s4
	s_cbranch_execz .LBB347_184
; %bb.183:                              ;   in Loop: Header=BB347_133 Depth=2
	v_cvt_f64_f32_e32 v[12:13], v11
	v_cmp_neq_f32_e32 vcc_lo, 0x7f800000, v11
	s_delay_alu instid0(VALU_DEP_2) | instskip(NEXT) | instid1(VALU_DEP_1)
	v_frexp_exp_i32_f64_e32 v12, v[12:13]
	v_sub_nc_u32_e32 v13, 0, v12
	s_delay_alu instid0(VALU_DEP_1) | instskip(SKIP_1) | instid1(VALU_DEP_2)
	v_ldexp_f32 v25, |v0|, v13
	v_ldexp_f32 v13, |v10|, v13
	v_mul_f32_e32 v25, v25, v25
	s_delay_alu instid0(VALU_DEP_1) | instskip(NEXT) | instid1(VALU_DEP_1)
	v_fmac_f32_e32 v25, v13, v13
	v_sqrt_f32_e32 v13, v25
	s_delay_alu instid0(TRANS32_DEP_1) | instskip(SKIP_1) | instid1(VALU_DEP_1)
	v_ldexp_f32 v12, v13, v12
	s_wait_alu 0xfffd
	v_cndmask_b32_e32 v12, 0x7f800000, v12, vcc_lo
	s_delay_alu instid0(VALU_DEP_1) | instskip(SKIP_2) | instid1(VALU_DEP_1)
	v_cmp_gt_f32_e32 vcc_lo, 0x800000, v12
	s_wait_alu 0xfffd
	v_cndmask_b32_e64 v13, 0, 32, vcc_lo
	v_ldexp_f32 v12, v12, v13
	s_delay_alu instid0(VALU_DEP_1) | instskip(NEXT) | instid1(TRANS32_DEP_1)
	v_log_f32_e32 v12, v12
	v_mul_f32_e32 v13, 0x3f317217, v12
	v_cmp_gt_f32_e64 s3, 0x7f800000, |v12|
	s_delay_alu instid0(VALU_DEP_2) | instskip(NEXT) | instid1(VALU_DEP_1)
	v_fma_f32 v13, 0x3f317217, v12, -v13
	v_fmac_f32_e32 v13, 0x3377d1cf, v12
	s_delay_alu instid0(VALU_DEP_1) | instskip(SKIP_1) | instid1(VALU_DEP_1)
	v_fmac_f32_e32 v13, 0x3f317217, v12
	s_wait_alu 0xf1ff
	v_cndmask_b32_e64 v12, v12, v13, s3
	v_cndmask_b32_e64 v13, 0, 0x41b17218, vcc_lo
	s_delay_alu instid0(VALU_DEP_1)
	v_sub_f32_e32 v27, v12, v13
.LBB347_184:                            ;   in Loop: Header=BB347_133 Depth=2
	s_wait_alu 0xfffe
	s_and_not1_saveexec_b32 s3, s4
	s_cbranch_execz .LBB347_188
; %bb.185:                              ;   in Loop: Header=BB347_133 Depth=2
	s_delay_alu instid0(VALU_DEP_1) | instskip(SKIP_1) | instid1(VALU_DEP_1)
	v_add_f32_e32 v12, 2.0, v27
	s_mov_b32 s4, exec_lo
	v_mul_f32_e32 v12, v27, v12
	s_delay_alu instid0(VALU_DEP_1) | instskip(NEXT) | instid1(VALU_DEP_1)
	v_fmac_f32_e32 v12, v0, v0
	v_cmpx_neq_f32_e32 0, v12
	s_cbranch_execz .LBB347_187
; %bb.186:                              ;   in Loop: Header=BB347_133 Depth=2
	v_add_f32_e32 v13, 1.0, v12
	s_delay_alu instid0(VALU_DEP_1) | instskip(NEXT) | instid1(VALU_DEP_1)
	v_cvt_f64_f32_e32 v[25:26], v13
	v_frexp_exp_i32_f64_e32 v25, v[25:26]
	v_frexp_mant_f32_e32 v26, v13
	s_delay_alu instid0(VALU_DEP_1) | instskip(SKIP_1) | instid1(VALU_DEP_1)
	v_cmp_gt_f32_e32 vcc_lo, 0x3f2aaaab, v26
	v_add_f32_e32 v26, -1.0, v13
	v_sub_f32_e32 v28, v26, v13
	v_sub_f32_e32 v26, v12, v26
	s_wait_alu 0xfffd
	v_subrev_co_ci_u32_e64 v25, null, 0, v25, vcc_lo
	v_cmp_neq_f32_e32 vcc_lo, 0x7f800000, v12
	s_delay_alu instid0(VALU_DEP_2) | instskip(SKIP_1) | instid1(VALU_DEP_2)
	v_sub_nc_u32_e32 v27, 0, v25
	v_cvt_f32_i32_e32 v25, v25
	v_ldexp_f32 v13, v13, v27
	s_delay_alu instid0(VALU_DEP_1) | instskip(NEXT) | instid1(VALU_DEP_1)
	v_dual_add_f32 v28, 1.0, v28 :: v_dual_add_f32 v29, 1.0, v13
	v_add_f32_e32 v26, v26, v28
	s_delay_alu instid0(VALU_DEP_2) | instskip(NEXT) | instid1(VALU_DEP_2)
	v_add_f32_e32 v28, -1.0, v29
	v_ldexp_f32 v26, v26, v27
	s_delay_alu instid0(VALU_DEP_2) | instskip(NEXT) | instid1(VALU_DEP_1)
	v_dual_add_f32 v27, -1.0, v13 :: v_dual_sub_f32 v28, v13, v28
	v_add_f32_e32 v30, 1.0, v27
	s_delay_alu instid0(VALU_DEP_1) | instskip(NEXT) | instid1(VALU_DEP_1)
	v_sub_f32_e32 v13, v13, v30
	v_add_f32_e32 v13, v26, v13
	s_delay_alu instid0(VALU_DEP_1) | instskip(NEXT) | instid1(VALU_DEP_1)
	v_dual_add_f32 v31, v27, v13 :: v_dual_add_f32 v28, v26, v28
	v_dual_sub_f32 v27, v31, v27 :: v_dual_add_f32 v30, v29, v28
	s_delay_alu instid0(VALU_DEP_1) | instskip(NEXT) | instid1(VALU_DEP_2)
	v_sub_f32_e32 v13, v13, v27
	v_rcp_f32_e32 v26, v30
	v_sub_f32_e32 v29, v30, v29
	s_delay_alu instid0(VALU_DEP_1) | instskip(NEXT) | instid1(TRANS32_DEP_1)
	v_sub_f32_e32 v28, v28, v29
	v_mul_f32_e32 v32, v31, v26
	s_delay_alu instid0(VALU_DEP_1) | instskip(NEXT) | instid1(VALU_DEP_1)
	v_mul_f32_e32 v33, v30, v32
	v_fma_f32 v29, v32, v30, -v33
	s_delay_alu instid0(VALU_DEP_1) | instskip(NEXT) | instid1(VALU_DEP_1)
	v_fmac_f32_e32 v29, v32, v28
	v_add_f32_e32 v34, v33, v29
	s_delay_alu instid0(VALU_DEP_1) | instskip(SKIP_1) | instid1(VALU_DEP_2)
	v_sub_f32_e32 v35, v31, v34
	v_sub_f32_e32 v27, v34, v33
	v_sub_f32_e32 v31, v31, v35
	s_delay_alu instid0(VALU_DEP_2) | instskip(NEXT) | instid1(VALU_DEP_2)
	v_sub_f32_e32 v27, v27, v29
	v_sub_f32_e32 v31, v31, v34
	s_delay_alu instid0(VALU_DEP_1) | instskip(NEXT) | instid1(VALU_DEP_1)
	v_add_f32_e32 v13, v13, v31
	v_add_f32_e32 v13, v27, v13
	s_delay_alu instid0(VALU_DEP_1) | instskip(NEXT) | instid1(VALU_DEP_1)
	v_add_f32_e32 v27, v35, v13
	v_mul_f32_e32 v29, v26, v27
	s_delay_alu instid0(VALU_DEP_1) | instskip(NEXT) | instid1(VALU_DEP_1)
	v_dual_sub_f32 v34, v35, v27 :: v_dual_mul_f32 v31, v30, v29
	v_add_f32_e32 v13, v13, v34
	s_delay_alu instid0(VALU_DEP_2) | instskip(NEXT) | instid1(VALU_DEP_1)
	v_fma_f32 v30, v29, v30, -v31
	v_fmac_f32_e32 v30, v29, v28
	s_delay_alu instid0(VALU_DEP_1) | instskip(NEXT) | instid1(VALU_DEP_1)
	v_add_f32_e32 v28, v31, v30
	v_sub_f32_e32 v33, v27, v28
	s_delay_alu instid0(VALU_DEP_1) | instskip(NEXT) | instid1(VALU_DEP_1)
	v_sub_f32_e32 v27, v27, v33
	v_sub_f32_e32 v27, v27, v28
	s_delay_alu instid0(VALU_DEP_1) | instskip(SKIP_2) | instid1(VALU_DEP_1)
	v_add_f32_e32 v13, v13, v27
	v_add_f32_e32 v27, v32, v29
	v_sub_f32_e32 v31, v28, v31
	v_sub_f32_e32 v28, v31, v30
	s_delay_alu instid0(VALU_DEP_1) | instskip(NEXT) | instid1(VALU_DEP_1)
	v_dual_add_f32 v13, v28, v13 :: v_dual_sub_f32 v28, v27, v32
	v_add_f32_e32 v13, v33, v13
	s_delay_alu instid0(VALU_DEP_1) | instskip(NEXT) | instid1(VALU_DEP_1)
	v_dual_sub_f32 v28, v29, v28 :: v_dual_mul_f32 v13, v26, v13
	v_add_f32_e32 v13, v28, v13
	s_delay_alu instid0(VALU_DEP_1) | instskip(NEXT) | instid1(VALU_DEP_1)
	v_add_f32_e32 v26, v27, v13
	v_mul_f32_e32 v28, v26, v26
	s_delay_alu instid0(VALU_DEP_1) | instskip(SKIP_1) | instid1(VALU_DEP_2)
	v_fmaak_f32 v29, s26, v28, 0x3ecc95a3
	v_mul_f32_e32 v30, v26, v28
	v_fmaak_f32 v28, v28, v29, 0x3f2aaada
	v_ldexp_f32 v29, v26, 1
	v_sub_f32_e32 v26, v26, v27
	s_delay_alu instid0(VALU_DEP_3) | instskip(NEXT) | instid1(VALU_DEP_2)
	v_mul_f32_e32 v28, v30, v28
	v_dual_mul_f32 v30, 0x3f317218, v25 :: v_dual_sub_f32 v13, v13, v26
	s_delay_alu instid0(VALU_DEP_2) | instskip(NEXT) | instid1(VALU_DEP_2)
	v_add_f32_e32 v27, v29, v28
	v_ldexp_f32 v13, v13, 1
	s_delay_alu instid0(VALU_DEP_2) | instskip(NEXT) | instid1(VALU_DEP_4)
	v_sub_f32_e32 v26, v27, v29
	v_fma_f32 v29, 0x3f317218, v25, -v30
	s_delay_alu instid0(VALU_DEP_1) | instskip(NEXT) | instid1(VALU_DEP_1)
	v_dual_sub_f32 v26, v28, v26 :: v_dual_fmac_f32 v29, 0xb102e308, v25
	v_add_f32_e32 v13, v13, v26
	s_delay_alu instid0(VALU_DEP_2) | instskip(NEXT) | instid1(VALU_DEP_2)
	v_add_f32_e32 v25, v30, v29
	v_add_f32_e32 v26, v27, v13
	s_delay_alu instid0(VALU_DEP_2) | instskip(NEXT) | instid1(VALU_DEP_2)
	v_sub_f32_e32 v30, v25, v30
	v_dual_add_f32 v28, v25, v26 :: v_dual_sub_f32 v27, v26, v27
	s_delay_alu instid0(VALU_DEP_2) | instskip(NEXT) | instid1(VALU_DEP_2)
	v_sub_f32_e32 v29, v29, v30
	v_sub_f32_e32 v31, v28, v25
	s_delay_alu instid0(VALU_DEP_3) | instskip(NEXT) | instid1(VALU_DEP_2)
	v_sub_f32_e32 v13, v13, v27
	v_sub_f32_e32 v32, v28, v31
	s_delay_alu instid0(VALU_DEP_2) | instskip(NEXT) | instid1(VALU_DEP_2)
	v_dual_sub_f32 v26, v26, v31 :: v_dual_add_f32 v27, v29, v13
	v_sub_f32_e32 v25, v25, v32
	s_delay_alu instid0(VALU_DEP_1) | instskip(NEXT) | instid1(VALU_DEP_3)
	v_add_f32_e32 v25, v26, v25
	v_sub_f32_e32 v26, v27, v29
	s_delay_alu instid0(VALU_DEP_2) | instskip(NEXT) | instid1(VALU_DEP_2)
	v_add_f32_e32 v25, v27, v25
	v_sub_f32_e32 v27, v27, v26
	s_delay_alu instid0(VALU_DEP_2) | instskip(NEXT) | instid1(VALU_DEP_1)
	v_dual_sub_f32 v13, v13, v26 :: v_dual_add_f32 v30, v28, v25
	v_dual_sub_f32 v27, v29, v27 :: v_dual_sub_f32 v26, v30, v28
	s_delay_alu instid0(VALU_DEP_1) | instskip(NEXT) | instid1(VALU_DEP_2)
	v_add_f32_e32 v13, v13, v27
	v_sub_f32_e32 v25, v25, v26
	s_delay_alu instid0(VALU_DEP_1) | instskip(NEXT) | instid1(VALU_DEP_1)
	v_add_f32_e32 v13, v13, v25
	v_add_f32_e32 v13, v30, v13
	s_wait_alu 0xfffd
	s_delay_alu instid0(VALU_DEP_1) | instskip(SKIP_2) | instid1(VALU_DEP_2)
	v_cndmask_b32_e32 v13, 0x7f800000, v13, vcc_lo
	v_cmp_ngt_f32_e32 vcc_lo, -1.0, v12
	s_wait_alu 0xfffd
	v_cndmask_b32_e32 v13, 0x7fc00000, v13, vcc_lo
	v_cmp_neq_f32_e32 vcc_lo, -1.0, v12
	s_wait_alu 0xfffd
	s_delay_alu instid0(VALU_DEP_2) | instskip(SKIP_2) | instid1(VALU_DEP_2)
	v_cndmask_b32_e32 v13, 0xff800000, v13, vcc_lo
	v_cmp_gt_f32_e64 vcc_lo, 0x33800000, |v12|
	s_wait_alu 0xfffd
	v_cndmask_b32_e32 v12, v13, v12, vcc_lo
	s_delay_alu instid0(VALU_DEP_1)
	v_mul_f32_e32 v27, 0.5, v12
.LBB347_187:                            ;   in Loop: Header=BB347_133 Depth=2
	s_wait_alu 0xfffe
	s_or_b32 exec_lo, exec_lo, s4
.LBB347_188:                            ;   in Loop: Header=BB347_133 Depth=2
	s_wait_alu 0xfffe
	s_or_b32 exec_lo, exec_lo, s3
	v_max_num_f32_e64 v12, |v0|, |v0|
	v_max_num_f32_e64 v13, |v10|, |v10|
	v_frexp_mant_f32_e32 v25, v11
	v_frexp_exp_i32_f32_e32 v11, v11
	v_cmp_gt_f32_e64 vcc_lo, |v0|, |v10|
	v_cmp_gt_i32_e64 s3, 0, v10
	v_min_num_f32_e32 v12, v13, v12
	v_rcp_f32_e32 v13, v25
	v_cmp_class_f32_e64 s4, v10, 0x204
	s_delay_alu instid0(VALU_DEP_2)
	v_frexp_mant_f32_e32 v25, v12
	v_frexp_exp_i32_f32_e32 v12, v12
	s_delay_alu instid0(TRANS32_DEP_1) | instid1(VALU_DEP_2)
	v_mul_f32_e32 v13, v25, v13
	s_delay_alu instid0(VALU_DEP_2) | instskip(SKIP_3) | instid1(VALU_DEP_3)
	v_sub_nc_u32_e32 v11, v12, v11
	s_wait_alu 0xf1ff
	v_cndmask_b32_e64 v25, 0, 0x40490fdb, s3
	v_cmp_class_f32_e64 s3, v0, 0x204
	v_ldexp_f32 v11, v13, v11
	s_delay_alu instid0(VALU_DEP_1) | instskip(NEXT) | instid1(VALU_DEP_1)
	v_mul_f32_e32 v12, v11, v11
	v_fmaak_f32 v13, s27, v12, 0xbc7a590c
	s_delay_alu instid0(VALU_DEP_1) | instskip(NEXT) | instid1(VALU_DEP_1)
	v_fmaak_f32 v13, v12, v13, 0x3d29fb3f
	v_fmaak_f32 v13, v12, v13, 0xbd97d4d7
	s_delay_alu instid0(VALU_DEP_1) | instskip(NEXT) | instid1(VALU_DEP_1)
	v_fmaak_f32 v13, v12, v13, 0x3dd931b2
	;; [unrolled: 3-line block ×3, first 2 shown]
	v_fmaak_f32 v13, v12, v13, 0xbeaaaa62
	s_delay_alu instid0(VALU_DEP_1) | instskip(NEXT) | instid1(VALU_DEP_1)
	v_mul_f32_e32 v12, v12, v13
	v_fmac_f32_e32 v11, v11, v12
	s_delay_alu instid0(VALU_DEP_1) | instskip(SKIP_1) | instid1(VALU_DEP_1)
	v_sub_f32_e32 v12, 0x3fc90fdb, v11
	s_wait_alu 0xfffd
	v_cndmask_b32_e32 v11, v11, v12, vcc_lo
	v_cmp_gt_f32_e32 vcc_lo, 0, v10
	s_delay_alu instid0(VALU_DEP_2) | instskip(SKIP_2) | instid1(VALU_DEP_2)
	v_sub_f32_e32 v12, 0x40490fdb, v11
	s_wait_alu 0xfffd
	v_cndmask_b32_e32 v13, 0x3f490fdb, v20, vcc_lo
	v_cndmask_b32_e32 v11, v11, v12, vcc_lo
	v_cmp_eq_f32_e32 vcc_lo, 0, v0
	s_wait_alu 0xfffd
	s_delay_alu instid0(VALU_DEP_2) | instskip(SKIP_2) | instid1(VALU_DEP_1)
	v_cndmask_b32_e32 v11, v11, v25, vcc_lo
	s_and_b32 vcc_lo, s3, s4
	s_wait_alu 0xfffe
	v_cndmask_b32_e32 v11, v11, v13, vcc_lo
	v_cmp_o_f32_e32 vcc_lo, v10, v0
	s_wait_alu 0xfffd
	s_delay_alu instid0(VALU_DEP_2) | instskip(NEXT) | instid1(VALU_DEP_1)
	v_cndmask_b32_e32 v10, 0x7fc00000, v11, vcc_lo
	v_bfi_b32 v25, 0x7fffffff, v10, v0
.LBB347_189:                            ;   in Loop: Header=BB347_133 Depth=2
	s_or_b32 exec_lo, exec_lo, s31
.LBB347_190:                            ;   in Loop: Header=BB347_133 Depth=2
	s_delay_alu instid0(SALU_CYCLE_1) | instskip(NEXT) | instid1(VALU_DEP_1)
	s_or_b32 exec_lo, exec_lo, s30
	v_dual_mov_b32 v12, v27 :: v_dual_mov_b32 v13, v25
.LBB347_191:                            ;   in Loop: Header=BB347_133 Depth=2
	s_or_b32 exec_lo, exec_lo, s29
	ds_store_b64 v15, v[12:13]
.LBB347_192:                            ;   in Loop: Header=BB347_133 Depth=2
	s_or_b32 exec_lo, exec_lo, s28
	v_mov_b32_e32 v0, 0
	s_mov_b32 s28, 0
	s_wait_dscnt 0x0
	s_barrier_signal -1
	s_barrier_wait -1
	global_inv scope:SCOPE_SE
	s_branch .LBB347_199
.LBB347_193:                            ;   in Loop: Header=BB347_199 Depth=3
	s_wait_alu 0xfffe
	s_or_b32 exec_lo, exec_lo, s4
.LBB347_194:                            ;   in Loop: Header=BB347_199 Depth=3
	s_wait_alu 0xfffe
	s_or_b32 exec_lo, exec_lo, s3
	v_max_num_f32_e64 v12, |v0|, |v0|
	v_max_num_f32_e64 v13, |v10|, |v10|
	v_frexp_mant_f32_e32 v27, v11
	v_frexp_exp_i32_f32_e32 v11, v11
	v_cmp_gt_i32_e64 s3, 0, v10
	v_cmp_gt_f32_e64 vcc_lo, |v0|, |v10|
	v_min_num_f32_e32 v12, v13, v12
	v_rcp_f32_e32 v13, v27
	v_cmp_class_f32_e64 s4, v10, 0x204
	s_delay_alu instid0(VALU_DEP_2)
	v_frexp_mant_f32_e32 v27, v12
	s_delay_alu instid0(TRANS32_DEP_1) | instid1(VALU_DEP_1)
	v_mul_f32_e32 v13, v27, v13
	v_frexp_exp_i32_f32_e32 v12, v12
	s_wait_alu 0xf1ff
	v_cndmask_b32_e64 v27, 0, 0x40490fdb, s3
	v_cmp_class_f32_e64 s3, v0, 0x204
	s_delay_alu instid0(VALU_DEP_3) | instskip(NEXT) | instid1(VALU_DEP_1)
	v_sub_nc_u32_e32 v11, v12, v11
	v_ldexp_f32 v11, v13, v11
	s_delay_alu instid0(VALU_DEP_1) | instskip(NEXT) | instid1(VALU_DEP_1)
	v_mul_f32_e32 v12, v11, v11
	v_fmaak_f32 v13, s27, v12, 0xbc7a590c
	s_delay_alu instid0(VALU_DEP_1) | instskip(NEXT) | instid1(VALU_DEP_1)
	v_fmaak_f32 v13, v12, v13, 0x3d29fb3f
	v_fmaak_f32 v13, v12, v13, 0xbd97d4d7
	s_delay_alu instid0(VALU_DEP_1) | instskip(NEXT) | instid1(VALU_DEP_1)
	v_fmaak_f32 v13, v12, v13, 0x3dd931b2
	;; [unrolled: 3-line block ×3, first 2 shown]
	v_fmaak_f32 v13, v12, v13, 0xbeaaaa62
	s_delay_alu instid0(VALU_DEP_1) | instskip(NEXT) | instid1(VALU_DEP_1)
	v_mul_f32_e32 v12, v12, v13
	v_fmac_f32_e32 v11, v11, v12
	s_delay_alu instid0(VALU_DEP_1) | instskip(SKIP_1) | instid1(VALU_DEP_1)
	v_sub_f32_e32 v12, 0x3fc90fdb, v11
	s_wait_alu 0xfffd
	v_cndmask_b32_e32 v11, v11, v12, vcc_lo
	v_cmp_gt_f32_e32 vcc_lo, 0, v10
	s_delay_alu instid0(VALU_DEP_2) | instskip(SKIP_2) | instid1(VALU_DEP_2)
	v_sub_f32_e32 v12, 0x40490fdb, v11
	s_wait_alu 0xfffd
	v_cndmask_b32_e32 v13, 0x3f490fdb, v20, vcc_lo
	v_cndmask_b32_e32 v11, v11, v12, vcc_lo
	v_cmp_eq_f32_e32 vcc_lo, 0, v0
	s_wait_alu 0xfffd
	s_delay_alu instid0(VALU_DEP_2) | instskip(SKIP_2) | instid1(VALU_DEP_1)
	v_cndmask_b32_e32 v11, v11, v27, vcc_lo
	s_and_b32 vcc_lo, s3, s4
	s_wait_alu 0xfffe
	v_cndmask_b32_e32 v11, v11, v13, vcc_lo
	v_cmp_o_f32_e32 vcc_lo, v10, v0
	s_wait_alu 0xfffd
	s_delay_alu instid0(VALU_DEP_2) | instskip(NEXT) | instid1(VALU_DEP_1)
	v_cndmask_b32_e32 v10, 0x7fc00000, v11, vcc_lo
	v_bfi_b32 v27, 0x7fffffff, v10, v0
.LBB347_195:                            ;   in Loop: Header=BB347_199 Depth=3
	s_or_b32 exec_lo, exec_lo, s33
.LBB347_196:                            ;   in Loop: Header=BB347_199 Depth=3
	s_delay_alu instid0(SALU_CYCLE_1) | instskip(NEXT) | instid1(VALU_DEP_1)
	s_or_b32 exec_lo, exec_lo, s31
	v_dual_mov_b32 v12, v29 :: v_dual_mov_b32 v13, v27
.LBB347_197:                            ;   in Loop: Header=BB347_199 Depth=3
	s_or_b32 exec_lo, exec_lo, s30
	ds_store_b64 v26, v[12:13]
.LBB347_198:                            ;   in Loop: Header=BB347_199 Depth=3
	s_or_b32 exec_lo, exec_lo, s29
	v_cmp_eq_u32_e32 vcc_lo, s22, v25
	v_mov_b32_e32 v0, v25
	s_wait_loadcnt_dscnt 0x0
	s_barrier_signal -1
	s_barrier_wait -1
	s_or_b32 s28, vcc_lo, s28
	global_inv scope:SCOPE_SE
	s_and_not1_b32 exec_lo, exec_lo, s28
	s_cbranch_execz .LBB347_248
.LBB347_199:                            ;   Parent Loop BB347_130 Depth=1
                                        ;     Parent Loop BB347_133 Depth=2
                                        ; =>    This Inner Loop Header: Depth=3
	v_add_nc_u32_e32 v25, 1, v0
	s_and_saveexec_b32 s3, s2
	s_wait_alu 0xfffe
	s_xor_b32 s3, exec_lo, s3
; %bb.200:                              ;   in Loop: Header=BB347_199 Depth=3
	v_add_nc_u32_e32 v25, 1, v0
                                        ; implicit-def: $vgpr0
; %bb.201:                              ;   in Loop: Header=BB347_199 Depth=3
	s_wait_alu 0xfffe
	s_and_not1_saveexec_b32 s29, s3
	s_cbranch_execz .LBB347_198
; %bb.202:                              ;   in Loop: Header=BB347_199 Depth=3
	v_lshlrev_b32_e64 v10, v0, 1
	v_dual_mov_b32 v13, v5 :: v_dual_mov_b32 v12, v4
	s_mov_b32 s3, exec_lo
	s_delay_alu instid0(VALU_DEP_2) | instskip(NEXT) | instid1(VALU_DEP_1)
	v_ashrrev_i32_e32 v11, 31, v10
	v_cmpx_ge_u64_e64 v[4:5], v[10:11]
	s_cbranch_execz .LBB347_204
; %bb.203:                              ;   in Loop: Header=BB347_199 Depth=3
	v_cvt_f32_u32_e32 v11, v10
	v_sub_nc_u32_e32 v12, 0, v10
	s_delay_alu instid0(VALU_DEP_2) | instskip(NEXT) | instid1(TRANS32_DEP_1)
	v_rcp_iflag_f32_e32 v11, v11
	v_mul_f32_e32 v11, 0x4f7ffffe, v11
	s_delay_alu instid0(VALU_DEP_1) | instskip(NEXT) | instid1(VALU_DEP_1)
	v_cvt_u32_f32_e32 v11, v11
	v_mul_lo_u32 v12, v12, v11
	s_delay_alu instid0(VALU_DEP_1) | instskip(NEXT) | instid1(VALU_DEP_1)
	v_mul_hi_u32 v12, v11, v12
	v_add_nc_u32_e32 v11, v11, v12
	s_delay_alu instid0(VALU_DEP_1) | instskip(NEXT) | instid1(VALU_DEP_1)
	v_mul_hi_u32 v11, v4, v11
	v_mul_lo_u32 v11, v11, v10
	s_delay_alu instid0(VALU_DEP_1) | instskip(NEXT) | instid1(VALU_DEP_1)
	v_sub_nc_u32_e32 v11, v4, v11
	v_sub_nc_u32_e32 v12, v11, v10
	v_cmp_ge_u32_e32 vcc_lo, v11, v10
	s_wait_alu 0xfffd
	s_delay_alu instid0(VALU_DEP_2) | instskip(NEXT) | instid1(VALU_DEP_1)
	v_cndmask_b32_e32 v11, v11, v12, vcc_lo
	v_sub_nc_u32_e32 v12, v11, v10
	v_cmp_ge_u32_e32 vcc_lo, v11, v10
	s_wait_alu 0xfffd
	s_delay_alu instid0(VALU_DEP_2)
	v_cndmask_b32_e32 v12, v11, v12, vcc_lo
.LBB347_204:                            ;   in Loop: Header=BB347_199 Depth=3
	s_wait_alu 0xfffe
	s_or_b32 exec_lo, exec_lo, s3
	v_lshrrev_b32_e32 v0, v0, v4
	s_delay_alu instid0(VALU_DEP_1) | instskip(NEXT) | instid1(VALU_DEP_1)
	v_lshl_or_b32 v0, v0, v25, v10
	v_lshl_add_u32 v0, v0, 3, v15
	s_delay_alu instid0(VALU_DEP_1)
	v_add_nc_u32_e32 v10, -8, v0
	v_lshl_add_u32 v26, v12, 3, v0
	ds_load_b64 v[10:11], v10
	ds_load_b64 v[12:13], v26
	s_wait_dscnt 0x1
	v_cmp_o_f32_e32 vcc_lo, v10, v11
	v_mov_b32_e32 v27, v11
	v_dual_mov_b32 v29, v10 :: v_dual_mov_b32 v28, v11
	s_and_saveexec_b32 s30, vcc_lo
	s_cbranch_execz .LBB347_206
; %bb.205:                              ;   in Loop: Header=BB347_199 Depth=3
	s_wait_dscnt 0x0
	v_cmp_u_f32_e64 s3, v12, v13
	v_cmp_lt_f32_e64 s4, v12, v10
	s_or_b32 s3, s3, s4
	s_wait_alu 0xfffe
	v_cndmask_b32_e64 v27, v11, v13, s3
	v_cndmask_b32_e64 v29, v10, v12, s3
	s_delay_alu instid0(VALU_DEP_2)
	v_mov_b32_e32 v28, v27
.LBB347_206:                            ;   in Loop: Header=BB347_199 Depth=3
	s_or_b32 exec_lo, exec_lo, s30
	s_and_saveexec_b32 s4, vcc_lo
	s_cbranch_execz .LBB347_208
; %bb.207:                              ;   in Loop: Header=BB347_199 Depth=3
	s_wait_dscnt 0x0
	v_cmp_u_f32_e32 vcc_lo, v12, v13
	v_cmp_ge_f32_e64 s3, v12, v10
	s_or_b32 vcc_lo, vcc_lo, s3
	s_wait_alu 0xfffe
	v_dual_cndmask_b32 v11, v11, v13 :: v_dual_cndmask_b32 v10, v10, v12
.LBB347_208:                            ;   in Loop: Header=BB347_199 Depth=3
	s_wait_alu 0xfffe
	s_or_b32 exec_lo, exec_lo, s4
	s_wait_dscnt 0x0
	v_dual_mov_b32 v12, 0x7fc00000 :: v_dual_mov_b32 v13, 0x7fc00000
	s_mov_b32 s30, exec_lo
	v_cmpx_o_f32_e32 v29, v27
	s_cbranch_execz .LBB347_197
; %bb.209:                              ;   in Loop: Header=BB347_199 Depth=3
	v_cmp_class_f32_e64 s3, v29, 0x1f8
	v_cmp_neq_f32_e32 vcc_lo, v10, v29
	s_or_b32 s3, s3, vcc_lo
	s_wait_alu 0xfffe
	s_and_saveexec_b32 s4, s3
	s_wait_alu 0xfffe
	s_xor_b32 s31, exec_lo, s4
	s_cbranch_execz .LBB347_225
; %bb.210:                              ;   in Loop: Header=BB347_199 Depth=3
	v_sub_f32_e32 v12, v27, v11
                                        ; implicit-def: $vgpr28
                                        ; implicit-def: $vgpr27
	s_delay_alu instid0(VALU_DEP_1) | instskip(NEXT) | instid1(VALU_DEP_1)
	v_and_b32_e32 v13, 0x7fffffff, v12
	v_lshrrev_b32_e32 v0, 23, v13
	v_and_or_b32 v30, v13, s23, 0x800000
	s_delay_alu instid0(VALU_DEP_2)
	v_add_nc_u32_e32 v31, 0xffffff88, v0
	v_cmp_ngt_f32_e64 s33, 0x48000000, |v12|
	s_and_saveexec_b32 s3, s33
	s_wait_alu 0xfffe
	s_xor_b32 s34, exec_lo, s3
	s_cbranch_execz .LBB347_212
; %bb.211:                              ;   in Loop: Header=BB347_199 Depth=3
	v_mad_co_u64_u32 v[27:28], null, 0xfe5163ab, v30, 0
	v_cmp_lt_u32_e32 vcc_lo, 63, v31
	s_delay_alu instid0(VALU_DEP_2) | instskip(SKIP_2) | instid1(VALU_DEP_2)
	v_mov_b32_e32 v0, v28
	s_wait_alu 0xfffd
	v_cndmask_b32_e64 v28, 0, 0xffffffc0, vcc_lo
	v_mad_co_u64_u32 v[32:33], null, 0x3c439041, v30, v[0:1]
	s_delay_alu instid0(VALU_DEP_2) | instskip(NEXT) | instid1(VALU_DEP_1)
	v_add_nc_u32_e32 v28, v28, v31
	v_cmp_lt_u32_e64 s3, 31, v28
	s_delay_alu instid0(VALU_DEP_3) | instskip(SKIP_1) | instid1(VALU_DEP_2)
	v_mov_b32_e32 v0, v33
	s_wait_alu 0xf1ff
	v_cndmask_b32_e64 v38, 0, 0xffffffe0, s3
	s_delay_alu instid0(VALU_DEP_2) | instskip(NEXT) | instid1(VALU_DEP_2)
	v_mad_co_u64_u32 v[33:34], null, 0xdb629599, v30, v[0:1]
	v_add_nc_u32_e32 v28, v38, v28
	s_delay_alu instid0(VALU_DEP_2) | instskip(NEXT) | instid1(VALU_DEP_2)
	v_mov_b32_e32 v0, v34
	v_cmp_lt_u32_e64 s4, 31, v28
	s_delay_alu instid0(VALU_DEP_4) | instskip(NEXT) | instid1(VALU_DEP_3)
	v_cndmask_b32_e32 v27, v33, v27, vcc_lo
	v_mad_co_u64_u32 v[34:35], null, 0xf534ddc0, v30, v[0:1]
	s_delay_alu instid0(VALU_DEP_1) | instskip(NEXT) | instid1(VALU_DEP_1)
	v_mov_b32_e32 v0, v35
	v_mad_co_u64_u32 v[35:36], null, 0xfc2757d1, v30, v[0:1]
	s_delay_alu instid0(VALU_DEP_1) | instskip(NEXT) | instid1(VALU_DEP_1)
	v_mov_b32_e32 v0, v36
	v_mad_co_u64_u32 v[36:37], null, 0x4e441529, v30, v[0:1]
	s_delay_alu instid0(VALU_DEP_1) | instskip(NEXT) | instid1(VALU_DEP_1)
	v_dual_mov_b32 v0, v37 :: v_dual_cndmask_b32 v39, v36, v34
	v_mad_co_u64_u32 v[37:38], null, 0xa2f9836e, v30, v[0:1]
	s_wait_alu 0xf1ff
	v_cndmask_b32_e64 v0, 0, 0xffffffe0, s4
	s_delay_alu instid0(VALU_DEP_1) | instskip(NEXT) | instid1(VALU_DEP_3)
	v_dual_cndmask_b32 v37, v37, v35 :: v_dual_add_nc_u32 v0, v0, v28
	v_dual_cndmask_b32 v36, v38, v36 :: v_dual_cndmask_b32 v35, v35, v33
	v_cndmask_b32_e32 v28, v34, v32, vcc_lo
	s_delay_alu instid0(VALU_DEP_3) | instskip(NEXT) | instid1(VALU_DEP_4)
	v_cmp_eq_u32_e32 vcc_lo, 0, v0
	v_cndmask_b32_e64 v32, v37, v39, s3
	s_delay_alu instid0(VALU_DEP_4)
	v_cndmask_b32_e64 v34, v36, v37, s3
	v_cndmask_b32_e64 v36, v39, v35, s3
	v_sub_nc_u32_e32 v37, 32, v0
	v_cndmask_b32_e64 v35, v35, v28, s3
	v_cndmask_b32_e64 v27, v28, v27, s3
	;; [unrolled: 1-line block ×4, first 2 shown]
	s_delay_alu instid0(VALU_DEP_4) | instskip(NEXT) | instid1(VALU_DEP_4)
	v_cndmask_b32_e64 v36, v36, v35, s4
	v_cndmask_b32_e64 v27, v35, v27, s4
	s_delay_alu instid0(VALU_DEP_3) | instskip(NEXT) | instid1(VALU_DEP_3)
	v_alignbit_b32 v38, v34, v32, v37
	v_alignbit_b32 v33, v32, v36, v37
	s_delay_alu instid0(VALU_DEP_3) | instskip(SKIP_1) | instid1(VALU_DEP_3)
	v_alignbit_b32 v35, v36, v27, v37
	s_wait_alu 0xfffd
	v_cndmask_b32_e32 v0, v38, v34, vcc_lo
	s_delay_alu instid0(VALU_DEP_3) | instskip(NEXT) | instid1(VALU_DEP_3)
	v_cndmask_b32_e32 v28, v33, v32, vcc_lo
	v_cndmask_b32_e32 v35, v35, v36, vcc_lo
	s_delay_alu instid0(VALU_DEP_3) | instskip(NEXT) | instid1(VALU_DEP_3)
	v_bfe_u32 v32, v0, 29, 1
	v_alignbit_b32 v33, v0, v28, 30
	s_delay_alu instid0(VALU_DEP_3) | instskip(SKIP_1) | instid1(VALU_DEP_4)
	v_alignbit_b32 v28, v28, v35, 30
	v_alignbit_b32 v27, v35, v27, 30
	v_sub_nc_u32_e32 v34, 0, v32
	s_delay_alu instid0(VALU_DEP_1) | instskip(NEXT) | instid1(VALU_DEP_4)
	v_xor_b32_e32 v33, v33, v34
	v_xor_b32_e32 v28, v28, v34
	s_delay_alu instid0(VALU_DEP_4) | instskip(SKIP_3) | instid1(VALU_DEP_1)
	v_xor_b32_e32 v27, v27, v34
	v_lshrrev_b32_e32 v34, 29, v0
	v_lshrrev_b32_e32 v0, 30, v0
	v_clz_i32_u32_e32 v36, v33
	v_min_u32_e32 v36, 32, v36
	s_delay_alu instid0(VALU_DEP_1) | instskip(SKIP_1) | instid1(VALU_DEP_2)
	v_sub_nc_u32_e32 v35, 31, v36
	v_lshlrev_b32_e32 v37, 23, v36
	v_alignbit_b32 v33, v33, v28, v35
	v_alignbit_b32 v27, v28, v27, v35
	v_lshlrev_b32_e32 v28, 31, v34
	s_delay_alu instid0(VALU_DEP_2) | instskip(NEXT) | instid1(VALU_DEP_2)
	v_alignbit_b32 v34, v33, v27, 9
	v_or_b32_e32 v35, 0.5, v28
	v_lshrrev_b32_e32 v33, 9, v33
	v_or_b32_e32 v28, 0x33000000, v28
	s_delay_alu instid0(VALU_DEP_4) | instskip(NEXT) | instid1(VALU_DEP_4)
	v_clz_i32_u32_e32 v38, v34
	v_sub_nc_u32_e32 v35, v35, v37
	s_delay_alu instid0(VALU_DEP_2) | instskip(NEXT) | instid1(VALU_DEP_2)
	v_min_u32_e32 v37, 32, v38
	v_or_b32_e32 v33, v33, v35
	s_delay_alu instid0(VALU_DEP_2) | instskip(NEXT) | instid1(VALU_DEP_2)
	v_not_b32_e32 v35, v37
	v_mul_f32_e32 v38, 0x3fc90fda, v33
	v_add_lshl_u32 v36, v37, v36, 23
	s_delay_alu instid0(VALU_DEP_3) | instskip(NEXT) | instid1(VALU_DEP_3)
	v_alignbit_b32 v27, v34, v27, v35
	v_fma_f32 v34, 0x3fc90fda, v33, -v38
	s_delay_alu instid0(VALU_DEP_3) | instskip(NEXT) | instid1(VALU_DEP_3)
	v_sub_nc_u32_e32 v28, v28, v36
	v_lshrrev_b32_e32 v27, 9, v27
	s_delay_alu instid0(VALU_DEP_3) | instskip(NEXT) | instid1(VALU_DEP_2)
	v_fmac_f32_e32 v34, 0x33a22168, v33
	v_or_b32_e32 v27, v28, v27
	v_add_nc_u32_e32 v28, v32, v0
	s_delay_alu instid0(VALU_DEP_2) | instskip(NEXT) | instid1(VALU_DEP_1)
	v_fmac_f32_e32 v34, 0x3fc90fda, v27
	v_add_f32_e32 v27, v38, v34
.LBB347_212:                            ;   in Loop: Header=BB347_199 Depth=3
	s_or_saveexec_b32 s3, s34
	v_mul_f32_e64 v0, 0x3f22f983, |v12|
	s_delay_alu instid0(VALU_DEP_1)
	v_rndne_f32_e32 v33, v0
	s_wait_alu 0xfffe
	s_xor_b32 exec_lo, exec_lo, s3
; %bb.213:                              ;   in Loop: Header=BB347_199 Depth=3
	s_delay_alu instid0(VALU_DEP_1) | instskip(SKIP_1) | instid1(VALU_DEP_2)
	v_fma_f32 v27, 0xbfc90fda, v33, |v12|
	v_cvt_i32_f32_e32 v28, v33
	v_fmac_f32_e32 v27, 0xb3a22168, v33
	s_delay_alu instid0(VALU_DEP_1)
	v_fmac_f32_e32 v27, 0xa7c234c4, v33
; %bb.214:                              ;   in Loop: Header=BB347_199 Depth=3
	s_or_b32 exec_lo, exec_lo, s3
                                        ; implicit-def: $vgpr32
                                        ; implicit-def: $vgpr0
	s_and_saveexec_b32 s3, s33
	s_wait_alu 0xfffe
	s_xor_b32 s33, exec_lo, s3
	s_cbranch_execz .LBB347_216
; %bb.215:                              ;   in Loop: Header=BB347_199 Depth=3
	v_mad_co_u64_u32 v[32:33], null, 0xfe5163ab, v30, 0
	v_cmp_lt_u32_e32 vcc_lo, 63, v31
	s_wait_alu 0xfffd
	v_cndmask_b32_e64 v38, 0, 0xffffffc0, vcc_lo
	s_delay_alu instid0(VALU_DEP_1) | instskip(NEXT) | instid1(VALU_DEP_1)
	v_dual_mov_b32 v0, v33 :: v_dual_add_nc_u32 v31, v38, v31
	v_mad_co_u64_u32 v[33:34], null, 0x3c439041, v30, v[0:1]
	s_delay_alu instid0(VALU_DEP_2) | instskip(NEXT) | instid1(VALU_DEP_2)
	v_cmp_lt_u32_e64 s3, 31, v31
	v_mov_b32_e32 v0, v34
	s_wait_alu 0xf1ff
	s_delay_alu instid0(VALU_DEP_2) | instskip(NEXT) | instid1(VALU_DEP_2)
	v_cndmask_b32_e64 v39, 0, 0xffffffe0, s3
	v_mad_co_u64_u32 v[34:35], null, 0xdb629599, v30, v[0:1]
	s_delay_alu instid0(VALU_DEP_1) | instskip(NEXT) | instid1(VALU_DEP_2)
	v_mov_b32_e32 v0, v35
	v_cndmask_b32_e32 v32, v34, v32, vcc_lo
	s_delay_alu instid0(VALU_DEP_2) | instskip(NEXT) | instid1(VALU_DEP_1)
	v_mad_co_u64_u32 v[35:36], null, 0xf534ddc0, v30, v[0:1]
	v_dual_mov_b32 v0, v36 :: v_dual_cndmask_b32 v33, v35, v33
	s_delay_alu instid0(VALU_DEP_1) | instskip(NEXT) | instid1(VALU_DEP_1)
	v_mad_co_u64_u32 v[36:37], null, 0xfc2757d1, v30, v[0:1]
	v_mov_b32_e32 v0, v37
	s_delay_alu instid0(VALU_DEP_1) | instskip(NEXT) | instid1(VALU_DEP_1)
	v_mad_co_u64_u32 v[37:38], null, 0x4e441529, v30, v[0:1]
	v_mov_b32_e32 v0, v38
	v_add_nc_u32_e32 v38, v39, v31
	s_delay_alu instid0(VALU_DEP_3) | instskip(NEXT) | instid1(VALU_DEP_3)
	v_cndmask_b32_e32 v39, v37, v35, vcc_lo
	v_mad_co_u64_u32 v[30:31], null, 0xa2f9836e, v30, v[0:1]
	s_delay_alu instid0(VALU_DEP_3) | instskip(SKIP_1) | instid1(VALU_DEP_1)
	v_cmp_lt_u32_e64 s4, 31, v38
	s_wait_alu 0xf1ff
	v_cndmask_b32_e64 v0, 0, 0xffffffe0, s4
	s_delay_alu instid0(VALU_DEP_3) | instskip(SKIP_1) | instid1(VALU_DEP_3)
	v_dual_cndmask_b32 v30, v30, v36 :: v_dual_cndmask_b32 v31, v31, v37
	v_cndmask_b32_e32 v36, v36, v34, vcc_lo
	v_add_nc_u32_e32 v0, v0, v38
	s_delay_alu instid0(VALU_DEP_3) | instskip(NEXT) | instid1(VALU_DEP_4)
	v_cndmask_b32_e64 v35, v30, v39, s3
	v_cndmask_b32_e64 v30, v31, v30, s3
	s_delay_alu instid0(VALU_DEP_4)
	v_cndmask_b32_e64 v31, v39, v36, s3
	v_cndmask_b32_e64 v36, v36, v33, s3
	v_sub_nc_u32_e32 v37, 32, v0
	v_cmp_eq_u32_e32 vcc_lo, 0, v0
	v_cndmask_b32_e64 v30, v30, v35, s4
	v_cndmask_b32_e64 v35, v35, v31, s4
	;; [unrolled: 1-line block ×3, first 2 shown]
	s_delay_alu instid0(VALU_DEP_2) | instskip(NEXT) | instid1(VALU_DEP_2)
	v_alignbit_b32 v38, v30, v35, v37
	v_alignbit_b32 v34, v35, v31, v37
	s_wait_alu 0xfffd
	s_delay_alu instid0(VALU_DEP_2) | instskip(SKIP_1) | instid1(VALU_DEP_3)
	v_cndmask_b32_e32 v0, v38, v30, vcc_lo
	v_cndmask_b32_e64 v30, v33, v32, s3
	v_cndmask_b32_e32 v32, v34, v35, vcc_lo
	s_delay_alu instid0(VALU_DEP_3) | instskip(NEXT) | instid1(VALU_DEP_3)
	v_bfe_u32 v33, v0, 29, 1
	v_cndmask_b32_e64 v30, v36, v30, s4
	s_delay_alu instid0(VALU_DEP_3) | instskip(NEXT) | instid1(VALU_DEP_3)
	v_alignbit_b32 v34, v0, v32, 30
	v_sub_nc_u32_e32 v35, 0, v33
	s_delay_alu instid0(VALU_DEP_3) | instskip(NEXT) | instid1(VALU_DEP_2)
	v_alignbit_b32 v36, v31, v30, v37
	v_xor_b32_e32 v34, v34, v35
	s_delay_alu instid0(VALU_DEP_2) | instskip(NEXT) | instid1(VALU_DEP_2)
	v_cndmask_b32_e32 v31, v36, v31, vcc_lo
	v_clz_i32_u32_e32 v36, v34
	s_delay_alu instid0(VALU_DEP_2) | instskip(SKIP_1) | instid1(VALU_DEP_3)
	v_alignbit_b32 v32, v32, v31, 30
	v_alignbit_b32 v30, v31, v30, 30
	v_min_u32_e32 v36, 32, v36
	s_delay_alu instid0(VALU_DEP_3) | instskip(NEXT) | instid1(VALU_DEP_3)
	v_xor_b32_e32 v31, v32, v35
	v_xor_b32_e32 v30, v30, v35
	s_delay_alu instid0(VALU_DEP_3) | instskip(SKIP_2) | instid1(VALU_DEP_3)
	v_sub_nc_u32_e32 v32, 31, v36
	v_lshlrev_b32_e32 v37, 23, v36
	v_lshrrev_b32_e32 v35, 29, v0
	v_alignbit_b32 v34, v34, v31, v32
	v_alignbit_b32 v30, v31, v30, v32
	s_delay_alu instid0(VALU_DEP_3) | instskip(NEXT) | instid1(VALU_DEP_2)
	v_lshlrev_b32_e32 v31, 31, v35
	v_alignbit_b32 v32, v34, v30, 9
	s_delay_alu instid0(VALU_DEP_2) | instskip(SKIP_2) | instid1(VALU_DEP_4)
	v_or_b32_e32 v35, 0.5, v31
	v_lshrrev_b32_e32 v34, 9, v34
	v_or_b32_e32 v31, 0x33000000, v31
	v_clz_i32_u32_e32 v38, v32
	s_delay_alu instid0(VALU_DEP_4) | instskip(NEXT) | instid1(VALU_DEP_2)
	v_sub_nc_u32_e32 v35, v35, v37
	v_min_u32_e32 v37, 32, v38
	s_delay_alu instid0(VALU_DEP_2) | instskip(NEXT) | instid1(VALU_DEP_2)
	v_or_b32_e32 v34, v34, v35
	v_not_b32_e32 v35, v37
	s_delay_alu instid0(VALU_DEP_2) | instskip(SKIP_1) | instid1(VALU_DEP_3)
	v_mul_f32_e32 v38, 0x3fc90fda, v34
	v_add_lshl_u32 v36, v37, v36, 23
	v_alignbit_b32 v30, v32, v30, v35
	s_delay_alu instid0(VALU_DEP_3) | instskip(NEXT) | instid1(VALU_DEP_3)
	v_fma_f32 v32, 0x3fc90fda, v34, -v38
	v_sub_nc_u32_e32 v31, v31, v36
	s_delay_alu instid0(VALU_DEP_3) | instskip(NEXT) | instid1(VALU_DEP_3)
	v_lshrrev_b32_e32 v30, 9, v30
	v_fmac_f32_e32 v32, 0x33a22168, v34
	s_delay_alu instid0(VALU_DEP_2) | instskip(NEXT) | instid1(VALU_DEP_1)
	v_or_b32_e32 v30, v31, v30
	v_fmac_f32_e32 v32, 0x3fc90fda, v30
	v_lshrrev_b32_e32 v30, 30, v0
	s_delay_alu instid0(VALU_DEP_2) | instskip(NEXT) | instid1(VALU_DEP_2)
	v_add_f32_e32 v0, v38, v32
	v_add_nc_u32_e32 v32, v33, v30
                                        ; implicit-def: $vgpr33
	s_and_not1_saveexec_b32 s3, s33
	s_cbranch_execnz .LBB347_217
	s_branch .LBB347_218
.LBB347_216:                            ;   in Loop: Header=BB347_199 Depth=3
	s_and_not1_saveexec_b32 s3, s33
.LBB347_217:                            ;   in Loop: Header=BB347_199 Depth=3
	v_fma_f32 v0, 0xbfc90fda, v33, |v12|
	v_cvt_i32_f32_e32 v32, v33
	s_delay_alu instid0(VALU_DEP_2) | instskip(NEXT) | instid1(VALU_DEP_1)
	v_fmac_f32_e32 v0, 0xb3a22168, v33
	v_fmac_f32_e32 v0, 0xa7c234c4, v33
.LBB347_218:                            ;   in Loop: Header=BB347_199 Depth=3
	s_wait_alu 0xfffe
	s_or_b32 exec_lo, exec_lo, s3
	v_dual_sub_f32 v29, v29, v10 :: v_dual_lshlrev_b32 v30, 30, v28
	v_dual_mul_f32 v33, v27, v27 :: v_dual_and_b32 v28, 1, v28
	s_delay_alu instid0(VALU_DEP_2) | instskip(SKIP_1) | instid1(VALU_DEP_3)
	v_dual_mul_f32 v34, v0, v0 :: v_dual_mul_f32 v31, 0x3fb8aa3b, v29
	v_and_b32_e32 v35, 1, v32
	v_cmp_eq_u32_e32 vcc_lo, 0, v28
	s_delay_alu instid0(VALU_DEP_4) | instskip(NEXT) | instid1(VALU_DEP_4)
	v_fmaak_f32 v38, s24, v33, 0xbab64f3b
	v_dual_fmaak_f32 v39, s25, v33, 0x3c0881c4 :: v_dual_fmaak_f32 v40, s25, v34, 0x3c0881c4
	v_fma_f32 v36, 0x3fb8aa3b, v29, -v31
	v_rndne_f32_e32 v37, v31
	v_lshlrev_b32_e32 v32, 30, v32
	v_xor_b32_e32 v13, v13, v12
	v_cmp_nlt_f32_e64 s3, 0x42b17218, v29
	v_fmac_f32_e32 v36, 0x32a5705f, v29
	v_dual_sub_f32 v31, v31, v37 :: v_dual_and_b32 v30, 0x80000000, v30
	v_cvt_i32_f32_e32 v37, v37
	s_delay_alu instid0(VALU_DEP_2) | instskip(SKIP_1) | instid1(VALU_DEP_2)
	v_dual_add_f32 v31, v31, v36 :: v_dual_fmaak_f32 v36, v33, v38, 0x3d2aabf7
	v_dual_fmaak_f32 v38, v33, v39, 0xbe2aaa9d :: v_dual_fmaak_f32 v39, v34, v40, 0xbe2aaa9d
	v_exp_f32_e32 v31, v31
	s_delay_alu instid0(VALU_DEP_2) | instskip(NEXT) | instid1(VALU_DEP_2)
	v_fmaak_f32 v36, v33, v36, 0xbf000004
	v_dual_mul_f32 v38, v33, v38 :: v_dual_mul_f32 v39, v34, v39
	v_fmaak_f32 v41, s24, v34, 0xbab64f3b
	v_and_b32_e32 v32, 0x80000000, v32
	s_delay_alu instid0(VALU_DEP_4) | instskip(NEXT) | instid1(VALU_DEP_4)
	v_fma_f32 v33, v33, v36, 1.0
	v_dual_fmac_f32 v27, v27, v38 :: v_dual_fmac_f32 v0, v0, v39
	s_delay_alu instid0(VALU_DEP_4) | instskip(NEXT) | instid1(TRANS32_DEP_1)
	v_fmaak_f32 v40, v34, v41, 0x3d2aabf7
	v_ldexp_f32 v31, v31, v37
	s_wait_alu 0xfffd
	s_delay_alu instid0(VALU_DEP_3) | instskip(SKIP_2) | instid1(VALU_DEP_3)
	v_cndmask_b32_e64 v27, -v27, v33, vcc_lo
	v_cmp_eq_u32_e32 vcc_lo, 0, v35
	v_fmaak_f32 v40, v34, v40, 0xbf000004
	v_xor_b32_e32 v27, v30, v27
	s_delay_alu instid0(VALU_DEP_2) | instskip(SKIP_1) | instid1(VALU_DEP_1)
	v_fma_f32 v34, v34, v40, 1.0
	s_wait_alu 0xfffd
	v_cndmask_b32_e32 v0, v34, v0, vcc_lo
	v_cmp_ngt_f32_e32 vcc_lo, 0xc2ce8ed0, v29
	s_delay_alu instid0(VALU_DEP_2) | instskip(SKIP_4) | instid1(VALU_DEP_2)
	v_xor3_b32 v0, v13, v32, v0
	s_wait_alu 0xfffd
	v_cndmask_b32_e32 v28, 0, v31, vcc_lo
	v_cmp_class_f32_e64 vcc_lo, v12, 0x1f8
	s_wait_alu 0xf1ff
	v_cndmask_b32_e64 v29, 0x7f800000, v28, s3
	s_wait_alu 0xfffd
	v_cndmask_b32_e32 v27, 0x7fc00000, v27, vcc_lo
	v_cndmask_b32_e32 v0, 0x7fc00000, v0, vcc_lo
	s_delay_alu instid0(VALU_DEP_2) | instskip(NEXT) | instid1(VALU_DEP_2)
	v_mul_f32_e32 v28, v29, v27
	v_mul_f32_e32 v0, v29, v0
	s_delay_alu instid0(VALU_DEP_1) | instskip(NEXT) | instid1(VALU_DEP_1)
	v_max_num_f32_e64 v30, |v28|, |v0|
	v_cvt_f64_f32_e32 v[12:13], v30
	v_cmp_eq_f32_e32 vcc_lo, 0x7f800000, v30
	s_delay_alu instid0(VALU_DEP_2) | instskip(NEXT) | instid1(VALU_DEP_1)
	v_frexp_exp_i32_f64_e32 v12, v[12:13]
	v_sub_nc_u32_e32 v13, 0, v12
	s_delay_alu instid0(VALU_DEP_1) | instskip(SKIP_1) | instid1(VALU_DEP_2)
	v_ldexp_f32 v31, |v0|, v13
	v_ldexp_f32 v13, |v28|, v13
	v_mul_f32_e32 v31, v31, v31
	s_delay_alu instid0(VALU_DEP_1) | instskip(NEXT) | instid1(VALU_DEP_1)
	v_fmac_f32_e32 v31, v13, v13
	v_sqrt_f32_e32 v13, v31
	s_delay_alu instid0(TRANS32_DEP_1) | instskip(SKIP_1) | instid1(VALU_DEP_2)
	v_ldexp_f32 v13, v13, v12
	v_fma_f32 v12, v29, v27, 1.0
	v_cmp_ngt_f32_e64 s3, 0.5, v13
	s_delay_alu instid0(VALU_DEP_2)
	v_max_num_f32_e64 v13, |v12|, |v0|
	s_or_b32 s3, vcc_lo, s3
	s_wait_alu 0xfffe
	s_and_saveexec_b32 s4, s3
	s_wait_alu 0xfffe
	s_xor_b32 s4, exec_lo, s4
	s_cbranch_execz .LBB347_220
; %bb.219:                              ;   in Loop: Header=BB347_199 Depth=3
	v_cvt_f64_f32_e32 v[27:28], v13
	v_cmp_neq_f32_e32 vcc_lo, 0x7f800000, v13
	s_delay_alu instid0(VALU_DEP_2) | instskip(NEXT) | instid1(VALU_DEP_1)
	v_frexp_exp_i32_f64_e32 v27, v[27:28]
	v_sub_nc_u32_e32 v28, 0, v27
	s_delay_alu instid0(VALU_DEP_1) | instskip(SKIP_1) | instid1(VALU_DEP_2)
	v_ldexp_f32 v29, |v0|, v28
	v_ldexp_f32 v28, |v12|, v28
	v_mul_f32_e32 v29, v29, v29
	s_delay_alu instid0(VALU_DEP_1) | instskip(NEXT) | instid1(VALU_DEP_1)
	v_fmac_f32_e32 v29, v28, v28
	v_sqrt_f32_e32 v28, v29
	s_delay_alu instid0(TRANS32_DEP_1) | instskip(SKIP_1) | instid1(VALU_DEP_1)
	v_ldexp_f32 v27, v28, v27
	s_wait_alu 0xfffd
	v_cndmask_b32_e32 v27, 0x7f800000, v27, vcc_lo
	s_delay_alu instid0(VALU_DEP_1) | instskip(SKIP_2) | instid1(VALU_DEP_1)
	v_cmp_gt_f32_e32 vcc_lo, 0x800000, v27
	s_wait_alu 0xfffd
	v_cndmask_b32_e64 v28, 0, 32, vcc_lo
	v_ldexp_f32 v27, v27, v28
	s_delay_alu instid0(VALU_DEP_1) | instskip(NEXT) | instid1(TRANS32_DEP_1)
	v_log_f32_e32 v27, v27
	v_mul_f32_e32 v28, 0x3f317217, v27
	v_cmp_gt_f32_e64 s3, 0x7f800000, |v27|
	s_delay_alu instid0(VALU_DEP_2) | instskip(NEXT) | instid1(VALU_DEP_1)
	v_fma_f32 v28, 0x3f317217, v27, -v28
	v_fmac_f32_e32 v28, 0x3377d1cf, v27
	s_delay_alu instid0(VALU_DEP_1) | instskip(SKIP_1) | instid1(VALU_DEP_1)
	v_fmac_f32_e32 v28, 0x3f317217, v27
	s_wait_alu 0xf1ff
	v_cndmask_b32_e64 v27, v27, v28, s3
	v_cndmask_b32_e64 v28, 0, 0x41b17218, vcc_lo
	s_delay_alu instid0(VALU_DEP_1)
	v_sub_f32_e32 v28, v27, v28
.LBB347_220:                            ;   in Loop: Header=BB347_199 Depth=3
	s_wait_alu 0xfffe
	s_and_not1_saveexec_b32 s3, s4
	s_cbranch_execz .LBB347_224
; %bb.221:                              ;   in Loop: Header=BB347_199 Depth=3
	s_delay_alu instid0(VALU_DEP_1) | instskip(SKIP_2) | instid1(VALU_DEP_1)
	v_add_f32_e32 v29, 2.0, v28
	v_mul_f32_e32 v27, v0, v0
	s_mov_b32 s4, exec_lo
	v_fmac_f32_e32 v27, v28, v29
	s_delay_alu instid0(VALU_DEP_1)
	v_cmpx_neq_f32_e32 0, v27
	s_cbranch_execz .LBB347_223
; %bb.222:                              ;   in Loop: Header=BB347_199 Depth=3
	v_add_f32_e32 v30, 1.0, v27
	s_delay_alu instid0(VALU_DEP_1) | instskip(NEXT) | instid1(VALU_DEP_1)
	v_cvt_f64_f32_e32 v[28:29], v30
	v_frexp_exp_i32_f64_e32 v28, v[28:29]
	v_frexp_mant_f32_e32 v29, v30
	s_delay_alu instid0(VALU_DEP_1) | instskip(SKIP_1) | instid1(VALU_DEP_1)
	v_cmp_gt_f32_e32 vcc_lo, 0x3f2aaaab, v29
	v_add_f32_e32 v29, -1.0, v30
	v_sub_f32_e32 v32, v29, v30
	s_delay_alu instid0(VALU_DEP_1) | instskip(SKIP_3) | instid1(VALU_DEP_2)
	v_dual_add_f32 v32, 1.0, v32 :: v_dual_sub_f32 v29, v27, v29
	s_wait_alu 0xfffd
	v_subrev_co_ci_u32_e64 v28, null, 0, v28, vcc_lo
	v_cmp_neq_f32_e32 vcc_lo, 0x7f800000, v27
	v_sub_nc_u32_e32 v31, 0, v28
	v_cvt_f32_i32_e32 v28, v28
	s_delay_alu instid0(VALU_DEP_2) | instskip(NEXT) | instid1(VALU_DEP_1)
	v_ldexp_f32 v30, v30, v31
	v_add_f32_e32 v33, 1.0, v30
	s_delay_alu instid0(VALU_DEP_1) | instskip(NEXT) | instid1(VALU_DEP_1)
	v_dual_add_f32 v29, v29, v32 :: v_dual_add_f32 v32, -1.0, v33
	v_ldexp_f32 v29, v29, v31
	s_delay_alu instid0(VALU_DEP_2) | instskip(NEXT) | instid1(VALU_DEP_1)
	v_dual_sub_f32 v32, v30, v32 :: v_dual_add_f32 v31, -1.0, v30
	v_add_f32_e32 v32, v29, v32
	s_delay_alu instid0(VALU_DEP_2) | instskip(NEXT) | instid1(VALU_DEP_1)
	v_add_f32_e32 v34, 1.0, v31
	v_sub_f32_e32 v30, v30, v34
	s_delay_alu instid0(VALU_DEP_1) | instskip(NEXT) | instid1(VALU_DEP_1)
	v_add_f32_e32 v29, v29, v30
	v_dual_add_f32 v35, v31, v29 :: v_dual_add_f32 v34, v33, v32
	s_delay_alu instid0(VALU_DEP_1) | instskip(NEXT) | instid1(VALU_DEP_2)
	v_sub_f32_e32 v31, v35, v31
	v_rcp_f32_e32 v30, v34
	v_sub_f32_e32 v33, v34, v33
	s_delay_alu instid0(VALU_DEP_1) | instskip(NEXT) | instid1(TRANS32_DEP_1)
	v_dual_sub_f32 v29, v29, v31 :: v_dual_sub_f32 v32, v32, v33
	v_mul_f32_e32 v36, v35, v30
	s_delay_alu instid0(VALU_DEP_1) | instskip(NEXT) | instid1(VALU_DEP_1)
	v_mul_f32_e32 v37, v34, v36
	v_fma_f32 v33, v36, v34, -v37
	s_delay_alu instid0(VALU_DEP_1) | instskip(NEXT) | instid1(VALU_DEP_1)
	v_fmac_f32_e32 v33, v36, v32
	v_add_f32_e32 v38, v37, v33
	s_delay_alu instid0(VALU_DEP_1) | instskip(SKIP_1) | instid1(VALU_DEP_2)
	v_sub_f32_e32 v39, v35, v38
	v_sub_f32_e32 v31, v38, v37
	v_sub_f32_e32 v35, v35, v39
	s_delay_alu instid0(VALU_DEP_2) | instskip(NEXT) | instid1(VALU_DEP_2)
	v_sub_f32_e32 v31, v31, v33
	v_sub_f32_e32 v35, v35, v38
	s_delay_alu instid0(VALU_DEP_1) | instskip(NEXT) | instid1(VALU_DEP_1)
	v_add_f32_e32 v29, v29, v35
	v_add_f32_e32 v29, v31, v29
	s_delay_alu instid0(VALU_DEP_1) | instskip(NEXT) | instid1(VALU_DEP_1)
	v_add_f32_e32 v31, v39, v29
	v_mul_f32_e32 v33, v30, v31
	s_delay_alu instid0(VALU_DEP_1) | instskip(NEXT) | instid1(VALU_DEP_1)
	v_dual_sub_f32 v38, v39, v31 :: v_dual_mul_f32 v35, v34, v33
	v_add_f32_e32 v29, v29, v38
	s_delay_alu instid0(VALU_DEP_2) | instskip(NEXT) | instid1(VALU_DEP_1)
	v_fma_f32 v34, v33, v34, -v35
	v_fmac_f32_e32 v34, v33, v32
	s_delay_alu instid0(VALU_DEP_1) | instskip(NEXT) | instid1(VALU_DEP_1)
	v_add_f32_e32 v32, v35, v34
	v_sub_f32_e32 v37, v31, v32
	v_sub_f32_e32 v35, v32, v35
	s_delay_alu instid0(VALU_DEP_2) | instskip(NEXT) | instid1(VALU_DEP_1)
	v_sub_f32_e32 v31, v31, v37
	v_sub_f32_e32 v31, v31, v32
	s_delay_alu instid0(VALU_DEP_1) | instskip(SKIP_1) | instid1(VALU_DEP_1)
	v_dual_sub_f32 v32, v35, v34 :: v_dual_add_f32 v29, v29, v31
	v_add_f32_e32 v31, v36, v33
	v_dual_add_f32 v29, v32, v29 :: v_dual_sub_f32 v32, v31, v36
	s_delay_alu instid0(VALU_DEP_1) | instskip(NEXT) | instid1(VALU_DEP_1)
	v_add_f32_e32 v29, v37, v29
	v_dual_sub_f32 v32, v33, v32 :: v_dual_mul_f32 v29, v30, v29
	s_delay_alu instid0(VALU_DEP_1) | instskip(NEXT) | instid1(VALU_DEP_1)
	v_add_f32_e32 v29, v32, v29
	v_add_f32_e32 v30, v31, v29
	s_delay_alu instid0(VALU_DEP_1) | instskip(NEXT) | instid1(VALU_DEP_1)
	v_mul_f32_e32 v32, v30, v30
	v_fmaak_f32 v33, s26, v32, 0x3ecc95a3
	v_mul_f32_e32 v34, v30, v32
	s_delay_alu instid0(VALU_DEP_2) | instskip(SKIP_2) | instid1(VALU_DEP_3)
	v_fmaak_f32 v32, v32, v33, 0x3f2aaada
	v_ldexp_f32 v33, v30, 1
	v_sub_f32_e32 v30, v30, v31
	v_mul_f32_e32 v32, v34, v32
	s_delay_alu instid0(VALU_DEP_2) | instskip(NEXT) | instid1(VALU_DEP_2)
	v_dual_mul_f32 v34, 0x3f317218, v28 :: v_dual_sub_f32 v29, v29, v30
	v_add_f32_e32 v31, v33, v32
	s_delay_alu instid0(VALU_DEP_2) | instskip(NEXT) | instid1(VALU_DEP_2)
	v_ldexp_f32 v29, v29, 1
	v_sub_f32_e32 v30, v31, v33
	s_delay_alu instid0(VALU_DEP_4) | instskip(NEXT) | instid1(VALU_DEP_1)
	v_fma_f32 v33, 0x3f317218, v28, -v34
	v_dual_sub_f32 v30, v32, v30 :: v_dual_fmac_f32 v33, 0xb102e308, v28
	s_delay_alu instid0(VALU_DEP_1) | instskip(NEXT) | instid1(VALU_DEP_1)
	v_add_f32_e32 v28, v29, v30
	v_add_f32_e32 v30, v31, v28
	s_delay_alu instid0(VALU_DEP_1) | instskip(NEXT) | instid1(VALU_DEP_1)
	v_sub_f32_e32 v31, v30, v31
	v_dual_sub_f32 v28, v28, v31 :: v_dual_add_f32 v29, v34, v33
	s_delay_alu instid0(VALU_DEP_1) | instskip(NEXT) | instid1(VALU_DEP_1)
	v_add_f32_e32 v32, v29, v30
	v_dual_sub_f32 v34, v29, v34 :: v_dual_sub_f32 v35, v32, v29
	s_delay_alu instid0(VALU_DEP_1) | instskip(NEXT) | instid1(VALU_DEP_1)
	v_dual_sub_f32 v33, v33, v34 :: v_dual_sub_f32 v36, v32, v35
	v_dual_sub_f32 v30, v30, v35 :: v_dual_add_f32 v31, v33, v28
	s_delay_alu instid0(VALU_DEP_2) | instskip(NEXT) | instid1(VALU_DEP_1)
	v_sub_f32_e32 v29, v29, v36
	v_add_f32_e32 v29, v30, v29
	s_delay_alu instid0(VALU_DEP_3) | instskip(NEXT) | instid1(VALU_DEP_2)
	v_sub_f32_e32 v30, v31, v33
	v_add_f32_e32 v29, v31, v29
	s_delay_alu instid0(VALU_DEP_2) | instskip(SKIP_1) | instid1(VALU_DEP_2)
	v_sub_f32_e32 v31, v31, v30
	v_sub_f32_e32 v28, v28, v30
	v_dual_add_f32 v34, v32, v29 :: v_dual_sub_f32 v31, v33, v31
	s_delay_alu instid0(VALU_DEP_1) | instskip(NEXT) | instid1(VALU_DEP_1)
	v_sub_f32_e32 v30, v34, v32
	v_dual_add_f32 v28, v28, v31 :: v_dual_sub_f32 v29, v29, v30
	s_delay_alu instid0(VALU_DEP_1) | instskip(NEXT) | instid1(VALU_DEP_1)
	v_add_f32_e32 v28, v28, v29
	v_add_f32_e32 v28, v34, v28
	s_wait_alu 0xfffd
	s_delay_alu instid0(VALU_DEP_1) | instskip(SKIP_2) | instid1(VALU_DEP_2)
	v_cndmask_b32_e32 v28, 0x7f800000, v28, vcc_lo
	v_cmp_ngt_f32_e32 vcc_lo, -1.0, v27
	s_wait_alu 0xfffd
	v_cndmask_b32_e32 v28, 0x7fc00000, v28, vcc_lo
	v_cmp_neq_f32_e32 vcc_lo, -1.0, v27
	s_wait_alu 0xfffd
	s_delay_alu instid0(VALU_DEP_2) | instskip(SKIP_2) | instid1(VALU_DEP_2)
	v_cndmask_b32_e32 v28, 0xff800000, v28, vcc_lo
	v_cmp_gt_f32_e64 vcc_lo, 0x33800000, |v27|
	s_wait_alu 0xfffd
	v_cndmask_b32_e32 v27, v28, v27, vcc_lo
	s_delay_alu instid0(VALU_DEP_1)
	v_mul_f32_e32 v28, 0.5, v27
.LBB347_223:                            ;   in Loop: Header=BB347_199 Depth=3
	s_wait_alu 0xfffe
	s_or_b32 exec_lo, exec_lo, s4
.LBB347_224:                            ;   in Loop: Header=BB347_199 Depth=3
	s_wait_alu 0xfffe
	s_or_b32 exec_lo, exec_lo, s3
	v_max_num_f32_e64 v27, |v0|, |v0|
	v_max_num_f32_e64 v29, |v12|, |v12|
	v_frexp_mant_f32_e32 v30, v13
	v_frexp_exp_i32_f32_e32 v13, v13
	v_cmp_gt_f32_e64 vcc_lo, |v0|, |v12|
	v_cmp_gt_i32_e64 s3, 0, v12
	v_min_num_f32_e32 v27, v29, v27
	v_rcp_f32_e32 v29, v30
	v_cmp_class_f32_e64 s4, v12, 0x204
	s_delay_alu instid0(VALU_DEP_2)
	v_frexp_mant_f32_e32 v30, v27
	v_frexp_exp_i32_f32_e32 v27, v27
	s_delay_alu instid0(TRANS32_DEP_1) | instid1(VALU_DEP_2)
	v_mul_f32_e32 v29, v30, v29
	s_delay_alu instid0(VALU_DEP_2) | instskip(SKIP_3) | instid1(VALU_DEP_3)
	v_sub_nc_u32_e32 v13, v27, v13
	s_wait_alu 0xf1ff
	v_cndmask_b32_e64 v30, 0, 0x40490fdb, s3
	v_cmp_class_f32_e64 s3, v0, 0x204
	v_ldexp_f32 v13, v29, v13
	s_delay_alu instid0(VALU_DEP_1) | instskip(NEXT) | instid1(VALU_DEP_1)
	v_mul_f32_e32 v27, v13, v13
	v_fmaak_f32 v29, s27, v27, 0xbc7a590c
	s_delay_alu instid0(VALU_DEP_1) | instskip(NEXT) | instid1(VALU_DEP_1)
	v_fmaak_f32 v29, v27, v29, 0x3d29fb3f
	v_fmaak_f32 v29, v27, v29, 0xbd97d4d7
	s_delay_alu instid0(VALU_DEP_1) | instskip(NEXT) | instid1(VALU_DEP_1)
	v_fmaak_f32 v29, v27, v29, 0x3dd931b2
	;; [unrolled: 3-line block ×3, first 2 shown]
	v_fmaak_f32 v29, v27, v29, 0xbeaaaa62
	s_delay_alu instid0(VALU_DEP_1) | instskip(NEXT) | instid1(VALU_DEP_1)
	v_mul_f32_e32 v27, v27, v29
	v_fmac_f32_e32 v13, v13, v27
	s_delay_alu instid0(VALU_DEP_1) | instskip(SKIP_1) | instid1(VALU_DEP_1)
	v_sub_f32_e32 v27, 0x3fc90fdb, v13
	s_wait_alu 0xfffd
	v_cndmask_b32_e32 v13, v13, v27, vcc_lo
	v_cmp_gt_f32_e32 vcc_lo, 0, v12
	s_delay_alu instid0(VALU_DEP_2) | instskip(SKIP_2) | instid1(VALU_DEP_2)
	v_sub_f32_e32 v27, 0x40490fdb, v13
	s_wait_alu 0xfffd
	v_cndmask_b32_e32 v29, 0x3f490fdb, v20, vcc_lo
	v_cndmask_b32_e32 v13, v13, v27, vcc_lo
	v_cmp_eq_f32_e32 vcc_lo, 0, v0
	s_wait_alu 0xfffd
	s_delay_alu instid0(VALU_DEP_2) | instskip(SKIP_2) | instid1(VALU_DEP_1)
	v_cndmask_b32_e32 v13, v13, v30, vcc_lo
	s_and_b32 vcc_lo, s4, s3
	s_wait_alu 0xfffe
	v_cndmask_b32_e32 v13, v13, v29, vcc_lo
	v_cmp_o_f32_e32 vcc_lo, v12, v0
	v_add_f32_e32 v29, v10, v28
                                        ; implicit-def: $vgpr28
	s_wait_alu 0xfffd
	s_delay_alu instid0(VALU_DEP_3) | instskip(NEXT) | instid1(VALU_DEP_1)
	v_cndmask_b32_e32 v12, 0x7fc00000, v13, vcc_lo
	v_bfi_b32 v0, 0x7fffffff, v12, v0
	s_delay_alu instid0(VALU_DEP_1)
	v_add_f32_e32 v27, v11, v0
                                        ; implicit-def: $vgpr11
.LBB347_225:                            ;   in Loop: Header=BB347_199 Depth=3
	s_and_not1_saveexec_b32 s31, s31
	s_cbranch_execz .LBB347_196
; %bb.226:                              ;   in Loop: Header=BB347_199 Depth=3
	s_mov_b32 s33, exec_lo
	v_cmpx_ngt_f32_e32 0, v29
	s_cbranch_execz .LBB347_195
; %bb.227:                              ;   in Loop: Header=BB347_199 Depth=3
	v_and_b32_e32 v10, 0x7fffffff, v27
	v_cmp_ngt_f32_e64 s34, 0x48000000, |v27|
                                        ; implicit-def: $vgpr13
                                        ; implicit-def: $vgpr12
	s_delay_alu instid0(VALU_DEP_2) | instskip(SKIP_1) | instid1(VALU_DEP_2)
	v_lshrrev_b32_e32 v0, 23, v10
	v_and_or_b32 v30, v10, s23, 0x800000
	v_add_nc_u32_e32 v32, 0xffffff88, v0
	s_and_saveexec_b32 s3, s34
	s_wait_alu 0xfffe
	s_xor_b32 s35, exec_lo, s3
	s_cbranch_execz .LBB347_229
; %bb.228:                              ;   in Loop: Header=BB347_199 Depth=3
	v_mad_co_u64_u32 v[12:13], null, 0xfe5163ab, v30, 0
	v_cmp_lt_u32_e32 vcc_lo, 63, v32
	s_delay_alu instid0(VALU_DEP_2) | instskip(SKIP_2) | instid1(VALU_DEP_2)
	v_mov_b32_e32 v0, v13
	s_wait_alu 0xfffd
	v_cndmask_b32_e64 v13, 0, 0xffffffc0, vcc_lo
	v_mad_co_u64_u32 v[33:34], null, 0x3c439041, v30, v[0:1]
	s_delay_alu instid0(VALU_DEP_2) | instskip(NEXT) | instid1(VALU_DEP_1)
	v_add_nc_u32_e32 v13, v13, v32
	v_cmp_lt_u32_e64 s3, 31, v13
	s_delay_alu instid0(VALU_DEP_3) | instskip(SKIP_1) | instid1(VALU_DEP_2)
	v_mov_b32_e32 v0, v34
	s_wait_alu 0xf1ff
	v_cndmask_b32_e64 v29, 0, 0xffffffe0, s3
	s_delay_alu instid0(VALU_DEP_2) | instskip(NEXT) | instid1(VALU_DEP_1)
	v_mad_co_u64_u32 v[34:35], null, 0xdb629599, v30, v[0:1]
	v_dual_mov_b32 v0, v35 :: v_dual_add_nc_u32 v13, v29, v13
	s_delay_alu instid0(VALU_DEP_1) | instskip(NEXT) | instid1(VALU_DEP_2)
	v_cmp_lt_u32_e64 s4, 31, v13
	v_mad_co_u64_u32 v[35:36], null, 0xf534ddc0, v30, v[0:1]
	s_delay_alu instid0(VALU_DEP_1) | instskip(NEXT) | instid1(VALU_DEP_1)
	v_mov_b32_e32 v0, v36
	v_mad_co_u64_u32 v[36:37], null, 0xfc2757d1, v30, v[0:1]
	s_delay_alu instid0(VALU_DEP_1) | instskip(NEXT) | instid1(VALU_DEP_1)
	v_mov_b32_e32 v0, v37
	v_mad_co_u64_u32 v[37:38], null, 0x4e441529, v30, v[0:1]
	s_delay_alu instid0(VALU_DEP_1) | instskip(NEXT) | instid1(VALU_DEP_1)
	v_dual_mov_b32 v0, v38 :: v_dual_cndmask_b32 v29, v37, v35
	v_mad_co_u64_u32 v[38:39], null, 0xa2f9836e, v30, v[0:1]
	s_wait_alu 0xf1ff
	v_cndmask_b32_e64 v0, 0, 0xffffffe0, s4
	s_delay_alu instid0(VALU_DEP_1) | instskip(NEXT) | instid1(VALU_DEP_3)
	v_dual_cndmask_b32 v31, v38, v36 :: v_dual_add_nc_u32 v0, v0, v13
	v_dual_cndmask_b32 v37, v39, v37 :: v_dual_cndmask_b32 v36, v36, v34
	v_cndmask_b32_e32 v13, v35, v33, vcc_lo
	s_delay_alu instid0(VALU_DEP_3) | instskip(NEXT) | instid1(VALU_DEP_4)
	v_sub_nc_u32_e32 v35, 32, v0
	v_cndmask_b32_e64 v33, v31, v29, s3
	s_delay_alu instid0(VALU_DEP_4) | instskip(SKIP_2) | instid1(VALU_DEP_3)
	v_cndmask_b32_e64 v31, v37, v31, s3
	v_cndmask_b32_e64 v29, v29, v36, s3
	;; [unrolled: 1-line block ×4, first 2 shown]
	s_delay_alu instid0(VALU_DEP_3) | instskip(NEXT) | instid1(VALU_DEP_3)
	v_cndmask_b32_e64 v33, v33, v29, s4
	v_cndmask_b32_e64 v29, v29, v36, s4
	v_cndmask_b32_e32 v12, v34, v12, vcc_lo
	v_cmp_eq_u32_e32 vcc_lo, 0, v0
	s_delay_alu instid0(VALU_DEP_4) | instskip(NEXT) | instid1(VALU_DEP_4)
	v_alignbit_b32 v37, v31, v33, v35
	v_alignbit_b32 v34, v33, v29, v35
	s_delay_alu instid0(VALU_DEP_4) | instskip(SKIP_1) | instid1(VALU_DEP_2)
	v_cndmask_b32_e64 v12, v13, v12, s3
	s_wait_alu 0xfffd
	v_dual_cndmask_b32 v0, v37, v31 :: v_dual_cndmask_b32 v13, v34, v33
	s_delay_alu instid0(VALU_DEP_2) | instskip(NEXT) | instid1(VALU_DEP_2)
	v_cndmask_b32_e64 v12, v36, v12, s4
	v_bfe_u32 v31, v0, 29, 1
	s_delay_alu instid0(VALU_DEP_3) | instskip(NEXT) | instid1(VALU_DEP_3)
	v_alignbit_b32 v33, v0, v13, 30
	v_alignbit_b32 v35, v29, v12, v35
	s_delay_alu instid0(VALU_DEP_3) | instskip(NEXT) | instid1(VALU_DEP_2)
	v_sub_nc_u32_e32 v34, 0, v31
	v_cndmask_b32_e32 v29, v35, v29, vcc_lo
	s_delay_alu instid0(VALU_DEP_2) | instskip(NEXT) | instid1(VALU_DEP_2)
	v_xor_b32_e32 v33, v33, v34
	v_alignbit_b32 v13, v13, v29, 30
	v_alignbit_b32 v12, v29, v12, 30
	s_delay_alu instid0(VALU_DEP_3) | instskip(NEXT) | instid1(VALU_DEP_3)
	v_clz_i32_u32_e32 v35, v33
	v_xor_b32_e32 v13, v13, v34
	s_delay_alu instid0(VALU_DEP_3) | instskip(SKIP_1) | instid1(VALU_DEP_4)
	v_xor_b32_e32 v12, v12, v34
	v_lshrrev_b32_e32 v34, 29, v0
	v_min_u32_e32 v35, 32, v35
	s_delay_alu instid0(VALU_DEP_1) | instskip(SKIP_1) | instid1(VALU_DEP_2)
	v_sub_nc_u32_e32 v29, 31, v35
	v_lshlrev_b32_e32 v36, 23, v35
	v_alignbit_b32 v33, v33, v13, v29
	v_alignbit_b32 v12, v13, v12, v29
	v_lshlrev_b32_e32 v13, 31, v34
	v_lshrrev_b32_e32 v0, 30, v0
	s_delay_alu instid0(VALU_DEP_3) | instskip(NEXT) | instid1(VALU_DEP_3)
	v_alignbit_b32 v29, v33, v12, 9
	v_or_b32_e32 v34, 0.5, v13
	v_lshrrev_b32_e32 v33, 9, v33
	v_or_b32_e32 v13, 0x33000000, v13
	s_delay_alu instid0(VALU_DEP_4) | instskip(NEXT) | instid1(VALU_DEP_4)
	v_clz_i32_u32_e32 v37, v29
	v_sub_nc_u32_e32 v34, v34, v36
	s_delay_alu instid0(VALU_DEP_2) | instskip(NEXT) | instid1(VALU_DEP_2)
	v_min_u32_e32 v36, 32, v37
	v_or_b32_e32 v33, v33, v34
	s_delay_alu instid0(VALU_DEP_2) | instskip(NEXT) | instid1(VALU_DEP_2)
	v_not_b32_e32 v34, v36
	v_mul_f32_e32 v37, 0x3fc90fda, v33
	v_add_lshl_u32 v35, v36, v35, 23
	s_delay_alu instid0(VALU_DEP_3) | instskip(NEXT) | instid1(VALU_DEP_3)
	v_alignbit_b32 v12, v29, v12, v34
	v_fma_f32 v29, 0x3fc90fda, v33, -v37
	s_delay_alu instid0(VALU_DEP_3) | instskip(NEXT) | instid1(VALU_DEP_3)
	v_sub_nc_u32_e32 v13, v13, v35
	v_lshrrev_b32_e32 v12, 9, v12
	s_delay_alu instid0(VALU_DEP_3) | instskip(NEXT) | instid1(VALU_DEP_2)
	v_fmac_f32_e32 v29, 0x33a22168, v33
	v_or_b32_e32 v12, v13, v12
	v_add_nc_u32_e32 v13, v31, v0
	s_delay_alu instid0(VALU_DEP_2) | instskip(NEXT) | instid1(VALU_DEP_1)
	v_fmac_f32_e32 v29, 0x3fc90fda, v12
	v_add_f32_e32 v12, v37, v29
.LBB347_229:                            ;   in Loop: Header=BB347_199 Depth=3
	s_or_saveexec_b32 s3, s35
	v_mul_f32_e64 v0, 0x3f22f983, |v27|
	s_delay_alu instid0(VALU_DEP_1)
	v_rndne_f32_e32 v0, v0
	s_wait_alu 0xfffe
	s_xor_b32 exec_lo, exec_lo, s3
; %bb.230:                              ;   in Loop: Header=BB347_199 Depth=3
	s_delay_alu instid0(VALU_DEP_1) | instskip(SKIP_1) | instid1(VALU_DEP_2)
	v_fma_f32 v12, 0xbfc90fda, v0, |v27|
	v_cvt_i32_f32_e32 v13, v0
	v_fmac_f32_e32 v12, 0xb3a22168, v0
	s_delay_alu instid0(VALU_DEP_1)
	v_fmac_f32_e32 v12, 0xa7c234c4, v0
; %bb.231:                              ;   in Loop: Header=BB347_199 Depth=3
	s_or_b32 exec_lo, exec_lo, s3
                                        ; implicit-def: $vgpr31
                                        ; implicit-def: $vgpr29
	s_and_saveexec_b32 s3, s34
	s_wait_alu 0xfffe
	s_xor_b32 s34, exec_lo, s3
	s_cbranch_execz .LBB347_233
; %bb.232:                              ;   in Loop: Header=BB347_199 Depth=3
	v_mad_co_u64_u32 v[33:34], null, 0xfe5163ab, v30, 0
	v_cmp_lt_u32_e32 vcc_lo, 63, v32
	s_wait_alu 0xfffd
	v_cndmask_b32_e64 v29, 0, 0xffffffc0, vcc_lo
	s_delay_alu instid0(VALU_DEP_1) | instskip(NEXT) | instid1(VALU_DEP_1)
	v_dual_mov_b32 v0, v34 :: v_dual_add_nc_u32 v29, v29, v32
	v_mad_co_u64_u32 v[34:35], null, 0x3c439041, v30, v[0:1]
	s_delay_alu instid0(VALU_DEP_2) | instskip(NEXT) | instid1(VALU_DEP_2)
	v_cmp_lt_u32_e64 s3, 31, v29
	v_mov_b32_e32 v0, v35
	s_delay_alu instid0(VALU_DEP_1) | instskip(NEXT) | instid1(VALU_DEP_1)
	v_mad_co_u64_u32 v[35:36], null, 0xdb629599, v30, v[0:1]
	v_dual_mov_b32 v0, v36 :: v_dual_cndmask_b32 v33, v35, v33
	s_delay_alu instid0(VALU_DEP_1) | instskip(NEXT) | instid1(VALU_DEP_1)
	v_mad_co_u64_u32 v[36:37], null, 0xf534ddc0, v30, v[0:1]
	v_mov_b32_e32 v0, v37
	s_delay_alu instid0(VALU_DEP_1) | instskip(NEXT) | instid1(VALU_DEP_1)
	v_mad_co_u64_u32 v[37:38], null, 0xfc2757d1, v30, v[0:1]
	v_mov_b32_e32 v0, v38
	s_wait_alu 0xf1ff
	v_cndmask_b32_e64 v38, 0, 0xffffffe0, s3
	s_delay_alu instid0(VALU_DEP_2) | instskip(NEXT) | instid1(VALU_DEP_1)
	v_mad_co_u64_u32 v[31:32], null, 0x4e441529, v30, v[0:1]
	v_mov_b32_e32 v0, v32
	s_delay_alu instid0(VALU_DEP_3) | instskip(NEXT) | instid1(VALU_DEP_3)
	v_add_nc_u32_e32 v32, v38, v29
	v_cndmask_b32_e32 v38, v31, v36, vcc_lo
	s_delay_alu instid0(VALU_DEP_3) | instskip(NEXT) | instid1(VALU_DEP_3)
	v_mad_co_u64_u32 v[29:30], null, 0xa2f9836e, v30, v[0:1]
	v_cmp_lt_u32_e64 s4, 31, v32
	s_wait_alu 0xf1ff
	s_delay_alu instid0(VALU_DEP_1) | instskip(NEXT) | instid1(VALU_DEP_3)
	v_cndmask_b32_e64 v0, 0, 0xffffffe0, s4
	v_dual_cndmask_b32 v29, v29, v37 :: v_dual_cndmask_b32 v30, v30, v31
	s_delay_alu instid0(VALU_DEP_2) | instskip(SKIP_1) | instid1(VALU_DEP_3)
	v_dual_cndmask_b32 v31, v37, v35 :: v_dual_add_nc_u32 v0, v0, v32
	v_cndmask_b32_e32 v32, v36, v34, vcc_lo
	v_cndmask_b32_e64 v34, v29, v38, s3
	s_delay_alu instid0(VALU_DEP_4) | instskip(NEXT) | instid1(VALU_DEP_4)
	v_cndmask_b32_e64 v29, v30, v29, s3
	v_cndmask_b32_e64 v30, v38, v31, s3
	v_sub_nc_u32_e32 v36, 32, v0
	v_cndmask_b32_e64 v31, v31, v32, s3
	v_cmp_eq_u32_e32 vcc_lo, 0, v0
	v_cndmask_b32_e64 v29, v29, v34, s4
	v_cndmask_b32_e64 v34, v34, v30, s4
	s_delay_alu instid0(VALU_DEP_4) | instskip(NEXT) | instid1(VALU_DEP_2)
	v_cndmask_b32_e64 v30, v30, v31, s4
	v_alignbit_b32 v37, v29, v34, v36
	s_delay_alu instid0(VALU_DEP_2) | instskip(SKIP_1) | instid1(VALU_DEP_2)
	v_alignbit_b32 v35, v34, v30, v36
	s_wait_alu 0xfffd
	v_cndmask_b32_e32 v0, v37, v29, vcc_lo
	v_cndmask_b32_e64 v29, v32, v33, s3
	s_delay_alu instid0(VALU_DEP_3) | instskip(NEXT) | instid1(VALU_DEP_3)
	v_cndmask_b32_e32 v32, v35, v34, vcc_lo
	v_bfe_u32 v33, v0, 29, 1
	s_delay_alu instid0(VALU_DEP_3) | instskip(NEXT) | instid1(VALU_DEP_3)
	v_cndmask_b32_e64 v29, v31, v29, s4
	v_alignbit_b32 v31, v0, v32, 30
	s_delay_alu instid0(VALU_DEP_3) | instskip(NEXT) | instid1(VALU_DEP_3)
	v_sub_nc_u32_e32 v34, 0, v33
	v_alignbit_b32 v35, v30, v29, v36
	s_delay_alu instid0(VALU_DEP_2) | instskip(NEXT) | instid1(VALU_DEP_2)
	v_xor_b32_e32 v31, v31, v34
	v_cndmask_b32_e32 v30, v35, v30, vcc_lo
	s_delay_alu instid0(VALU_DEP_2) | instskip(NEXT) | instid1(VALU_DEP_2)
	v_clz_i32_u32_e32 v35, v31
	v_alignbit_b32 v32, v32, v30, 30
	v_alignbit_b32 v29, v30, v29, 30
	s_delay_alu instid0(VALU_DEP_3) | instskip(NEXT) | instid1(VALU_DEP_3)
	v_min_u32_e32 v35, 32, v35
	v_xor_b32_e32 v30, v32, v34
	s_delay_alu instid0(VALU_DEP_3) | instskip(SKIP_4) | instid1(VALU_DEP_2)
	v_xor_b32_e32 v29, v29, v34
	v_lshrrev_b32_e32 v34, 29, v0
	v_lshrrev_b32_e32 v0, 30, v0
	v_sub_nc_u32_e32 v32, 31, v35
	v_lshlrev_b32_e32 v36, 23, v35
	v_alignbit_b32 v31, v31, v30, v32
	v_alignbit_b32 v29, v30, v29, v32
	v_lshlrev_b32_e32 v30, 31, v34
	s_delay_alu instid0(VALU_DEP_2) | instskip(NEXT) | instid1(VALU_DEP_2)
	v_alignbit_b32 v32, v31, v29, 9
	v_or_b32_e32 v34, 0.5, v30
	v_lshrrev_b32_e32 v31, 9, v31
	v_or_b32_e32 v30, 0x33000000, v30
	s_delay_alu instid0(VALU_DEP_4) | instskip(NEXT) | instid1(VALU_DEP_4)
	v_clz_i32_u32_e32 v37, v32
	v_sub_nc_u32_e32 v34, v34, v36
	s_delay_alu instid0(VALU_DEP_2) | instskip(NEXT) | instid1(VALU_DEP_2)
	v_min_u32_e32 v36, 32, v37
	v_or_b32_e32 v31, v31, v34
	s_delay_alu instid0(VALU_DEP_2) | instskip(NEXT) | instid1(VALU_DEP_2)
	v_not_b32_e32 v34, v36
	v_mul_f32_e32 v37, 0x3fc90fda, v31
	v_add_lshl_u32 v35, v36, v35, 23
	s_delay_alu instid0(VALU_DEP_3) | instskip(NEXT) | instid1(VALU_DEP_3)
	v_alignbit_b32 v29, v32, v29, v34
	v_fma_f32 v32, 0x3fc90fda, v31, -v37
	s_delay_alu instid0(VALU_DEP_3) | instskip(NEXT) | instid1(VALU_DEP_3)
	v_sub_nc_u32_e32 v30, v30, v35
	v_lshrrev_b32_e32 v29, 9, v29
	s_delay_alu instid0(VALU_DEP_3) | instskip(NEXT) | instid1(VALU_DEP_2)
	v_dual_fmac_f32 v32, 0x33a22168, v31 :: v_dual_add_nc_u32 v31, v33, v0
                                        ; implicit-def: $vgpr0
	v_or_b32_e32 v29, v30, v29
	s_delay_alu instid0(VALU_DEP_1) | instskip(NEXT) | instid1(VALU_DEP_1)
	v_fmac_f32_e32 v32, 0x3fc90fda, v29
	v_add_f32_e32 v29, v37, v32
	s_and_not1_saveexec_b32 s3, s34
	s_cbranch_execnz .LBB347_234
	s_branch .LBB347_235
.LBB347_233:                            ;   in Loop: Header=BB347_199 Depth=3
	s_and_not1_saveexec_b32 s3, s34
.LBB347_234:                            ;   in Loop: Header=BB347_199 Depth=3
	v_fma_f32 v29, 0xbfc90fda, v0, |v27|
	v_cvt_i32_f32_e32 v31, v0
	s_delay_alu instid0(VALU_DEP_2) | instskip(NEXT) | instid1(VALU_DEP_1)
	v_fmac_f32_e32 v29, 0xb3a22168, v0
	v_fmac_f32_e32 v29, 0xa7c234c4, v0
.LBB347_235:                            ;   in Loop: Header=BB347_199 Depth=3
	s_wait_alu 0xfffe
	s_or_b32 exec_lo, exec_lo, s3
	v_and_b32_e32 v30, 0x7fffffff, v11
	v_cmp_ngt_f32_e64 s34, 0x48000000, |v11|
                                        ; implicit-def: $vgpr33
                                        ; implicit-def: $vgpr32
	s_delay_alu instid0(VALU_DEP_2) | instskip(SKIP_1) | instid1(VALU_DEP_2)
	v_lshrrev_b32_e32 v0, 23, v30
	v_and_or_b32 v34, v30, s23, 0x800000
	v_add_nc_u32_e32 v35, 0xffffff88, v0
	s_and_saveexec_b32 s3, s34
	s_wait_alu 0xfffe
	s_xor_b32 s35, exec_lo, s3
	s_cbranch_execz .LBB347_237
; %bb.236:                              ;   in Loop: Header=BB347_199 Depth=3
	v_mad_co_u64_u32 v[32:33], null, 0xfe5163ab, v34, 0
	v_cmp_lt_u32_e32 vcc_lo, 63, v35
	s_delay_alu instid0(VALU_DEP_2) | instskip(SKIP_2) | instid1(VALU_DEP_1)
	v_mov_b32_e32 v0, v33
	s_wait_alu 0xfffd
	v_cndmask_b32_e64 v33, 0, 0xffffffc0, vcc_lo
	v_add_nc_u32_e32 v33, v33, v35
	s_delay_alu instid0(VALU_DEP_1) | instskip(SKIP_1) | instid1(VALU_DEP_1)
	v_cmp_lt_u32_e64 s3, 31, v33
	s_wait_alu 0xf1ff
	v_cndmask_b32_e64 v42, 0, 0xffffffe0, s3
	s_delay_alu instid0(VALU_DEP_1) | instskip(SKIP_1) | instid1(VALU_DEP_2)
	v_add_nc_u32_e32 v33, v42, v33
	v_mad_co_u64_u32 v[36:37], null, 0x3c439041, v34, v[0:1]
	v_cmp_lt_u32_e64 s4, 31, v33
	s_delay_alu instid0(VALU_DEP_2) | instskip(NEXT) | instid1(VALU_DEP_1)
	v_mov_b32_e32 v0, v37
	v_mad_co_u64_u32 v[37:38], null, 0xdb629599, v34, v[0:1]
	s_delay_alu instid0(VALU_DEP_1) | instskip(NEXT) | instid1(VALU_DEP_2)
	v_mov_b32_e32 v0, v38
	v_cndmask_b32_e32 v32, v37, v32, vcc_lo
	s_delay_alu instid0(VALU_DEP_2) | instskip(NEXT) | instid1(VALU_DEP_1)
	v_mad_co_u64_u32 v[38:39], null, 0xf534ddc0, v34, v[0:1]
	v_mov_b32_e32 v0, v39
	s_delay_alu instid0(VALU_DEP_1) | instskip(NEXT) | instid1(VALU_DEP_1)
	v_mad_co_u64_u32 v[39:40], null, 0xfc2757d1, v34, v[0:1]
	v_mov_b32_e32 v0, v40
	s_delay_alu instid0(VALU_DEP_1) | instskip(NEXT) | instid1(VALU_DEP_1)
	v_mad_co_u64_u32 v[40:41], null, 0x4e441529, v34, v[0:1]
	v_dual_mov_b32 v0, v41 :: v_dual_cndmask_b32 v43, v40, v38
	s_delay_alu instid0(VALU_DEP_1) | instskip(SKIP_2) | instid1(VALU_DEP_1)
	v_mad_co_u64_u32 v[41:42], null, 0xa2f9836e, v34, v[0:1]
	s_wait_alu 0xf1ff
	v_cndmask_b32_e64 v0, 0, 0xffffffe0, s4
	v_dual_cndmask_b32 v41, v41, v39 :: v_dual_add_nc_u32 v0, v0, v33
	s_delay_alu instid0(VALU_DEP_3) | instskip(SKIP_1) | instid1(VALU_DEP_3)
	v_dual_cndmask_b32 v40, v42, v40 :: v_dual_cndmask_b32 v39, v39, v37
	v_cndmask_b32_e32 v33, v38, v36, vcc_lo
	v_cmp_eq_u32_e32 vcc_lo, 0, v0
	s_delay_alu instid0(VALU_DEP_4) | instskip(NEXT) | instid1(VALU_DEP_4)
	v_cndmask_b32_e64 v36, v41, v43, s3
	v_cndmask_b32_e64 v38, v40, v41, s3
	;; [unrolled: 1-line block ×3, first 2 shown]
	v_sub_nc_u32_e32 v41, 32, v0
	v_cndmask_b32_e64 v39, v39, v33, s3
	v_cndmask_b32_e64 v32, v33, v32, s3
	;; [unrolled: 1-line block ×4, first 2 shown]
	s_delay_alu instid0(VALU_DEP_4) | instskip(NEXT) | instid1(VALU_DEP_4)
	v_cndmask_b32_e64 v40, v40, v39, s4
	v_cndmask_b32_e64 v32, v39, v32, s4
	s_delay_alu instid0(VALU_DEP_3) | instskip(NEXT) | instid1(VALU_DEP_3)
	v_alignbit_b32 v42, v38, v36, v41
	v_alignbit_b32 v37, v36, v40, v41
	s_delay_alu instid0(VALU_DEP_3) | instskip(SKIP_1) | instid1(VALU_DEP_2)
	v_alignbit_b32 v39, v40, v32, v41
	s_wait_alu 0xfffd
	v_dual_cndmask_b32 v0, v42, v38 :: v_dual_cndmask_b32 v33, v37, v36
	s_delay_alu instid0(VALU_DEP_2) | instskip(NEXT) | instid1(VALU_DEP_2)
	v_cndmask_b32_e32 v39, v39, v40, vcc_lo
	v_bfe_u32 v36, v0, 29, 1
	s_delay_alu instid0(VALU_DEP_3) | instskip(NEXT) | instid1(VALU_DEP_3)
	v_alignbit_b32 v37, v0, v33, 30
	v_alignbit_b32 v33, v33, v39, 30
	;; [unrolled: 1-line block ×3, first 2 shown]
	s_delay_alu instid0(VALU_DEP_4) | instskip(NEXT) | instid1(VALU_DEP_1)
	v_sub_nc_u32_e32 v38, 0, v36
	v_xor_b32_e32 v37, v37, v38
	s_delay_alu instid0(VALU_DEP_4) | instskip(NEXT) | instid1(VALU_DEP_4)
	v_xor_b32_e32 v33, v33, v38
	v_xor_b32_e32 v32, v32, v38
	s_delay_alu instid0(VALU_DEP_3) | instskip(NEXT) | instid1(VALU_DEP_1)
	v_clz_i32_u32_e32 v40, v37
	v_min_u32_e32 v40, 32, v40
	s_delay_alu instid0(VALU_DEP_1) | instskip(SKIP_3) | instid1(VALU_DEP_4)
	v_sub_nc_u32_e32 v39, 31, v40
	v_lshlrev_b32_e32 v41, 23, v40
	v_lshrrev_b32_e32 v38, 29, v0
	v_lshrrev_b32_e32 v0, 30, v0
	v_alignbit_b32 v37, v37, v33, v39
	v_alignbit_b32 v32, v33, v32, v39
	s_delay_alu instid0(VALU_DEP_4) | instskip(NEXT) | instid1(VALU_DEP_2)
	v_lshlrev_b32_e32 v33, 31, v38
	v_alignbit_b32 v38, v37, v32, 9
	s_delay_alu instid0(VALU_DEP_2) | instskip(SKIP_2) | instid1(VALU_DEP_4)
	v_or_b32_e32 v39, 0.5, v33
	v_lshrrev_b32_e32 v37, 9, v37
	v_or_b32_e32 v33, 0x33000000, v33
	v_clz_i32_u32_e32 v42, v38
	s_delay_alu instid0(VALU_DEP_4) | instskip(NEXT) | instid1(VALU_DEP_2)
	v_sub_nc_u32_e32 v39, v39, v41
	v_min_u32_e32 v41, 32, v42
	s_delay_alu instid0(VALU_DEP_2) | instskip(NEXT) | instid1(VALU_DEP_2)
	v_or_b32_e32 v37, v37, v39
	v_not_b32_e32 v39, v41
	v_add_lshl_u32 v40, v41, v40, 23
	s_delay_alu instid0(VALU_DEP_3) | instskip(NEXT) | instid1(VALU_DEP_3)
	v_mul_f32_e32 v42, 0x3fc90fda, v37
	v_alignbit_b32 v32, v38, v32, v39
	s_delay_alu instid0(VALU_DEP_3) | instskip(NEXT) | instid1(VALU_DEP_2)
	v_sub_nc_u32_e32 v33, v33, v40
	v_lshrrev_b32_e32 v32, 9, v32
	s_delay_alu instid0(VALU_DEP_1) | instskip(SKIP_2) | instid1(VALU_DEP_1)
	v_or_b32_e32 v32, v33, v32
	v_add_nc_u32_e32 v33, v36, v0
	v_fma_f32 v38, 0x3fc90fda, v37, -v42
	v_fmac_f32_e32 v38, 0x33a22168, v37
	s_delay_alu instid0(VALU_DEP_1) | instskip(NEXT) | instid1(VALU_DEP_1)
	v_fmac_f32_e32 v38, 0x3fc90fda, v32
	v_add_f32_e32 v32, v42, v38
.LBB347_237:                            ;   in Loop: Header=BB347_199 Depth=3
	s_or_saveexec_b32 s3, s35
	v_mul_f32_e64 v0, 0x3f22f983, |v11|
	s_delay_alu instid0(VALU_DEP_1)
	v_rndne_f32_e32 v37, v0
	s_wait_alu 0xfffe
	s_xor_b32 exec_lo, exec_lo, s3
; %bb.238:                              ;   in Loop: Header=BB347_199 Depth=3
	s_delay_alu instid0(VALU_DEP_1) | instskip(SKIP_1) | instid1(VALU_DEP_2)
	v_fma_f32 v32, 0xbfc90fda, v37, |v11|
	v_cvt_i32_f32_e32 v33, v37
	v_fmac_f32_e32 v32, 0xb3a22168, v37
	s_delay_alu instid0(VALU_DEP_1)
	v_fmac_f32_e32 v32, 0xa7c234c4, v37
; %bb.239:                              ;   in Loop: Header=BB347_199 Depth=3
	s_or_b32 exec_lo, exec_lo, s3
                                        ; implicit-def: $vgpr36
                                        ; implicit-def: $vgpr0
	s_and_saveexec_b32 s3, s34
	s_wait_alu 0xfffe
	s_xor_b32 s34, exec_lo, s3
	s_cbranch_execz .LBB347_241
; %bb.240:                              ;   in Loop: Header=BB347_199 Depth=3
	v_mad_co_u64_u32 v[36:37], null, 0xfe5163ab, v34, 0
	v_cmp_lt_u32_e32 vcc_lo, 63, v35
	s_wait_alu 0xfffd
	v_cndmask_b32_e64 v42, 0, 0xffffffc0, vcc_lo
	s_delay_alu instid0(VALU_DEP_1) | instskip(NEXT) | instid1(VALU_DEP_1)
	v_dual_mov_b32 v0, v37 :: v_dual_add_nc_u32 v35, v42, v35
	v_mad_co_u64_u32 v[37:38], null, 0x3c439041, v34, v[0:1]
	s_delay_alu instid0(VALU_DEP_2) | instskip(NEXT) | instid1(VALU_DEP_2)
	v_cmp_lt_u32_e64 s3, 31, v35
	v_mov_b32_e32 v0, v38
	s_wait_alu 0xf1ff
	s_delay_alu instid0(VALU_DEP_2) | instskip(NEXT) | instid1(VALU_DEP_2)
	v_cndmask_b32_e64 v43, 0, 0xffffffe0, s3
	v_mad_co_u64_u32 v[38:39], null, 0xdb629599, v34, v[0:1]
	s_delay_alu instid0(VALU_DEP_1) | instskip(NEXT) | instid1(VALU_DEP_2)
	v_mov_b32_e32 v0, v39
	v_cndmask_b32_e32 v36, v38, v36, vcc_lo
	s_delay_alu instid0(VALU_DEP_2) | instskip(NEXT) | instid1(VALU_DEP_1)
	v_mad_co_u64_u32 v[39:40], null, 0xf534ddc0, v34, v[0:1]
	v_dual_mov_b32 v0, v40 :: v_dual_cndmask_b32 v37, v39, v37
	s_delay_alu instid0(VALU_DEP_1) | instskip(NEXT) | instid1(VALU_DEP_1)
	v_mad_co_u64_u32 v[40:41], null, 0xfc2757d1, v34, v[0:1]
	v_mov_b32_e32 v0, v41
	s_delay_alu instid0(VALU_DEP_1) | instskip(NEXT) | instid1(VALU_DEP_1)
	v_mad_co_u64_u32 v[41:42], null, 0x4e441529, v34, v[0:1]
	v_mov_b32_e32 v0, v42
	v_add_nc_u32_e32 v42, v43, v35
	s_delay_alu instid0(VALU_DEP_3) | instskip(NEXT) | instid1(VALU_DEP_3)
	v_cndmask_b32_e32 v43, v41, v39, vcc_lo
	v_mad_co_u64_u32 v[34:35], null, 0xa2f9836e, v34, v[0:1]
	s_delay_alu instid0(VALU_DEP_3) | instskip(SKIP_1) | instid1(VALU_DEP_1)
	v_cmp_lt_u32_e64 s4, 31, v42
	s_wait_alu 0xf1ff
	v_cndmask_b32_e64 v0, 0, 0xffffffe0, s4
	s_delay_alu instid0(VALU_DEP_3) | instskip(SKIP_1) | instid1(VALU_DEP_3)
	v_dual_cndmask_b32 v34, v34, v40 :: v_dual_cndmask_b32 v35, v35, v41
	v_cndmask_b32_e32 v40, v40, v38, vcc_lo
	v_add_nc_u32_e32 v0, v0, v42
	s_delay_alu instid0(VALU_DEP_3) | instskip(NEXT) | instid1(VALU_DEP_4)
	v_cndmask_b32_e64 v39, v34, v43, s3
	v_cndmask_b32_e64 v34, v35, v34, s3
	s_delay_alu instid0(VALU_DEP_4)
	v_cndmask_b32_e64 v35, v43, v40, s3
	v_cndmask_b32_e64 v40, v40, v37, s3
	v_sub_nc_u32_e32 v41, 32, v0
	v_cmp_eq_u32_e32 vcc_lo, 0, v0
	v_cndmask_b32_e64 v34, v34, v39, s4
	v_cndmask_b32_e64 v39, v39, v35, s4
	;; [unrolled: 1-line block ×3, first 2 shown]
	s_delay_alu instid0(VALU_DEP_2) | instskip(NEXT) | instid1(VALU_DEP_2)
	v_alignbit_b32 v42, v34, v39, v41
	v_alignbit_b32 v38, v39, v35, v41
	s_wait_alu 0xfffd
	s_delay_alu instid0(VALU_DEP_2) | instskip(SKIP_1) | instid1(VALU_DEP_3)
	v_cndmask_b32_e32 v0, v42, v34, vcc_lo
	v_cndmask_b32_e64 v34, v37, v36, s3
	v_cndmask_b32_e32 v36, v38, v39, vcc_lo
	s_delay_alu instid0(VALU_DEP_3) | instskip(NEXT) | instid1(VALU_DEP_3)
	v_bfe_u32 v37, v0, 29, 1
	v_cndmask_b32_e64 v34, v40, v34, s4
	s_delay_alu instid0(VALU_DEP_3) | instskip(NEXT) | instid1(VALU_DEP_3)
	v_alignbit_b32 v38, v0, v36, 30
	v_sub_nc_u32_e32 v39, 0, v37
	s_delay_alu instid0(VALU_DEP_3) | instskip(NEXT) | instid1(VALU_DEP_2)
	v_alignbit_b32 v40, v35, v34, v41
	v_xor_b32_e32 v38, v38, v39
	s_delay_alu instid0(VALU_DEP_2) | instskip(NEXT) | instid1(VALU_DEP_2)
	v_cndmask_b32_e32 v35, v40, v35, vcc_lo
	v_clz_i32_u32_e32 v40, v38
	s_delay_alu instid0(VALU_DEP_2) | instskip(SKIP_1) | instid1(VALU_DEP_3)
	v_alignbit_b32 v36, v36, v35, 30
	v_alignbit_b32 v34, v35, v34, 30
	v_min_u32_e32 v40, 32, v40
	s_delay_alu instid0(VALU_DEP_3) | instskip(NEXT) | instid1(VALU_DEP_3)
	v_xor_b32_e32 v35, v36, v39
	v_xor_b32_e32 v34, v34, v39
	s_delay_alu instid0(VALU_DEP_3) | instskip(SKIP_2) | instid1(VALU_DEP_3)
	v_sub_nc_u32_e32 v36, 31, v40
	v_lshlrev_b32_e32 v41, 23, v40
	v_lshrrev_b32_e32 v39, 29, v0
	v_alignbit_b32 v38, v38, v35, v36
	v_alignbit_b32 v34, v35, v34, v36
	s_delay_alu instid0(VALU_DEP_3) | instskip(NEXT) | instid1(VALU_DEP_2)
	v_lshlrev_b32_e32 v35, 31, v39
	v_alignbit_b32 v36, v38, v34, 9
	s_delay_alu instid0(VALU_DEP_2) | instskip(SKIP_2) | instid1(VALU_DEP_4)
	v_or_b32_e32 v39, 0.5, v35
	v_lshrrev_b32_e32 v38, 9, v38
	v_or_b32_e32 v35, 0x33000000, v35
	v_clz_i32_u32_e32 v42, v36
	s_delay_alu instid0(VALU_DEP_4) | instskip(NEXT) | instid1(VALU_DEP_2)
	v_sub_nc_u32_e32 v39, v39, v41
	v_min_u32_e32 v41, 32, v42
	s_delay_alu instid0(VALU_DEP_2) | instskip(NEXT) | instid1(VALU_DEP_2)
	v_or_b32_e32 v38, v38, v39
	v_not_b32_e32 v39, v41
	s_delay_alu instid0(VALU_DEP_2) | instskip(SKIP_1) | instid1(VALU_DEP_3)
	v_mul_f32_e32 v42, 0x3fc90fda, v38
	v_add_lshl_u32 v40, v41, v40, 23
	v_alignbit_b32 v34, v36, v34, v39
	s_delay_alu instid0(VALU_DEP_3) | instskip(NEXT) | instid1(VALU_DEP_3)
	v_fma_f32 v36, 0x3fc90fda, v38, -v42
	v_sub_nc_u32_e32 v35, v35, v40
	s_delay_alu instid0(VALU_DEP_3) | instskip(NEXT) | instid1(VALU_DEP_3)
	v_lshrrev_b32_e32 v34, 9, v34
	v_fmac_f32_e32 v36, 0x33a22168, v38
	s_delay_alu instid0(VALU_DEP_2) | instskip(NEXT) | instid1(VALU_DEP_1)
	v_or_b32_e32 v34, v35, v34
	v_fmac_f32_e32 v36, 0x3fc90fda, v34
	v_lshrrev_b32_e32 v34, 30, v0
	s_delay_alu instid0(VALU_DEP_2) | instskip(NEXT) | instid1(VALU_DEP_2)
	v_add_f32_e32 v0, v42, v36
	v_add_nc_u32_e32 v36, v37, v34
                                        ; implicit-def: $vgpr37
	s_and_not1_saveexec_b32 s3, s34
	s_cbranch_execnz .LBB347_242
	s_branch .LBB347_243
.LBB347_241:                            ;   in Loop: Header=BB347_199 Depth=3
	s_and_not1_saveexec_b32 s3, s34
.LBB347_242:                            ;   in Loop: Header=BB347_199 Depth=3
	v_fma_f32 v0, 0xbfc90fda, v37, |v11|
	v_cvt_i32_f32_e32 v36, v37
	s_delay_alu instid0(VALU_DEP_2) | instskip(NEXT) | instid1(VALU_DEP_1)
	v_fmac_f32_e32 v0, 0xb3a22168, v37
	v_fmac_f32_e32 v0, 0xa7c234c4, v37
.LBB347_243:                            ;   in Loop: Header=BB347_199 Depth=3
	s_wait_alu 0xfffe
	s_or_b32 exec_lo, exec_lo, s3
	v_dual_mul_f32 v34, v12, v12 :: v_dual_lshlrev_b32 v35, 30, v13
	v_mul_f32_e32 v37, v29, v29
	v_xor_b32_e32 v10, v10, v28
	v_xor_b32_e32 v30, v30, v11
	s_delay_alu instid0(VALU_DEP_4) | instskip(NEXT) | instid1(VALU_DEP_4)
	v_fmaak_f32 v38, s25, v34, 0x3c0881c4
	v_dual_fmaak_f32 v39, s24, v34, 0xbab64f3b :: v_dual_fmaak_f32 v40, s24, v37, 0xbab64f3b
	v_and_b32_e32 v13, 1, v13
	v_dual_fmaak_f32 v28, s25, v37, 0x3c0881c4 :: v_dual_and_b32 v41, 1, v31
	s_delay_alu instid0(VALU_DEP_4) | instskip(NEXT) | instid1(VALU_DEP_4)
	v_fmaak_f32 v38, v34, v38, 0xbe2aaa9d
	v_dual_fmaak_f32 v39, v34, v39, 0x3d2aabf7 :: v_dual_fmaak_f32 v40, v37, v40, 0x3d2aabf7
	s_delay_alu instid0(VALU_DEP_3) | instskip(NEXT) | instid1(VALU_DEP_3)
	v_dual_fmaak_f32 v28, v37, v28, 0xbe2aaa9d :: v_dual_lshlrev_b32 v31, 30, v31
	v_dual_mul_f32 v38, v34, v38 :: v_dual_and_b32 v35, 0x80000000, v35
	s_delay_alu instid0(VALU_DEP_2) | instskip(SKIP_1) | instid1(VALU_DEP_3)
	v_dual_fmaak_f32 v39, v34, v39, 0xbf000004 :: v_dual_mul_f32 v28, v37, v28
	v_cmp_eq_u32_e32 vcc_lo, 0, v13
	v_fmac_f32_e32 v12, v12, v38
	v_mul_f32_e32 v13, v32, v32
	s_delay_alu instid0(VALU_DEP_4)
	v_fma_f32 v34, v34, v39, 1.0
	v_fmac_f32_e32 v29, v29, v28
	v_cmp_class_f32_e64 s3, v11, 0x1f8
	v_lshlrev_b32_e32 v38, 30, v33
	s_wait_alu 0xfffd
	v_cndmask_b32_e32 v12, v34, v12, vcc_lo
	v_cmp_eq_u32_e32 vcc_lo, 0, v41
	s_delay_alu instid0(VALU_DEP_2) | instskip(SKIP_2) | instid1(VALU_DEP_1)
	v_xor3_b32 v10, v10, v35, v12
	v_and_b32_e32 v12, 0x80000000, v31
	v_dual_mul_f32 v34, v0, v0 :: v_dual_and_b32 v33, 1, v33
	v_fmaak_f32 v35, s25, v34, 0x3c0881c4
	s_delay_alu instid0(VALU_DEP_1) | instskip(NEXT) | instid1(VALU_DEP_1)
	v_fmaak_f32 v35, v34, v35, 0xbe2aaa9d
	v_dual_fmaak_f32 v40, v37, v40, 0xbf000004 :: v_dual_mul_f32 v35, v34, v35
	s_delay_alu instid0(VALU_DEP_1) | instskip(NEXT) | instid1(VALU_DEP_2)
	v_fma_f32 v28, v37, v40, 1.0
	v_dual_fmaak_f32 v31, s24, v13, 0xbab64f3b :: v_dual_fmac_f32 v0, v0, v35
	s_wait_alu 0xfffd
	s_delay_alu instid0(VALU_DEP_2) | instskip(SKIP_1) | instid1(VALU_DEP_3)
	v_cndmask_b32_e64 v28, -v29, v28, vcc_lo
	v_fmaak_f32 v29, s25, v13, 0x3c0881c4
	v_fmaak_f32 v31, v13, v31, 0x3d2aabf7
	v_cmp_eq_u32_e32 vcc_lo, 0, v33
	s_delay_alu instid0(VALU_DEP_4) | instskip(NEXT) | instid1(VALU_DEP_4)
	v_xor_b32_e32 v12, v12, v28
	v_fmaak_f32 v29, v13, v29, 0xbe2aaa9d
	s_delay_alu instid0(VALU_DEP_1) | instskip(NEXT) | instid1(VALU_DEP_1)
	v_dual_mul_f32 v29, v13, v29 :: v_dual_and_b32 v38, 0x80000000, v38
	v_dual_fmaak_f32 v37, s24, v34, 0xbab64f3b :: v_dual_fmac_f32 v32, v32, v29
	s_delay_alu instid0(VALU_DEP_1) | instskip(NEXT) | instid1(VALU_DEP_1)
	v_fmaak_f32 v37, v34, v37, 0x3d2aabf7
	v_fmaak_f32 v37, v34, v37, 0xbf000004
	s_delay_alu instid0(VALU_DEP_1) | instskip(SKIP_1) | instid1(VALU_DEP_1)
	v_fma_f32 v29, v34, v37, 1.0
	v_dual_fmaak_f32 v31, v13, v31, 0xbf000004 :: v_dual_lshlrev_b32 v34, 30, v36
	v_fma_f32 v13, v13, v31, 1.0
	v_and_b32_e32 v31, 1, v36
	s_wait_alu 0xfffd
	s_delay_alu instid0(VALU_DEP_2) | instskip(NEXT) | instid1(VALU_DEP_2)
	v_cndmask_b32_e32 v13, v13, v32, vcc_lo
	v_cmp_eq_u32_e32 vcc_lo, 0, v31
	s_delay_alu instid0(VALU_DEP_2) | instskip(SKIP_4) | instid1(VALU_DEP_2)
	v_xor3_b32 v13, v30, v38, v13
	s_wait_alu 0xfffd
	v_cndmask_b32_e64 v0, -v0, v29, vcc_lo
	v_and_b32_e32 v29, 0x80000000, v34
	v_cmp_class_f32_e64 vcc_lo, v27, 0x1f8
	v_xor_b32_e32 v0, v29, v0
	s_wait_alu 0xfffd
	v_cndmask_b32_e32 v11, 0x7fc00000, v12, vcc_lo
	v_cndmask_b32_e32 v10, 0x7fc00000, v10, vcc_lo
	s_wait_alu 0xf1ff
	v_cndmask_b32_e64 v12, 0x7fc00000, v13, s3
	v_cndmask_b32_e64 v0, 0x7fc00000, v0, s3
	v_mul_f32_e32 v13, 0x7f800000, v11
	v_cmp_neq_f32_e32 vcc_lo, 0, v11
	s_delay_alu instid0(VALU_DEP_4) | instskip(NEXT) | instid1(VALU_DEP_4)
	v_mul_f32_e32 v28, 0x7f800000, v12
	v_mul_f32_e32 v27, 0x7f800000, v0
	s_wait_alu 0xfffd
	v_cndmask_b32_e32 v11, 0, v13, vcc_lo
	v_cmp_neq_f32_e32 vcc_lo, 0, v0
	s_wait_alu 0xfffd
	v_dual_mul_f32 v13, 0x7f800000, v10 :: v_dual_cndmask_b32 v0, 0, v27
	v_cmp_neq_f32_e32 vcc_lo, 0, v10
	s_wait_alu 0xfffd
	s_delay_alu instid0(VALU_DEP_2) | instskip(SKIP_2) | instid1(VALU_DEP_2)
	v_dual_add_f32 v11, v11, v0 :: v_dual_cndmask_b32 v10, 0, v13
	v_cmp_neq_f32_e32 vcc_lo, 0, v12
	s_wait_alu 0xfffd
	v_dual_add_f32 v29, -1.0, v11 :: v_dual_cndmask_b32 v12, 0, v28
	s_delay_alu instid0(VALU_DEP_1) | instskip(NEXT) | instid1(VALU_DEP_1)
	v_add_f32_e32 v0, v10, v12
	v_max_num_f32_e64 v12, |v29|, |v0|
	s_delay_alu instid0(VALU_DEP_1) | instskip(SKIP_1) | instid1(VALU_DEP_2)
	v_cvt_f64_f32_e32 v[10:11], v12
	v_cmp_eq_f32_e32 vcc_lo, 0x7f800000, v12
	v_frexp_exp_i32_f64_e32 v10, v[10:11]
	s_delay_alu instid0(VALU_DEP_1) | instskip(NEXT) | instid1(VALU_DEP_1)
	v_sub_nc_u32_e32 v11, 0, v10
	v_ldexp_f32 v13, |v0|, v11
	v_ldexp_f32 v11, |v29|, v11
	s_delay_alu instid0(VALU_DEP_2) | instskip(NEXT) | instid1(VALU_DEP_1)
	v_mul_f32_e32 v13, v13, v13
	v_fmac_f32_e32 v13, v11, v11
	s_delay_alu instid0(VALU_DEP_1) | instskip(NEXT) | instid1(TRANS32_DEP_1)
	v_sqrt_f32_e32 v11, v13
	v_ldexp_f32 v11, v11, v10
	v_add_f32_e32 v10, 1.0, v29
	s_delay_alu instid0(VALU_DEP_2) | instskip(NEXT) | instid1(VALU_DEP_2)
	v_cmp_ngt_f32_e64 s3, 0.5, v11
	v_max_num_f32_e64 v11, |v10|, |v0|
	s_or_b32 s3, vcc_lo, s3
	s_wait_alu 0xfffe
	s_and_saveexec_b32 s4, s3
	s_wait_alu 0xfffe
	s_xor_b32 s4, exec_lo, s4
	s_cbranch_execz .LBB347_245
; %bb.244:                              ;   in Loop: Header=BB347_199 Depth=3
	v_cvt_f64_f32_e32 v[12:13], v11
	v_cmp_neq_f32_e32 vcc_lo, 0x7f800000, v11
	s_delay_alu instid0(VALU_DEP_2) | instskip(NEXT) | instid1(VALU_DEP_1)
	v_frexp_exp_i32_f64_e32 v12, v[12:13]
	v_sub_nc_u32_e32 v13, 0, v12
	s_delay_alu instid0(VALU_DEP_1) | instskip(SKIP_1) | instid1(VALU_DEP_2)
	v_ldexp_f32 v27, |v0|, v13
	v_ldexp_f32 v13, |v10|, v13
	v_mul_f32_e32 v27, v27, v27
	s_delay_alu instid0(VALU_DEP_1) | instskip(NEXT) | instid1(VALU_DEP_1)
	v_fmac_f32_e32 v27, v13, v13
	v_sqrt_f32_e32 v13, v27
	s_delay_alu instid0(TRANS32_DEP_1) | instskip(SKIP_1) | instid1(VALU_DEP_1)
	v_ldexp_f32 v12, v13, v12
	s_wait_alu 0xfffd
	v_cndmask_b32_e32 v12, 0x7f800000, v12, vcc_lo
	s_delay_alu instid0(VALU_DEP_1) | instskip(SKIP_2) | instid1(VALU_DEP_1)
	v_cmp_gt_f32_e32 vcc_lo, 0x800000, v12
	s_wait_alu 0xfffd
	v_cndmask_b32_e64 v13, 0, 32, vcc_lo
	v_ldexp_f32 v12, v12, v13
	s_delay_alu instid0(VALU_DEP_1) | instskip(NEXT) | instid1(TRANS32_DEP_1)
	v_log_f32_e32 v12, v12
	v_mul_f32_e32 v13, 0x3f317217, v12
	v_cmp_gt_f32_e64 s3, 0x7f800000, |v12|
	s_delay_alu instid0(VALU_DEP_2) | instskip(NEXT) | instid1(VALU_DEP_1)
	v_fma_f32 v13, 0x3f317217, v12, -v13
	v_fmac_f32_e32 v13, 0x3377d1cf, v12
	s_delay_alu instid0(VALU_DEP_1) | instskip(SKIP_1) | instid1(VALU_DEP_1)
	v_fmac_f32_e32 v13, 0x3f317217, v12
	s_wait_alu 0xf1ff
	v_cndmask_b32_e64 v12, v12, v13, s3
	v_cndmask_b32_e64 v13, 0, 0x41b17218, vcc_lo
	s_delay_alu instid0(VALU_DEP_1)
	v_sub_f32_e32 v29, v12, v13
.LBB347_245:                            ;   in Loop: Header=BB347_199 Depth=3
	s_wait_alu 0xfffe
	s_and_not1_saveexec_b32 s3, s4
	s_cbranch_execz .LBB347_194
; %bb.246:                              ;   in Loop: Header=BB347_199 Depth=3
	s_delay_alu instid0(VALU_DEP_1) | instskip(SKIP_1) | instid1(VALU_DEP_1)
	v_add_f32_e32 v12, 2.0, v29
	s_mov_b32 s4, exec_lo
	v_mul_f32_e32 v12, v29, v12
	s_delay_alu instid0(VALU_DEP_1) | instskip(NEXT) | instid1(VALU_DEP_1)
	v_fmac_f32_e32 v12, v0, v0
	v_cmpx_neq_f32_e32 0, v12
	s_cbranch_execz .LBB347_193
; %bb.247:                              ;   in Loop: Header=BB347_199 Depth=3
	v_add_f32_e32 v13, 1.0, v12
	s_delay_alu instid0(VALU_DEP_1) | instskip(NEXT) | instid1(VALU_DEP_1)
	v_cvt_f64_f32_e32 v[27:28], v13
	v_frexp_exp_i32_f64_e32 v27, v[27:28]
	v_frexp_mant_f32_e32 v28, v13
	s_delay_alu instid0(VALU_DEP_1) | instskip(SKIP_1) | instid1(VALU_DEP_1)
	v_cmp_gt_f32_e32 vcc_lo, 0x3f2aaaab, v28
	v_add_f32_e32 v28, -1.0, v13
	v_sub_f32_e32 v30, v28, v13
	s_delay_alu instid0(VALU_DEP_1) | instskip(SKIP_3) | instid1(VALU_DEP_2)
	v_add_f32_e32 v30, 1.0, v30
	s_wait_alu 0xfffd
	v_subrev_co_ci_u32_e64 v27, null, 0, v27, vcc_lo
	v_cmp_neq_f32_e32 vcc_lo, 0x7f800000, v12
	v_sub_nc_u32_e32 v29, 0, v27
	v_cvt_f32_i32_e32 v27, v27
	s_delay_alu instid0(VALU_DEP_2) | instskip(NEXT) | instid1(VALU_DEP_1)
	v_ldexp_f32 v13, v13, v29
	v_dual_sub_f32 v28, v12, v28 :: v_dual_add_f32 v31, 1.0, v13
	s_delay_alu instid0(VALU_DEP_1) | instskip(NEXT) | instid1(VALU_DEP_1)
	v_add_f32_e32 v28, v28, v30
	v_ldexp_f32 v28, v28, v29
	s_delay_alu instid0(VALU_DEP_3) | instskip(NEXT) | instid1(VALU_DEP_1)
	v_dual_add_f32 v29, -1.0, v13 :: v_dual_add_f32 v30, -1.0, v31
	v_add_f32_e32 v32, 1.0, v29
	s_delay_alu instid0(VALU_DEP_2) | instskip(NEXT) | instid1(VALU_DEP_2)
	v_sub_f32_e32 v30, v13, v30
	v_sub_f32_e32 v13, v13, v32
	s_delay_alu instid0(VALU_DEP_1) | instskip(NEXT) | instid1(VALU_DEP_1)
	v_add_f32_e32 v13, v28, v13
	v_dual_add_f32 v30, v28, v30 :: v_dual_add_f32 v33, v29, v13
	s_delay_alu instid0(VALU_DEP_1) | instskip(NEXT) | instid1(VALU_DEP_1)
	v_dual_add_f32 v32, v31, v30 :: v_dual_sub_f32 v29, v33, v29
	v_rcp_f32_e32 v28, v32
	v_sub_f32_e32 v31, v32, v31
	s_delay_alu instid0(VALU_DEP_1) | instskip(NEXT) | instid1(TRANS32_DEP_1)
	v_dual_sub_f32 v30, v30, v31 :: v_dual_sub_f32 v13, v13, v29
	v_mul_f32_e32 v34, v33, v28
	s_delay_alu instid0(VALU_DEP_1) | instskip(NEXT) | instid1(VALU_DEP_1)
	v_mul_f32_e32 v35, v32, v34
	v_fma_f32 v31, v34, v32, -v35
	s_delay_alu instid0(VALU_DEP_1) | instskip(NEXT) | instid1(VALU_DEP_1)
	v_fmac_f32_e32 v31, v34, v30
	v_add_f32_e32 v36, v35, v31
	s_delay_alu instid0(VALU_DEP_1) | instskip(NEXT) | instid1(VALU_DEP_1)
	v_sub_f32_e32 v37, v33, v36
	v_sub_f32_e32 v33, v33, v37
	;; [unrolled: 1-line block ×3, first 2 shown]
	s_delay_alu instid0(VALU_DEP_2) | instskip(NEXT) | instid1(VALU_DEP_2)
	v_sub_f32_e32 v33, v33, v36
	v_sub_f32_e32 v29, v29, v31
	s_delay_alu instid0(VALU_DEP_2) | instskip(NEXT) | instid1(VALU_DEP_1)
	v_add_f32_e32 v13, v13, v33
	v_add_f32_e32 v13, v29, v13
	s_delay_alu instid0(VALU_DEP_1) | instskip(NEXT) | instid1(VALU_DEP_1)
	v_add_f32_e32 v29, v37, v13
	v_mul_f32_e32 v31, v28, v29
	s_delay_alu instid0(VALU_DEP_1) | instskip(NEXT) | instid1(VALU_DEP_1)
	v_dual_sub_f32 v36, v37, v29 :: v_dual_mul_f32 v33, v32, v31
	v_add_f32_e32 v13, v13, v36
	s_delay_alu instid0(VALU_DEP_2) | instskip(NEXT) | instid1(VALU_DEP_1)
	v_fma_f32 v32, v31, v32, -v33
	v_fmac_f32_e32 v32, v31, v30
	s_delay_alu instid0(VALU_DEP_1) | instskip(NEXT) | instid1(VALU_DEP_1)
	v_add_f32_e32 v30, v33, v32
	v_sub_f32_e32 v35, v29, v30
	s_delay_alu instid0(VALU_DEP_1) | instskip(NEXT) | instid1(VALU_DEP_1)
	v_sub_f32_e32 v29, v29, v35
	v_sub_f32_e32 v29, v29, v30
	s_delay_alu instid0(VALU_DEP_1) | instskip(SKIP_2) | instid1(VALU_DEP_1)
	v_add_f32_e32 v13, v13, v29
	v_add_f32_e32 v29, v34, v31
	v_sub_f32_e32 v33, v30, v33
	v_sub_f32_e32 v30, v33, v32
	s_delay_alu instid0(VALU_DEP_1) | instskip(NEXT) | instid1(VALU_DEP_1)
	v_dual_add_f32 v13, v30, v13 :: v_dual_sub_f32 v30, v29, v34
	v_add_f32_e32 v13, v35, v13
	s_delay_alu instid0(VALU_DEP_1) | instskip(NEXT) | instid1(VALU_DEP_1)
	v_dual_sub_f32 v30, v31, v30 :: v_dual_mul_f32 v13, v28, v13
	v_add_f32_e32 v13, v30, v13
	s_delay_alu instid0(VALU_DEP_1) | instskip(NEXT) | instid1(VALU_DEP_1)
	v_add_f32_e32 v28, v29, v13
	v_mul_f32_e32 v30, v28, v28
	s_delay_alu instid0(VALU_DEP_1) | instskip(SKIP_1) | instid1(VALU_DEP_2)
	v_fmaak_f32 v31, s26, v30, 0x3ecc95a3
	v_mul_f32_e32 v32, v28, v30
	v_fmaak_f32 v30, v30, v31, 0x3f2aaada
	v_ldexp_f32 v31, v28, 1
	v_sub_f32_e32 v28, v28, v29
	s_delay_alu instid0(VALU_DEP_3) | instskip(NEXT) | instid1(VALU_DEP_2)
	v_mul_f32_e32 v30, v32, v30
	v_dual_mul_f32 v32, 0x3f317218, v27 :: v_dual_sub_f32 v13, v13, v28
	s_delay_alu instid0(VALU_DEP_2) | instskip(NEXT) | instid1(VALU_DEP_2)
	v_add_f32_e32 v29, v31, v30
	v_ldexp_f32 v13, v13, 1
	s_delay_alu instid0(VALU_DEP_2) | instskip(NEXT) | instid1(VALU_DEP_4)
	v_sub_f32_e32 v28, v29, v31
	v_fma_f32 v31, 0x3f317218, v27, -v32
	s_delay_alu instid0(VALU_DEP_2) | instskip(NEXT) | instid1(VALU_DEP_1)
	v_sub_f32_e32 v28, v30, v28
	v_add_f32_e32 v13, v13, v28
	s_delay_alu instid0(VALU_DEP_1) | instskip(NEXT) | instid1(VALU_DEP_1)
	v_dual_fmac_f32 v31, 0xb102e308, v27 :: v_dual_add_f32 v28, v29, v13
	v_add_f32_e32 v27, v32, v31
	s_delay_alu instid0(VALU_DEP_1) | instskip(NEXT) | instid1(VALU_DEP_1)
	v_add_f32_e32 v30, v27, v28
	v_dual_sub_f32 v32, v27, v32 :: v_dual_sub_f32 v33, v30, v27
	s_delay_alu instid0(VALU_DEP_1) | instskip(SKIP_1) | instid1(VALU_DEP_2)
	v_dual_sub_f32 v31, v31, v32 :: v_dual_sub_f32 v34, v30, v33
	v_sub_f32_e32 v29, v28, v29
	v_dual_sub_f32 v28, v28, v33 :: v_dual_sub_f32 v27, v27, v34
	s_delay_alu instid0(VALU_DEP_2) | instskip(NEXT) | instid1(VALU_DEP_2)
	v_sub_f32_e32 v13, v13, v29
	v_add_f32_e32 v27, v28, v27
	s_delay_alu instid0(VALU_DEP_2) | instskip(NEXT) | instid1(VALU_DEP_1)
	v_add_f32_e32 v29, v31, v13
	v_sub_f32_e32 v28, v29, v31
	s_delay_alu instid0(VALU_DEP_3) | instskip(NEXT) | instid1(VALU_DEP_1)
	v_add_f32_e32 v27, v29, v27
	v_dual_sub_f32 v29, v29, v28 :: v_dual_add_f32 v32, v30, v27
	v_sub_f32_e32 v13, v13, v28
	s_delay_alu instid0(VALU_DEP_2) | instskip(NEXT) | instid1(VALU_DEP_1)
	v_dual_sub_f32 v29, v31, v29 :: v_dual_sub_f32 v28, v32, v30
	v_add_f32_e32 v13, v13, v29
	s_delay_alu instid0(VALU_DEP_2) | instskip(NEXT) | instid1(VALU_DEP_1)
	v_sub_f32_e32 v27, v27, v28
	v_add_f32_e32 v13, v13, v27
	s_delay_alu instid0(VALU_DEP_1) | instskip(SKIP_1) | instid1(VALU_DEP_1)
	v_add_f32_e32 v13, v32, v13
	s_wait_alu 0xfffd
	v_cndmask_b32_e32 v13, 0x7f800000, v13, vcc_lo
	v_cmp_ngt_f32_e32 vcc_lo, -1.0, v12
	s_wait_alu 0xfffd
	s_delay_alu instid0(VALU_DEP_2) | instskip(SKIP_2) | instid1(VALU_DEP_2)
	v_cndmask_b32_e32 v13, 0x7fc00000, v13, vcc_lo
	v_cmp_neq_f32_e32 vcc_lo, -1.0, v12
	s_wait_alu 0xfffd
	v_cndmask_b32_e32 v13, 0xff800000, v13, vcc_lo
	v_cmp_gt_f32_e64 vcc_lo, 0x33800000, |v12|
	s_wait_alu 0xfffd
	s_delay_alu instid0(VALU_DEP_2) | instskip(NEXT) | instid1(VALU_DEP_1)
	v_cndmask_b32_e32 v12, v13, v12, vcc_lo
	v_mul_f32_e32 v29, 0.5, v12
	s_branch .LBB347_193
.LBB347_248:                            ;   in Loop: Header=BB347_133 Depth=2
	s_or_b32 exec_lo, exec_lo, s28
	s_and_saveexec_b32 s3, s1
	s_cbranch_execz .LBB347_132
; %bb.249:                              ;   in Loop: Header=BB347_133 Depth=2
	s_mov_b32 s4, exec_lo
	v_cmpx_gt_u64_e64 s[20:21], v[8:9]
	s_cbranch_execz .LBB347_251
; %bb.250:                              ;   in Loop: Header=BB347_133 Depth=2
	ds_load_b64 v[10:11], v16
	v_lshlrev_b64_e32 v[8:9], 3, v[8:9]
	s_delay_alu instid0(VALU_DEP_1) | instskip(SKIP_1) | instid1(VALU_DEP_2)
	v_add_co_u32 v8, vcc_lo, v23, v8
	s_wait_alu 0xfffd
	v_add_co_ci_u32_e64 v9, null, v24, v9, vcc_lo
	s_wait_dscnt 0x0
	global_store_b64 v[8:9], v[10:11], off
.LBB347_251:                            ;   in Loop: Header=BB347_133 Depth=2
	s_wait_alu 0xfffe
	s_or_b32 exec_lo, exec_lo, s4
	v_cmp_gt_u64_e32 vcc_lo, s[20:21], v[6:7]
	s_and_b32 exec_lo, exec_lo, vcc_lo
	s_cbranch_execz .LBB347_132
; %bb.252:                              ;   in Loop: Header=BB347_133 Depth=2
	ds_load_b64 v[8:9], v18
	v_lshlrev_b64_e32 v[6:7], 3, v[6:7]
	s_delay_alu instid0(VALU_DEP_1) | instskip(SKIP_1) | instid1(VALU_DEP_2)
	v_add_co_u32 v6, vcc_lo, v23, v6
	s_wait_alu 0xfffd
	v_add_co_ci_u32_e64 v7, null, v24, v7, vcc_lo
	s_wait_dscnt 0x0
	global_store_b64 v[6:7], v[8:9], off
	s_branch .LBB347_132
.LBB347_253:
	s_endpgm
	.section	.rodata,"a",@progbits
	.p2align	6, 0x0
	.amdhsa_kernel _ZN2at6native32tensor_kernel_scan_innermost_dimIN3c107complexIfEEZZZNS0_31launch_logcumsumexp_cuda_kernelERKNS_10TensorBaseES7_lENKUlvE_clEvENKUlvE2_clEvEUlS4_S4_E_EEvPT_PKSB_jjjSB_T0_
		.amdhsa_group_segment_fixed_size 0
		.amdhsa_private_segment_fixed_size 0
		.amdhsa_kernarg_size 304
		.amdhsa_user_sgpr_count 2
		.amdhsa_user_sgpr_dispatch_ptr 0
		.amdhsa_user_sgpr_queue_ptr 0
		.amdhsa_user_sgpr_kernarg_segment_ptr 1
		.amdhsa_user_sgpr_dispatch_id 0
		.amdhsa_user_sgpr_private_segment_size 0
		.amdhsa_wavefront_size32 1
		.amdhsa_uses_dynamic_stack 0
		.amdhsa_enable_private_segment 0
		.amdhsa_system_sgpr_workgroup_id_x 1
		.amdhsa_system_sgpr_workgroup_id_y 0
		.amdhsa_system_sgpr_workgroup_id_z 0
		.amdhsa_system_sgpr_workgroup_info 0
		.amdhsa_system_vgpr_workitem_id 1
		.amdhsa_next_free_vgpr 44
		.amdhsa_next_free_sgpr 36
		.amdhsa_reserve_vcc 1
		.amdhsa_float_round_mode_32 0
		.amdhsa_float_round_mode_16_64 0
		.amdhsa_float_denorm_mode_32 3
		.amdhsa_float_denorm_mode_16_64 3
		.amdhsa_fp16_overflow 0
		.amdhsa_workgroup_processor_mode 1
		.amdhsa_memory_ordered 1
		.amdhsa_forward_progress 1
		.amdhsa_inst_pref_size 255
		.amdhsa_round_robin_scheduling 0
		.amdhsa_exception_fp_ieee_invalid_op 0
		.amdhsa_exception_fp_denorm_src 0
		.amdhsa_exception_fp_ieee_div_zero 0
		.amdhsa_exception_fp_ieee_overflow 0
		.amdhsa_exception_fp_ieee_underflow 0
		.amdhsa_exception_fp_ieee_inexact 0
		.amdhsa_exception_int_div_zero 0
	.end_amdhsa_kernel
	.section	.text._ZN2at6native32tensor_kernel_scan_innermost_dimIN3c107complexIfEEZZZNS0_31launch_logcumsumexp_cuda_kernelERKNS_10TensorBaseES7_lENKUlvE_clEvENKUlvE2_clEvEUlS4_S4_E_EEvPT_PKSB_jjjSB_T0_,"axG",@progbits,_ZN2at6native32tensor_kernel_scan_innermost_dimIN3c107complexIfEEZZZNS0_31launch_logcumsumexp_cuda_kernelERKNS_10TensorBaseES7_lENKUlvE_clEvENKUlvE2_clEvEUlS4_S4_E_EEvPT_PKSB_jjjSB_T0_,comdat
.Lfunc_end347:
	.size	_ZN2at6native32tensor_kernel_scan_innermost_dimIN3c107complexIfEEZZZNS0_31launch_logcumsumexp_cuda_kernelERKNS_10TensorBaseES7_lENKUlvE_clEvENKUlvE2_clEvEUlS4_S4_E_EEvPT_PKSB_jjjSB_T0_, .Lfunc_end347-_ZN2at6native32tensor_kernel_scan_innermost_dimIN3c107complexIfEEZZZNS0_31launch_logcumsumexp_cuda_kernelERKNS_10TensorBaseES7_lENKUlvE_clEvENKUlvE2_clEvEUlS4_S4_E_EEvPT_PKSB_jjjSB_T0_
                                        ; -- End function
	.set _ZN2at6native32tensor_kernel_scan_innermost_dimIN3c107complexIfEEZZZNS0_31launch_logcumsumexp_cuda_kernelERKNS_10TensorBaseES7_lENKUlvE_clEvENKUlvE2_clEvEUlS4_S4_E_EEvPT_PKSB_jjjSB_T0_.num_vgpr, 44
	.set _ZN2at6native32tensor_kernel_scan_innermost_dimIN3c107complexIfEEZZZNS0_31launch_logcumsumexp_cuda_kernelERKNS_10TensorBaseES7_lENKUlvE_clEvENKUlvE2_clEvEUlS4_S4_E_EEvPT_PKSB_jjjSB_T0_.num_agpr, 0
	.set _ZN2at6native32tensor_kernel_scan_innermost_dimIN3c107complexIfEEZZZNS0_31launch_logcumsumexp_cuda_kernelERKNS_10TensorBaseES7_lENKUlvE_clEvENKUlvE2_clEvEUlS4_S4_E_EEvPT_PKSB_jjjSB_T0_.numbered_sgpr, 36
	.set _ZN2at6native32tensor_kernel_scan_innermost_dimIN3c107complexIfEEZZZNS0_31launch_logcumsumexp_cuda_kernelERKNS_10TensorBaseES7_lENKUlvE_clEvENKUlvE2_clEvEUlS4_S4_E_EEvPT_PKSB_jjjSB_T0_.num_named_barrier, 0
	.set _ZN2at6native32tensor_kernel_scan_innermost_dimIN3c107complexIfEEZZZNS0_31launch_logcumsumexp_cuda_kernelERKNS_10TensorBaseES7_lENKUlvE_clEvENKUlvE2_clEvEUlS4_S4_E_EEvPT_PKSB_jjjSB_T0_.private_seg_size, 0
	.set _ZN2at6native32tensor_kernel_scan_innermost_dimIN3c107complexIfEEZZZNS0_31launch_logcumsumexp_cuda_kernelERKNS_10TensorBaseES7_lENKUlvE_clEvENKUlvE2_clEvEUlS4_S4_E_EEvPT_PKSB_jjjSB_T0_.uses_vcc, 1
	.set _ZN2at6native32tensor_kernel_scan_innermost_dimIN3c107complexIfEEZZZNS0_31launch_logcumsumexp_cuda_kernelERKNS_10TensorBaseES7_lENKUlvE_clEvENKUlvE2_clEvEUlS4_S4_E_EEvPT_PKSB_jjjSB_T0_.uses_flat_scratch, 0
	.set _ZN2at6native32tensor_kernel_scan_innermost_dimIN3c107complexIfEEZZZNS0_31launch_logcumsumexp_cuda_kernelERKNS_10TensorBaseES7_lENKUlvE_clEvENKUlvE2_clEvEUlS4_S4_E_EEvPT_PKSB_jjjSB_T0_.has_dyn_sized_stack, 0
	.set _ZN2at6native32tensor_kernel_scan_innermost_dimIN3c107complexIfEEZZZNS0_31launch_logcumsumexp_cuda_kernelERKNS_10TensorBaseES7_lENKUlvE_clEvENKUlvE2_clEvEUlS4_S4_E_EEvPT_PKSB_jjjSB_T0_.has_recursion, 0
	.set _ZN2at6native32tensor_kernel_scan_innermost_dimIN3c107complexIfEEZZZNS0_31launch_logcumsumexp_cuda_kernelERKNS_10TensorBaseES7_lENKUlvE_clEvENKUlvE2_clEvEUlS4_S4_E_EEvPT_PKSB_jjjSB_T0_.has_indirect_call, 0
	.section	.AMDGPU.csdata,"",@progbits
; Kernel info:
; codeLenInByte = 38484
; TotalNumSgprs: 38
; NumVgprs: 44
; ScratchSize: 0
; MemoryBound: 0
; FloatMode: 240
; IeeeMode: 1
; LDSByteSize: 0 bytes/workgroup (compile time only)
; SGPRBlocks: 0
; VGPRBlocks: 5
; NumSGPRsForWavesPerEU: 38
; NumVGPRsForWavesPerEU: 44
; Occupancy: 16
; WaveLimiterHint : 0
; COMPUTE_PGM_RSRC2:SCRATCH_EN: 0
; COMPUTE_PGM_RSRC2:USER_SGPR: 2
; COMPUTE_PGM_RSRC2:TRAP_HANDLER: 0
; COMPUTE_PGM_RSRC2:TGID_X_EN: 1
; COMPUTE_PGM_RSRC2:TGID_Y_EN: 0
; COMPUTE_PGM_RSRC2:TGID_Z_EN: 0
; COMPUTE_PGM_RSRC2:TIDIG_COMP_CNT: 1
	.section	.text._ZN2at6native28tensor_kernel_scan_outer_dimIN3c107complexIfEEjZZZNS0_31launch_logcumsumexp_cuda_kernelERKNS_10TensorBaseES7_lENKUlvE_clEvENKUlvE2_clEvEUlS4_S4_E_EEvPT_PKSB_jjjSB_T1_,"axG",@progbits,_ZN2at6native28tensor_kernel_scan_outer_dimIN3c107complexIfEEjZZZNS0_31launch_logcumsumexp_cuda_kernelERKNS_10TensorBaseES7_lENKUlvE_clEvENKUlvE2_clEvEUlS4_S4_E_EEvPT_PKSB_jjjSB_T1_,comdat
	.globl	_ZN2at6native28tensor_kernel_scan_outer_dimIN3c107complexIfEEjZZZNS0_31launch_logcumsumexp_cuda_kernelERKNS_10TensorBaseES7_lENKUlvE_clEvENKUlvE2_clEvEUlS4_S4_E_EEvPT_PKSB_jjjSB_T1_ ; -- Begin function _ZN2at6native28tensor_kernel_scan_outer_dimIN3c107complexIfEEjZZZNS0_31launch_logcumsumexp_cuda_kernelERKNS_10TensorBaseES7_lENKUlvE_clEvENKUlvE2_clEvEUlS4_S4_E_EEvPT_PKSB_jjjSB_T1_
	.p2align	8
	.type	_ZN2at6native28tensor_kernel_scan_outer_dimIN3c107complexIfEEjZZZNS0_31launch_logcumsumexp_cuda_kernelERKNS_10TensorBaseES7_lENKUlvE_clEvENKUlvE2_clEvEUlS4_S4_E_EEvPT_PKSB_jjjSB_T1_,@function
_ZN2at6native28tensor_kernel_scan_outer_dimIN3c107complexIfEEjZZZNS0_31launch_logcumsumexp_cuda_kernelERKNS_10TensorBaseES7_lENKUlvE_clEvENKUlvE2_clEvEUlS4_S4_E_EEvPT_PKSB_jjjSB_T1_: ; @_ZN2at6native28tensor_kernel_scan_outer_dimIN3c107complexIfEEjZZZNS0_31launch_logcumsumexp_cuda_kernelERKNS_10TensorBaseES7_lENKUlvE_clEvENKUlvE2_clEvEUlS4_S4_E_EEvPT_PKSB_jjjSB_T1_
; %bb.0:
	s_load_b96 s[8:10], s[0:1], 0x10
	s_wait_kmcnt 0x0
	s_cmp_ge_u32 ttmp9, s8
	s_cbranch_scc1 .LBB348_57
; %bb.1:
	s_clause 0x3
	s_load_b32 s2, s[0:1], 0x3c
	s_load_b32 s11, s[0:1], 0x30
	s_load_b128 s[4:7], s[0:1], 0x0
	s_load_b64 s[12:13], s[0:1], 0x20
	v_dual_mov_b32 v1, 0 :: v_dual_mov_b32 v8, 0x4016cbe4
	s_add_nc_u64 s[14:15], s[0:1], 48
	s_mul_i32 s0, ttmp9, s10
	s_mov_b32 s17, 0
	s_mul_i32 s1, s0, s9
	s_mov_b32 s16, s9
	s_mov_b32 s3, ttmp9
	s_mov_b32 s22, 0x7fffff
	s_mov_b32 s23, 0x37d75334
	;; [unrolled: 1-line block ×5, first 2 shown]
	s_wait_kmcnt 0x0
	s_and_b32 s25, s2, 0xffff
	s_mul_i32 s26, s11, s10
	v_mad_co_u64_u32 v[2:3], null, ttmp7, s25, v[0:1]
	s_cmp_lg_u32 s10, 0
	s_mul_i32 s26, s26, s9
	s_cselect_b32 s27, -1, 0
	s_lshl_b64 s[18:19], s[16:17], 3
	s_mov_b32 s16, s1
	v_cmp_gt_u32_e64 s0, s9, v2
	s_branch .LBB348_3
.LBB348_2:                              ;   in Loop: Header=BB348_3 Depth=1
	s_wait_alu 0xfffe
	s_or_b32 exec_lo, exec_lo, s30
	s_add_co_i32 s3, s11, s3
	s_add_co_i32 s16, s16, s26
	s_wait_alu 0xfffe
	s_cmp_ge_u32 s3, s8
	s_cbranch_scc1 .LBB348_57
.LBB348_3:                              ; =>This Loop Header: Depth=1
                                        ;     Child Loop BB348_6 Depth 2
                                        ;       Child Loop BB348_13 Depth 3
	s_delay_alu instid0(VALU_DEP_1)
	s_and_saveexec_b32 s30, s0
	s_cbranch_execz .LBB348_2
; %bb.4:                                ;   in Loop: Header=BB348_3 Depth=1
	s_load_b32 s31, s[14:15], 0x4
	v_mov_b32_e32 v3, v2
	s_lshl_b64 s[20:21], s[16:17], 3
	s_mov_b32 s33, 0
	s_wait_kmcnt 0x0
	s_mul_i32 s31, s31, s25
	s_branch .LBB348_6
.LBB348_5:                              ;   in Loop: Header=BB348_6 Depth=2
	s_wait_alu 0xfffe
	v_add_nc_u32_e32 v3, s31, v3
	s_delay_alu instid0(VALU_DEP_1) | instskip(SKIP_1) | instid1(SALU_CYCLE_1)
	v_cmp_le_u32_e32 vcc_lo, s9, v3
	s_or_b32 s33, vcc_lo, s33
	s_and_not1_b32 exec_lo, exec_lo, s33
	s_cbranch_execz .LBB348_2
.LBB348_6:                              ;   Parent Loop BB348_3 Depth=1
                                        ; =>  This Loop Header: Depth=2
                                        ;       Child Loop BB348_13 Depth 3
	s_and_not1_b32 vcc_lo, exec_lo, s27
	s_wait_alu 0xfffe
	s_cbranch_vccnz .LBB348_5
; %bb.7:                                ;   in Loop: Header=BB348_6 Depth=2
	v_dual_mov_b32 v4, v1 :: v_dual_mov_b32 v7, s13
	v_mov_b32_e32 v6, s12
	s_mov_b32 s34, s10
	s_delay_alu instid0(VALU_DEP_2) | instskip(NEXT) | instid1(VALU_DEP_1)
	v_lshlrev_b64_e32 v[4:5], 3, v[3:4]
	v_add_co_u32 v9, vcc_lo, s20, v4
	s_wait_alu 0xfffd
	s_delay_alu instid0(VALU_DEP_2)
	v_add_co_ci_u32_e64 v10, null, s21, v5, vcc_lo
	s_branch .LBB348_13
.LBB348_8:                              ;   in Loop: Header=BB348_13 Depth=3
	s_wait_alu 0xfffe
	s_or_b32 exec_lo, exec_lo, s2
.LBB348_9:                              ;   in Loop: Header=BB348_13 Depth=3
	s_wait_alu 0xfffe
	s_or_b32 exec_lo, exec_lo, s1
	v_max_num_f32_e64 v6, |v0|, |v0|
	v_max_num_f32_e64 v7, |v4|, |v4|
	v_frexp_mant_f32_e32 v11, v5
	v_frexp_exp_i32_f32_e32 v5, v5
	v_cmp_gt_i32_e64 s1, 0, v4
	v_cmp_gt_f32_e64 vcc_lo, |v0|, |v4|
	v_min_num_f32_e32 v6, v7, v6
	v_rcp_f32_e32 v7, v11
	v_cmp_class_f32_e64 s2, v4, 0x204
	s_delay_alu instid0(VALU_DEP_2)
	v_frexp_mant_f32_e32 v11, v6
	v_frexp_exp_i32_f32_e32 v6, v6
	s_delay_alu instid0(TRANS32_DEP_1) | instid1(VALU_DEP_2)
	v_mul_f32_e32 v7, v11, v7
	s_delay_alu instid0(VALU_DEP_2) | instskip(SKIP_3) | instid1(VALU_DEP_3)
	v_sub_nc_u32_e32 v5, v6, v5
	s_wait_alu 0xf1ff
	v_cndmask_b32_e64 v11, 0, 0x40490fdb, s1
	v_cmp_class_f32_e64 s1, v0, 0x204
	v_ldexp_f32 v5, v7, v5
	s_delay_alu instid0(VALU_DEP_1) | instskip(NEXT) | instid1(VALU_DEP_1)
	v_mul_f32_e32 v6, v5, v5
	v_fmaak_f32 v7, s29, v6, 0xbc7a590c
	s_delay_alu instid0(VALU_DEP_1) | instskip(NEXT) | instid1(VALU_DEP_1)
	v_fmaak_f32 v7, v6, v7, 0x3d29fb3f
	v_fmaak_f32 v7, v6, v7, 0xbd97d4d7
	s_delay_alu instid0(VALU_DEP_1) | instskip(NEXT) | instid1(VALU_DEP_1)
	v_fmaak_f32 v7, v6, v7, 0x3dd931b2
	;; [unrolled: 3-line block ×3, first 2 shown]
	v_fmaak_f32 v7, v6, v7, 0xbeaaaa62
	s_delay_alu instid0(VALU_DEP_1) | instskip(NEXT) | instid1(VALU_DEP_1)
	v_mul_f32_e32 v6, v6, v7
	v_fmac_f32_e32 v5, v5, v6
	s_delay_alu instid0(VALU_DEP_1) | instskip(SKIP_1) | instid1(VALU_DEP_1)
	v_sub_f32_e32 v6, 0x3fc90fdb, v5
	s_wait_alu 0xfffd
	v_cndmask_b32_e32 v5, v5, v6, vcc_lo
	v_cmp_gt_f32_e32 vcc_lo, 0, v4
	s_wait_alu 0xfffd
	v_cndmask_b32_e32 v7, 0x3f490fdb, v8, vcc_lo
	s_delay_alu instid0(VALU_DEP_3) | instskip(NEXT) | instid1(VALU_DEP_1)
	v_sub_f32_e32 v6, 0x40490fdb, v5
	v_cndmask_b32_e32 v5, v5, v6, vcc_lo
	v_cmp_eq_f32_e32 vcc_lo, 0, v0
	s_wait_alu 0xfffd
	s_delay_alu instid0(VALU_DEP_2) | instskip(SKIP_2) | instid1(VALU_DEP_1)
	v_cndmask_b32_e32 v5, v5, v11, vcc_lo
	s_and_b32 vcc_lo, s1, s2
	s_wait_alu 0xfffe
	v_cndmask_b32_e32 v5, v5, v7, vcc_lo
	v_cmp_o_f32_e32 vcc_lo, v4, v0
	s_wait_alu 0xfffd
	s_delay_alu instid0(VALU_DEP_2) | instskip(NEXT) | instid1(VALU_DEP_1)
	v_cndmask_b32_e32 v4, 0x7fc00000, v5, vcc_lo
	v_bfi_b32 v11, 0x7fffffff, v4, v0
.LBB348_10:                             ;   in Loop: Header=BB348_13 Depth=3
	s_or_b32 exec_lo, exec_lo, s37
.LBB348_11:                             ;   in Loop: Header=BB348_13 Depth=3
	s_delay_alu instid0(SALU_CYCLE_1) | instskip(NEXT) | instid1(VALU_DEP_1)
	s_or_b32 exec_lo, exec_lo, s36
	v_dual_mov_b32 v6, v13 :: v_dual_mov_b32 v7, v11
.LBB348_12:                             ;   in Loop: Header=BB348_13 Depth=3
	s_or_b32 exec_lo, exec_lo, s35
	v_add_co_u32 v4, vcc_lo, s4, v9
	s_wait_alu 0xfffd
	v_add_co_ci_u32_e64 v5, null, s5, v10, vcc_lo
	v_add_co_u32 v9, vcc_lo, v9, s18
	s_wait_alu 0xfffd
	v_add_co_ci_u32_e64 v10, null, s19, v10, vcc_lo
	s_add_co_i32 s34, s34, -1
	global_store_b64 v[4:5], v[6:7], off
	s_cmp_eq_u32 s34, 0
	s_cbranch_scc1 .LBB348_5
.LBB348_13:                             ;   Parent Loop BB348_3 Depth=1
                                        ;     Parent Loop BB348_6 Depth=2
                                        ; =>    This Inner Loop Header: Depth=3
	s_delay_alu instid0(VALU_DEP_2) | instskip(SKIP_1) | instid1(VALU_DEP_2)
	v_add_co_u32 v4, vcc_lo, s6, v9
	s_wait_alu 0xfffd
	v_add_co_ci_u32_e64 v5, null, s7, v10, vcc_lo
	global_load_b64 v[4:5], v[4:5], off
	s_wait_loadcnt 0x0
	v_cmp_o_f32_e32 vcc_lo, v4, v5
	v_dual_mov_b32 v11, v5 :: v_dual_mov_b32 v12, v5
	v_mov_b32_e32 v13, v4
	s_and_saveexec_b32 s35, vcc_lo
; %bb.14:                               ;   in Loop: Header=BB348_13 Depth=3
	v_cmp_u_f32_e64 s1, v6, v7
	v_cmp_lt_f32_e64 s2, v6, v4
	s_or_b32 s1, s1, s2
	s_wait_alu 0xfffe
	v_cndmask_b32_e64 v11, v5, v7, s1
	v_cndmask_b32_e64 v13, v4, v6, s1
	s_delay_alu instid0(VALU_DEP_2)
	v_mov_b32_e32 v12, v11
; %bb.15:                               ;   in Loop: Header=BB348_13 Depth=3
	s_or_b32 exec_lo, exec_lo, s35
	s_and_saveexec_b32 s2, vcc_lo
; %bb.16:                               ;   in Loop: Header=BB348_13 Depth=3
	v_cmp_u_f32_e32 vcc_lo, v6, v7
	v_cmp_ge_f32_e64 s1, v6, v4
	s_or_b32 vcc_lo, vcc_lo, s1
	s_wait_alu 0xfffe
	v_dual_cndmask_b32 v5, v5, v7 :: v_dual_cndmask_b32 v4, v4, v6
; %bb.17:                               ;   in Loop: Header=BB348_13 Depth=3
	s_or_b32 exec_lo, exec_lo, s2
	v_dual_mov_b32 v6, 0x7fc00000 :: v_dual_mov_b32 v7, 0x7fc00000
	s_mov_b32 s35, exec_lo
	v_cmpx_o_f32_e32 v13, v11
	s_cbranch_execz .LBB348_12
; %bb.18:                               ;   in Loop: Header=BB348_13 Depth=3
	v_cmp_class_f32_e64 s1, v13, 0x1f8
	v_cmp_neq_f32_e32 vcc_lo, v4, v13
	s_or_b32 s1, s1, vcc_lo
	s_wait_alu 0xfffe
	s_and_saveexec_b32 s2, s1
	s_wait_alu 0xfffe
	s_xor_b32 s36, exec_lo, s2
	s_cbranch_execz .LBB348_34
; %bb.19:                               ;   in Loop: Header=BB348_13 Depth=3
	v_sub_f32_e32 v6, v11, v5
                                        ; implicit-def: $vgpr12
                                        ; implicit-def: $vgpr11
	s_delay_alu instid0(VALU_DEP_1) | instskip(NEXT) | instid1(VALU_DEP_1)
	v_and_b32_e32 v7, 0x7fffffff, v6
	v_lshrrev_b32_e32 v0, 23, v7
	v_and_or_b32 v14, v7, s22, 0x800000
	s_delay_alu instid0(VALU_DEP_2)
	v_add_nc_u32_e32 v15, 0xffffff88, v0
	v_cmp_ngt_f32_e64 s37, 0x48000000, |v6|
	s_and_saveexec_b32 s1, s37
	s_wait_alu 0xfffe
	s_xor_b32 s38, exec_lo, s1
	s_cbranch_execz .LBB348_21
; %bb.20:                               ;   in Loop: Header=BB348_13 Depth=3
	v_mad_co_u64_u32 v[11:12], null, 0xfe5163ab, v14, 0
	v_cmp_lt_u32_e32 vcc_lo, 63, v15
	s_delay_alu instid0(VALU_DEP_2) | instskip(SKIP_2) | instid1(VALU_DEP_2)
	v_mov_b32_e32 v0, v12
	s_wait_alu 0xfffd
	v_cndmask_b32_e64 v12, 0, 0xffffffc0, vcc_lo
	v_mad_co_u64_u32 v[16:17], null, 0x3c439041, v14, v[0:1]
	s_delay_alu instid0(VALU_DEP_2) | instskip(NEXT) | instid1(VALU_DEP_1)
	v_add_nc_u32_e32 v12, v12, v15
	v_cmp_lt_u32_e64 s1, 31, v12
	s_delay_alu instid0(VALU_DEP_3) | instskip(SKIP_1) | instid1(VALU_DEP_2)
	v_mov_b32_e32 v0, v17
	s_wait_alu 0xf1ff
	v_cndmask_b32_e64 v22, 0, 0xffffffe0, s1
	s_delay_alu instid0(VALU_DEP_2) | instskip(NEXT) | instid1(VALU_DEP_2)
	v_mad_co_u64_u32 v[17:18], null, 0xdb629599, v14, v[0:1]
	v_add_nc_u32_e32 v12, v22, v12
	s_delay_alu instid0(VALU_DEP_2) | instskip(NEXT) | instid1(VALU_DEP_2)
	v_mov_b32_e32 v0, v18
	v_cmp_lt_u32_e64 s2, 31, v12
	s_delay_alu instid0(VALU_DEP_4) | instskip(NEXT) | instid1(VALU_DEP_3)
	v_cndmask_b32_e32 v11, v17, v11, vcc_lo
	v_mad_co_u64_u32 v[18:19], null, 0xf534ddc0, v14, v[0:1]
	s_delay_alu instid0(VALU_DEP_1) | instskip(NEXT) | instid1(VALU_DEP_1)
	v_mov_b32_e32 v0, v19
	v_mad_co_u64_u32 v[19:20], null, 0xfc2757d1, v14, v[0:1]
	s_delay_alu instid0(VALU_DEP_1) | instskip(NEXT) | instid1(VALU_DEP_1)
	v_mov_b32_e32 v0, v20
	v_mad_co_u64_u32 v[20:21], null, 0x4e441529, v14, v[0:1]
	s_delay_alu instid0(VALU_DEP_1) | instskip(NEXT) | instid1(VALU_DEP_1)
	v_dual_mov_b32 v0, v21 :: v_dual_cndmask_b32 v23, v20, v18
	v_mad_co_u64_u32 v[21:22], null, 0xa2f9836e, v14, v[0:1]
	s_wait_alu 0xf1ff
	v_cndmask_b32_e64 v0, 0, 0xffffffe0, s2
	s_delay_alu instid0(VALU_DEP_1) | instskip(NEXT) | instid1(VALU_DEP_3)
	v_dual_cndmask_b32 v21, v21, v19 :: v_dual_add_nc_u32 v0, v0, v12
	v_dual_cndmask_b32 v20, v22, v20 :: v_dual_cndmask_b32 v19, v19, v17
	v_cndmask_b32_e32 v12, v18, v16, vcc_lo
	s_delay_alu instid0(VALU_DEP_3) | instskip(NEXT) | instid1(VALU_DEP_4)
	v_cmp_eq_u32_e32 vcc_lo, 0, v0
	v_cndmask_b32_e64 v16, v21, v23, s1
	s_delay_alu instid0(VALU_DEP_4)
	v_cndmask_b32_e64 v18, v20, v21, s1
	v_cndmask_b32_e64 v20, v23, v19, s1
	v_sub_nc_u32_e32 v21, 32, v0
	v_cndmask_b32_e64 v19, v19, v12, s1
	v_cndmask_b32_e64 v11, v12, v11, s1
	;; [unrolled: 1-line block ×4, first 2 shown]
	s_delay_alu instid0(VALU_DEP_4) | instskip(NEXT) | instid1(VALU_DEP_4)
	v_cndmask_b32_e64 v20, v20, v19, s2
	v_cndmask_b32_e64 v11, v19, v11, s2
	s_delay_alu instid0(VALU_DEP_3) | instskip(NEXT) | instid1(VALU_DEP_3)
	v_alignbit_b32 v22, v18, v16, v21
	v_alignbit_b32 v17, v16, v20, v21
	s_delay_alu instid0(VALU_DEP_3) | instskip(SKIP_1) | instid1(VALU_DEP_3)
	v_alignbit_b32 v19, v20, v11, v21
	s_wait_alu 0xfffd
	v_cndmask_b32_e32 v0, v22, v18, vcc_lo
	s_delay_alu instid0(VALU_DEP_3) | instskip(NEXT) | instid1(VALU_DEP_3)
	v_cndmask_b32_e32 v12, v17, v16, vcc_lo
	v_cndmask_b32_e32 v19, v19, v20, vcc_lo
	s_delay_alu instid0(VALU_DEP_3) | instskip(NEXT) | instid1(VALU_DEP_3)
	v_bfe_u32 v16, v0, 29, 1
	v_alignbit_b32 v17, v0, v12, 30
	s_delay_alu instid0(VALU_DEP_3) | instskip(SKIP_1) | instid1(VALU_DEP_4)
	v_alignbit_b32 v12, v12, v19, 30
	v_alignbit_b32 v11, v19, v11, 30
	v_sub_nc_u32_e32 v18, 0, v16
	s_delay_alu instid0(VALU_DEP_1) | instskip(NEXT) | instid1(VALU_DEP_4)
	v_xor_b32_e32 v17, v17, v18
	v_xor_b32_e32 v12, v12, v18
	s_delay_alu instid0(VALU_DEP_4) | instskip(SKIP_3) | instid1(VALU_DEP_1)
	v_xor_b32_e32 v11, v11, v18
	v_lshrrev_b32_e32 v18, 29, v0
	v_lshrrev_b32_e32 v0, 30, v0
	v_clz_i32_u32_e32 v20, v17
	v_min_u32_e32 v20, 32, v20
	s_delay_alu instid0(VALU_DEP_1) | instskip(SKIP_1) | instid1(VALU_DEP_2)
	v_sub_nc_u32_e32 v19, 31, v20
	v_lshlrev_b32_e32 v21, 23, v20
	v_alignbit_b32 v17, v17, v12, v19
	v_alignbit_b32 v11, v12, v11, v19
	v_lshlrev_b32_e32 v12, 31, v18
	s_delay_alu instid0(VALU_DEP_2) | instskip(NEXT) | instid1(VALU_DEP_2)
	v_alignbit_b32 v18, v17, v11, 9
	v_or_b32_e32 v19, 0.5, v12
	v_lshrrev_b32_e32 v17, 9, v17
	v_or_b32_e32 v12, 0x33000000, v12
	s_delay_alu instid0(VALU_DEP_4) | instskip(NEXT) | instid1(VALU_DEP_4)
	v_clz_i32_u32_e32 v22, v18
	v_sub_nc_u32_e32 v19, v19, v21
	s_delay_alu instid0(VALU_DEP_2) | instskip(NEXT) | instid1(VALU_DEP_2)
	v_min_u32_e32 v21, 32, v22
	v_or_b32_e32 v17, v17, v19
	s_delay_alu instid0(VALU_DEP_2) | instskip(NEXT) | instid1(VALU_DEP_2)
	v_not_b32_e32 v19, v21
	v_mul_f32_e32 v22, 0x3fc90fda, v17
	v_add_lshl_u32 v20, v21, v20, 23
	s_delay_alu instid0(VALU_DEP_3) | instskip(NEXT) | instid1(VALU_DEP_3)
	v_alignbit_b32 v11, v18, v11, v19
	v_fma_f32 v18, 0x3fc90fda, v17, -v22
	s_delay_alu instid0(VALU_DEP_3) | instskip(NEXT) | instid1(VALU_DEP_3)
	v_sub_nc_u32_e32 v12, v12, v20
	v_lshrrev_b32_e32 v11, 9, v11
	s_delay_alu instid0(VALU_DEP_3) | instskip(NEXT) | instid1(VALU_DEP_2)
	v_fmac_f32_e32 v18, 0x33a22168, v17
	v_or_b32_e32 v11, v12, v11
	v_add_nc_u32_e32 v12, v16, v0
	s_delay_alu instid0(VALU_DEP_2) | instskip(NEXT) | instid1(VALU_DEP_1)
	v_fmac_f32_e32 v18, 0x3fc90fda, v11
	v_add_f32_e32 v11, v22, v18
.LBB348_21:                             ;   in Loop: Header=BB348_13 Depth=3
	s_or_saveexec_b32 s1, s38
	v_mul_f32_e64 v0, 0x3f22f983, |v6|
	s_delay_alu instid0(VALU_DEP_1)
	v_rndne_f32_e32 v17, v0
	s_wait_alu 0xfffe
	s_xor_b32 exec_lo, exec_lo, s1
; %bb.22:                               ;   in Loop: Header=BB348_13 Depth=3
	s_delay_alu instid0(VALU_DEP_1) | instskip(SKIP_1) | instid1(VALU_DEP_2)
	v_fma_f32 v11, 0xbfc90fda, v17, |v6|
	v_cvt_i32_f32_e32 v12, v17
	v_fmac_f32_e32 v11, 0xb3a22168, v17
	s_delay_alu instid0(VALU_DEP_1)
	v_fmac_f32_e32 v11, 0xa7c234c4, v17
; %bb.23:                               ;   in Loop: Header=BB348_13 Depth=3
	s_or_b32 exec_lo, exec_lo, s1
                                        ; implicit-def: $vgpr16
                                        ; implicit-def: $vgpr0
	s_and_saveexec_b32 s1, s37
	s_wait_alu 0xfffe
	s_xor_b32 s37, exec_lo, s1
	s_cbranch_execz .LBB348_25
; %bb.24:                               ;   in Loop: Header=BB348_13 Depth=3
	v_mad_co_u64_u32 v[16:17], null, 0xfe5163ab, v14, 0
	v_cmp_lt_u32_e32 vcc_lo, 63, v15
	s_wait_alu 0xfffd
	v_cndmask_b32_e64 v22, 0, 0xffffffc0, vcc_lo
	s_delay_alu instid0(VALU_DEP_1) | instskip(NEXT) | instid1(VALU_DEP_1)
	v_dual_mov_b32 v0, v17 :: v_dual_add_nc_u32 v15, v22, v15
	v_mad_co_u64_u32 v[17:18], null, 0x3c439041, v14, v[0:1]
	s_delay_alu instid0(VALU_DEP_2) | instskip(NEXT) | instid1(VALU_DEP_2)
	v_cmp_lt_u32_e64 s1, 31, v15
	v_mov_b32_e32 v0, v18
	s_wait_alu 0xf1ff
	s_delay_alu instid0(VALU_DEP_2) | instskip(NEXT) | instid1(VALU_DEP_2)
	v_cndmask_b32_e64 v23, 0, 0xffffffe0, s1
	v_mad_co_u64_u32 v[18:19], null, 0xdb629599, v14, v[0:1]
	s_delay_alu instid0(VALU_DEP_1) | instskip(NEXT) | instid1(VALU_DEP_2)
	v_mov_b32_e32 v0, v19
	v_cndmask_b32_e32 v16, v18, v16, vcc_lo
	s_delay_alu instid0(VALU_DEP_2) | instskip(NEXT) | instid1(VALU_DEP_1)
	v_mad_co_u64_u32 v[19:20], null, 0xf534ddc0, v14, v[0:1]
	v_dual_mov_b32 v0, v20 :: v_dual_cndmask_b32 v17, v19, v17
	s_delay_alu instid0(VALU_DEP_1) | instskip(NEXT) | instid1(VALU_DEP_1)
	v_mad_co_u64_u32 v[20:21], null, 0xfc2757d1, v14, v[0:1]
	v_mov_b32_e32 v0, v21
	s_delay_alu instid0(VALU_DEP_1) | instskip(NEXT) | instid1(VALU_DEP_1)
	v_mad_co_u64_u32 v[21:22], null, 0x4e441529, v14, v[0:1]
	v_mov_b32_e32 v0, v22
	v_add_nc_u32_e32 v22, v23, v15
	s_delay_alu instid0(VALU_DEP_3) | instskip(NEXT) | instid1(VALU_DEP_3)
	v_cndmask_b32_e32 v23, v21, v19, vcc_lo
	v_mad_co_u64_u32 v[14:15], null, 0xa2f9836e, v14, v[0:1]
	s_delay_alu instid0(VALU_DEP_3) | instskip(SKIP_1) | instid1(VALU_DEP_1)
	v_cmp_lt_u32_e64 s2, 31, v22
	s_wait_alu 0xf1ff
	v_cndmask_b32_e64 v0, 0, 0xffffffe0, s2
	s_delay_alu instid0(VALU_DEP_3) | instskip(SKIP_1) | instid1(VALU_DEP_3)
	v_dual_cndmask_b32 v14, v14, v20 :: v_dual_cndmask_b32 v15, v15, v21
	v_cndmask_b32_e32 v20, v20, v18, vcc_lo
	v_add_nc_u32_e32 v0, v0, v22
	s_delay_alu instid0(VALU_DEP_3) | instskip(NEXT) | instid1(VALU_DEP_4)
	v_cndmask_b32_e64 v19, v14, v23, s1
	v_cndmask_b32_e64 v14, v15, v14, s1
	s_delay_alu instid0(VALU_DEP_4)
	v_cndmask_b32_e64 v15, v23, v20, s1
	v_cndmask_b32_e64 v20, v20, v17, s1
	v_sub_nc_u32_e32 v21, 32, v0
	v_cmp_eq_u32_e32 vcc_lo, 0, v0
	v_cndmask_b32_e64 v14, v14, v19, s2
	v_cndmask_b32_e64 v19, v19, v15, s2
	;; [unrolled: 1-line block ×3, first 2 shown]
	s_delay_alu instid0(VALU_DEP_2) | instskip(NEXT) | instid1(VALU_DEP_2)
	v_alignbit_b32 v22, v14, v19, v21
	v_alignbit_b32 v18, v19, v15, v21
	s_wait_alu 0xfffd
	s_delay_alu instid0(VALU_DEP_2) | instskip(SKIP_1) | instid1(VALU_DEP_3)
	v_cndmask_b32_e32 v0, v22, v14, vcc_lo
	v_cndmask_b32_e64 v14, v17, v16, s1
	v_cndmask_b32_e32 v16, v18, v19, vcc_lo
	s_delay_alu instid0(VALU_DEP_3) | instskip(NEXT) | instid1(VALU_DEP_3)
	v_bfe_u32 v17, v0, 29, 1
	v_cndmask_b32_e64 v14, v20, v14, s2
	s_delay_alu instid0(VALU_DEP_3) | instskip(NEXT) | instid1(VALU_DEP_3)
	v_alignbit_b32 v18, v0, v16, 30
	v_sub_nc_u32_e32 v19, 0, v17
	s_delay_alu instid0(VALU_DEP_3) | instskip(NEXT) | instid1(VALU_DEP_2)
	v_alignbit_b32 v20, v15, v14, v21
	v_xor_b32_e32 v18, v18, v19
	s_delay_alu instid0(VALU_DEP_2) | instskip(NEXT) | instid1(VALU_DEP_2)
	v_cndmask_b32_e32 v15, v20, v15, vcc_lo
	v_clz_i32_u32_e32 v20, v18
	s_delay_alu instid0(VALU_DEP_2) | instskip(SKIP_1) | instid1(VALU_DEP_3)
	v_alignbit_b32 v16, v16, v15, 30
	v_alignbit_b32 v14, v15, v14, 30
	v_min_u32_e32 v20, 32, v20
	s_delay_alu instid0(VALU_DEP_3) | instskip(NEXT) | instid1(VALU_DEP_3)
	v_xor_b32_e32 v15, v16, v19
	v_xor_b32_e32 v14, v14, v19
	s_delay_alu instid0(VALU_DEP_3) | instskip(SKIP_2) | instid1(VALU_DEP_3)
	v_sub_nc_u32_e32 v16, 31, v20
	v_lshlrev_b32_e32 v21, 23, v20
	v_lshrrev_b32_e32 v19, 29, v0
	v_alignbit_b32 v18, v18, v15, v16
	v_alignbit_b32 v14, v15, v14, v16
	s_delay_alu instid0(VALU_DEP_3) | instskip(NEXT) | instid1(VALU_DEP_2)
	v_lshlrev_b32_e32 v15, 31, v19
	v_alignbit_b32 v16, v18, v14, 9
	s_delay_alu instid0(VALU_DEP_2) | instskip(SKIP_2) | instid1(VALU_DEP_4)
	v_or_b32_e32 v19, 0.5, v15
	v_lshrrev_b32_e32 v18, 9, v18
	v_or_b32_e32 v15, 0x33000000, v15
	v_clz_i32_u32_e32 v22, v16
	s_delay_alu instid0(VALU_DEP_4) | instskip(NEXT) | instid1(VALU_DEP_2)
	v_sub_nc_u32_e32 v19, v19, v21
	v_min_u32_e32 v21, 32, v22
	s_delay_alu instid0(VALU_DEP_2) | instskip(NEXT) | instid1(VALU_DEP_2)
	v_or_b32_e32 v18, v18, v19
	v_not_b32_e32 v19, v21
	s_delay_alu instid0(VALU_DEP_2) | instskip(SKIP_1) | instid1(VALU_DEP_3)
	v_mul_f32_e32 v22, 0x3fc90fda, v18
	v_add_lshl_u32 v20, v21, v20, 23
	v_alignbit_b32 v14, v16, v14, v19
	s_delay_alu instid0(VALU_DEP_3) | instskip(NEXT) | instid1(VALU_DEP_3)
	v_fma_f32 v16, 0x3fc90fda, v18, -v22
	v_sub_nc_u32_e32 v15, v15, v20
	s_delay_alu instid0(VALU_DEP_3) | instskip(NEXT) | instid1(VALU_DEP_3)
	v_lshrrev_b32_e32 v14, 9, v14
	v_fmac_f32_e32 v16, 0x33a22168, v18
	s_delay_alu instid0(VALU_DEP_2) | instskip(NEXT) | instid1(VALU_DEP_1)
	v_or_b32_e32 v14, v15, v14
	v_fmac_f32_e32 v16, 0x3fc90fda, v14
	v_lshrrev_b32_e32 v14, 30, v0
	s_delay_alu instid0(VALU_DEP_2) | instskip(NEXT) | instid1(VALU_DEP_2)
	v_add_f32_e32 v0, v22, v16
	v_add_nc_u32_e32 v16, v17, v14
                                        ; implicit-def: $vgpr17
	s_and_not1_saveexec_b32 s1, s37
	s_cbranch_execnz .LBB348_26
	s_branch .LBB348_27
.LBB348_25:                             ;   in Loop: Header=BB348_13 Depth=3
	s_and_not1_saveexec_b32 s1, s37
.LBB348_26:                             ;   in Loop: Header=BB348_13 Depth=3
	v_fma_f32 v0, 0xbfc90fda, v17, |v6|
	v_cvt_i32_f32_e32 v16, v17
	s_delay_alu instid0(VALU_DEP_2) | instskip(NEXT) | instid1(VALU_DEP_1)
	v_fmac_f32_e32 v0, 0xb3a22168, v17
	v_fmac_f32_e32 v0, 0xa7c234c4, v17
.LBB348_27:                             ;   in Loop: Header=BB348_13 Depth=3
	s_wait_alu 0xfffe
	s_or_b32 exec_lo, exec_lo, s1
	v_lshlrev_b32_e32 v14, 30, v12
	v_sub_f32_e32 v13, v13, v4
	v_dual_mul_f32 v17, v11, v11 :: v_dual_and_b32 v12, 1, v12
	v_and_b32_e32 v19, 1, v16
	s_delay_alu instid0(VALU_DEP_4) | instskip(NEXT) | instid1(VALU_DEP_4)
	v_and_b32_e32 v14, 0x80000000, v14
	v_dual_mul_f32 v15, 0x3fb8aa3b, v13 :: v_dual_lshlrev_b32 v16, 30, v16
	s_delay_alu instid0(VALU_DEP_4) | instskip(SKIP_2) | instid1(VALU_DEP_4)
	v_fmaak_f32 v23, s24, v17, 0x3c0881c4
	v_fmaak_f32 v22, s23, v17, 0xbab64f3b
	v_cmp_eq_u32_e32 vcc_lo, 0, v12
	v_fma_f32 v20, 0x3fb8aa3b, v13, -v15
	v_rndne_f32_e32 v21, v15
	v_mul_f32_e32 v18, v0, v0
	v_xor_b32_e32 v7, v7, v6
	v_cmp_nlt_f32_e64 s1, 0x42b17218, v13
	s_delay_alu instid0(VALU_DEP_4) | instskip(SKIP_3) | instid1(VALU_DEP_3)
	v_sub_f32_e32 v15, v15, v21
	v_fmac_f32_e32 v20, 0x32a5705f, v13
	v_fmaak_f32 v24, s24, v18, 0x3c0881c4
	v_cvt_i32_f32_e32 v21, v21
	v_dual_add_f32 v15, v15, v20 :: v_dual_fmaak_f32 v20, v17, v22, 0x3d2aabf7
	s_delay_alu instid0(VALU_DEP_3) | instskip(NEXT) | instid1(VALU_DEP_2)
	v_dual_fmaak_f32 v22, v17, v23, 0xbe2aaa9d :: v_dual_fmaak_f32 v23, v18, v24, 0xbe2aaa9d
	v_exp_f32_e32 v15, v15
	s_delay_alu instid0(VALU_DEP_2) | instskip(NEXT) | instid1(VALU_DEP_2)
	v_fmaak_f32 v20, v17, v20, 0xbf000004
	v_dual_mul_f32 v22, v17, v22 :: v_dual_mul_f32 v23, v18, v23
	v_fmaak_f32 v25, s23, v18, 0xbab64f3b
	v_and_b32_e32 v16, 0x80000000, v16
	s_delay_alu instid0(VALU_DEP_4) | instskip(NEXT) | instid1(VALU_DEP_4)
	v_fma_f32 v17, v17, v20, 1.0
	v_dual_fmac_f32 v11, v11, v22 :: v_dual_fmac_f32 v0, v0, v23
	s_delay_alu instid0(VALU_DEP_4) | instskip(NEXT) | instid1(TRANS32_DEP_1)
	v_fmaak_f32 v24, v18, v25, 0x3d2aabf7
	v_ldexp_f32 v15, v15, v21
	s_wait_alu 0xfffd
	s_delay_alu instid0(VALU_DEP_3) | instskip(SKIP_2) | instid1(VALU_DEP_3)
	v_cndmask_b32_e64 v11, -v11, v17, vcc_lo
	v_cmp_eq_u32_e32 vcc_lo, 0, v19
	v_fmaak_f32 v24, v18, v24, 0xbf000004
	v_xor_b32_e32 v11, v14, v11
	s_delay_alu instid0(VALU_DEP_2) | instskip(SKIP_1) | instid1(VALU_DEP_1)
	v_fma_f32 v18, v18, v24, 1.0
	s_wait_alu 0xfffd
	v_cndmask_b32_e32 v0, v18, v0, vcc_lo
	v_cmp_ngt_f32_e32 vcc_lo, 0xc2ce8ed0, v13
	s_delay_alu instid0(VALU_DEP_2) | instskip(SKIP_4) | instid1(VALU_DEP_2)
	v_xor3_b32 v0, v7, v16, v0
	s_wait_alu 0xfffd
	v_cndmask_b32_e32 v12, 0, v15, vcc_lo
	v_cmp_class_f32_e64 vcc_lo, v6, 0x1f8
	s_wait_alu 0xf1ff
	v_cndmask_b32_e64 v13, 0x7f800000, v12, s1
	s_wait_alu 0xfffd
	v_cndmask_b32_e32 v11, 0x7fc00000, v11, vcc_lo
	v_cndmask_b32_e32 v0, 0x7fc00000, v0, vcc_lo
	s_delay_alu instid0(VALU_DEP_2) | instskip(NEXT) | instid1(VALU_DEP_2)
	v_mul_f32_e32 v12, v13, v11
	v_mul_f32_e32 v0, v13, v0
	s_delay_alu instid0(VALU_DEP_1) | instskip(NEXT) | instid1(VALU_DEP_1)
	v_max_num_f32_e64 v14, |v12|, |v0|
	v_cvt_f64_f32_e32 v[6:7], v14
	v_cmp_eq_f32_e32 vcc_lo, 0x7f800000, v14
	s_delay_alu instid0(VALU_DEP_2) | instskip(NEXT) | instid1(VALU_DEP_1)
	v_frexp_exp_i32_f64_e32 v6, v[6:7]
	v_sub_nc_u32_e32 v7, 0, v6
	s_delay_alu instid0(VALU_DEP_1) | instskip(SKIP_1) | instid1(VALU_DEP_2)
	v_ldexp_f32 v15, |v0|, v7
	v_ldexp_f32 v7, |v12|, v7
	v_mul_f32_e32 v15, v15, v15
	s_delay_alu instid0(VALU_DEP_1) | instskip(NEXT) | instid1(VALU_DEP_1)
	v_fmac_f32_e32 v15, v7, v7
	v_sqrt_f32_e32 v7, v15
	s_delay_alu instid0(TRANS32_DEP_1) | instskip(SKIP_1) | instid1(VALU_DEP_2)
	v_ldexp_f32 v7, v7, v6
	v_fma_f32 v6, v13, v11, 1.0
	v_cmp_ngt_f32_e64 s1, 0.5, v7
	s_delay_alu instid0(VALU_DEP_2)
	v_max_num_f32_e64 v7, |v6|, |v0|
	s_or_b32 s1, vcc_lo, s1
	s_wait_alu 0xfffe
	s_and_saveexec_b32 s2, s1
	s_wait_alu 0xfffe
	s_xor_b32 s2, exec_lo, s2
	s_cbranch_execz .LBB348_29
; %bb.28:                               ;   in Loop: Header=BB348_13 Depth=3
	v_cvt_f64_f32_e32 v[11:12], v7
	v_cmp_neq_f32_e32 vcc_lo, 0x7f800000, v7
	s_delay_alu instid0(VALU_DEP_2) | instskip(NEXT) | instid1(VALU_DEP_1)
	v_frexp_exp_i32_f64_e32 v11, v[11:12]
	v_sub_nc_u32_e32 v12, 0, v11
	s_delay_alu instid0(VALU_DEP_1) | instskip(SKIP_1) | instid1(VALU_DEP_2)
	v_ldexp_f32 v13, |v0|, v12
	v_ldexp_f32 v12, |v6|, v12
	v_mul_f32_e32 v13, v13, v13
	s_delay_alu instid0(VALU_DEP_1) | instskip(NEXT) | instid1(VALU_DEP_1)
	v_fmac_f32_e32 v13, v12, v12
	v_sqrt_f32_e32 v12, v13
	s_delay_alu instid0(TRANS32_DEP_1) | instskip(SKIP_1) | instid1(VALU_DEP_1)
	v_ldexp_f32 v11, v12, v11
	s_wait_alu 0xfffd
	v_cndmask_b32_e32 v11, 0x7f800000, v11, vcc_lo
	s_delay_alu instid0(VALU_DEP_1) | instskip(SKIP_2) | instid1(VALU_DEP_1)
	v_cmp_gt_f32_e32 vcc_lo, 0x800000, v11
	s_wait_alu 0xfffd
	v_cndmask_b32_e64 v12, 0, 32, vcc_lo
	v_ldexp_f32 v11, v11, v12
	s_delay_alu instid0(VALU_DEP_1) | instskip(NEXT) | instid1(TRANS32_DEP_1)
	v_log_f32_e32 v11, v11
	v_mul_f32_e32 v12, 0x3f317217, v11
	v_cmp_gt_f32_e64 s1, 0x7f800000, |v11|
	s_delay_alu instid0(VALU_DEP_2) | instskip(NEXT) | instid1(VALU_DEP_1)
	v_fma_f32 v12, 0x3f317217, v11, -v12
	v_fmac_f32_e32 v12, 0x3377d1cf, v11
	s_delay_alu instid0(VALU_DEP_1) | instskip(SKIP_1) | instid1(VALU_DEP_1)
	v_fmac_f32_e32 v12, 0x3f317217, v11
	s_wait_alu 0xf1ff
	v_cndmask_b32_e64 v11, v11, v12, s1
	v_cndmask_b32_e64 v12, 0, 0x41b17218, vcc_lo
	s_delay_alu instid0(VALU_DEP_1)
	v_sub_f32_e32 v12, v11, v12
.LBB348_29:                             ;   in Loop: Header=BB348_13 Depth=3
	s_wait_alu 0xfffe
	s_and_not1_saveexec_b32 s1, s2
	s_cbranch_execz .LBB348_33
; %bb.30:                               ;   in Loop: Header=BB348_13 Depth=3
	s_delay_alu instid0(VALU_DEP_1) | instskip(SKIP_2) | instid1(VALU_DEP_1)
	v_add_f32_e32 v13, 2.0, v12
	v_mul_f32_e32 v11, v0, v0
	s_mov_b32 s2, exec_lo
	v_fmac_f32_e32 v11, v12, v13
	s_delay_alu instid0(VALU_DEP_1)
	v_cmpx_neq_f32_e32 0, v11
	s_cbranch_execz .LBB348_32
; %bb.31:                               ;   in Loop: Header=BB348_13 Depth=3
	v_add_f32_e32 v14, 1.0, v11
	s_delay_alu instid0(VALU_DEP_1) | instskip(NEXT) | instid1(VALU_DEP_1)
	v_cvt_f64_f32_e32 v[12:13], v14
	v_frexp_exp_i32_f64_e32 v12, v[12:13]
	v_frexp_mant_f32_e32 v13, v14
	s_delay_alu instid0(VALU_DEP_1) | instskip(SKIP_1) | instid1(VALU_DEP_1)
	v_cmp_gt_f32_e32 vcc_lo, 0x3f2aaaab, v13
	v_add_f32_e32 v13, -1.0, v14
	v_sub_f32_e32 v16, v13, v14
	s_delay_alu instid0(VALU_DEP_1) | instskip(SKIP_3) | instid1(VALU_DEP_2)
	v_dual_add_f32 v16, 1.0, v16 :: v_dual_sub_f32 v13, v11, v13
	s_wait_alu 0xfffd
	v_subrev_co_ci_u32_e64 v12, null, 0, v12, vcc_lo
	v_cmp_neq_f32_e32 vcc_lo, 0x7f800000, v11
	v_sub_nc_u32_e32 v15, 0, v12
	v_cvt_f32_i32_e32 v12, v12
	s_delay_alu instid0(VALU_DEP_2) | instskip(NEXT) | instid1(VALU_DEP_1)
	v_ldexp_f32 v14, v14, v15
	v_add_f32_e32 v17, 1.0, v14
	s_delay_alu instid0(VALU_DEP_1) | instskip(NEXT) | instid1(VALU_DEP_1)
	v_dual_add_f32 v13, v13, v16 :: v_dual_add_f32 v16, -1.0, v17
	v_ldexp_f32 v13, v13, v15
	s_delay_alu instid0(VALU_DEP_2) | instskip(NEXT) | instid1(VALU_DEP_1)
	v_dual_sub_f32 v16, v14, v16 :: v_dual_add_f32 v15, -1.0, v14
	v_add_f32_e32 v16, v13, v16
	s_delay_alu instid0(VALU_DEP_2) | instskip(NEXT) | instid1(VALU_DEP_1)
	v_add_f32_e32 v18, 1.0, v15
	v_sub_f32_e32 v14, v14, v18
	s_delay_alu instid0(VALU_DEP_1) | instskip(NEXT) | instid1(VALU_DEP_1)
	v_add_f32_e32 v13, v13, v14
	v_dual_add_f32 v19, v15, v13 :: v_dual_add_f32 v18, v17, v16
	s_delay_alu instid0(VALU_DEP_1) | instskip(NEXT) | instid1(VALU_DEP_2)
	v_sub_f32_e32 v15, v19, v15
	v_rcp_f32_e32 v14, v18
	v_sub_f32_e32 v17, v18, v17
	s_delay_alu instid0(VALU_DEP_1) | instskip(NEXT) | instid1(TRANS32_DEP_1)
	v_dual_sub_f32 v13, v13, v15 :: v_dual_sub_f32 v16, v16, v17
	v_mul_f32_e32 v20, v19, v14
	s_delay_alu instid0(VALU_DEP_1) | instskip(NEXT) | instid1(VALU_DEP_1)
	v_mul_f32_e32 v21, v18, v20
	v_fma_f32 v17, v20, v18, -v21
	s_delay_alu instid0(VALU_DEP_1) | instskip(NEXT) | instid1(VALU_DEP_1)
	v_fmac_f32_e32 v17, v20, v16
	v_add_f32_e32 v22, v21, v17
	s_delay_alu instid0(VALU_DEP_1) | instskip(SKIP_1) | instid1(VALU_DEP_2)
	v_sub_f32_e32 v23, v19, v22
	v_sub_f32_e32 v15, v22, v21
	;; [unrolled: 1-line block ×3, first 2 shown]
	s_delay_alu instid0(VALU_DEP_2) | instskip(NEXT) | instid1(VALU_DEP_2)
	v_sub_f32_e32 v15, v15, v17
	v_sub_f32_e32 v19, v19, v22
	s_delay_alu instid0(VALU_DEP_1) | instskip(NEXT) | instid1(VALU_DEP_1)
	v_add_f32_e32 v13, v13, v19
	v_add_f32_e32 v13, v15, v13
	s_delay_alu instid0(VALU_DEP_1) | instskip(NEXT) | instid1(VALU_DEP_1)
	v_add_f32_e32 v15, v23, v13
	v_mul_f32_e32 v17, v14, v15
	s_delay_alu instid0(VALU_DEP_1) | instskip(NEXT) | instid1(VALU_DEP_1)
	v_dual_sub_f32 v22, v23, v15 :: v_dual_mul_f32 v19, v18, v17
	v_add_f32_e32 v13, v13, v22
	s_delay_alu instid0(VALU_DEP_2) | instskip(NEXT) | instid1(VALU_DEP_1)
	v_fma_f32 v18, v17, v18, -v19
	v_fmac_f32_e32 v18, v17, v16
	s_delay_alu instid0(VALU_DEP_1) | instskip(NEXT) | instid1(VALU_DEP_1)
	v_add_f32_e32 v16, v19, v18
	v_sub_f32_e32 v21, v15, v16
	v_sub_f32_e32 v19, v16, v19
	s_delay_alu instid0(VALU_DEP_2) | instskip(NEXT) | instid1(VALU_DEP_1)
	v_sub_f32_e32 v15, v15, v21
	v_sub_f32_e32 v15, v15, v16
	s_delay_alu instid0(VALU_DEP_1) | instskip(SKIP_1) | instid1(VALU_DEP_1)
	v_dual_sub_f32 v16, v19, v18 :: v_dual_add_f32 v13, v13, v15
	v_add_f32_e32 v15, v20, v17
	v_dual_add_f32 v13, v16, v13 :: v_dual_sub_f32 v16, v15, v20
	s_delay_alu instid0(VALU_DEP_1) | instskip(NEXT) | instid1(VALU_DEP_1)
	v_add_f32_e32 v13, v21, v13
	v_dual_sub_f32 v16, v17, v16 :: v_dual_mul_f32 v13, v14, v13
	s_delay_alu instid0(VALU_DEP_1) | instskip(NEXT) | instid1(VALU_DEP_1)
	v_add_f32_e32 v13, v16, v13
	v_add_f32_e32 v14, v15, v13
	s_delay_alu instid0(VALU_DEP_1) | instskip(NEXT) | instid1(VALU_DEP_1)
	v_mul_f32_e32 v16, v14, v14
	v_fmaak_f32 v17, s28, v16, 0x3ecc95a3
	v_mul_f32_e32 v18, v14, v16
	s_delay_alu instid0(VALU_DEP_2) | instskip(SKIP_2) | instid1(VALU_DEP_3)
	v_fmaak_f32 v16, v16, v17, 0x3f2aaada
	v_ldexp_f32 v17, v14, 1
	v_sub_f32_e32 v14, v14, v15
	v_mul_f32_e32 v16, v18, v16
	s_delay_alu instid0(VALU_DEP_2) | instskip(NEXT) | instid1(VALU_DEP_2)
	v_dual_mul_f32 v18, 0x3f317218, v12 :: v_dual_sub_f32 v13, v13, v14
	v_add_f32_e32 v15, v17, v16
	s_delay_alu instid0(VALU_DEP_2) | instskip(NEXT) | instid1(VALU_DEP_2)
	v_ldexp_f32 v13, v13, 1
	v_sub_f32_e32 v14, v15, v17
	s_delay_alu instid0(VALU_DEP_4) | instskip(NEXT) | instid1(VALU_DEP_1)
	v_fma_f32 v17, 0x3f317218, v12, -v18
	v_dual_sub_f32 v14, v16, v14 :: v_dual_fmac_f32 v17, 0xb102e308, v12
	s_delay_alu instid0(VALU_DEP_1) | instskip(NEXT) | instid1(VALU_DEP_1)
	v_add_f32_e32 v12, v13, v14
	v_add_f32_e32 v14, v15, v12
	s_delay_alu instid0(VALU_DEP_1) | instskip(NEXT) | instid1(VALU_DEP_1)
	v_sub_f32_e32 v15, v14, v15
	v_dual_sub_f32 v12, v12, v15 :: v_dual_add_f32 v13, v18, v17
	s_delay_alu instid0(VALU_DEP_1) | instskip(NEXT) | instid1(VALU_DEP_1)
	v_add_f32_e32 v16, v13, v14
	v_dual_sub_f32 v18, v13, v18 :: v_dual_sub_f32 v19, v16, v13
	s_delay_alu instid0(VALU_DEP_1) | instskip(NEXT) | instid1(VALU_DEP_1)
	v_dual_sub_f32 v17, v17, v18 :: v_dual_sub_f32 v20, v16, v19
	v_dual_sub_f32 v14, v14, v19 :: v_dual_add_f32 v15, v17, v12
	s_delay_alu instid0(VALU_DEP_2) | instskip(NEXT) | instid1(VALU_DEP_1)
	v_sub_f32_e32 v13, v13, v20
	v_add_f32_e32 v13, v14, v13
	s_delay_alu instid0(VALU_DEP_3) | instskip(NEXT) | instid1(VALU_DEP_2)
	v_sub_f32_e32 v14, v15, v17
	v_add_f32_e32 v13, v15, v13
	s_delay_alu instid0(VALU_DEP_2) | instskip(SKIP_1) | instid1(VALU_DEP_2)
	v_sub_f32_e32 v15, v15, v14
	v_sub_f32_e32 v12, v12, v14
	v_dual_add_f32 v18, v16, v13 :: v_dual_sub_f32 v15, v17, v15
	s_delay_alu instid0(VALU_DEP_1) | instskip(NEXT) | instid1(VALU_DEP_1)
	v_sub_f32_e32 v14, v18, v16
	v_dual_add_f32 v12, v12, v15 :: v_dual_sub_f32 v13, v13, v14
	s_delay_alu instid0(VALU_DEP_1) | instskip(NEXT) | instid1(VALU_DEP_1)
	v_add_f32_e32 v12, v12, v13
	v_add_f32_e32 v12, v18, v12
	s_wait_alu 0xfffd
	s_delay_alu instid0(VALU_DEP_1) | instskip(SKIP_2) | instid1(VALU_DEP_2)
	v_cndmask_b32_e32 v12, 0x7f800000, v12, vcc_lo
	v_cmp_ngt_f32_e32 vcc_lo, -1.0, v11
	s_wait_alu 0xfffd
	v_cndmask_b32_e32 v12, 0x7fc00000, v12, vcc_lo
	v_cmp_neq_f32_e32 vcc_lo, -1.0, v11
	s_wait_alu 0xfffd
	s_delay_alu instid0(VALU_DEP_2) | instskip(SKIP_2) | instid1(VALU_DEP_2)
	v_cndmask_b32_e32 v12, 0xff800000, v12, vcc_lo
	v_cmp_gt_f32_e64 vcc_lo, 0x33800000, |v11|
	s_wait_alu 0xfffd
	v_cndmask_b32_e32 v11, v12, v11, vcc_lo
	s_delay_alu instid0(VALU_DEP_1)
	v_mul_f32_e32 v12, 0.5, v11
.LBB348_32:                             ;   in Loop: Header=BB348_13 Depth=3
	s_wait_alu 0xfffe
	s_or_b32 exec_lo, exec_lo, s2
.LBB348_33:                             ;   in Loop: Header=BB348_13 Depth=3
	s_wait_alu 0xfffe
	s_or_b32 exec_lo, exec_lo, s1
	v_max_num_f32_e64 v11, |v0|, |v0|
	v_max_num_f32_e64 v13, |v6|, |v6|
	v_frexp_mant_f32_e32 v14, v7
	v_frexp_exp_i32_f32_e32 v7, v7
	v_cmp_gt_f32_e64 vcc_lo, |v0|, |v6|
	v_cmp_gt_i32_e64 s1, 0, v6
	v_min_num_f32_e32 v11, v13, v11
	v_rcp_f32_e32 v13, v14
	v_cmp_class_f32_e64 s2, v6, 0x204
	s_delay_alu instid0(VALU_DEP_2)
	v_frexp_mant_f32_e32 v14, v11
	v_frexp_exp_i32_f32_e32 v11, v11
	s_delay_alu instid0(TRANS32_DEP_1) | instid1(VALU_DEP_2)
	v_mul_f32_e32 v13, v14, v13
	s_delay_alu instid0(VALU_DEP_2) | instskip(SKIP_3) | instid1(VALU_DEP_3)
	v_sub_nc_u32_e32 v7, v11, v7
	s_wait_alu 0xf1ff
	v_cndmask_b32_e64 v14, 0, 0x40490fdb, s1
	v_cmp_class_f32_e64 s1, v0, 0x204
	v_ldexp_f32 v7, v13, v7
	s_delay_alu instid0(VALU_DEP_1) | instskip(NEXT) | instid1(VALU_DEP_1)
	v_mul_f32_e32 v11, v7, v7
	v_fmaak_f32 v13, s29, v11, 0xbc7a590c
	s_delay_alu instid0(VALU_DEP_1) | instskip(NEXT) | instid1(VALU_DEP_1)
	v_fmaak_f32 v13, v11, v13, 0x3d29fb3f
	v_fmaak_f32 v13, v11, v13, 0xbd97d4d7
	s_delay_alu instid0(VALU_DEP_1) | instskip(NEXT) | instid1(VALU_DEP_1)
	v_fmaak_f32 v13, v11, v13, 0x3dd931b2
	;; [unrolled: 3-line block ×3, first 2 shown]
	v_fmaak_f32 v13, v11, v13, 0xbeaaaa62
	s_delay_alu instid0(VALU_DEP_1) | instskip(NEXT) | instid1(VALU_DEP_1)
	v_mul_f32_e32 v11, v11, v13
	v_fmac_f32_e32 v7, v7, v11
	s_delay_alu instid0(VALU_DEP_1) | instskip(SKIP_1) | instid1(VALU_DEP_1)
	v_sub_f32_e32 v11, 0x3fc90fdb, v7
	s_wait_alu 0xfffd
	v_cndmask_b32_e32 v7, v7, v11, vcc_lo
	v_cmp_gt_f32_e32 vcc_lo, 0, v6
	s_delay_alu instid0(VALU_DEP_2) | instskip(SKIP_2) | instid1(VALU_DEP_2)
	v_sub_f32_e32 v11, 0x40490fdb, v7
	s_wait_alu 0xfffd
	v_cndmask_b32_e32 v13, 0x3f490fdb, v8, vcc_lo
	v_cndmask_b32_e32 v7, v7, v11, vcc_lo
	v_cmp_eq_f32_e32 vcc_lo, 0, v0
	s_wait_alu 0xfffd
	s_delay_alu instid0(VALU_DEP_2) | instskip(SKIP_2) | instid1(VALU_DEP_1)
	v_cndmask_b32_e32 v7, v7, v14, vcc_lo
	s_and_b32 vcc_lo, s2, s1
	s_wait_alu 0xfffe
	v_cndmask_b32_e32 v7, v7, v13, vcc_lo
	v_cmp_o_f32_e32 vcc_lo, v6, v0
	v_add_f32_e32 v13, v4, v12
                                        ; implicit-def: $vgpr12
	s_wait_alu 0xfffd
	s_delay_alu instid0(VALU_DEP_3) | instskip(NEXT) | instid1(VALU_DEP_1)
	v_cndmask_b32_e32 v6, 0x7fc00000, v7, vcc_lo
	v_bfi_b32 v0, 0x7fffffff, v6, v0
	s_delay_alu instid0(VALU_DEP_1)
	v_add_f32_e32 v11, v5, v0
                                        ; implicit-def: $vgpr5
.LBB348_34:                             ;   in Loop: Header=BB348_13 Depth=3
	s_and_not1_saveexec_b32 s36, s36
	s_cbranch_execz .LBB348_11
; %bb.35:                               ;   in Loop: Header=BB348_13 Depth=3
	s_mov_b32 s37, exec_lo
	v_cmpx_ngt_f32_e32 0, v13
	s_cbranch_execz .LBB348_10
; %bb.36:                               ;   in Loop: Header=BB348_13 Depth=3
	v_and_b32_e32 v4, 0x7fffffff, v11
	v_cmp_ngt_f32_e64 s38, 0x48000000, |v11|
                                        ; implicit-def: $vgpr7
                                        ; implicit-def: $vgpr6
	s_delay_alu instid0(VALU_DEP_2) | instskip(SKIP_1) | instid1(VALU_DEP_2)
	v_lshrrev_b32_e32 v0, 23, v4
	v_and_or_b32 v14, v4, s22, 0x800000
	v_add_nc_u32_e32 v16, 0xffffff88, v0
	s_and_saveexec_b32 s1, s38
	s_wait_alu 0xfffe
	s_xor_b32 s39, exec_lo, s1
	s_cbranch_execz .LBB348_38
; %bb.37:                               ;   in Loop: Header=BB348_13 Depth=3
	v_mad_co_u64_u32 v[6:7], null, 0xfe5163ab, v14, 0
	v_cmp_lt_u32_e32 vcc_lo, 63, v16
	s_delay_alu instid0(VALU_DEP_2) | instskip(SKIP_2) | instid1(VALU_DEP_1)
	v_mov_b32_e32 v0, v7
	s_wait_alu 0xfffd
	v_cndmask_b32_e64 v7, 0, 0xffffffc0, vcc_lo
	v_add_nc_u32_e32 v7, v7, v16
	s_delay_alu instid0(VALU_DEP_1) | instskip(SKIP_1) | instid1(VALU_DEP_1)
	v_cmp_lt_u32_e64 s1, 31, v7
	s_wait_alu 0xf1ff
	v_cndmask_b32_e64 v13, 0, 0xffffffe0, s1
	s_delay_alu instid0(VALU_DEP_1) | instskip(SKIP_1) | instid1(VALU_DEP_2)
	v_add_nc_u32_e32 v7, v13, v7
	v_mad_co_u64_u32 v[17:18], null, 0x3c439041, v14, v[0:1]
	v_cmp_lt_u32_e64 s2, 31, v7
	s_delay_alu instid0(VALU_DEP_2) | instskip(NEXT) | instid1(VALU_DEP_1)
	v_mov_b32_e32 v0, v18
	v_mad_co_u64_u32 v[18:19], null, 0xdb629599, v14, v[0:1]
	s_delay_alu instid0(VALU_DEP_1) | instskip(NEXT) | instid1(VALU_DEP_2)
	v_mov_b32_e32 v0, v19
	v_cndmask_b32_e32 v6, v18, v6, vcc_lo
	s_delay_alu instid0(VALU_DEP_2) | instskip(NEXT) | instid1(VALU_DEP_1)
	v_mad_co_u64_u32 v[19:20], null, 0xf534ddc0, v14, v[0:1]
	v_mov_b32_e32 v0, v20
	s_delay_alu instid0(VALU_DEP_1) | instskip(NEXT) | instid1(VALU_DEP_1)
	v_mad_co_u64_u32 v[20:21], null, 0xfc2757d1, v14, v[0:1]
	v_mov_b32_e32 v0, v21
	s_delay_alu instid0(VALU_DEP_1) | instskip(NEXT) | instid1(VALU_DEP_1)
	v_mad_co_u64_u32 v[21:22], null, 0x4e441529, v14, v[0:1]
	v_dual_mov_b32 v0, v22 :: v_dual_cndmask_b32 v13, v21, v19
	s_delay_alu instid0(VALU_DEP_1) | instskip(SKIP_2) | instid1(VALU_DEP_1)
	v_mad_co_u64_u32 v[22:23], null, 0xa2f9836e, v14, v[0:1]
	s_wait_alu 0xf1ff
	v_cndmask_b32_e64 v0, 0, 0xffffffe0, s2
	v_dual_cndmask_b32 v15, v22, v20 :: v_dual_add_nc_u32 v0, v0, v7
	s_delay_alu instid0(VALU_DEP_3) | instskip(SKIP_1) | instid1(VALU_DEP_3)
	v_dual_cndmask_b32 v21, v23, v21 :: v_dual_cndmask_b32 v20, v20, v18
	v_cndmask_b32_e32 v7, v19, v17, vcc_lo
	v_sub_nc_u32_e32 v19, 32, v0
	s_delay_alu instid0(VALU_DEP_4) | instskip(NEXT) | instid1(VALU_DEP_4)
	v_cndmask_b32_e64 v17, v15, v13, s1
	v_cndmask_b32_e64 v15, v21, v15, s1
	;; [unrolled: 1-line block ×4, first 2 shown]
	v_cmp_eq_u32_e32 vcc_lo, 0, v0
	v_cndmask_b32_e64 v6, v7, v6, s1
	v_cndmask_b32_e64 v15, v15, v17, s2
	;; [unrolled: 1-line block ×4, first 2 shown]
	s_delay_alu instid0(VALU_DEP_4) | instskip(NEXT) | instid1(VALU_DEP_3)
	v_cndmask_b32_e64 v6, v20, v6, s2
	v_alignbit_b32 v21, v15, v17, v19
	s_delay_alu instid0(VALU_DEP_3) | instskip(NEXT) | instid1(VALU_DEP_3)
	v_alignbit_b32 v18, v17, v13, v19
	v_alignbit_b32 v19, v13, v6, v19
	s_wait_alu 0xfffd
	s_delay_alu instid0(VALU_DEP_2) | instskip(NEXT) | instid1(VALU_DEP_2)
	v_dual_cndmask_b32 v0, v21, v15 :: v_dual_cndmask_b32 v7, v18, v17
	v_cndmask_b32_e32 v13, v19, v13, vcc_lo
	s_delay_alu instid0(VALU_DEP_2) | instskip(NEXT) | instid1(VALU_DEP_3)
	v_bfe_u32 v15, v0, 29, 1
	v_alignbit_b32 v17, v0, v7, 30
	s_delay_alu instid0(VALU_DEP_3) | instskip(SKIP_1) | instid1(VALU_DEP_4)
	v_alignbit_b32 v7, v7, v13, 30
	v_alignbit_b32 v6, v13, v6, 30
	v_sub_nc_u32_e32 v18, 0, v15
	s_delay_alu instid0(VALU_DEP_1) | instskip(NEXT) | instid1(VALU_DEP_4)
	v_xor_b32_e32 v17, v17, v18
	v_xor_b32_e32 v7, v7, v18
	s_delay_alu instid0(VALU_DEP_4) | instskip(SKIP_1) | instid1(VALU_DEP_4)
	v_xor_b32_e32 v6, v6, v18
	v_lshrrev_b32_e32 v18, 29, v0
	v_clz_i32_u32_e32 v19, v17
	s_delay_alu instid0(VALU_DEP_1) | instskip(NEXT) | instid1(VALU_DEP_1)
	v_min_u32_e32 v19, 32, v19
	v_sub_nc_u32_e32 v13, 31, v19
	v_lshlrev_b32_e32 v20, 23, v19
	s_delay_alu instid0(VALU_DEP_2) | instskip(SKIP_3) | instid1(VALU_DEP_3)
	v_alignbit_b32 v17, v17, v7, v13
	v_alignbit_b32 v6, v7, v6, v13
	v_lshlrev_b32_e32 v7, 31, v18
	v_lshrrev_b32_e32 v0, 30, v0
	v_alignbit_b32 v13, v17, v6, 9
	s_delay_alu instid0(VALU_DEP_3) | instskip(SKIP_2) | instid1(VALU_DEP_4)
	v_or_b32_e32 v18, 0.5, v7
	v_lshrrev_b32_e32 v17, 9, v17
	v_or_b32_e32 v7, 0x33000000, v7
	v_clz_i32_u32_e32 v21, v13
	s_delay_alu instid0(VALU_DEP_4) | instskip(NEXT) | instid1(VALU_DEP_2)
	v_sub_nc_u32_e32 v18, v18, v20
	v_min_u32_e32 v20, 32, v21
	s_delay_alu instid0(VALU_DEP_2) | instskip(NEXT) | instid1(VALU_DEP_2)
	v_or_b32_e32 v17, v17, v18
	v_not_b32_e32 v18, v20
	s_delay_alu instid0(VALU_DEP_2) | instskip(SKIP_1) | instid1(VALU_DEP_3)
	v_mul_f32_e32 v21, 0x3fc90fda, v17
	v_add_lshl_u32 v19, v20, v19, 23
	v_alignbit_b32 v6, v13, v6, v18
	s_delay_alu instid0(VALU_DEP_3) | instskip(NEXT) | instid1(VALU_DEP_3)
	v_fma_f32 v13, 0x3fc90fda, v17, -v21
	v_sub_nc_u32_e32 v7, v7, v19
	s_delay_alu instid0(VALU_DEP_3) | instskip(NEXT) | instid1(VALU_DEP_3)
	v_lshrrev_b32_e32 v6, 9, v6
	v_fmac_f32_e32 v13, 0x33a22168, v17
	s_delay_alu instid0(VALU_DEP_2) | instskip(SKIP_1) | instid1(VALU_DEP_2)
	v_or_b32_e32 v6, v7, v6
	v_add_nc_u32_e32 v7, v15, v0
	v_fmac_f32_e32 v13, 0x3fc90fda, v6
	s_delay_alu instid0(VALU_DEP_1)
	v_add_f32_e32 v6, v21, v13
.LBB348_38:                             ;   in Loop: Header=BB348_13 Depth=3
	s_or_saveexec_b32 s1, s39
	v_mul_f32_e64 v0, 0x3f22f983, |v11|
	s_delay_alu instid0(VALU_DEP_1)
	v_rndne_f32_e32 v0, v0
	s_wait_alu 0xfffe
	s_xor_b32 exec_lo, exec_lo, s1
; %bb.39:                               ;   in Loop: Header=BB348_13 Depth=3
	s_delay_alu instid0(VALU_DEP_1) | instskip(SKIP_1) | instid1(VALU_DEP_2)
	v_fma_f32 v6, 0xbfc90fda, v0, |v11|
	v_cvt_i32_f32_e32 v7, v0
	v_fmac_f32_e32 v6, 0xb3a22168, v0
	s_delay_alu instid0(VALU_DEP_1)
	v_fmac_f32_e32 v6, 0xa7c234c4, v0
; %bb.40:                               ;   in Loop: Header=BB348_13 Depth=3
	s_or_b32 exec_lo, exec_lo, s1
                                        ; implicit-def: $vgpr15
                                        ; implicit-def: $vgpr13
	s_and_saveexec_b32 s1, s38
	s_wait_alu 0xfffe
	s_xor_b32 s38, exec_lo, s1
	s_cbranch_execz .LBB348_42
; %bb.41:                               ;   in Loop: Header=BB348_13 Depth=3
	v_mad_co_u64_u32 v[17:18], null, 0xfe5163ab, v14, 0
	v_cmp_lt_u32_e32 vcc_lo, 63, v16
	s_wait_alu 0xfffd
	v_cndmask_b32_e64 v13, 0, 0xffffffc0, vcc_lo
	s_delay_alu instid0(VALU_DEP_1) | instskip(NEXT) | instid1(VALU_DEP_1)
	v_dual_mov_b32 v0, v18 :: v_dual_add_nc_u32 v13, v13, v16
	v_mad_co_u64_u32 v[18:19], null, 0x3c439041, v14, v[0:1]
	s_delay_alu instid0(VALU_DEP_2) | instskip(NEXT) | instid1(VALU_DEP_2)
	v_cmp_lt_u32_e64 s1, 31, v13
	v_mov_b32_e32 v0, v19
	s_delay_alu instid0(VALU_DEP_1) | instskip(NEXT) | instid1(VALU_DEP_1)
	v_mad_co_u64_u32 v[19:20], null, 0xdb629599, v14, v[0:1]
	v_dual_mov_b32 v0, v20 :: v_dual_cndmask_b32 v17, v19, v17
	s_delay_alu instid0(VALU_DEP_1) | instskip(NEXT) | instid1(VALU_DEP_1)
	v_mad_co_u64_u32 v[20:21], null, 0xf534ddc0, v14, v[0:1]
	v_mov_b32_e32 v0, v21
	s_delay_alu instid0(VALU_DEP_1) | instskip(NEXT) | instid1(VALU_DEP_1)
	v_mad_co_u64_u32 v[21:22], null, 0xfc2757d1, v14, v[0:1]
	v_mov_b32_e32 v0, v22
	s_wait_alu 0xf1ff
	v_cndmask_b32_e64 v22, 0, 0xffffffe0, s1
	s_delay_alu instid0(VALU_DEP_2) | instskip(NEXT) | instid1(VALU_DEP_1)
	v_mad_co_u64_u32 v[15:16], null, 0x4e441529, v14, v[0:1]
	v_mov_b32_e32 v0, v16
	s_delay_alu instid0(VALU_DEP_3) | instskip(NEXT) | instid1(VALU_DEP_3)
	v_add_nc_u32_e32 v16, v22, v13
	v_cndmask_b32_e32 v22, v15, v20, vcc_lo
	s_delay_alu instid0(VALU_DEP_3) | instskip(NEXT) | instid1(VALU_DEP_3)
	v_mad_co_u64_u32 v[13:14], null, 0xa2f9836e, v14, v[0:1]
	v_cmp_lt_u32_e64 s2, 31, v16
	s_wait_alu 0xf1ff
	s_delay_alu instid0(VALU_DEP_1) | instskip(NEXT) | instid1(VALU_DEP_3)
	v_cndmask_b32_e64 v0, 0, 0xffffffe0, s2
	v_dual_cndmask_b32 v13, v13, v21 :: v_dual_cndmask_b32 v14, v14, v15
	s_delay_alu instid0(VALU_DEP_2) | instskip(SKIP_1) | instid1(VALU_DEP_3)
	v_dual_cndmask_b32 v15, v21, v19 :: v_dual_add_nc_u32 v0, v0, v16
	v_cndmask_b32_e32 v16, v20, v18, vcc_lo
	v_cndmask_b32_e64 v18, v13, v22, s1
	s_delay_alu instid0(VALU_DEP_4) | instskip(NEXT) | instid1(VALU_DEP_4)
	v_cndmask_b32_e64 v13, v14, v13, s1
	v_cndmask_b32_e64 v14, v22, v15, s1
	v_sub_nc_u32_e32 v20, 32, v0
	v_cndmask_b32_e64 v15, v15, v16, s1
	v_cmp_eq_u32_e32 vcc_lo, 0, v0
	v_cndmask_b32_e64 v13, v13, v18, s2
	v_cndmask_b32_e64 v18, v18, v14, s2
	s_delay_alu instid0(VALU_DEP_4) | instskip(NEXT) | instid1(VALU_DEP_2)
	v_cndmask_b32_e64 v14, v14, v15, s2
	v_alignbit_b32 v21, v13, v18, v20
	s_delay_alu instid0(VALU_DEP_2) | instskip(SKIP_1) | instid1(VALU_DEP_2)
	v_alignbit_b32 v19, v18, v14, v20
	s_wait_alu 0xfffd
	v_cndmask_b32_e32 v0, v21, v13, vcc_lo
	v_cndmask_b32_e64 v13, v16, v17, s1
	s_delay_alu instid0(VALU_DEP_3) | instskip(NEXT) | instid1(VALU_DEP_3)
	v_cndmask_b32_e32 v16, v19, v18, vcc_lo
	v_bfe_u32 v17, v0, 29, 1
	s_delay_alu instid0(VALU_DEP_3) | instskip(NEXT) | instid1(VALU_DEP_3)
	v_cndmask_b32_e64 v13, v15, v13, s2
	v_alignbit_b32 v15, v0, v16, 30
	s_delay_alu instid0(VALU_DEP_3) | instskip(NEXT) | instid1(VALU_DEP_3)
	v_sub_nc_u32_e32 v18, 0, v17
	v_alignbit_b32 v19, v14, v13, v20
	s_delay_alu instid0(VALU_DEP_2) | instskip(NEXT) | instid1(VALU_DEP_2)
	v_xor_b32_e32 v15, v15, v18
	v_cndmask_b32_e32 v14, v19, v14, vcc_lo
	s_delay_alu instid0(VALU_DEP_2) | instskip(NEXT) | instid1(VALU_DEP_2)
	v_clz_i32_u32_e32 v19, v15
	v_alignbit_b32 v16, v16, v14, 30
	v_alignbit_b32 v13, v14, v13, 30
	s_delay_alu instid0(VALU_DEP_3) | instskip(NEXT) | instid1(VALU_DEP_3)
	v_min_u32_e32 v19, 32, v19
	v_xor_b32_e32 v14, v16, v18
	s_delay_alu instid0(VALU_DEP_3) | instskip(SKIP_4) | instid1(VALU_DEP_2)
	v_xor_b32_e32 v13, v13, v18
	v_lshrrev_b32_e32 v18, 29, v0
	v_lshrrev_b32_e32 v0, 30, v0
	v_sub_nc_u32_e32 v16, 31, v19
	v_lshlrev_b32_e32 v20, 23, v19
	v_alignbit_b32 v15, v15, v14, v16
	v_alignbit_b32 v13, v14, v13, v16
	v_lshlrev_b32_e32 v14, 31, v18
	s_delay_alu instid0(VALU_DEP_2) | instskip(NEXT) | instid1(VALU_DEP_2)
	v_alignbit_b32 v16, v15, v13, 9
	v_or_b32_e32 v18, 0.5, v14
	v_lshrrev_b32_e32 v15, 9, v15
	v_or_b32_e32 v14, 0x33000000, v14
	s_delay_alu instid0(VALU_DEP_4) | instskip(NEXT) | instid1(VALU_DEP_4)
	v_clz_i32_u32_e32 v21, v16
	v_sub_nc_u32_e32 v18, v18, v20
	s_delay_alu instid0(VALU_DEP_2) | instskip(NEXT) | instid1(VALU_DEP_2)
	v_min_u32_e32 v20, 32, v21
	v_or_b32_e32 v15, v15, v18
	s_delay_alu instid0(VALU_DEP_2) | instskip(NEXT) | instid1(VALU_DEP_2)
	v_not_b32_e32 v18, v20
	v_mul_f32_e32 v21, 0x3fc90fda, v15
	v_add_lshl_u32 v19, v20, v19, 23
	s_delay_alu instid0(VALU_DEP_3) | instskip(NEXT) | instid1(VALU_DEP_3)
	v_alignbit_b32 v13, v16, v13, v18
	v_fma_f32 v16, 0x3fc90fda, v15, -v21
	s_delay_alu instid0(VALU_DEP_3) | instskip(NEXT) | instid1(VALU_DEP_3)
	v_sub_nc_u32_e32 v14, v14, v19
	v_lshrrev_b32_e32 v13, 9, v13
	s_delay_alu instid0(VALU_DEP_3) | instskip(NEXT) | instid1(VALU_DEP_2)
	v_dual_fmac_f32 v16, 0x33a22168, v15 :: v_dual_add_nc_u32 v15, v17, v0
                                        ; implicit-def: $vgpr0
	v_or_b32_e32 v13, v14, v13
	s_delay_alu instid0(VALU_DEP_1) | instskip(NEXT) | instid1(VALU_DEP_1)
	v_fmac_f32_e32 v16, 0x3fc90fda, v13
	v_add_f32_e32 v13, v21, v16
	s_and_not1_saveexec_b32 s1, s38
	s_cbranch_execnz .LBB348_43
	s_branch .LBB348_44
.LBB348_42:                             ;   in Loop: Header=BB348_13 Depth=3
	s_and_not1_saveexec_b32 s1, s38
.LBB348_43:                             ;   in Loop: Header=BB348_13 Depth=3
	v_fma_f32 v13, 0xbfc90fda, v0, |v11|
	v_cvt_i32_f32_e32 v15, v0
	s_delay_alu instid0(VALU_DEP_2) | instskip(NEXT) | instid1(VALU_DEP_1)
	v_fmac_f32_e32 v13, 0xb3a22168, v0
	v_fmac_f32_e32 v13, 0xa7c234c4, v0
.LBB348_44:                             ;   in Loop: Header=BB348_13 Depth=3
	s_wait_alu 0xfffe
	s_or_b32 exec_lo, exec_lo, s1
	v_and_b32_e32 v14, 0x7fffffff, v5
	v_cmp_ngt_f32_e64 s38, 0x48000000, |v5|
                                        ; implicit-def: $vgpr17
                                        ; implicit-def: $vgpr16
	s_delay_alu instid0(VALU_DEP_2) | instskip(SKIP_1) | instid1(VALU_DEP_2)
	v_lshrrev_b32_e32 v0, 23, v14
	v_and_or_b32 v18, v14, s22, 0x800000
	v_add_nc_u32_e32 v19, 0xffffff88, v0
	s_and_saveexec_b32 s1, s38
	s_wait_alu 0xfffe
	s_xor_b32 s39, exec_lo, s1
	s_cbranch_execz .LBB348_46
; %bb.45:                               ;   in Loop: Header=BB348_13 Depth=3
	v_mad_co_u64_u32 v[16:17], null, 0xfe5163ab, v18, 0
	v_cmp_lt_u32_e32 vcc_lo, 63, v19
	s_delay_alu instid0(VALU_DEP_2) | instskip(SKIP_2) | instid1(VALU_DEP_1)
	v_mov_b32_e32 v0, v17
	s_wait_alu 0xfffd
	v_cndmask_b32_e64 v17, 0, 0xffffffc0, vcc_lo
	v_add_nc_u32_e32 v17, v17, v19
	s_delay_alu instid0(VALU_DEP_1) | instskip(SKIP_1) | instid1(VALU_DEP_1)
	v_cmp_lt_u32_e64 s1, 31, v17
	s_wait_alu 0xf1ff
	v_cndmask_b32_e64 v26, 0, 0xffffffe0, s1
	s_delay_alu instid0(VALU_DEP_1) | instskip(SKIP_1) | instid1(VALU_DEP_2)
	v_add_nc_u32_e32 v17, v26, v17
	v_mad_co_u64_u32 v[20:21], null, 0x3c439041, v18, v[0:1]
	v_cmp_lt_u32_e64 s2, 31, v17
	s_delay_alu instid0(VALU_DEP_2) | instskip(NEXT) | instid1(VALU_DEP_1)
	v_mov_b32_e32 v0, v21
	v_mad_co_u64_u32 v[21:22], null, 0xdb629599, v18, v[0:1]
	s_delay_alu instid0(VALU_DEP_1) | instskip(NEXT) | instid1(VALU_DEP_2)
	v_mov_b32_e32 v0, v22
	v_cndmask_b32_e32 v16, v21, v16, vcc_lo
	s_delay_alu instid0(VALU_DEP_2) | instskip(NEXT) | instid1(VALU_DEP_1)
	v_mad_co_u64_u32 v[22:23], null, 0xf534ddc0, v18, v[0:1]
	v_mov_b32_e32 v0, v23
	s_delay_alu instid0(VALU_DEP_1) | instskip(NEXT) | instid1(VALU_DEP_1)
	v_mad_co_u64_u32 v[23:24], null, 0xfc2757d1, v18, v[0:1]
	v_mov_b32_e32 v0, v24
	s_delay_alu instid0(VALU_DEP_1) | instskip(NEXT) | instid1(VALU_DEP_1)
	v_mad_co_u64_u32 v[24:25], null, 0x4e441529, v18, v[0:1]
	v_dual_mov_b32 v0, v25 :: v_dual_cndmask_b32 v27, v24, v22
	s_delay_alu instid0(VALU_DEP_1) | instskip(SKIP_2) | instid1(VALU_DEP_1)
	v_mad_co_u64_u32 v[25:26], null, 0xa2f9836e, v18, v[0:1]
	s_wait_alu 0xf1ff
	v_cndmask_b32_e64 v0, 0, 0xffffffe0, s2
	v_dual_cndmask_b32 v25, v25, v23 :: v_dual_add_nc_u32 v0, v0, v17
	s_delay_alu instid0(VALU_DEP_3) | instskip(SKIP_1) | instid1(VALU_DEP_3)
	v_dual_cndmask_b32 v24, v26, v24 :: v_dual_cndmask_b32 v23, v23, v21
	v_cndmask_b32_e32 v17, v22, v20, vcc_lo
	v_cmp_eq_u32_e32 vcc_lo, 0, v0
	s_delay_alu instid0(VALU_DEP_4) | instskip(NEXT) | instid1(VALU_DEP_4)
	v_cndmask_b32_e64 v20, v25, v27, s1
	v_cndmask_b32_e64 v22, v24, v25, s1
	;; [unrolled: 1-line block ×3, first 2 shown]
	v_sub_nc_u32_e32 v25, 32, v0
	v_cndmask_b32_e64 v23, v23, v17, s1
	v_cndmask_b32_e64 v16, v17, v16, s1
	;; [unrolled: 1-line block ×4, first 2 shown]
	s_delay_alu instid0(VALU_DEP_4) | instskip(NEXT) | instid1(VALU_DEP_4)
	v_cndmask_b32_e64 v24, v24, v23, s2
	v_cndmask_b32_e64 v16, v23, v16, s2
	s_delay_alu instid0(VALU_DEP_3) | instskip(NEXT) | instid1(VALU_DEP_3)
	v_alignbit_b32 v26, v22, v20, v25
	v_alignbit_b32 v21, v20, v24, v25
	s_delay_alu instid0(VALU_DEP_3) | instskip(SKIP_1) | instid1(VALU_DEP_2)
	v_alignbit_b32 v23, v24, v16, v25
	s_wait_alu 0xfffd
	v_dual_cndmask_b32 v0, v26, v22 :: v_dual_cndmask_b32 v17, v21, v20
	s_delay_alu instid0(VALU_DEP_2) | instskip(NEXT) | instid1(VALU_DEP_2)
	v_cndmask_b32_e32 v23, v23, v24, vcc_lo
	v_bfe_u32 v20, v0, 29, 1
	s_delay_alu instid0(VALU_DEP_3) | instskip(NEXT) | instid1(VALU_DEP_3)
	v_alignbit_b32 v21, v0, v17, 30
	v_alignbit_b32 v17, v17, v23, 30
	;; [unrolled: 1-line block ×3, first 2 shown]
	s_delay_alu instid0(VALU_DEP_4) | instskip(NEXT) | instid1(VALU_DEP_1)
	v_sub_nc_u32_e32 v22, 0, v20
	v_xor_b32_e32 v21, v21, v22
	s_delay_alu instid0(VALU_DEP_4) | instskip(NEXT) | instid1(VALU_DEP_4)
	v_xor_b32_e32 v17, v17, v22
	v_xor_b32_e32 v16, v16, v22
	s_delay_alu instid0(VALU_DEP_3) | instskip(NEXT) | instid1(VALU_DEP_1)
	v_clz_i32_u32_e32 v24, v21
	v_min_u32_e32 v24, 32, v24
	s_delay_alu instid0(VALU_DEP_1) | instskip(SKIP_3) | instid1(VALU_DEP_4)
	v_sub_nc_u32_e32 v23, 31, v24
	v_lshlrev_b32_e32 v25, 23, v24
	v_lshrrev_b32_e32 v22, 29, v0
	v_lshrrev_b32_e32 v0, 30, v0
	v_alignbit_b32 v21, v21, v17, v23
	v_alignbit_b32 v16, v17, v16, v23
	s_delay_alu instid0(VALU_DEP_4) | instskip(NEXT) | instid1(VALU_DEP_2)
	v_lshlrev_b32_e32 v17, 31, v22
	v_alignbit_b32 v22, v21, v16, 9
	s_delay_alu instid0(VALU_DEP_2) | instskip(SKIP_2) | instid1(VALU_DEP_4)
	v_or_b32_e32 v23, 0.5, v17
	v_lshrrev_b32_e32 v21, 9, v21
	v_or_b32_e32 v17, 0x33000000, v17
	v_clz_i32_u32_e32 v26, v22
	s_delay_alu instid0(VALU_DEP_4) | instskip(NEXT) | instid1(VALU_DEP_2)
	v_sub_nc_u32_e32 v23, v23, v25
	v_min_u32_e32 v25, 32, v26
	s_delay_alu instid0(VALU_DEP_2) | instskip(NEXT) | instid1(VALU_DEP_2)
	v_or_b32_e32 v21, v21, v23
	v_not_b32_e32 v23, v25
	v_add_lshl_u32 v24, v25, v24, 23
	s_delay_alu instid0(VALU_DEP_3) | instskip(NEXT) | instid1(VALU_DEP_3)
	v_mul_f32_e32 v26, 0x3fc90fda, v21
	v_alignbit_b32 v16, v22, v16, v23
	s_delay_alu instid0(VALU_DEP_3) | instskip(NEXT) | instid1(VALU_DEP_2)
	v_sub_nc_u32_e32 v17, v17, v24
	v_lshrrev_b32_e32 v16, 9, v16
	s_delay_alu instid0(VALU_DEP_1) | instskip(SKIP_2) | instid1(VALU_DEP_1)
	v_or_b32_e32 v16, v17, v16
	v_add_nc_u32_e32 v17, v20, v0
	v_fma_f32 v22, 0x3fc90fda, v21, -v26
	v_fmac_f32_e32 v22, 0x33a22168, v21
	s_delay_alu instid0(VALU_DEP_1) | instskip(NEXT) | instid1(VALU_DEP_1)
	v_fmac_f32_e32 v22, 0x3fc90fda, v16
	v_add_f32_e32 v16, v26, v22
.LBB348_46:                             ;   in Loop: Header=BB348_13 Depth=3
	s_or_saveexec_b32 s1, s39
	v_mul_f32_e64 v0, 0x3f22f983, |v5|
	s_delay_alu instid0(VALU_DEP_1)
	v_rndne_f32_e32 v21, v0
	s_wait_alu 0xfffe
	s_xor_b32 exec_lo, exec_lo, s1
; %bb.47:                               ;   in Loop: Header=BB348_13 Depth=3
	s_delay_alu instid0(VALU_DEP_1) | instskip(SKIP_1) | instid1(VALU_DEP_2)
	v_fma_f32 v16, 0xbfc90fda, v21, |v5|
	v_cvt_i32_f32_e32 v17, v21
	v_fmac_f32_e32 v16, 0xb3a22168, v21
	s_delay_alu instid0(VALU_DEP_1)
	v_fmac_f32_e32 v16, 0xa7c234c4, v21
; %bb.48:                               ;   in Loop: Header=BB348_13 Depth=3
	s_or_b32 exec_lo, exec_lo, s1
                                        ; implicit-def: $vgpr20
                                        ; implicit-def: $vgpr0
	s_and_saveexec_b32 s1, s38
	s_wait_alu 0xfffe
	s_xor_b32 s38, exec_lo, s1
	s_cbranch_execz .LBB348_50
; %bb.49:                               ;   in Loop: Header=BB348_13 Depth=3
	v_mad_co_u64_u32 v[20:21], null, 0xfe5163ab, v18, 0
	v_cmp_lt_u32_e32 vcc_lo, 63, v19
	s_wait_alu 0xfffd
	v_cndmask_b32_e64 v26, 0, 0xffffffc0, vcc_lo
	s_delay_alu instid0(VALU_DEP_1) | instskip(NEXT) | instid1(VALU_DEP_1)
	v_dual_mov_b32 v0, v21 :: v_dual_add_nc_u32 v19, v26, v19
	v_mad_co_u64_u32 v[21:22], null, 0x3c439041, v18, v[0:1]
	s_delay_alu instid0(VALU_DEP_2) | instskip(NEXT) | instid1(VALU_DEP_2)
	v_cmp_lt_u32_e64 s1, 31, v19
	v_mov_b32_e32 v0, v22
	s_wait_alu 0xf1ff
	s_delay_alu instid0(VALU_DEP_2) | instskip(NEXT) | instid1(VALU_DEP_2)
	v_cndmask_b32_e64 v27, 0, 0xffffffe0, s1
	v_mad_co_u64_u32 v[22:23], null, 0xdb629599, v18, v[0:1]
	s_delay_alu instid0(VALU_DEP_1) | instskip(NEXT) | instid1(VALU_DEP_2)
	v_mov_b32_e32 v0, v23
	v_cndmask_b32_e32 v20, v22, v20, vcc_lo
	s_delay_alu instid0(VALU_DEP_2) | instskip(NEXT) | instid1(VALU_DEP_1)
	v_mad_co_u64_u32 v[23:24], null, 0xf534ddc0, v18, v[0:1]
	v_dual_mov_b32 v0, v24 :: v_dual_cndmask_b32 v21, v23, v21
	s_delay_alu instid0(VALU_DEP_1) | instskip(NEXT) | instid1(VALU_DEP_1)
	v_mad_co_u64_u32 v[24:25], null, 0xfc2757d1, v18, v[0:1]
	v_mov_b32_e32 v0, v25
	s_delay_alu instid0(VALU_DEP_1) | instskip(NEXT) | instid1(VALU_DEP_1)
	v_mad_co_u64_u32 v[25:26], null, 0x4e441529, v18, v[0:1]
	v_mov_b32_e32 v0, v26
	v_add_nc_u32_e32 v26, v27, v19
	s_delay_alu instid0(VALU_DEP_3) | instskip(NEXT) | instid1(VALU_DEP_3)
	v_cndmask_b32_e32 v27, v25, v23, vcc_lo
	v_mad_co_u64_u32 v[18:19], null, 0xa2f9836e, v18, v[0:1]
	s_delay_alu instid0(VALU_DEP_3) | instskip(SKIP_1) | instid1(VALU_DEP_1)
	v_cmp_lt_u32_e64 s2, 31, v26
	s_wait_alu 0xf1ff
	v_cndmask_b32_e64 v0, 0, 0xffffffe0, s2
	s_delay_alu instid0(VALU_DEP_3) | instskip(SKIP_1) | instid1(VALU_DEP_3)
	v_dual_cndmask_b32 v18, v18, v24 :: v_dual_cndmask_b32 v19, v19, v25
	v_cndmask_b32_e32 v24, v24, v22, vcc_lo
	v_add_nc_u32_e32 v0, v0, v26
	s_delay_alu instid0(VALU_DEP_3) | instskip(NEXT) | instid1(VALU_DEP_4)
	v_cndmask_b32_e64 v23, v18, v27, s1
	v_cndmask_b32_e64 v18, v19, v18, s1
	s_delay_alu instid0(VALU_DEP_4)
	v_cndmask_b32_e64 v19, v27, v24, s1
	v_cndmask_b32_e64 v24, v24, v21, s1
	v_sub_nc_u32_e32 v25, 32, v0
	v_cmp_eq_u32_e32 vcc_lo, 0, v0
	v_cndmask_b32_e64 v18, v18, v23, s2
	v_cndmask_b32_e64 v23, v23, v19, s2
	;; [unrolled: 1-line block ×3, first 2 shown]
	s_delay_alu instid0(VALU_DEP_2) | instskip(NEXT) | instid1(VALU_DEP_2)
	v_alignbit_b32 v26, v18, v23, v25
	v_alignbit_b32 v22, v23, v19, v25
	s_wait_alu 0xfffd
	s_delay_alu instid0(VALU_DEP_2) | instskip(SKIP_1) | instid1(VALU_DEP_3)
	v_cndmask_b32_e32 v0, v26, v18, vcc_lo
	v_cndmask_b32_e64 v18, v21, v20, s1
	v_cndmask_b32_e32 v20, v22, v23, vcc_lo
	s_delay_alu instid0(VALU_DEP_3) | instskip(NEXT) | instid1(VALU_DEP_3)
	v_bfe_u32 v21, v0, 29, 1
	v_cndmask_b32_e64 v18, v24, v18, s2
	s_delay_alu instid0(VALU_DEP_3) | instskip(NEXT) | instid1(VALU_DEP_3)
	v_alignbit_b32 v22, v0, v20, 30
	v_sub_nc_u32_e32 v23, 0, v21
	s_delay_alu instid0(VALU_DEP_3) | instskip(NEXT) | instid1(VALU_DEP_2)
	v_alignbit_b32 v24, v19, v18, v25
	v_xor_b32_e32 v22, v22, v23
	s_delay_alu instid0(VALU_DEP_2) | instskip(NEXT) | instid1(VALU_DEP_2)
	v_cndmask_b32_e32 v19, v24, v19, vcc_lo
	v_clz_i32_u32_e32 v24, v22
	s_delay_alu instid0(VALU_DEP_2) | instskip(SKIP_1) | instid1(VALU_DEP_3)
	v_alignbit_b32 v20, v20, v19, 30
	v_alignbit_b32 v18, v19, v18, 30
	v_min_u32_e32 v24, 32, v24
	s_delay_alu instid0(VALU_DEP_3) | instskip(NEXT) | instid1(VALU_DEP_3)
	v_xor_b32_e32 v19, v20, v23
	v_xor_b32_e32 v18, v18, v23
	s_delay_alu instid0(VALU_DEP_3) | instskip(SKIP_2) | instid1(VALU_DEP_3)
	v_sub_nc_u32_e32 v20, 31, v24
	v_lshlrev_b32_e32 v25, 23, v24
	v_lshrrev_b32_e32 v23, 29, v0
	v_alignbit_b32 v22, v22, v19, v20
	v_alignbit_b32 v18, v19, v18, v20
	s_delay_alu instid0(VALU_DEP_3) | instskip(NEXT) | instid1(VALU_DEP_2)
	v_lshlrev_b32_e32 v19, 31, v23
	v_alignbit_b32 v20, v22, v18, 9
	s_delay_alu instid0(VALU_DEP_2) | instskip(SKIP_2) | instid1(VALU_DEP_4)
	v_or_b32_e32 v23, 0.5, v19
	v_lshrrev_b32_e32 v22, 9, v22
	v_or_b32_e32 v19, 0x33000000, v19
	v_clz_i32_u32_e32 v26, v20
	s_delay_alu instid0(VALU_DEP_4) | instskip(NEXT) | instid1(VALU_DEP_2)
	v_sub_nc_u32_e32 v23, v23, v25
	v_min_u32_e32 v25, 32, v26
	s_delay_alu instid0(VALU_DEP_2) | instskip(NEXT) | instid1(VALU_DEP_2)
	v_or_b32_e32 v22, v22, v23
	v_not_b32_e32 v23, v25
	s_delay_alu instid0(VALU_DEP_2) | instskip(SKIP_1) | instid1(VALU_DEP_3)
	v_mul_f32_e32 v26, 0x3fc90fda, v22
	v_add_lshl_u32 v24, v25, v24, 23
	v_alignbit_b32 v18, v20, v18, v23
	s_delay_alu instid0(VALU_DEP_3) | instskip(NEXT) | instid1(VALU_DEP_3)
	v_fma_f32 v20, 0x3fc90fda, v22, -v26
	v_sub_nc_u32_e32 v19, v19, v24
	s_delay_alu instid0(VALU_DEP_3) | instskip(NEXT) | instid1(VALU_DEP_3)
	v_lshrrev_b32_e32 v18, 9, v18
	v_fmac_f32_e32 v20, 0x33a22168, v22
	s_delay_alu instid0(VALU_DEP_2) | instskip(NEXT) | instid1(VALU_DEP_1)
	v_or_b32_e32 v18, v19, v18
	v_fmac_f32_e32 v20, 0x3fc90fda, v18
	v_lshrrev_b32_e32 v18, 30, v0
	s_delay_alu instid0(VALU_DEP_2) | instskip(NEXT) | instid1(VALU_DEP_2)
	v_add_f32_e32 v0, v26, v20
	v_add_nc_u32_e32 v20, v21, v18
                                        ; implicit-def: $vgpr21
	s_and_not1_saveexec_b32 s1, s38
	s_cbranch_execnz .LBB348_51
	s_branch .LBB348_52
.LBB348_50:                             ;   in Loop: Header=BB348_13 Depth=3
	s_and_not1_saveexec_b32 s1, s38
.LBB348_51:                             ;   in Loop: Header=BB348_13 Depth=3
	v_fma_f32 v0, 0xbfc90fda, v21, |v5|
	v_cvt_i32_f32_e32 v20, v21
	s_delay_alu instid0(VALU_DEP_2) | instskip(NEXT) | instid1(VALU_DEP_1)
	v_fmac_f32_e32 v0, 0xb3a22168, v21
	v_fmac_f32_e32 v0, 0xa7c234c4, v21
.LBB348_52:                             ;   in Loop: Header=BB348_13 Depth=3
	s_wait_alu 0xfffe
	s_or_b32 exec_lo, exec_lo, s1
	v_dual_mul_f32 v18, v6, v6 :: v_dual_lshlrev_b32 v19, 30, v7
	v_mul_f32_e32 v21, v13, v13
	v_xor_b32_e32 v4, v4, v12
	v_xor_b32_e32 v14, v14, v5
	s_delay_alu instid0(VALU_DEP_4) | instskip(NEXT) | instid1(VALU_DEP_4)
	v_fmaak_f32 v22, s24, v18, 0x3c0881c4
	v_dual_fmaak_f32 v23, s23, v18, 0xbab64f3b :: v_dual_fmaak_f32 v24, s23, v21, 0xbab64f3b
	v_dual_fmaak_f32 v12, s24, v21, 0x3c0881c4 :: v_dual_and_b32 v7, 1, v7
	s_delay_alu instid0(VALU_DEP_3) | instskip(NEXT) | instid1(VALU_DEP_3)
	v_dual_fmaak_f32 v22, v18, v22, 0xbe2aaa9d :: v_dual_and_b32 v25, 1, v15
	v_dual_fmaak_f32 v23, v18, v23, 0x3d2aabf7 :: v_dual_fmaak_f32 v24, v21, v24, 0x3d2aabf7
	s_delay_alu instid0(VALU_DEP_3) | instskip(NEXT) | instid1(VALU_DEP_3)
	v_dual_fmaak_f32 v12, v21, v12, 0xbe2aaa9d :: v_dual_lshlrev_b32 v15, 30, v15
	v_dual_mul_f32 v22, v18, v22 :: v_dual_and_b32 v19, 0x80000000, v19
	s_delay_alu instid0(VALU_DEP_2) | instskip(SKIP_1) | instid1(VALU_DEP_3)
	v_dual_fmaak_f32 v23, v18, v23, 0xbf000004 :: v_dual_mul_f32 v12, v21, v12
	v_cmp_eq_u32_e32 vcc_lo, 0, v7
	v_fmac_f32_e32 v6, v6, v22
	v_cmp_class_f32_e64 s1, v5, 0x1f8
	s_delay_alu instid0(VALU_DEP_4)
	v_fma_f32 v18, v18, v23, 1.0
	v_fmac_f32_e32 v13, v13, v12
	v_mul_f32_e32 v7, v16, v16
	v_fmaak_f32 v24, v21, v24, 0xbf000004
	v_lshlrev_b32_e32 v22, 30, v17
	s_wait_alu 0xfffd
	v_cndmask_b32_e32 v6, v18, v6, vcc_lo
	v_mul_f32_e32 v18, v0, v0
	v_cmp_eq_u32_e32 vcc_lo, 0, v25
	v_fma_f32 v12, v21, v24, 1.0
	s_delay_alu instid0(VALU_DEP_4) | instskip(SKIP_2) | instid1(VALU_DEP_3)
	v_xor3_b32 v4, v4, v19, v6
	v_and_b32_e32 v17, 1, v17
	s_wait_alu 0xfffd
	v_cndmask_b32_e64 v12, -v13, v12, vcc_lo
	v_fmaak_f32 v13, s24, v7, 0x3c0881c4
	v_fmaak_f32 v19, s24, v18, 0x3c0881c4
	v_cmp_eq_u32_e32 vcc_lo, 0, v17
	s_delay_alu instid0(VALU_DEP_2) | instskip(NEXT) | instid1(VALU_DEP_1)
	v_fmaak_f32 v19, v18, v19, 0xbe2aaa9d
	v_dual_mul_f32 v19, v18, v19 :: v_dual_and_b32 v22, 0x80000000, v22
	s_delay_alu instid0(VALU_DEP_1) | instskip(NEXT) | instid1(VALU_DEP_1)
	v_dual_fmaak_f32 v13, v7, v13, 0xbe2aaa9d :: v_dual_fmac_f32 v0, v0, v19
	v_mul_f32_e32 v13, v7, v13
	s_delay_alu instid0(VALU_DEP_1) | instskip(NEXT) | instid1(VALU_DEP_1)
	v_dual_fmaak_f32 v21, s23, v18, 0xbab64f3b :: v_dual_fmac_f32 v16, v16, v13
	v_fmaak_f32 v21, v18, v21, 0x3d2aabf7
	v_and_b32_e32 v6, 0x80000000, v15
	v_fmaak_f32 v15, s23, v7, 0xbab64f3b
	s_delay_alu instid0(VALU_DEP_3) | instskip(NEXT) | instid1(VALU_DEP_1)
	v_fmaak_f32 v21, v18, v21, 0xbf000004
	v_fma_f32 v13, v18, v21, 1.0
	s_delay_alu instid0(VALU_DEP_3) | instskip(NEXT) | instid1(VALU_DEP_1)
	v_dual_fmaak_f32 v15, v7, v15, 0x3d2aabf7 :: v_dual_lshlrev_b32 v18, 30, v20
	v_fmaak_f32 v15, v7, v15, 0xbf000004
	s_delay_alu instid0(VALU_DEP_1) | instskip(SKIP_2) | instid1(VALU_DEP_2)
	v_fma_f32 v7, v7, v15, 1.0
	v_and_b32_e32 v15, 1, v20
	s_wait_alu 0xfffd
	v_cndmask_b32_e32 v7, v7, v16, vcc_lo
	s_delay_alu instid0(VALU_DEP_2) | instskip(SKIP_1) | instid1(VALU_DEP_3)
	v_cmp_eq_u32_e32 vcc_lo, 0, v15
	v_xor_b32_e32 v6, v6, v12
	v_xor3_b32 v7, v14, v22, v7
	s_wait_alu 0xfffd
	v_cndmask_b32_e64 v0, -v0, v13, vcc_lo
	v_and_b32_e32 v13, 0x80000000, v18
	v_cmp_class_f32_e64 vcc_lo, v11, 0x1f8
	s_delay_alu instid0(VALU_DEP_2)
	v_xor_b32_e32 v0, v13, v0
	s_wait_alu 0xfffd
	v_cndmask_b32_e32 v5, 0x7fc00000, v6, vcc_lo
	v_cndmask_b32_e32 v4, 0x7fc00000, v4, vcc_lo
	s_wait_alu 0xf1ff
	v_cndmask_b32_e64 v6, 0x7fc00000, v7, s1
	v_cndmask_b32_e64 v0, 0x7fc00000, v0, s1
	v_mul_f32_e32 v7, 0x7f800000, v5
	v_cmp_neq_f32_e32 vcc_lo, 0, v5
	s_delay_alu instid0(VALU_DEP_3) | instskip(SKIP_1) | instid1(VALU_DEP_3)
	v_dual_mul_f32 v12, 0x7f800000, v6 :: v_dual_mul_f32 v11, 0x7f800000, v0
	s_wait_alu 0xfffd
	v_cndmask_b32_e32 v5, 0, v7, vcc_lo
	v_cmp_neq_f32_e32 vcc_lo, 0, v0
	s_wait_alu 0xfffd
	v_dual_mul_f32 v7, 0x7f800000, v4 :: v_dual_cndmask_b32 v0, 0, v11
	v_cmp_neq_f32_e32 vcc_lo, 0, v4
	s_wait_alu 0xfffd
	s_delay_alu instid0(VALU_DEP_2) | instskip(SKIP_2) | instid1(VALU_DEP_2)
	v_dual_add_f32 v5, v5, v0 :: v_dual_cndmask_b32 v4, 0, v7
	v_cmp_neq_f32_e32 vcc_lo, 0, v6
	s_wait_alu 0xfffd
	v_dual_add_f32 v13, -1.0, v5 :: v_dual_cndmask_b32 v6, 0, v12
	s_delay_alu instid0(VALU_DEP_1) | instskip(NEXT) | instid1(VALU_DEP_1)
	v_add_f32_e32 v0, v4, v6
	v_max_num_f32_e64 v6, |v13|, |v0|
	s_delay_alu instid0(VALU_DEP_1) | instskip(SKIP_1) | instid1(VALU_DEP_2)
	v_cvt_f64_f32_e32 v[4:5], v6
	v_cmp_eq_f32_e32 vcc_lo, 0x7f800000, v6
	v_frexp_exp_i32_f64_e32 v4, v[4:5]
	s_delay_alu instid0(VALU_DEP_1) | instskip(NEXT) | instid1(VALU_DEP_1)
	v_sub_nc_u32_e32 v5, 0, v4
	v_ldexp_f32 v7, |v0|, v5
	v_ldexp_f32 v5, |v13|, v5
	s_delay_alu instid0(VALU_DEP_2) | instskip(NEXT) | instid1(VALU_DEP_1)
	v_mul_f32_e32 v7, v7, v7
	v_fmac_f32_e32 v7, v5, v5
	s_delay_alu instid0(VALU_DEP_1) | instskip(NEXT) | instid1(TRANS32_DEP_1)
	v_sqrt_f32_e32 v5, v7
	v_ldexp_f32 v5, v5, v4
	v_add_f32_e32 v4, 1.0, v13
	s_delay_alu instid0(VALU_DEP_2) | instskip(NEXT) | instid1(VALU_DEP_2)
	v_cmp_ngt_f32_e64 s1, 0.5, v5
	v_max_num_f32_e64 v5, |v4|, |v0|
	s_or_b32 s1, vcc_lo, s1
	s_wait_alu 0xfffe
	s_and_saveexec_b32 s2, s1
	s_wait_alu 0xfffe
	s_xor_b32 s2, exec_lo, s2
	s_cbranch_execz .LBB348_54
; %bb.53:                               ;   in Loop: Header=BB348_13 Depth=3
	v_cvt_f64_f32_e32 v[6:7], v5
	v_cmp_neq_f32_e32 vcc_lo, 0x7f800000, v5
	s_delay_alu instid0(VALU_DEP_2) | instskip(NEXT) | instid1(VALU_DEP_1)
	v_frexp_exp_i32_f64_e32 v6, v[6:7]
	v_sub_nc_u32_e32 v7, 0, v6
	s_delay_alu instid0(VALU_DEP_1) | instskip(SKIP_1) | instid1(VALU_DEP_2)
	v_ldexp_f32 v11, |v0|, v7
	v_ldexp_f32 v7, |v4|, v7
	v_mul_f32_e32 v11, v11, v11
	s_delay_alu instid0(VALU_DEP_1) | instskip(NEXT) | instid1(VALU_DEP_1)
	v_fmac_f32_e32 v11, v7, v7
	v_sqrt_f32_e32 v7, v11
	s_delay_alu instid0(TRANS32_DEP_1) | instskip(SKIP_1) | instid1(VALU_DEP_1)
	v_ldexp_f32 v6, v7, v6
	s_wait_alu 0xfffd
	v_cndmask_b32_e32 v6, 0x7f800000, v6, vcc_lo
	s_delay_alu instid0(VALU_DEP_1) | instskip(SKIP_2) | instid1(VALU_DEP_1)
	v_cmp_gt_f32_e32 vcc_lo, 0x800000, v6
	s_wait_alu 0xfffd
	v_cndmask_b32_e64 v7, 0, 32, vcc_lo
	v_ldexp_f32 v6, v6, v7
	s_delay_alu instid0(VALU_DEP_1) | instskip(NEXT) | instid1(TRANS32_DEP_1)
	v_log_f32_e32 v6, v6
	v_mul_f32_e32 v7, 0x3f317217, v6
	v_cmp_gt_f32_e64 s1, 0x7f800000, |v6|
	s_delay_alu instid0(VALU_DEP_2) | instskip(NEXT) | instid1(VALU_DEP_1)
	v_fma_f32 v7, 0x3f317217, v6, -v7
	v_fmac_f32_e32 v7, 0x3377d1cf, v6
	s_delay_alu instid0(VALU_DEP_1) | instskip(SKIP_1) | instid1(VALU_DEP_1)
	v_fmac_f32_e32 v7, 0x3f317217, v6
	s_wait_alu 0xf1ff
	v_cndmask_b32_e64 v6, v6, v7, s1
	v_cndmask_b32_e64 v7, 0, 0x41b17218, vcc_lo
	s_delay_alu instid0(VALU_DEP_1)
	v_sub_f32_e32 v13, v6, v7
.LBB348_54:                             ;   in Loop: Header=BB348_13 Depth=3
	s_wait_alu 0xfffe
	s_and_not1_saveexec_b32 s1, s2
	s_cbranch_execz .LBB348_9
; %bb.55:                               ;   in Loop: Header=BB348_13 Depth=3
	s_delay_alu instid0(VALU_DEP_1) | instskip(SKIP_1) | instid1(VALU_DEP_1)
	v_add_f32_e32 v6, 2.0, v13
	s_mov_b32 s2, exec_lo
	v_mul_f32_e32 v6, v13, v6
	s_delay_alu instid0(VALU_DEP_1) | instskip(NEXT) | instid1(VALU_DEP_1)
	v_fmac_f32_e32 v6, v0, v0
	v_cmpx_neq_f32_e32 0, v6
	s_cbranch_execz .LBB348_8
; %bb.56:                               ;   in Loop: Header=BB348_13 Depth=3
	v_add_f32_e32 v7, 1.0, v6
	s_delay_alu instid0(VALU_DEP_1) | instskip(NEXT) | instid1(VALU_DEP_1)
	v_cvt_f64_f32_e32 v[11:12], v7
	v_frexp_exp_i32_f64_e32 v11, v[11:12]
	v_frexp_mant_f32_e32 v12, v7
	s_delay_alu instid0(VALU_DEP_1) | instskip(SKIP_1) | instid1(VALU_DEP_1)
	v_cmp_gt_f32_e32 vcc_lo, 0x3f2aaaab, v12
	v_add_f32_e32 v12, -1.0, v7
	v_sub_f32_e32 v14, v12, v7
	v_sub_f32_e32 v12, v6, v12
	s_wait_alu 0xfffd
	v_subrev_co_ci_u32_e64 v11, null, 0, v11, vcc_lo
	v_cmp_neq_f32_e32 vcc_lo, 0x7f800000, v6
	s_delay_alu instid0(VALU_DEP_2) | instskip(SKIP_1) | instid1(VALU_DEP_2)
	v_sub_nc_u32_e32 v13, 0, v11
	v_cvt_f32_i32_e32 v11, v11
	v_ldexp_f32 v7, v7, v13
	s_delay_alu instid0(VALU_DEP_1) | instskip(NEXT) | instid1(VALU_DEP_1)
	v_dual_add_f32 v14, 1.0, v14 :: v_dual_add_f32 v15, 1.0, v7
	v_add_f32_e32 v12, v12, v14
	s_delay_alu instid0(VALU_DEP_2) | instskip(NEXT) | instid1(VALU_DEP_2)
	v_add_f32_e32 v14, -1.0, v15
	v_ldexp_f32 v12, v12, v13
	s_delay_alu instid0(VALU_DEP_2) | instskip(NEXT) | instid1(VALU_DEP_1)
	v_dual_add_f32 v13, -1.0, v7 :: v_dual_sub_f32 v14, v7, v14
	v_add_f32_e32 v16, 1.0, v13
	s_delay_alu instid0(VALU_DEP_1) | instskip(NEXT) | instid1(VALU_DEP_1)
	v_sub_f32_e32 v7, v7, v16
	v_add_f32_e32 v7, v12, v7
	s_delay_alu instid0(VALU_DEP_1) | instskip(NEXT) | instid1(VALU_DEP_1)
	v_dual_add_f32 v17, v13, v7 :: v_dual_add_f32 v14, v12, v14
	v_dual_sub_f32 v13, v17, v13 :: v_dual_add_f32 v16, v15, v14
	s_delay_alu instid0(VALU_DEP_1) | instskip(NEXT) | instid1(VALU_DEP_2)
	v_sub_f32_e32 v7, v7, v13
	v_rcp_f32_e32 v12, v16
	v_sub_f32_e32 v15, v16, v15
	s_delay_alu instid0(VALU_DEP_1) | instskip(NEXT) | instid1(TRANS32_DEP_1)
	v_sub_f32_e32 v14, v14, v15
	v_mul_f32_e32 v18, v17, v12
	s_delay_alu instid0(VALU_DEP_1) | instskip(NEXT) | instid1(VALU_DEP_1)
	v_mul_f32_e32 v19, v16, v18
	v_fma_f32 v15, v18, v16, -v19
	s_delay_alu instid0(VALU_DEP_1) | instskip(NEXT) | instid1(VALU_DEP_1)
	v_fmac_f32_e32 v15, v18, v14
	v_add_f32_e32 v20, v19, v15
	s_delay_alu instid0(VALU_DEP_1) | instskip(SKIP_1) | instid1(VALU_DEP_2)
	v_sub_f32_e32 v21, v17, v20
	v_sub_f32_e32 v13, v20, v19
	;; [unrolled: 1-line block ×3, first 2 shown]
	s_delay_alu instid0(VALU_DEP_2) | instskip(NEXT) | instid1(VALU_DEP_2)
	v_sub_f32_e32 v13, v13, v15
	v_sub_f32_e32 v17, v17, v20
	s_delay_alu instid0(VALU_DEP_1) | instskip(NEXT) | instid1(VALU_DEP_1)
	v_add_f32_e32 v7, v7, v17
	v_add_f32_e32 v7, v13, v7
	s_delay_alu instid0(VALU_DEP_1) | instskip(NEXT) | instid1(VALU_DEP_1)
	v_add_f32_e32 v13, v21, v7
	v_mul_f32_e32 v15, v12, v13
	s_delay_alu instid0(VALU_DEP_1) | instskip(NEXT) | instid1(VALU_DEP_1)
	v_dual_sub_f32 v20, v21, v13 :: v_dual_mul_f32 v17, v16, v15
	v_add_f32_e32 v7, v7, v20
	s_delay_alu instid0(VALU_DEP_2) | instskip(NEXT) | instid1(VALU_DEP_1)
	v_fma_f32 v16, v15, v16, -v17
	v_fmac_f32_e32 v16, v15, v14
	s_delay_alu instid0(VALU_DEP_1) | instskip(NEXT) | instid1(VALU_DEP_1)
	v_add_f32_e32 v14, v17, v16
	v_sub_f32_e32 v19, v13, v14
	s_delay_alu instid0(VALU_DEP_1) | instskip(NEXT) | instid1(VALU_DEP_1)
	v_sub_f32_e32 v13, v13, v19
	v_sub_f32_e32 v13, v13, v14
	s_delay_alu instid0(VALU_DEP_1) | instskip(SKIP_2) | instid1(VALU_DEP_1)
	v_add_f32_e32 v7, v7, v13
	v_add_f32_e32 v13, v18, v15
	v_sub_f32_e32 v17, v14, v17
	v_sub_f32_e32 v14, v17, v16
	s_delay_alu instid0(VALU_DEP_1) | instskip(NEXT) | instid1(VALU_DEP_1)
	v_dual_add_f32 v7, v14, v7 :: v_dual_sub_f32 v14, v13, v18
	v_add_f32_e32 v7, v19, v7
	s_delay_alu instid0(VALU_DEP_1) | instskip(NEXT) | instid1(VALU_DEP_1)
	v_dual_sub_f32 v14, v15, v14 :: v_dual_mul_f32 v7, v12, v7
	v_add_f32_e32 v7, v14, v7
	s_delay_alu instid0(VALU_DEP_1) | instskip(NEXT) | instid1(VALU_DEP_1)
	v_add_f32_e32 v12, v13, v7
	v_mul_f32_e32 v14, v12, v12
	s_delay_alu instid0(VALU_DEP_1) | instskip(SKIP_1) | instid1(VALU_DEP_2)
	v_fmaak_f32 v15, s28, v14, 0x3ecc95a3
	v_mul_f32_e32 v16, v12, v14
	v_fmaak_f32 v14, v14, v15, 0x3f2aaada
	v_ldexp_f32 v15, v12, 1
	v_sub_f32_e32 v12, v12, v13
	s_delay_alu instid0(VALU_DEP_3) | instskip(NEXT) | instid1(VALU_DEP_2)
	v_mul_f32_e32 v14, v16, v14
	v_dual_mul_f32 v16, 0x3f317218, v11 :: v_dual_sub_f32 v7, v7, v12
	s_delay_alu instid0(VALU_DEP_2) | instskip(NEXT) | instid1(VALU_DEP_2)
	v_add_f32_e32 v13, v15, v14
	v_ldexp_f32 v7, v7, 1
	s_delay_alu instid0(VALU_DEP_2) | instskip(NEXT) | instid1(VALU_DEP_4)
	v_sub_f32_e32 v12, v13, v15
	v_fma_f32 v15, 0x3f317218, v11, -v16
	s_delay_alu instid0(VALU_DEP_1) | instskip(NEXT) | instid1(VALU_DEP_1)
	v_dual_sub_f32 v12, v14, v12 :: v_dual_fmac_f32 v15, 0xb102e308, v11
	v_add_f32_e32 v7, v7, v12
	s_delay_alu instid0(VALU_DEP_2) | instskip(NEXT) | instid1(VALU_DEP_2)
	v_add_f32_e32 v11, v16, v15
	v_add_f32_e32 v12, v13, v7
	s_delay_alu instid0(VALU_DEP_2) | instskip(NEXT) | instid1(VALU_DEP_2)
	v_sub_f32_e32 v16, v11, v16
	v_dual_add_f32 v14, v11, v12 :: v_dual_sub_f32 v13, v12, v13
	s_delay_alu instid0(VALU_DEP_2) | instskip(NEXT) | instid1(VALU_DEP_2)
	v_sub_f32_e32 v15, v15, v16
	v_sub_f32_e32 v17, v14, v11
	s_delay_alu instid0(VALU_DEP_3) | instskip(NEXT) | instid1(VALU_DEP_2)
	v_sub_f32_e32 v7, v7, v13
	v_sub_f32_e32 v18, v14, v17
	s_delay_alu instid0(VALU_DEP_2) | instskip(NEXT) | instid1(VALU_DEP_2)
	v_dual_sub_f32 v12, v12, v17 :: v_dual_add_f32 v13, v15, v7
	v_sub_f32_e32 v11, v11, v18
	s_delay_alu instid0(VALU_DEP_1) | instskip(NEXT) | instid1(VALU_DEP_3)
	v_add_f32_e32 v11, v12, v11
	v_sub_f32_e32 v12, v13, v15
	s_delay_alu instid0(VALU_DEP_2) | instskip(NEXT) | instid1(VALU_DEP_2)
	v_add_f32_e32 v11, v13, v11
	v_sub_f32_e32 v13, v13, v12
	s_delay_alu instid0(VALU_DEP_2) | instskip(NEXT) | instid1(VALU_DEP_1)
	v_dual_sub_f32 v7, v7, v12 :: v_dual_add_f32 v16, v14, v11
	v_dual_sub_f32 v13, v15, v13 :: v_dual_sub_f32 v12, v16, v14
	s_delay_alu instid0(VALU_DEP_1) | instskip(NEXT) | instid1(VALU_DEP_2)
	v_add_f32_e32 v7, v7, v13
	v_sub_f32_e32 v11, v11, v12
	s_delay_alu instid0(VALU_DEP_1) | instskip(NEXT) | instid1(VALU_DEP_1)
	v_add_f32_e32 v7, v7, v11
	v_add_f32_e32 v7, v16, v7
	s_wait_alu 0xfffd
	s_delay_alu instid0(VALU_DEP_1) | instskip(SKIP_2) | instid1(VALU_DEP_2)
	v_cndmask_b32_e32 v7, 0x7f800000, v7, vcc_lo
	v_cmp_ngt_f32_e32 vcc_lo, -1.0, v6
	s_wait_alu 0xfffd
	v_cndmask_b32_e32 v7, 0x7fc00000, v7, vcc_lo
	v_cmp_neq_f32_e32 vcc_lo, -1.0, v6
	s_wait_alu 0xfffd
	s_delay_alu instid0(VALU_DEP_2) | instskip(SKIP_2) | instid1(VALU_DEP_2)
	v_cndmask_b32_e32 v7, 0xff800000, v7, vcc_lo
	v_cmp_gt_f32_e64 vcc_lo, 0x33800000, |v6|
	s_wait_alu 0xfffd
	v_cndmask_b32_e32 v6, v7, v6, vcc_lo
	s_delay_alu instid0(VALU_DEP_1)
	v_mul_f32_e32 v13, 0.5, v6
	s_branch .LBB348_8
.LBB348_57:
	s_endpgm
	.section	.rodata,"a",@progbits
	.p2align	6, 0x0
	.amdhsa_kernel _ZN2at6native28tensor_kernel_scan_outer_dimIN3c107complexIfEEjZZZNS0_31launch_logcumsumexp_cuda_kernelERKNS_10TensorBaseES7_lENKUlvE_clEvENKUlvE2_clEvEUlS4_S4_E_EEvPT_PKSB_jjjSB_T1_
		.amdhsa_group_segment_fixed_size 0
		.amdhsa_private_segment_fixed_size 0
		.amdhsa_kernarg_size 304
		.amdhsa_user_sgpr_count 2
		.amdhsa_user_sgpr_dispatch_ptr 0
		.amdhsa_user_sgpr_queue_ptr 0
		.amdhsa_user_sgpr_kernarg_segment_ptr 1
		.amdhsa_user_sgpr_dispatch_id 0
		.amdhsa_user_sgpr_private_segment_size 0
		.amdhsa_wavefront_size32 1
		.amdhsa_uses_dynamic_stack 0
		.amdhsa_enable_private_segment 0
		.amdhsa_system_sgpr_workgroup_id_x 1
		.amdhsa_system_sgpr_workgroup_id_y 1
		.amdhsa_system_sgpr_workgroup_id_z 0
		.amdhsa_system_sgpr_workgroup_info 0
		.amdhsa_system_vgpr_workitem_id 0
		.amdhsa_next_free_vgpr 28
		.amdhsa_next_free_sgpr 40
		.amdhsa_reserve_vcc 1
		.amdhsa_float_round_mode_32 0
		.amdhsa_float_round_mode_16_64 0
		.amdhsa_float_denorm_mode_32 3
		.amdhsa_float_denorm_mode_16_64 3
		.amdhsa_fp16_overflow 0
		.amdhsa_workgroup_processor_mode 1
		.amdhsa_memory_ordered 1
		.amdhsa_forward_progress 1
		.amdhsa_inst_pref_size 72
		.amdhsa_round_robin_scheduling 0
		.amdhsa_exception_fp_ieee_invalid_op 0
		.amdhsa_exception_fp_denorm_src 0
		.amdhsa_exception_fp_ieee_div_zero 0
		.amdhsa_exception_fp_ieee_overflow 0
		.amdhsa_exception_fp_ieee_underflow 0
		.amdhsa_exception_fp_ieee_inexact 0
		.amdhsa_exception_int_div_zero 0
	.end_amdhsa_kernel
	.section	.text._ZN2at6native28tensor_kernel_scan_outer_dimIN3c107complexIfEEjZZZNS0_31launch_logcumsumexp_cuda_kernelERKNS_10TensorBaseES7_lENKUlvE_clEvENKUlvE2_clEvEUlS4_S4_E_EEvPT_PKSB_jjjSB_T1_,"axG",@progbits,_ZN2at6native28tensor_kernel_scan_outer_dimIN3c107complexIfEEjZZZNS0_31launch_logcumsumexp_cuda_kernelERKNS_10TensorBaseES7_lENKUlvE_clEvENKUlvE2_clEvEUlS4_S4_E_EEvPT_PKSB_jjjSB_T1_,comdat
.Lfunc_end348:
	.size	_ZN2at6native28tensor_kernel_scan_outer_dimIN3c107complexIfEEjZZZNS0_31launch_logcumsumexp_cuda_kernelERKNS_10TensorBaseES7_lENKUlvE_clEvENKUlvE2_clEvEUlS4_S4_E_EEvPT_PKSB_jjjSB_T1_, .Lfunc_end348-_ZN2at6native28tensor_kernel_scan_outer_dimIN3c107complexIfEEjZZZNS0_31launch_logcumsumexp_cuda_kernelERKNS_10TensorBaseES7_lENKUlvE_clEvENKUlvE2_clEvEUlS4_S4_E_EEvPT_PKSB_jjjSB_T1_
                                        ; -- End function
	.set _ZN2at6native28tensor_kernel_scan_outer_dimIN3c107complexIfEEjZZZNS0_31launch_logcumsumexp_cuda_kernelERKNS_10TensorBaseES7_lENKUlvE_clEvENKUlvE2_clEvEUlS4_S4_E_EEvPT_PKSB_jjjSB_T1_.num_vgpr, 28
	.set _ZN2at6native28tensor_kernel_scan_outer_dimIN3c107complexIfEEjZZZNS0_31launch_logcumsumexp_cuda_kernelERKNS_10TensorBaseES7_lENKUlvE_clEvENKUlvE2_clEvEUlS4_S4_E_EEvPT_PKSB_jjjSB_T1_.num_agpr, 0
	.set _ZN2at6native28tensor_kernel_scan_outer_dimIN3c107complexIfEEjZZZNS0_31launch_logcumsumexp_cuda_kernelERKNS_10TensorBaseES7_lENKUlvE_clEvENKUlvE2_clEvEUlS4_S4_E_EEvPT_PKSB_jjjSB_T1_.numbered_sgpr, 40
	.set _ZN2at6native28tensor_kernel_scan_outer_dimIN3c107complexIfEEjZZZNS0_31launch_logcumsumexp_cuda_kernelERKNS_10TensorBaseES7_lENKUlvE_clEvENKUlvE2_clEvEUlS4_S4_E_EEvPT_PKSB_jjjSB_T1_.num_named_barrier, 0
	.set _ZN2at6native28tensor_kernel_scan_outer_dimIN3c107complexIfEEjZZZNS0_31launch_logcumsumexp_cuda_kernelERKNS_10TensorBaseES7_lENKUlvE_clEvENKUlvE2_clEvEUlS4_S4_E_EEvPT_PKSB_jjjSB_T1_.private_seg_size, 0
	.set _ZN2at6native28tensor_kernel_scan_outer_dimIN3c107complexIfEEjZZZNS0_31launch_logcumsumexp_cuda_kernelERKNS_10TensorBaseES7_lENKUlvE_clEvENKUlvE2_clEvEUlS4_S4_E_EEvPT_PKSB_jjjSB_T1_.uses_vcc, 1
	.set _ZN2at6native28tensor_kernel_scan_outer_dimIN3c107complexIfEEjZZZNS0_31launch_logcumsumexp_cuda_kernelERKNS_10TensorBaseES7_lENKUlvE_clEvENKUlvE2_clEvEUlS4_S4_E_EEvPT_PKSB_jjjSB_T1_.uses_flat_scratch, 0
	.set _ZN2at6native28tensor_kernel_scan_outer_dimIN3c107complexIfEEjZZZNS0_31launch_logcumsumexp_cuda_kernelERKNS_10TensorBaseES7_lENKUlvE_clEvENKUlvE2_clEvEUlS4_S4_E_EEvPT_PKSB_jjjSB_T1_.has_dyn_sized_stack, 0
	.set _ZN2at6native28tensor_kernel_scan_outer_dimIN3c107complexIfEEjZZZNS0_31launch_logcumsumexp_cuda_kernelERKNS_10TensorBaseES7_lENKUlvE_clEvENKUlvE2_clEvEUlS4_S4_E_EEvPT_PKSB_jjjSB_T1_.has_recursion, 0
	.set _ZN2at6native28tensor_kernel_scan_outer_dimIN3c107complexIfEEjZZZNS0_31launch_logcumsumexp_cuda_kernelERKNS_10TensorBaseES7_lENKUlvE_clEvENKUlvE2_clEvEUlS4_S4_E_EEvPT_PKSB_jjjSB_T1_.has_indirect_call, 0
	.section	.AMDGPU.csdata,"",@progbits
; Kernel info:
; codeLenInByte = 9160
; TotalNumSgprs: 42
; NumVgprs: 28
; ScratchSize: 0
; MemoryBound: 0
; FloatMode: 240
; IeeeMode: 1
; LDSByteSize: 0 bytes/workgroup (compile time only)
; SGPRBlocks: 0
; VGPRBlocks: 3
; NumSGPRsForWavesPerEU: 42
; NumVGPRsForWavesPerEU: 28
; Occupancy: 16
; WaveLimiterHint : 0
; COMPUTE_PGM_RSRC2:SCRATCH_EN: 0
; COMPUTE_PGM_RSRC2:USER_SGPR: 2
; COMPUTE_PGM_RSRC2:TRAP_HANDLER: 0
; COMPUTE_PGM_RSRC2:TGID_X_EN: 1
; COMPUTE_PGM_RSRC2:TGID_Y_EN: 1
; COMPUTE_PGM_RSRC2:TGID_Z_EN: 0
; COMPUTE_PGM_RSRC2:TIDIG_COMP_CNT: 0
	.section	.text._ZN2at6native28tensor_kernel_scan_outer_dimIN3c107complexIfEEmZZZNS0_31launch_logcumsumexp_cuda_kernelERKNS_10TensorBaseES7_lENKUlvE_clEvENKUlvE2_clEvEUlS4_S4_E_EEvPT_PKSB_jjjSB_T1_,"axG",@progbits,_ZN2at6native28tensor_kernel_scan_outer_dimIN3c107complexIfEEmZZZNS0_31launch_logcumsumexp_cuda_kernelERKNS_10TensorBaseES7_lENKUlvE_clEvENKUlvE2_clEvEUlS4_S4_E_EEvPT_PKSB_jjjSB_T1_,comdat
	.globl	_ZN2at6native28tensor_kernel_scan_outer_dimIN3c107complexIfEEmZZZNS0_31launch_logcumsumexp_cuda_kernelERKNS_10TensorBaseES7_lENKUlvE_clEvENKUlvE2_clEvEUlS4_S4_E_EEvPT_PKSB_jjjSB_T1_ ; -- Begin function _ZN2at6native28tensor_kernel_scan_outer_dimIN3c107complexIfEEmZZZNS0_31launch_logcumsumexp_cuda_kernelERKNS_10TensorBaseES7_lENKUlvE_clEvENKUlvE2_clEvEUlS4_S4_E_EEvPT_PKSB_jjjSB_T1_
	.p2align	8
	.type	_ZN2at6native28tensor_kernel_scan_outer_dimIN3c107complexIfEEmZZZNS0_31launch_logcumsumexp_cuda_kernelERKNS_10TensorBaseES7_lENKUlvE_clEvENKUlvE2_clEvEUlS4_S4_E_EEvPT_PKSB_jjjSB_T1_,@function
_ZN2at6native28tensor_kernel_scan_outer_dimIN3c107complexIfEEmZZZNS0_31launch_logcumsumexp_cuda_kernelERKNS_10TensorBaseES7_lENKUlvE_clEvENKUlvE2_clEvEUlS4_S4_E_EEvPT_PKSB_jjjSB_T1_: ; @_ZN2at6native28tensor_kernel_scan_outer_dimIN3c107complexIfEEmZZZNS0_31launch_logcumsumexp_cuda_kernelERKNS_10TensorBaseES7_lENKUlvE_clEvENKUlvE2_clEvEUlS4_S4_E_EEvPT_PKSB_jjjSB_T1_
; %bb.0:
	s_load_b96 s[8:10], s[0:1], 0x10
	s_wait_kmcnt 0x0
	s_cmp_ge_u32 ttmp9, s8
	s_cbranch_scc1 .LBB349_57
; %bb.1:
	s_clause 0x3
	s_load_b32 s2, s[0:1], 0x3c
	s_load_b32 s3, s[0:1], 0x30
	s_load_b128 s[4:7], s[0:1], 0x0
	s_load_b64 s[12:13], s[0:1], 0x20
	v_dual_mov_b32 v1, 0 :: v_dual_mov_b32 v8, 0x4016cbe4
	s_mov_b32 s17, 0
	s_add_nc_u64 s[14:15], s[0:1], 48
	s_mov_b32 s16, s10
	s_mov_b32 s0, s9
	;; [unrolled: 1-line block ×4, first 2 shown]
	s_mul_u64 s[18:19], s[16:17], s[0:1]
	s_mov_b32 s25, 0x37d75334
	s_mov_b32 s26, 0xb94c1982
	;; [unrolled: 1-line block ×4, first 2 shown]
	s_mov_b32 s16, ttmp9
	s_wait_kmcnt 0x0
	s_and_b32 s24, s2, 0xffff
	s_cmp_lg_u32 s10, 0
	v_mad_co_u64_u32 v[2:3], null, ttmp7, s24, v[0:1]
	s_cselect_b32 s27, -1, 0
	s_lshl_b64 s[20:21], s[0:1], 3
	s_lshl_b64 s[18:19], s[18:19], 3
	v_cmp_gt_u32_e64 s0, s9, v2
	s_branch .LBB349_3
.LBB349_2:                              ;   in Loop: Header=BB349_3 Depth=1
	s_wait_alu 0xfffe
	s_or_b32 exec_lo, exec_lo, s30
	s_add_co_i32 s16, s16, s3
	s_delay_alu instid0(SALU_CYCLE_1)
	s_cmp_ge_u32 s16, s8
	s_cbranch_scc1 .LBB349_57
.LBB349_3:                              ; =>This Loop Header: Depth=1
                                        ;     Child Loop BB349_6 Depth 2
                                        ;       Child Loop BB349_13 Depth 3
	s_delay_alu instid0(VALU_DEP_1)
	s_and_saveexec_b32 s30, s0
	s_cbranch_execz .LBB349_2
; %bb.4:                                ;   in Loop: Header=BB349_3 Depth=1
	s_load_b32 s31, s[14:15], 0x4
	v_mov_b32_e32 v3, v2
	s_mul_u64 s[22:23], s[18:19], s[16:17]
	s_mov_b32 s33, 0
	s_wait_kmcnt 0x0
	s_mul_i32 s31, s31, s24
	s_branch .LBB349_6
.LBB349_5:                              ;   in Loop: Header=BB349_6 Depth=2
	s_wait_alu 0xfffe
	v_add_nc_u32_e32 v3, s31, v3
	s_delay_alu instid0(VALU_DEP_1) | instskip(SKIP_1) | instid1(SALU_CYCLE_1)
	v_cmp_le_u32_e32 vcc_lo, s9, v3
	s_or_b32 s33, vcc_lo, s33
	s_and_not1_b32 exec_lo, exec_lo, s33
	s_cbranch_execz .LBB349_2
.LBB349_6:                              ;   Parent Loop BB349_3 Depth=1
                                        ; =>  This Loop Header: Depth=2
                                        ;       Child Loop BB349_13 Depth 3
	s_and_not1_b32 vcc_lo, exec_lo, s27
	s_wait_alu 0xfffe
	s_cbranch_vccnz .LBB349_5
; %bb.7:                                ;   in Loop: Header=BB349_6 Depth=2
	v_dual_mov_b32 v4, v1 :: v_dual_mov_b32 v7, s13
	v_mov_b32_e32 v6, s12
	s_mov_b32 s34, s10
	s_delay_alu instid0(VALU_DEP_2) | instskip(NEXT) | instid1(VALU_DEP_1)
	v_lshlrev_b64_e32 v[4:5], 3, v[3:4]
	v_add_co_u32 v9, vcc_lo, s22, v4
	s_wait_alu 0xfffd
	s_delay_alu instid0(VALU_DEP_2)
	v_add_co_ci_u32_e64 v10, null, s23, v5, vcc_lo
	s_branch .LBB349_13
.LBB349_8:                              ;   in Loop: Header=BB349_13 Depth=3
	s_wait_alu 0xfffe
	s_or_b32 exec_lo, exec_lo, s2
.LBB349_9:                              ;   in Loop: Header=BB349_13 Depth=3
	s_wait_alu 0xfffe
	s_or_b32 exec_lo, exec_lo, s1
	v_max_num_f32_e64 v6, |v0|, |v0|
	v_max_num_f32_e64 v7, |v4|, |v4|
	v_frexp_mant_f32_e32 v11, v5
	v_frexp_exp_i32_f32_e32 v5, v5
	v_cmp_gt_i32_e64 s1, 0, v4
	v_cmp_gt_f32_e64 vcc_lo, |v0|, |v4|
	v_min_num_f32_e32 v6, v7, v6
	v_rcp_f32_e32 v7, v11
	v_cmp_class_f32_e64 s2, v4, 0x204
	s_delay_alu instid0(VALU_DEP_2)
	v_frexp_mant_f32_e32 v11, v6
	v_frexp_exp_i32_f32_e32 v6, v6
	s_delay_alu instid0(TRANS32_DEP_1) | instid1(VALU_DEP_2)
	v_mul_f32_e32 v7, v11, v7
	s_delay_alu instid0(VALU_DEP_2) | instskip(SKIP_3) | instid1(VALU_DEP_3)
	v_sub_nc_u32_e32 v5, v6, v5
	s_wait_alu 0xf1ff
	v_cndmask_b32_e64 v11, 0, 0x40490fdb, s1
	v_cmp_class_f32_e64 s1, v0, 0x204
	v_ldexp_f32 v5, v7, v5
	s_delay_alu instid0(VALU_DEP_1) | instskip(NEXT) | instid1(VALU_DEP_1)
	v_mul_f32_e32 v6, v5, v5
	v_fmaak_f32 v7, s29, v6, 0xbc7a590c
	s_delay_alu instid0(VALU_DEP_1) | instskip(NEXT) | instid1(VALU_DEP_1)
	v_fmaak_f32 v7, v6, v7, 0x3d29fb3f
	v_fmaak_f32 v7, v6, v7, 0xbd97d4d7
	s_delay_alu instid0(VALU_DEP_1) | instskip(NEXT) | instid1(VALU_DEP_1)
	v_fmaak_f32 v7, v6, v7, 0x3dd931b2
	;; [unrolled: 3-line block ×3, first 2 shown]
	v_fmaak_f32 v7, v6, v7, 0xbeaaaa62
	s_delay_alu instid0(VALU_DEP_1) | instskip(NEXT) | instid1(VALU_DEP_1)
	v_mul_f32_e32 v6, v6, v7
	v_fmac_f32_e32 v5, v5, v6
	s_delay_alu instid0(VALU_DEP_1) | instskip(SKIP_1) | instid1(VALU_DEP_1)
	v_sub_f32_e32 v6, 0x3fc90fdb, v5
	s_wait_alu 0xfffd
	v_cndmask_b32_e32 v5, v5, v6, vcc_lo
	v_cmp_gt_f32_e32 vcc_lo, 0, v4
	s_wait_alu 0xfffd
	v_cndmask_b32_e32 v7, 0x3f490fdb, v8, vcc_lo
	s_delay_alu instid0(VALU_DEP_3) | instskip(NEXT) | instid1(VALU_DEP_1)
	v_sub_f32_e32 v6, 0x40490fdb, v5
	v_cndmask_b32_e32 v5, v5, v6, vcc_lo
	v_cmp_eq_f32_e32 vcc_lo, 0, v0
	s_wait_alu 0xfffd
	s_delay_alu instid0(VALU_DEP_2) | instskip(SKIP_2) | instid1(VALU_DEP_1)
	v_cndmask_b32_e32 v5, v5, v11, vcc_lo
	s_and_b32 vcc_lo, s1, s2
	s_wait_alu 0xfffe
	v_cndmask_b32_e32 v5, v5, v7, vcc_lo
	v_cmp_o_f32_e32 vcc_lo, v4, v0
	s_wait_alu 0xfffd
	s_delay_alu instid0(VALU_DEP_2) | instskip(NEXT) | instid1(VALU_DEP_1)
	v_cndmask_b32_e32 v4, 0x7fc00000, v5, vcc_lo
	v_bfi_b32 v11, 0x7fffffff, v4, v0
.LBB349_10:                             ;   in Loop: Header=BB349_13 Depth=3
	s_or_b32 exec_lo, exec_lo, s37
.LBB349_11:                             ;   in Loop: Header=BB349_13 Depth=3
	s_delay_alu instid0(SALU_CYCLE_1) | instskip(NEXT) | instid1(VALU_DEP_1)
	s_or_b32 exec_lo, exec_lo, s36
	v_dual_mov_b32 v6, v13 :: v_dual_mov_b32 v7, v11
.LBB349_12:                             ;   in Loop: Header=BB349_13 Depth=3
	s_or_b32 exec_lo, exec_lo, s35
	v_add_co_u32 v4, vcc_lo, s4, v9
	s_wait_alu 0xfffd
	v_add_co_ci_u32_e64 v5, null, s5, v10, vcc_lo
	v_add_co_u32 v9, vcc_lo, v9, s20
	s_wait_alu 0xfffd
	v_add_co_ci_u32_e64 v10, null, s21, v10, vcc_lo
	s_add_co_i32 s34, s34, -1
	global_store_b64 v[4:5], v[6:7], off
	s_cmp_eq_u32 s34, 0
	s_cbranch_scc1 .LBB349_5
.LBB349_13:                             ;   Parent Loop BB349_3 Depth=1
                                        ;     Parent Loop BB349_6 Depth=2
                                        ; =>    This Inner Loop Header: Depth=3
	s_delay_alu instid0(VALU_DEP_2) | instskip(SKIP_1) | instid1(VALU_DEP_2)
	v_add_co_u32 v4, vcc_lo, s6, v9
	s_wait_alu 0xfffd
	v_add_co_ci_u32_e64 v5, null, s7, v10, vcc_lo
	global_load_b64 v[4:5], v[4:5], off
	s_wait_loadcnt 0x0
	v_cmp_o_f32_e32 vcc_lo, v4, v5
	v_dual_mov_b32 v11, v5 :: v_dual_mov_b32 v12, v5
	v_mov_b32_e32 v13, v4
	s_and_saveexec_b32 s35, vcc_lo
; %bb.14:                               ;   in Loop: Header=BB349_13 Depth=3
	v_cmp_u_f32_e64 s1, v6, v7
	v_cmp_lt_f32_e64 s2, v6, v4
	s_or_b32 s1, s1, s2
	s_wait_alu 0xfffe
	v_cndmask_b32_e64 v11, v5, v7, s1
	v_cndmask_b32_e64 v13, v4, v6, s1
	s_delay_alu instid0(VALU_DEP_2)
	v_mov_b32_e32 v12, v11
; %bb.15:                               ;   in Loop: Header=BB349_13 Depth=3
	s_or_b32 exec_lo, exec_lo, s35
	s_and_saveexec_b32 s2, vcc_lo
; %bb.16:                               ;   in Loop: Header=BB349_13 Depth=3
	v_cmp_u_f32_e32 vcc_lo, v6, v7
	v_cmp_ge_f32_e64 s1, v6, v4
	s_or_b32 vcc_lo, vcc_lo, s1
	s_wait_alu 0xfffe
	v_dual_cndmask_b32 v5, v5, v7 :: v_dual_cndmask_b32 v4, v4, v6
; %bb.17:                               ;   in Loop: Header=BB349_13 Depth=3
	s_or_b32 exec_lo, exec_lo, s2
	v_dual_mov_b32 v6, 0x7fc00000 :: v_dual_mov_b32 v7, 0x7fc00000
	s_mov_b32 s35, exec_lo
	v_cmpx_o_f32_e32 v13, v11
	s_cbranch_execz .LBB349_12
; %bb.18:                               ;   in Loop: Header=BB349_13 Depth=3
	v_cmp_class_f32_e64 s1, v13, 0x1f8
	v_cmp_neq_f32_e32 vcc_lo, v4, v13
	s_or_b32 s1, s1, vcc_lo
	s_wait_alu 0xfffe
	s_and_saveexec_b32 s2, s1
	s_wait_alu 0xfffe
	s_xor_b32 s36, exec_lo, s2
	s_cbranch_execz .LBB349_34
; %bb.19:                               ;   in Loop: Header=BB349_13 Depth=3
	v_sub_f32_e32 v6, v11, v5
                                        ; implicit-def: $vgpr12
                                        ; implicit-def: $vgpr11
	s_delay_alu instid0(VALU_DEP_1) | instskip(NEXT) | instid1(VALU_DEP_1)
	v_and_b32_e32 v7, 0x7fffffff, v6
	v_lshrrev_b32_e32 v0, 23, v7
	v_and_or_b32 v14, v7, s11, 0x800000
	s_delay_alu instid0(VALU_DEP_2)
	v_add_nc_u32_e32 v15, 0xffffff88, v0
	v_cmp_ngt_f32_e64 s37, 0x48000000, |v6|
	s_and_saveexec_b32 s1, s37
	s_wait_alu 0xfffe
	s_xor_b32 s38, exec_lo, s1
	s_cbranch_execz .LBB349_21
; %bb.20:                               ;   in Loop: Header=BB349_13 Depth=3
	v_mad_co_u64_u32 v[11:12], null, 0xfe5163ab, v14, 0
	v_cmp_lt_u32_e32 vcc_lo, 63, v15
	s_delay_alu instid0(VALU_DEP_2) | instskip(SKIP_2) | instid1(VALU_DEP_2)
	v_mov_b32_e32 v0, v12
	s_wait_alu 0xfffd
	v_cndmask_b32_e64 v12, 0, 0xffffffc0, vcc_lo
	v_mad_co_u64_u32 v[16:17], null, 0x3c439041, v14, v[0:1]
	s_delay_alu instid0(VALU_DEP_2) | instskip(NEXT) | instid1(VALU_DEP_1)
	v_add_nc_u32_e32 v12, v12, v15
	v_cmp_lt_u32_e64 s1, 31, v12
	s_delay_alu instid0(VALU_DEP_3) | instskip(SKIP_1) | instid1(VALU_DEP_2)
	v_mov_b32_e32 v0, v17
	s_wait_alu 0xf1ff
	v_cndmask_b32_e64 v22, 0, 0xffffffe0, s1
	s_delay_alu instid0(VALU_DEP_2) | instskip(NEXT) | instid1(VALU_DEP_2)
	v_mad_co_u64_u32 v[17:18], null, 0xdb629599, v14, v[0:1]
	v_add_nc_u32_e32 v12, v22, v12
	s_delay_alu instid0(VALU_DEP_2) | instskip(NEXT) | instid1(VALU_DEP_2)
	v_mov_b32_e32 v0, v18
	v_cmp_lt_u32_e64 s2, 31, v12
	s_delay_alu instid0(VALU_DEP_4) | instskip(NEXT) | instid1(VALU_DEP_3)
	v_cndmask_b32_e32 v11, v17, v11, vcc_lo
	v_mad_co_u64_u32 v[18:19], null, 0xf534ddc0, v14, v[0:1]
	s_delay_alu instid0(VALU_DEP_1) | instskip(NEXT) | instid1(VALU_DEP_1)
	v_mov_b32_e32 v0, v19
	v_mad_co_u64_u32 v[19:20], null, 0xfc2757d1, v14, v[0:1]
	s_delay_alu instid0(VALU_DEP_1) | instskip(NEXT) | instid1(VALU_DEP_1)
	v_mov_b32_e32 v0, v20
	v_mad_co_u64_u32 v[20:21], null, 0x4e441529, v14, v[0:1]
	s_delay_alu instid0(VALU_DEP_1) | instskip(NEXT) | instid1(VALU_DEP_1)
	v_dual_mov_b32 v0, v21 :: v_dual_cndmask_b32 v23, v20, v18
	v_mad_co_u64_u32 v[21:22], null, 0xa2f9836e, v14, v[0:1]
	s_wait_alu 0xf1ff
	v_cndmask_b32_e64 v0, 0, 0xffffffe0, s2
	s_delay_alu instid0(VALU_DEP_1) | instskip(NEXT) | instid1(VALU_DEP_3)
	v_dual_cndmask_b32 v21, v21, v19 :: v_dual_add_nc_u32 v0, v0, v12
	v_dual_cndmask_b32 v20, v22, v20 :: v_dual_cndmask_b32 v19, v19, v17
	v_cndmask_b32_e32 v12, v18, v16, vcc_lo
	s_delay_alu instid0(VALU_DEP_3) | instskip(NEXT) | instid1(VALU_DEP_4)
	v_cmp_eq_u32_e32 vcc_lo, 0, v0
	v_cndmask_b32_e64 v16, v21, v23, s1
	s_delay_alu instid0(VALU_DEP_4)
	v_cndmask_b32_e64 v18, v20, v21, s1
	v_cndmask_b32_e64 v20, v23, v19, s1
	v_sub_nc_u32_e32 v21, 32, v0
	v_cndmask_b32_e64 v19, v19, v12, s1
	v_cndmask_b32_e64 v11, v12, v11, s1
	v_cndmask_b32_e64 v18, v18, v16, s2
	v_cndmask_b32_e64 v16, v16, v20, s2
	s_delay_alu instid0(VALU_DEP_4) | instskip(NEXT) | instid1(VALU_DEP_4)
	v_cndmask_b32_e64 v20, v20, v19, s2
	v_cndmask_b32_e64 v11, v19, v11, s2
	s_delay_alu instid0(VALU_DEP_3) | instskip(NEXT) | instid1(VALU_DEP_3)
	v_alignbit_b32 v22, v18, v16, v21
	v_alignbit_b32 v17, v16, v20, v21
	s_delay_alu instid0(VALU_DEP_3) | instskip(SKIP_1) | instid1(VALU_DEP_3)
	v_alignbit_b32 v19, v20, v11, v21
	s_wait_alu 0xfffd
	v_cndmask_b32_e32 v0, v22, v18, vcc_lo
	s_delay_alu instid0(VALU_DEP_3) | instskip(NEXT) | instid1(VALU_DEP_3)
	v_cndmask_b32_e32 v12, v17, v16, vcc_lo
	v_cndmask_b32_e32 v19, v19, v20, vcc_lo
	s_delay_alu instid0(VALU_DEP_3) | instskip(NEXT) | instid1(VALU_DEP_3)
	v_bfe_u32 v16, v0, 29, 1
	v_alignbit_b32 v17, v0, v12, 30
	s_delay_alu instid0(VALU_DEP_3) | instskip(SKIP_1) | instid1(VALU_DEP_4)
	v_alignbit_b32 v12, v12, v19, 30
	v_alignbit_b32 v11, v19, v11, 30
	v_sub_nc_u32_e32 v18, 0, v16
	s_delay_alu instid0(VALU_DEP_1) | instskip(NEXT) | instid1(VALU_DEP_4)
	v_xor_b32_e32 v17, v17, v18
	v_xor_b32_e32 v12, v12, v18
	s_delay_alu instid0(VALU_DEP_4) | instskip(SKIP_3) | instid1(VALU_DEP_1)
	v_xor_b32_e32 v11, v11, v18
	v_lshrrev_b32_e32 v18, 29, v0
	v_lshrrev_b32_e32 v0, 30, v0
	v_clz_i32_u32_e32 v20, v17
	v_min_u32_e32 v20, 32, v20
	s_delay_alu instid0(VALU_DEP_1) | instskip(SKIP_1) | instid1(VALU_DEP_2)
	v_sub_nc_u32_e32 v19, 31, v20
	v_lshlrev_b32_e32 v21, 23, v20
	v_alignbit_b32 v17, v17, v12, v19
	v_alignbit_b32 v11, v12, v11, v19
	v_lshlrev_b32_e32 v12, 31, v18
	s_delay_alu instid0(VALU_DEP_2) | instskip(NEXT) | instid1(VALU_DEP_2)
	v_alignbit_b32 v18, v17, v11, 9
	v_or_b32_e32 v19, 0.5, v12
	v_lshrrev_b32_e32 v17, 9, v17
	v_or_b32_e32 v12, 0x33000000, v12
	s_delay_alu instid0(VALU_DEP_4) | instskip(NEXT) | instid1(VALU_DEP_4)
	v_clz_i32_u32_e32 v22, v18
	v_sub_nc_u32_e32 v19, v19, v21
	s_delay_alu instid0(VALU_DEP_2) | instskip(NEXT) | instid1(VALU_DEP_2)
	v_min_u32_e32 v21, 32, v22
	v_or_b32_e32 v17, v17, v19
	s_delay_alu instid0(VALU_DEP_2) | instskip(NEXT) | instid1(VALU_DEP_2)
	v_not_b32_e32 v19, v21
	v_mul_f32_e32 v22, 0x3fc90fda, v17
	v_add_lshl_u32 v20, v21, v20, 23
	s_delay_alu instid0(VALU_DEP_3) | instskip(NEXT) | instid1(VALU_DEP_3)
	v_alignbit_b32 v11, v18, v11, v19
	v_fma_f32 v18, 0x3fc90fda, v17, -v22
	s_delay_alu instid0(VALU_DEP_3) | instskip(NEXT) | instid1(VALU_DEP_3)
	v_sub_nc_u32_e32 v12, v12, v20
	v_lshrrev_b32_e32 v11, 9, v11
	s_delay_alu instid0(VALU_DEP_3) | instskip(NEXT) | instid1(VALU_DEP_2)
	v_fmac_f32_e32 v18, 0x33a22168, v17
	v_or_b32_e32 v11, v12, v11
	v_add_nc_u32_e32 v12, v16, v0
	s_delay_alu instid0(VALU_DEP_2) | instskip(NEXT) | instid1(VALU_DEP_1)
	v_fmac_f32_e32 v18, 0x3fc90fda, v11
	v_add_f32_e32 v11, v22, v18
.LBB349_21:                             ;   in Loop: Header=BB349_13 Depth=3
	s_or_saveexec_b32 s1, s38
	v_mul_f32_e64 v0, 0x3f22f983, |v6|
	s_delay_alu instid0(VALU_DEP_1)
	v_rndne_f32_e32 v17, v0
	s_wait_alu 0xfffe
	s_xor_b32 exec_lo, exec_lo, s1
; %bb.22:                               ;   in Loop: Header=BB349_13 Depth=3
	s_delay_alu instid0(VALU_DEP_1) | instskip(SKIP_1) | instid1(VALU_DEP_2)
	v_fma_f32 v11, 0xbfc90fda, v17, |v6|
	v_cvt_i32_f32_e32 v12, v17
	v_fmac_f32_e32 v11, 0xb3a22168, v17
	s_delay_alu instid0(VALU_DEP_1)
	v_fmac_f32_e32 v11, 0xa7c234c4, v17
; %bb.23:                               ;   in Loop: Header=BB349_13 Depth=3
	s_or_b32 exec_lo, exec_lo, s1
                                        ; implicit-def: $vgpr16
                                        ; implicit-def: $vgpr0
	s_and_saveexec_b32 s1, s37
	s_wait_alu 0xfffe
	s_xor_b32 s37, exec_lo, s1
	s_cbranch_execz .LBB349_25
; %bb.24:                               ;   in Loop: Header=BB349_13 Depth=3
	v_mad_co_u64_u32 v[16:17], null, 0xfe5163ab, v14, 0
	v_cmp_lt_u32_e32 vcc_lo, 63, v15
	s_wait_alu 0xfffd
	v_cndmask_b32_e64 v22, 0, 0xffffffc0, vcc_lo
	s_delay_alu instid0(VALU_DEP_1) | instskip(NEXT) | instid1(VALU_DEP_1)
	v_dual_mov_b32 v0, v17 :: v_dual_add_nc_u32 v15, v22, v15
	v_mad_co_u64_u32 v[17:18], null, 0x3c439041, v14, v[0:1]
	s_delay_alu instid0(VALU_DEP_2) | instskip(NEXT) | instid1(VALU_DEP_2)
	v_cmp_lt_u32_e64 s1, 31, v15
	v_mov_b32_e32 v0, v18
	s_wait_alu 0xf1ff
	s_delay_alu instid0(VALU_DEP_2) | instskip(NEXT) | instid1(VALU_DEP_2)
	v_cndmask_b32_e64 v23, 0, 0xffffffe0, s1
	v_mad_co_u64_u32 v[18:19], null, 0xdb629599, v14, v[0:1]
	s_delay_alu instid0(VALU_DEP_1) | instskip(NEXT) | instid1(VALU_DEP_2)
	v_mov_b32_e32 v0, v19
	v_cndmask_b32_e32 v16, v18, v16, vcc_lo
	s_delay_alu instid0(VALU_DEP_2) | instskip(NEXT) | instid1(VALU_DEP_1)
	v_mad_co_u64_u32 v[19:20], null, 0xf534ddc0, v14, v[0:1]
	v_dual_mov_b32 v0, v20 :: v_dual_cndmask_b32 v17, v19, v17
	s_delay_alu instid0(VALU_DEP_1) | instskip(NEXT) | instid1(VALU_DEP_1)
	v_mad_co_u64_u32 v[20:21], null, 0xfc2757d1, v14, v[0:1]
	v_mov_b32_e32 v0, v21
	s_delay_alu instid0(VALU_DEP_1) | instskip(NEXT) | instid1(VALU_DEP_1)
	v_mad_co_u64_u32 v[21:22], null, 0x4e441529, v14, v[0:1]
	v_mov_b32_e32 v0, v22
	v_add_nc_u32_e32 v22, v23, v15
	s_delay_alu instid0(VALU_DEP_3) | instskip(NEXT) | instid1(VALU_DEP_3)
	v_cndmask_b32_e32 v23, v21, v19, vcc_lo
	v_mad_co_u64_u32 v[14:15], null, 0xa2f9836e, v14, v[0:1]
	s_delay_alu instid0(VALU_DEP_3) | instskip(SKIP_1) | instid1(VALU_DEP_1)
	v_cmp_lt_u32_e64 s2, 31, v22
	s_wait_alu 0xf1ff
	v_cndmask_b32_e64 v0, 0, 0xffffffe0, s2
	s_delay_alu instid0(VALU_DEP_3) | instskip(SKIP_1) | instid1(VALU_DEP_3)
	v_dual_cndmask_b32 v14, v14, v20 :: v_dual_cndmask_b32 v15, v15, v21
	v_cndmask_b32_e32 v20, v20, v18, vcc_lo
	v_add_nc_u32_e32 v0, v0, v22
	s_delay_alu instid0(VALU_DEP_3) | instskip(NEXT) | instid1(VALU_DEP_4)
	v_cndmask_b32_e64 v19, v14, v23, s1
	v_cndmask_b32_e64 v14, v15, v14, s1
	s_delay_alu instid0(VALU_DEP_4)
	v_cndmask_b32_e64 v15, v23, v20, s1
	v_cndmask_b32_e64 v20, v20, v17, s1
	v_sub_nc_u32_e32 v21, 32, v0
	v_cmp_eq_u32_e32 vcc_lo, 0, v0
	v_cndmask_b32_e64 v14, v14, v19, s2
	v_cndmask_b32_e64 v19, v19, v15, s2
	;; [unrolled: 1-line block ×3, first 2 shown]
	s_delay_alu instid0(VALU_DEP_2) | instskip(NEXT) | instid1(VALU_DEP_2)
	v_alignbit_b32 v22, v14, v19, v21
	v_alignbit_b32 v18, v19, v15, v21
	s_wait_alu 0xfffd
	s_delay_alu instid0(VALU_DEP_2) | instskip(SKIP_1) | instid1(VALU_DEP_3)
	v_cndmask_b32_e32 v0, v22, v14, vcc_lo
	v_cndmask_b32_e64 v14, v17, v16, s1
	v_cndmask_b32_e32 v16, v18, v19, vcc_lo
	s_delay_alu instid0(VALU_DEP_3) | instskip(NEXT) | instid1(VALU_DEP_3)
	v_bfe_u32 v17, v0, 29, 1
	v_cndmask_b32_e64 v14, v20, v14, s2
	s_delay_alu instid0(VALU_DEP_3) | instskip(NEXT) | instid1(VALU_DEP_3)
	v_alignbit_b32 v18, v0, v16, 30
	v_sub_nc_u32_e32 v19, 0, v17
	s_delay_alu instid0(VALU_DEP_3) | instskip(NEXT) | instid1(VALU_DEP_2)
	v_alignbit_b32 v20, v15, v14, v21
	v_xor_b32_e32 v18, v18, v19
	s_delay_alu instid0(VALU_DEP_2) | instskip(NEXT) | instid1(VALU_DEP_2)
	v_cndmask_b32_e32 v15, v20, v15, vcc_lo
	v_clz_i32_u32_e32 v20, v18
	s_delay_alu instid0(VALU_DEP_2) | instskip(SKIP_1) | instid1(VALU_DEP_3)
	v_alignbit_b32 v16, v16, v15, 30
	v_alignbit_b32 v14, v15, v14, 30
	v_min_u32_e32 v20, 32, v20
	s_delay_alu instid0(VALU_DEP_3) | instskip(NEXT) | instid1(VALU_DEP_3)
	v_xor_b32_e32 v15, v16, v19
	v_xor_b32_e32 v14, v14, v19
	s_delay_alu instid0(VALU_DEP_3) | instskip(SKIP_2) | instid1(VALU_DEP_3)
	v_sub_nc_u32_e32 v16, 31, v20
	v_lshlrev_b32_e32 v21, 23, v20
	v_lshrrev_b32_e32 v19, 29, v0
	v_alignbit_b32 v18, v18, v15, v16
	v_alignbit_b32 v14, v15, v14, v16
	s_delay_alu instid0(VALU_DEP_3) | instskip(NEXT) | instid1(VALU_DEP_2)
	v_lshlrev_b32_e32 v15, 31, v19
	v_alignbit_b32 v16, v18, v14, 9
	s_delay_alu instid0(VALU_DEP_2) | instskip(SKIP_2) | instid1(VALU_DEP_4)
	v_or_b32_e32 v19, 0.5, v15
	v_lshrrev_b32_e32 v18, 9, v18
	v_or_b32_e32 v15, 0x33000000, v15
	v_clz_i32_u32_e32 v22, v16
	s_delay_alu instid0(VALU_DEP_4) | instskip(NEXT) | instid1(VALU_DEP_2)
	v_sub_nc_u32_e32 v19, v19, v21
	v_min_u32_e32 v21, 32, v22
	s_delay_alu instid0(VALU_DEP_2) | instskip(NEXT) | instid1(VALU_DEP_2)
	v_or_b32_e32 v18, v18, v19
	v_not_b32_e32 v19, v21
	s_delay_alu instid0(VALU_DEP_2) | instskip(SKIP_1) | instid1(VALU_DEP_3)
	v_mul_f32_e32 v22, 0x3fc90fda, v18
	v_add_lshl_u32 v20, v21, v20, 23
	v_alignbit_b32 v14, v16, v14, v19
	s_delay_alu instid0(VALU_DEP_3) | instskip(NEXT) | instid1(VALU_DEP_3)
	v_fma_f32 v16, 0x3fc90fda, v18, -v22
	v_sub_nc_u32_e32 v15, v15, v20
	s_delay_alu instid0(VALU_DEP_3) | instskip(NEXT) | instid1(VALU_DEP_3)
	v_lshrrev_b32_e32 v14, 9, v14
	v_fmac_f32_e32 v16, 0x33a22168, v18
	s_delay_alu instid0(VALU_DEP_2) | instskip(NEXT) | instid1(VALU_DEP_1)
	v_or_b32_e32 v14, v15, v14
	v_fmac_f32_e32 v16, 0x3fc90fda, v14
	v_lshrrev_b32_e32 v14, 30, v0
	s_delay_alu instid0(VALU_DEP_2) | instskip(NEXT) | instid1(VALU_DEP_2)
	v_add_f32_e32 v0, v22, v16
	v_add_nc_u32_e32 v16, v17, v14
                                        ; implicit-def: $vgpr17
	s_and_not1_saveexec_b32 s1, s37
	s_cbranch_execnz .LBB349_26
	s_branch .LBB349_27
.LBB349_25:                             ;   in Loop: Header=BB349_13 Depth=3
	s_and_not1_saveexec_b32 s1, s37
.LBB349_26:                             ;   in Loop: Header=BB349_13 Depth=3
	v_fma_f32 v0, 0xbfc90fda, v17, |v6|
	v_cvt_i32_f32_e32 v16, v17
	s_delay_alu instid0(VALU_DEP_2) | instskip(NEXT) | instid1(VALU_DEP_1)
	v_fmac_f32_e32 v0, 0xb3a22168, v17
	v_fmac_f32_e32 v0, 0xa7c234c4, v17
.LBB349_27:                             ;   in Loop: Header=BB349_13 Depth=3
	s_wait_alu 0xfffe
	s_or_b32 exec_lo, exec_lo, s1
	v_lshlrev_b32_e32 v14, 30, v12
	v_sub_f32_e32 v13, v13, v4
	v_dual_mul_f32 v17, v11, v11 :: v_dual_and_b32 v12, 1, v12
	v_and_b32_e32 v19, 1, v16
	s_delay_alu instid0(VALU_DEP_4) | instskip(NEXT) | instid1(VALU_DEP_4)
	v_and_b32_e32 v14, 0x80000000, v14
	v_dual_mul_f32 v15, 0x3fb8aa3b, v13 :: v_dual_lshlrev_b32 v16, 30, v16
	s_delay_alu instid0(VALU_DEP_4) | instskip(SKIP_2) | instid1(VALU_DEP_4)
	v_fmaak_f32 v23, s26, v17, 0x3c0881c4
	v_fmaak_f32 v22, s25, v17, 0xbab64f3b
	v_cmp_eq_u32_e32 vcc_lo, 0, v12
	v_fma_f32 v20, 0x3fb8aa3b, v13, -v15
	v_rndne_f32_e32 v21, v15
	v_mul_f32_e32 v18, v0, v0
	v_xor_b32_e32 v7, v7, v6
	v_cmp_nlt_f32_e64 s1, 0x42b17218, v13
	s_delay_alu instid0(VALU_DEP_4) | instskip(SKIP_3) | instid1(VALU_DEP_3)
	v_sub_f32_e32 v15, v15, v21
	v_fmac_f32_e32 v20, 0x32a5705f, v13
	v_fmaak_f32 v24, s26, v18, 0x3c0881c4
	v_cvt_i32_f32_e32 v21, v21
	v_dual_add_f32 v15, v15, v20 :: v_dual_fmaak_f32 v20, v17, v22, 0x3d2aabf7
	s_delay_alu instid0(VALU_DEP_3) | instskip(NEXT) | instid1(VALU_DEP_2)
	v_dual_fmaak_f32 v22, v17, v23, 0xbe2aaa9d :: v_dual_fmaak_f32 v23, v18, v24, 0xbe2aaa9d
	v_exp_f32_e32 v15, v15
	s_delay_alu instid0(VALU_DEP_2) | instskip(NEXT) | instid1(VALU_DEP_2)
	v_fmaak_f32 v20, v17, v20, 0xbf000004
	v_dual_mul_f32 v22, v17, v22 :: v_dual_mul_f32 v23, v18, v23
	v_fmaak_f32 v25, s25, v18, 0xbab64f3b
	v_and_b32_e32 v16, 0x80000000, v16
	s_delay_alu instid0(VALU_DEP_4) | instskip(NEXT) | instid1(VALU_DEP_4)
	v_fma_f32 v17, v17, v20, 1.0
	v_dual_fmac_f32 v11, v11, v22 :: v_dual_fmac_f32 v0, v0, v23
	s_delay_alu instid0(VALU_DEP_4) | instskip(NEXT) | instid1(TRANS32_DEP_1)
	v_fmaak_f32 v24, v18, v25, 0x3d2aabf7
	v_ldexp_f32 v15, v15, v21
	s_wait_alu 0xfffd
	s_delay_alu instid0(VALU_DEP_3) | instskip(SKIP_2) | instid1(VALU_DEP_3)
	v_cndmask_b32_e64 v11, -v11, v17, vcc_lo
	v_cmp_eq_u32_e32 vcc_lo, 0, v19
	v_fmaak_f32 v24, v18, v24, 0xbf000004
	v_xor_b32_e32 v11, v14, v11
	s_delay_alu instid0(VALU_DEP_2) | instskip(SKIP_1) | instid1(VALU_DEP_1)
	v_fma_f32 v18, v18, v24, 1.0
	s_wait_alu 0xfffd
	v_cndmask_b32_e32 v0, v18, v0, vcc_lo
	v_cmp_ngt_f32_e32 vcc_lo, 0xc2ce8ed0, v13
	s_delay_alu instid0(VALU_DEP_2) | instskip(SKIP_4) | instid1(VALU_DEP_2)
	v_xor3_b32 v0, v7, v16, v0
	s_wait_alu 0xfffd
	v_cndmask_b32_e32 v12, 0, v15, vcc_lo
	v_cmp_class_f32_e64 vcc_lo, v6, 0x1f8
	s_wait_alu 0xf1ff
	v_cndmask_b32_e64 v13, 0x7f800000, v12, s1
	s_wait_alu 0xfffd
	v_cndmask_b32_e32 v11, 0x7fc00000, v11, vcc_lo
	v_cndmask_b32_e32 v0, 0x7fc00000, v0, vcc_lo
	s_delay_alu instid0(VALU_DEP_2) | instskip(NEXT) | instid1(VALU_DEP_2)
	v_mul_f32_e32 v12, v13, v11
	v_mul_f32_e32 v0, v13, v0
	s_delay_alu instid0(VALU_DEP_1) | instskip(NEXT) | instid1(VALU_DEP_1)
	v_max_num_f32_e64 v14, |v12|, |v0|
	v_cvt_f64_f32_e32 v[6:7], v14
	v_cmp_eq_f32_e32 vcc_lo, 0x7f800000, v14
	s_delay_alu instid0(VALU_DEP_2) | instskip(NEXT) | instid1(VALU_DEP_1)
	v_frexp_exp_i32_f64_e32 v6, v[6:7]
	v_sub_nc_u32_e32 v7, 0, v6
	s_delay_alu instid0(VALU_DEP_1) | instskip(SKIP_1) | instid1(VALU_DEP_2)
	v_ldexp_f32 v15, |v0|, v7
	v_ldexp_f32 v7, |v12|, v7
	v_mul_f32_e32 v15, v15, v15
	s_delay_alu instid0(VALU_DEP_1) | instskip(NEXT) | instid1(VALU_DEP_1)
	v_fmac_f32_e32 v15, v7, v7
	v_sqrt_f32_e32 v7, v15
	s_delay_alu instid0(TRANS32_DEP_1) | instskip(SKIP_1) | instid1(VALU_DEP_2)
	v_ldexp_f32 v7, v7, v6
	v_fma_f32 v6, v13, v11, 1.0
	v_cmp_ngt_f32_e64 s1, 0.5, v7
	s_delay_alu instid0(VALU_DEP_2)
	v_max_num_f32_e64 v7, |v6|, |v0|
	s_or_b32 s1, vcc_lo, s1
	s_wait_alu 0xfffe
	s_and_saveexec_b32 s2, s1
	s_wait_alu 0xfffe
	s_xor_b32 s2, exec_lo, s2
	s_cbranch_execz .LBB349_29
; %bb.28:                               ;   in Loop: Header=BB349_13 Depth=3
	v_cvt_f64_f32_e32 v[11:12], v7
	v_cmp_neq_f32_e32 vcc_lo, 0x7f800000, v7
	s_delay_alu instid0(VALU_DEP_2) | instskip(NEXT) | instid1(VALU_DEP_1)
	v_frexp_exp_i32_f64_e32 v11, v[11:12]
	v_sub_nc_u32_e32 v12, 0, v11
	s_delay_alu instid0(VALU_DEP_1) | instskip(SKIP_1) | instid1(VALU_DEP_2)
	v_ldexp_f32 v13, |v0|, v12
	v_ldexp_f32 v12, |v6|, v12
	v_mul_f32_e32 v13, v13, v13
	s_delay_alu instid0(VALU_DEP_1) | instskip(NEXT) | instid1(VALU_DEP_1)
	v_fmac_f32_e32 v13, v12, v12
	v_sqrt_f32_e32 v12, v13
	s_delay_alu instid0(TRANS32_DEP_1) | instskip(SKIP_1) | instid1(VALU_DEP_1)
	v_ldexp_f32 v11, v12, v11
	s_wait_alu 0xfffd
	v_cndmask_b32_e32 v11, 0x7f800000, v11, vcc_lo
	s_delay_alu instid0(VALU_DEP_1) | instskip(SKIP_2) | instid1(VALU_DEP_1)
	v_cmp_gt_f32_e32 vcc_lo, 0x800000, v11
	s_wait_alu 0xfffd
	v_cndmask_b32_e64 v12, 0, 32, vcc_lo
	v_ldexp_f32 v11, v11, v12
	s_delay_alu instid0(VALU_DEP_1) | instskip(NEXT) | instid1(TRANS32_DEP_1)
	v_log_f32_e32 v11, v11
	v_mul_f32_e32 v12, 0x3f317217, v11
	v_cmp_gt_f32_e64 s1, 0x7f800000, |v11|
	s_delay_alu instid0(VALU_DEP_2) | instskip(NEXT) | instid1(VALU_DEP_1)
	v_fma_f32 v12, 0x3f317217, v11, -v12
	v_fmac_f32_e32 v12, 0x3377d1cf, v11
	s_delay_alu instid0(VALU_DEP_1) | instskip(SKIP_1) | instid1(VALU_DEP_1)
	v_fmac_f32_e32 v12, 0x3f317217, v11
	s_wait_alu 0xf1ff
	v_cndmask_b32_e64 v11, v11, v12, s1
	v_cndmask_b32_e64 v12, 0, 0x41b17218, vcc_lo
	s_delay_alu instid0(VALU_DEP_1)
	v_sub_f32_e32 v12, v11, v12
.LBB349_29:                             ;   in Loop: Header=BB349_13 Depth=3
	s_wait_alu 0xfffe
	s_and_not1_saveexec_b32 s1, s2
	s_cbranch_execz .LBB349_33
; %bb.30:                               ;   in Loop: Header=BB349_13 Depth=3
	s_delay_alu instid0(VALU_DEP_1) | instskip(SKIP_2) | instid1(VALU_DEP_1)
	v_add_f32_e32 v13, 2.0, v12
	v_mul_f32_e32 v11, v0, v0
	s_mov_b32 s2, exec_lo
	v_fmac_f32_e32 v11, v12, v13
	s_delay_alu instid0(VALU_DEP_1)
	v_cmpx_neq_f32_e32 0, v11
	s_cbranch_execz .LBB349_32
; %bb.31:                               ;   in Loop: Header=BB349_13 Depth=3
	v_add_f32_e32 v14, 1.0, v11
	s_delay_alu instid0(VALU_DEP_1) | instskip(NEXT) | instid1(VALU_DEP_1)
	v_cvt_f64_f32_e32 v[12:13], v14
	v_frexp_exp_i32_f64_e32 v12, v[12:13]
	v_frexp_mant_f32_e32 v13, v14
	s_delay_alu instid0(VALU_DEP_1) | instskip(SKIP_1) | instid1(VALU_DEP_1)
	v_cmp_gt_f32_e32 vcc_lo, 0x3f2aaaab, v13
	v_add_f32_e32 v13, -1.0, v14
	v_sub_f32_e32 v16, v13, v14
	s_delay_alu instid0(VALU_DEP_1) | instskip(SKIP_3) | instid1(VALU_DEP_2)
	v_dual_add_f32 v16, 1.0, v16 :: v_dual_sub_f32 v13, v11, v13
	s_wait_alu 0xfffd
	v_subrev_co_ci_u32_e64 v12, null, 0, v12, vcc_lo
	v_cmp_neq_f32_e32 vcc_lo, 0x7f800000, v11
	v_sub_nc_u32_e32 v15, 0, v12
	v_cvt_f32_i32_e32 v12, v12
	s_delay_alu instid0(VALU_DEP_2) | instskip(NEXT) | instid1(VALU_DEP_1)
	v_ldexp_f32 v14, v14, v15
	v_add_f32_e32 v17, 1.0, v14
	s_delay_alu instid0(VALU_DEP_1) | instskip(NEXT) | instid1(VALU_DEP_1)
	v_dual_add_f32 v13, v13, v16 :: v_dual_add_f32 v16, -1.0, v17
	v_ldexp_f32 v13, v13, v15
	s_delay_alu instid0(VALU_DEP_2) | instskip(NEXT) | instid1(VALU_DEP_1)
	v_dual_sub_f32 v16, v14, v16 :: v_dual_add_f32 v15, -1.0, v14
	v_add_f32_e32 v16, v13, v16
	s_delay_alu instid0(VALU_DEP_2) | instskip(NEXT) | instid1(VALU_DEP_1)
	v_add_f32_e32 v18, 1.0, v15
	v_sub_f32_e32 v14, v14, v18
	s_delay_alu instid0(VALU_DEP_1) | instskip(NEXT) | instid1(VALU_DEP_1)
	v_add_f32_e32 v13, v13, v14
	v_dual_add_f32 v19, v15, v13 :: v_dual_add_f32 v18, v17, v16
	s_delay_alu instid0(VALU_DEP_1) | instskip(NEXT) | instid1(VALU_DEP_2)
	v_sub_f32_e32 v15, v19, v15
	v_rcp_f32_e32 v14, v18
	v_sub_f32_e32 v17, v18, v17
	s_delay_alu instid0(VALU_DEP_1) | instskip(NEXT) | instid1(TRANS32_DEP_1)
	v_dual_sub_f32 v13, v13, v15 :: v_dual_sub_f32 v16, v16, v17
	v_mul_f32_e32 v20, v19, v14
	s_delay_alu instid0(VALU_DEP_1) | instskip(NEXT) | instid1(VALU_DEP_1)
	v_mul_f32_e32 v21, v18, v20
	v_fma_f32 v17, v20, v18, -v21
	s_delay_alu instid0(VALU_DEP_1) | instskip(NEXT) | instid1(VALU_DEP_1)
	v_fmac_f32_e32 v17, v20, v16
	v_add_f32_e32 v22, v21, v17
	s_delay_alu instid0(VALU_DEP_1) | instskip(SKIP_1) | instid1(VALU_DEP_2)
	v_sub_f32_e32 v23, v19, v22
	v_sub_f32_e32 v15, v22, v21
	;; [unrolled: 1-line block ×3, first 2 shown]
	s_delay_alu instid0(VALU_DEP_2) | instskip(NEXT) | instid1(VALU_DEP_2)
	v_sub_f32_e32 v15, v15, v17
	v_sub_f32_e32 v19, v19, v22
	s_delay_alu instid0(VALU_DEP_1) | instskip(NEXT) | instid1(VALU_DEP_1)
	v_add_f32_e32 v13, v13, v19
	v_add_f32_e32 v13, v15, v13
	s_delay_alu instid0(VALU_DEP_1) | instskip(NEXT) | instid1(VALU_DEP_1)
	v_add_f32_e32 v15, v23, v13
	v_mul_f32_e32 v17, v14, v15
	s_delay_alu instid0(VALU_DEP_1) | instskip(NEXT) | instid1(VALU_DEP_1)
	v_dual_sub_f32 v22, v23, v15 :: v_dual_mul_f32 v19, v18, v17
	v_add_f32_e32 v13, v13, v22
	s_delay_alu instid0(VALU_DEP_2) | instskip(NEXT) | instid1(VALU_DEP_1)
	v_fma_f32 v18, v17, v18, -v19
	v_fmac_f32_e32 v18, v17, v16
	s_delay_alu instid0(VALU_DEP_1) | instskip(NEXT) | instid1(VALU_DEP_1)
	v_add_f32_e32 v16, v19, v18
	v_sub_f32_e32 v21, v15, v16
	v_sub_f32_e32 v19, v16, v19
	s_delay_alu instid0(VALU_DEP_2) | instskip(NEXT) | instid1(VALU_DEP_1)
	v_sub_f32_e32 v15, v15, v21
	v_sub_f32_e32 v15, v15, v16
	s_delay_alu instid0(VALU_DEP_1) | instskip(SKIP_1) | instid1(VALU_DEP_1)
	v_dual_sub_f32 v16, v19, v18 :: v_dual_add_f32 v13, v13, v15
	v_add_f32_e32 v15, v20, v17
	v_dual_add_f32 v13, v16, v13 :: v_dual_sub_f32 v16, v15, v20
	s_delay_alu instid0(VALU_DEP_1) | instskip(NEXT) | instid1(VALU_DEP_1)
	v_add_f32_e32 v13, v21, v13
	v_dual_sub_f32 v16, v17, v16 :: v_dual_mul_f32 v13, v14, v13
	s_delay_alu instid0(VALU_DEP_1) | instskip(NEXT) | instid1(VALU_DEP_1)
	v_add_f32_e32 v13, v16, v13
	v_add_f32_e32 v14, v15, v13
	s_delay_alu instid0(VALU_DEP_1) | instskip(NEXT) | instid1(VALU_DEP_1)
	v_mul_f32_e32 v16, v14, v14
	v_fmaak_f32 v17, s28, v16, 0x3ecc95a3
	v_mul_f32_e32 v18, v14, v16
	s_delay_alu instid0(VALU_DEP_2) | instskip(SKIP_2) | instid1(VALU_DEP_3)
	v_fmaak_f32 v16, v16, v17, 0x3f2aaada
	v_ldexp_f32 v17, v14, 1
	v_sub_f32_e32 v14, v14, v15
	v_mul_f32_e32 v16, v18, v16
	s_delay_alu instid0(VALU_DEP_2) | instskip(NEXT) | instid1(VALU_DEP_2)
	v_dual_mul_f32 v18, 0x3f317218, v12 :: v_dual_sub_f32 v13, v13, v14
	v_add_f32_e32 v15, v17, v16
	s_delay_alu instid0(VALU_DEP_2) | instskip(NEXT) | instid1(VALU_DEP_2)
	v_ldexp_f32 v13, v13, 1
	v_sub_f32_e32 v14, v15, v17
	s_delay_alu instid0(VALU_DEP_4) | instskip(NEXT) | instid1(VALU_DEP_1)
	v_fma_f32 v17, 0x3f317218, v12, -v18
	v_dual_sub_f32 v14, v16, v14 :: v_dual_fmac_f32 v17, 0xb102e308, v12
	s_delay_alu instid0(VALU_DEP_1) | instskip(NEXT) | instid1(VALU_DEP_1)
	v_add_f32_e32 v12, v13, v14
	v_add_f32_e32 v14, v15, v12
	s_delay_alu instid0(VALU_DEP_1) | instskip(NEXT) | instid1(VALU_DEP_1)
	v_sub_f32_e32 v15, v14, v15
	v_dual_sub_f32 v12, v12, v15 :: v_dual_add_f32 v13, v18, v17
	s_delay_alu instid0(VALU_DEP_1) | instskip(NEXT) | instid1(VALU_DEP_1)
	v_add_f32_e32 v16, v13, v14
	v_dual_sub_f32 v18, v13, v18 :: v_dual_sub_f32 v19, v16, v13
	s_delay_alu instid0(VALU_DEP_1) | instskip(NEXT) | instid1(VALU_DEP_1)
	v_dual_sub_f32 v17, v17, v18 :: v_dual_sub_f32 v20, v16, v19
	v_dual_sub_f32 v14, v14, v19 :: v_dual_add_f32 v15, v17, v12
	s_delay_alu instid0(VALU_DEP_2) | instskip(NEXT) | instid1(VALU_DEP_1)
	v_sub_f32_e32 v13, v13, v20
	v_add_f32_e32 v13, v14, v13
	s_delay_alu instid0(VALU_DEP_3) | instskip(NEXT) | instid1(VALU_DEP_2)
	v_sub_f32_e32 v14, v15, v17
	v_add_f32_e32 v13, v15, v13
	s_delay_alu instid0(VALU_DEP_2) | instskip(SKIP_1) | instid1(VALU_DEP_2)
	v_sub_f32_e32 v15, v15, v14
	v_sub_f32_e32 v12, v12, v14
	v_dual_add_f32 v18, v16, v13 :: v_dual_sub_f32 v15, v17, v15
	s_delay_alu instid0(VALU_DEP_1) | instskip(NEXT) | instid1(VALU_DEP_1)
	v_sub_f32_e32 v14, v18, v16
	v_dual_add_f32 v12, v12, v15 :: v_dual_sub_f32 v13, v13, v14
	s_delay_alu instid0(VALU_DEP_1) | instskip(NEXT) | instid1(VALU_DEP_1)
	v_add_f32_e32 v12, v12, v13
	v_add_f32_e32 v12, v18, v12
	s_wait_alu 0xfffd
	s_delay_alu instid0(VALU_DEP_1) | instskip(SKIP_2) | instid1(VALU_DEP_2)
	v_cndmask_b32_e32 v12, 0x7f800000, v12, vcc_lo
	v_cmp_ngt_f32_e32 vcc_lo, -1.0, v11
	s_wait_alu 0xfffd
	v_cndmask_b32_e32 v12, 0x7fc00000, v12, vcc_lo
	v_cmp_neq_f32_e32 vcc_lo, -1.0, v11
	s_wait_alu 0xfffd
	s_delay_alu instid0(VALU_DEP_2) | instskip(SKIP_2) | instid1(VALU_DEP_2)
	v_cndmask_b32_e32 v12, 0xff800000, v12, vcc_lo
	v_cmp_gt_f32_e64 vcc_lo, 0x33800000, |v11|
	s_wait_alu 0xfffd
	v_cndmask_b32_e32 v11, v12, v11, vcc_lo
	s_delay_alu instid0(VALU_DEP_1)
	v_mul_f32_e32 v12, 0.5, v11
.LBB349_32:                             ;   in Loop: Header=BB349_13 Depth=3
	s_wait_alu 0xfffe
	s_or_b32 exec_lo, exec_lo, s2
.LBB349_33:                             ;   in Loop: Header=BB349_13 Depth=3
	s_wait_alu 0xfffe
	s_or_b32 exec_lo, exec_lo, s1
	v_max_num_f32_e64 v11, |v0|, |v0|
	v_max_num_f32_e64 v13, |v6|, |v6|
	v_frexp_mant_f32_e32 v14, v7
	v_frexp_exp_i32_f32_e32 v7, v7
	v_cmp_gt_f32_e64 vcc_lo, |v0|, |v6|
	v_cmp_gt_i32_e64 s1, 0, v6
	v_min_num_f32_e32 v11, v13, v11
	v_rcp_f32_e32 v13, v14
	v_cmp_class_f32_e64 s2, v6, 0x204
	s_delay_alu instid0(VALU_DEP_2)
	v_frexp_mant_f32_e32 v14, v11
	v_frexp_exp_i32_f32_e32 v11, v11
	s_delay_alu instid0(TRANS32_DEP_1) | instid1(VALU_DEP_2)
	v_mul_f32_e32 v13, v14, v13
	s_delay_alu instid0(VALU_DEP_2) | instskip(SKIP_3) | instid1(VALU_DEP_3)
	v_sub_nc_u32_e32 v7, v11, v7
	s_wait_alu 0xf1ff
	v_cndmask_b32_e64 v14, 0, 0x40490fdb, s1
	v_cmp_class_f32_e64 s1, v0, 0x204
	v_ldexp_f32 v7, v13, v7
	s_delay_alu instid0(VALU_DEP_1) | instskip(NEXT) | instid1(VALU_DEP_1)
	v_mul_f32_e32 v11, v7, v7
	v_fmaak_f32 v13, s29, v11, 0xbc7a590c
	s_delay_alu instid0(VALU_DEP_1) | instskip(NEXT) | instid1(VALU_DEP_1)
	v_fmaak_f32 v13, v11, v13, 0x3d29fb3f
	v_fmaak_f32 v13, v11, v13, 0xbd97d4d7
	s_delay_alu instid0(VALU_DEP_1) | instskip(NEXT) | instid1(VALU_DEP_1)
	v_fmaak_f32 v13, v11, v13, 0x3dd931b2
	;; [unrolled: 3-line block ×3, first 2 shown]
	v_fmaak_f32 v13, v11, v13, 0xbeaaaa62
	s_delay_alu instid0(VALU_DEP_1) | instskip(NEXT) | instid1(VALU_DEP_1)
	v_mul_f32_e32 v11, v11, v13
	v_fmac_f32_e32 v7, v7, v11
	s_delay_alu instid0(VALU_DEP_1) | instskip(SKIP_1) | instid1(VALU_DEP_1)
	v_sub_f32_e32 v11, 0x3fc90fdb, v7
	s_wait_alu 0xfffd
	v_cndmask_b32_e32 v7, v7, v11, vcc_lo
	v_cmp_gt_f32_e32 vcc_lo, 0, v6
	s_delay_alu instid0(VALU_DEP_2) | instskip(SKIP_2) | instid1(VALU_DEP_2)
	v_sub_f32_e32 v11, 0x40490fdb, v7
	s_wait_alu 0xfffd
	v_cndmask_b32_e32 v13, 0x3f490fdb, v8, vcc_lo
	v_cndmask_b32_e32 v7, v7, v11, vcc_lo
	v_cmp_eq_f32_e32 vcc_lo, 0, v0
	s_wait_alu 0xfffd
	s_delay_alu instid0(VALU_DEP_2) | instskip(SKIP_2) | instid1(VALU_DEP_1)
	v_cndmask_b32_e32 v7, v7, v14, vcc_lo
	s_and_b32 vcc_lo, s2, s1
	s_wait_alu 0xfffe
	v_cndmask_b32_e32 v7, v7, v13, vcc_lo
	v_cmp_o_f32_e32 vcc_lo, v6, v0
	v_add_f32_e32 v13, v4, v12
                                        ; implicit-def: $vgpr12
	s_wait_alu 0xfffd
	s_delay_alu instid0(VALU_DEP_3) | instskip(NEXT) | instid1(VALU_DEP_1)
	v_cndmask_b32_e32 v6, 0x7fc00000, v7, vcc_lo
	v_bfi_b32 v0, 0x7fffffff, v6, v0
	s_delay_alu instid0(VALU_DEP_1)
	v_add_f32_e32 v11, v5, v0
                                        ; implicit-def: $vgpr5
.LBB349_34:                             ;   in Loop: Header=BB349_13 Depth=3
	s_and_not1_saveexec_b32 s36, s36
	s_cbranch_execz .LBB349_11
; %bb.35:                               ;   in Loop: Header=BB349_13 Depth=3
	s_mov_b32 s37, exec_lo
	v_cmpx_ngt_f32_e32 0, v13
	s_cbranch_execz .LBB349_10
; %bb.36:                               ;   in Loop: Header=BB349_13 Depth=3
	v_and_b32_e32 v4, 0x7fffffff, v11
	v_cmp_ngt_f32_e64 s38, 0x48000000, |v11|
                                        ; implicit-def: $vgpr7
                                        ; implicit-def: $vgpr6
	s_delay_alu instid0(VALU_DEP_2) | instskip(SKIP_1) | instid1(VALU_DEP_2)
	v_lshrrev_b32_e32 v0, 23, v4
	v_and_or_b32 v14, v4, s11, 0x800000
	v_add_nc_u32_e32 v16, 0xffffff88, v0
	s_and_saveexec_b32 s1, s38
	s_wait_alu 0xfffe
	s_xor_b32 s39, exec_lo, s1
	s_cbranch_execz .LBB349_38
; %bb.37:                               ;   in Loop: Header=BB349_13 Depth=3
	v_mad_co_u64_u32 v[6:7], null, 0xfe5163ab, v14, 0
	v_cmp_lt_u32_e32 vcc_lo, 63, v16
	s_delay_alu instid0(VALU_DEP_2) | instskip(SKIP_2) | instid1(VALU_DEP_1)
	v_mov_b32_e32 v0, v7
	s_wait_alu 0xfffd
	v_cndmask_b32_e64 v7, 0, 0xffffffc0, vcc_lo
	v_add_nc_u32_e32 v7, v7, v16
	s_delay_alu instid0(VALU_DEP_1) | instskip(SKIP_1) | instid1(VALU_DEP_1)
	v_cmp_lt_u32_e64 s1, 31, v7
	s_wait_alu 0xf1ff
	v_cndmask_b32_e64 v13, 0, 0xffffffe0, s1
	s_delay_alu instid0(VALU_DEP_1) | instskip(SKIP_1) | instid1(VALU_DEP_2)
	v_add_nc_u32_e32 v7, v13, v7
	v_mad_co_u64_u32 v[17:18], null, 0x3c439041, v14, v[0:1]
	v_cmp_lt_u32_e64 s2, 31, v7
	s_delay_alu instid0(VALU_DEP_2) | instskip(NEXT) | instid1(VALU_DEP_1)
	v_mov_b32_e32 v0, v18
	v_mad_co_u64_u32 v[18:19], null, 0xdb629599, v14, v[0:1]
	s_delay_alu instid0(VALU_DEP_1) | instskip(NEXT) | instid1(VALU_DEP_2)
	v_mov_b32_e32 v0, v19
	v_cndmask_b32_e32 v6, v18, v6, vcc_lo
	s_delay_alu instid0(VALU_DEP_2) | instskip(NEXT) | instid1(VALU_DEP_1)
	v_mad_co_u64_u32 v[19:20], null, 0xf534ddc0, v14, v[0:1]
	v_mov_b32_e32 v0, v20
	s_delay_alu instid0(VALU_DEP_1) | instskip(NEXT) | instid1(VALU_DEP_1)
	v_mad_co_u64_u32 v[20:21], null, 0xfc2757d1, v14, v[0:1]
	v_mov_b32_e32 v0, v21
	s_delay_alu instid0(VALU_DEP_1) | instskip(NEXT) | instid1(VALU_DEP_1)
	v_mad_co_u64_u32 v[21:22], null, 0x4e441529, v14, v[0:1]
	v_dual_mov_b32 v0, v22 :: v_dual_cndmask_b32 v13, v21, v19
	s_delay_alu instid0(VALU_DEP_1) | instskip(SKIP_2) | instid1(VALU_DEP_1)
	v_mad_co_u64_u32 v[22:23], null, 0xa2f9836e, v14, v[0:1]
	s_wait_alu 0xf1ff
	v_cndmask_b32_e64 v0, 0, 0xffffffe0, s2
	v_dual_cndmask_b32 v15, v22, v20 :: v_dual_add_nc_u32 v0, v0, v7
	s_delay_alu instid0(VALU_DEP_3) | instskip(SKIP_1) | instid1(VALU_DEP_3)
	v_dual_cndmask_b32 v21, v23, v21 :: v_dual_cndmask_b32 v20, v20, v18
	v_cndmask_b32_e32 v7, v19, v17, vcc_lo
	v_sub_nc_u32_e32 v19, 32, v0
	s_delay_alu instid0(VALU_DEP_4) | instskip(NEXT) | instid1(VALU_DEP_4)
	v_cndmask_b32_e64 v17, v15, v13, s1
	v_cndmask_b32_e64 v15, v21, v15, s1
	;; [unrolled: 1-line block ×4, first 2 shown]
	v_cmp_eq_u32_e32 vcc_lo, 0, v0
	v_cndmask_b32_e64 v6, v7, v6, s1
	v_cndmask_b32_e64 v15, v15, v17, s2
	;; [unrolled: 1-line block ×4, first 2 shown]
	s_delay_alu instid0(VALU_DEP_4) | instskip(NEXT) | instid1(VALU_DEP_3)
	v_cndmask_b32_e64 v6, v20, v6, s2
	v_alignbit_b32 v21, v15, v17, v19
	s_delay_alu instid0(VALU_DEP_3) | instskip(NEXT) | instid1(VALU_DEP_3)
	v_alignbit_b32 v18, v17, v13, v19
	v_alignbit_b32 v19, v13, v6, v19
	s_wait_alu 0xfffd
	s_delay_alu instid0(VALU_DEP_2) | instskip(NEXT) | instid1(VALU_DEP_2)
	v_dual_cndmask_b32 v0, v21, v15 :: v_dual_cndmask_b32 v7, v18, v17
	v_cndmask_b32_e32 v13, v19, v13, vcc_lo
	s_delay_alu instid0(VALU_DEP_2) | instskip(NEXT) | instid1(VALU_DEP_3)
	v_bfe_u32 v15, v0, 29, 1
	v_alignbit_b32 v17, v0, v7, 30
	s_delay_alu instid0(VALU_DEP_3) | instskip(SKIP_1) | instid1(VALU_DEP_4)
	v_alignbit_b32 v7, v7, v13, 30
	v_alignbit_b32 v6, v13, v6, 30
	v_sub_nc_u32_e32 v18, 0, v15
	s_delay_alu instid0(VALU_DEP_1) | instskip(NEXT) | instid1(VALU_DEP_4)
	v_xor_b32_e32 v17, v17, v18
	v_xor_b32_e32 v7, v7, v18
	s_delay_alu instid0(VALU_DEP_4) | instskip(SKIP_1) | instid1(VALU_DEP_4)
	v_xor_b32_e32 v6, v6, v18
	v_lshrrev_b32_e32 v18, 29, v0
	v_clz_i32_u32_e32 v19, v17
	s_delay_alu instid0(VALU_DEP_1) | instskip(NEXT) | instid1(VALU_DEP_1)
	v_min_u32_e32 v19, 32, v19
	v_sub_nc_u32_e32 v13, 31, v19
	v_lshlrev_b32_e32 v20, 23, v19
	s_delay_alu instid0(VALU_DEP_2) | instskip(SKIP_3) | instid1(VALU_DEP_3)
	v_alignbit_b32 v17, v17, v7, v13
	v_alignbit_b32 v6, v7, v6, v13
	v_lshlrev_b32_e32 v7, 31, v18
	v_lshrrev_b32_e32 v0, 30, v0
	v_alignbit_b32 v13, v17, v6, 9
	s_delay_alu instid0(VALU_DEP_3) | instskip(SKIP_2) | instid1(VALU_DEP_4)
	v_or_b32_e32 v18, 0.5, v7
	v_lshrrev_b32_e32 v17, 9, v17
	v_or_b32_e32 v7, 0x33000000, v7
	v_clz_i32_u32_e32 v21, v13
	s_delay_alu instid0(VALU_DEP_4) | instskip(NEXT) | instid1(VALU_DEP_2)
	v_sub_nc_u32_e32 v18, v18, v20
	v_min_u32_e32 v20, 32, v21
	s_delay_alu instid0(VALU_DEP_2) | instskip(NEXT) | instid1(VALU_DEP_2)
	v_or_b32_e32 v17, v17, v18
	v_not_b32_e32 v18, v20
	s_delay_alu instid0(VALU_DEP_2) | instskip(SKIP_1) | instid1(VALU_DEP_3)
	v_mul_f32_e32 v21, 0x3fc90fda, v17
	v_add_lshl_u32 v19, v20, v19, 23
	v_alignbit_b32 v6, v13, v6, v18
	s_delay_alu instid0(VALU_DEP_3) | instskip(NEXT) | instid1(VALU_DEP_3)
	v_fma_f32 v13, 0x3fc90fda, v17, -v21
	v_sub_nc_u32_e32 v7, v7, v19
	s_delay_alu instid0(VALU_DEP_3) | instskip(NEXT) | instid1(VALU_DEP_3)
	v_lshrrev_b32_e32 v6, 9, v6
	v_fmac_f32_e32 v13, 0x33a22168, v17
	s_delay_alu instid0(VALU_DEP_2) | instskip(SKIP_1) | instid1(VALU_DEP_2)
	v_or_b32_e32 v6, v7, v6
	v_add_nc_u32_e32 v7, v15, v0
	v_fmac_f32_e32 v13, 0x3fc90fda, v6
	s_delay_alu instid0(VALU_DEP_1)
	v_add_f32_e32 v6, v21, v13
.LBB349_38:                             ;   in Loop: Header=BB349_13 Depth=3
	s_or_saveexec_b32 s1, s39
	v_mul_f32_e64 v0, 0x3f22f983, |v11|
	s_delay_alu instid0(VALU_DEP_1)
	v_rndne_f32_e32 v0, v0
	s_wait_alu 0xfffe
	s_xor_b32 exec_lo, exec_lo, s1
; %bb.39:                               ;   in Loop: Header=BB349_13 Depth=3
	s_delay_alu instid0(VALU_DEP_1) | instskip(SKIP_1) | instid1(VALU_DEP_2)
	v_fma_f32 v6, 0xbfc90fda, v0, |v11|
	v_cvt_i32_f32_e32 v7, v0
	v_fmac_f32_e32 v6, 0xb3a22168, v0
	s_delay_alu instid0(VALU_DEP_1)
	v_fmac_f32_e32 v6, 0xa7c234c4, v0
; %bb.40:                               ;   in Loop: Header=BB349_13 Depth=3
	s_or_b32 exec_lo, exec_lo, s1
                                        ; implicit-def: $vgpr15
                                        ; implicit-def: $vgpr13
	s_and_saveexec_b32 s1, s38
	s_wait_alu 0xfffe
	s_xor_b32 s38, exec_lo, s1
	s_cbranch_execz .LBB349_42
; %bb.41:                               ;   in Loop: Header=BB349_13 Depth=3
	v_mad_co_u64_u32 v[17:18], null, 0xfe5163ab, v14, 0
	v_cmp_lt_u32_e32 vcc_lo, 63, v16
	s_wait_alu 0xfffd
	v_cndmask_b32_e64 v13, 0, 0xffffffc0, vcc_lo
	s_delay_alu instid0(VALU_DEP_1) | instskip(NEXT) | instid1(VALU_DEP_1)
	v_dual_mov_b32 v0, v18 :: v_dual_add_nc_u32 v13, v13, v16
	v_mad_co_u64_u32 v[18:19], null, 0x3c439041, v14, v[0:1]
	s_delay_alu instid0(VALU_DEP_2) | instskip(NEXT) | instid1(VALU_DEP_2)
	v_cmp_lt_u32_e64 s1, 31, v13
	v_mov_b32_e32 v0, v19
	s_delay_alu instid0(VALU_DEP_1) | instskip(NEXT) | instid1(VALU_DEP_1)
	v_mad_co_u64_u32 v[19:20], null, 0xdb629599, v14, v[0:1]
	v_dual_mov_b32 v0, v20 :: v_dual_cndmask_b32 v17, v19, v17
	s_delay_alu instid0(VALU_DEP_1) | instskip(NEXT) | instid1(VALU_DEP_1)
	v_mad_co_u64_u32 v[20:21], null, 0xf534ddc0, v14, v[0:1]
	v_mov_b32_e32 v0, v21
	s_delay_alu instid0(VALU_DEP_1) | instskip(NEXT) | instid1(VALU_DEP_1)
	v_mad_co_u64_u32 v[21:22], null, 0xfc2757d1, v14, v[0:1]
	v_mov_b32_e32 v0, v22
	s_wait_alu 0xf1ff
	v_cndmask_b32_e64 v22, 0, 0xffffffe0, s1
	s_delay_alu instid0(VALU_DEP_2) | instskip(NEXT) | instid1(VALU_DEP_1)
	v_mad_co_u64_u32 v[15:16], null, 0x4e441529, v14, v[0:1]
	v_mov_b32_e32 v0, v16
	s_delay_alu instid0(VALU_DEP_3) | instskip(NEXT) | instid1(VALU_DEP_3)
	v_add_nc_u32_e32 v16, v22, v13
	v_cndmask_b32_e32 v22, v15, v20, vcc_lo
	s_delay_alu instid0(VALU_DEP_3) | instskip(NEXT) | instid1(VALU_DEP_3)
	v_mad_co_u64_u32 v[13:14], null, 0xa2f9836e, v14, v[0:1]
	v_cmp_lt_u32_e64 s2, 31, v16
	s_wait_alu 0xf1ff
	s_delay_alu instid0(VALU_DEP_1) | instskip(NEXT) | instid1(VALU_DEP_3)
	v_cndmask_b32_e64 v0, 0, 0xffffffe0, s2
	v_dual_cndmask_b32 v13, v13, v21 :: v_dual_cndmask_b32 v14, v14, v15
	s_delay_alu instid0(VALU_DEP_2) | instskip(SKIP_1) | instid1(VALU_DEP_3)
	v_dual_cndmask_b32 v15, v21, v19 :: v_dual_add_nc_u32 v0, v0, v16
	v_cndmask_b32_e32 v16, v20, v18, vcc_lo
	v_cndmask_b32_e64 v18, v13, v22, s1
	s_delay_alu instid0(VALU_DEP_4) | instskip(NEXT) | instid1(VALU_DEP_4)
	v_cndmask_b32_e64 v13, v14, v13, s1
	v_cndmask_b32_e64 v14, v22, v15, s1
	v_sub_nc_u32_e32 v20, 32, v0
	v_cndmask_b32_e64 v15, v15, v16, s1
	v_cmp_eq_u32_e32 vcc_lo, 0, v0
	v_cndmask_b32_e64 v13, v13, v18, s2
	v_cndmask_b32_e64 v18, v18, v14, s2
	s_delay_alu instid0(VALU_DEP_4) | instskip(NEXT) | instid1(VALU_DEP_2)
	v_cndmask_b32_e64 v14, v14, v15, s2
	v_alignbit_b32 v21, v13, v18, v20
	s_delay_alu instid0(VALU_DEP_2) | instskip(SKIP_1) | instid1(VALU_DEP_2)
	v_alignbit_b32 v19, v18, v14, v20
	s_wait_alu 0xfffd
	v_cndmask_b32_e32 v0, v21, v13, vcc_lo
	v_cndmask_b32_e64 v13, v16, v17, s1
	s_delay_alu instid0(VALU_DEP_3) | instskip(NEXT) | instid1(VALU_DEP_3)
	v_cndmask_b32_e32 v16, v19, v18, vcc_lo
	v_bfe_u32 v17, v0, 29, 1
	s_delay_alu instid0(VALU_DEP_3) | instskip(NEXT) | instid1(VALU_DEP_3)
	v_cndmask_b32_e64 v13, v15, v13, s2
	v_alignbit_b32 v15, v0, v16, 30
	s_delay_alu instid0(VALU_DEP_3) | instskip(NEXT) | instid1(VALU_DEP_3)
	v_sub_nc_u32_e32 v18, 0, v17
	v_alignbit_b32 v19, v14, v13, v20
	s_delay_alu instid0(VALU_DEP_2) | instskip(NEXT) | instid1(VALU_DEP_2)
	v_xor_b32_e32 v15, v15, v18
	v_cndmask_b32_e32 v14, v19, v14, vcc_lo
	s_delay_alu instid0(VALU_DEP_2) | instskip(NEXT) | instid1(VALU_DEP_2)
	v_clz_i32_u32_e32 v19, v15
	v_alignbit_b32 v16, v16, v14, 30
	v_alignbit_b32 v13, v14, v13, 30
	s_delay_alu instid0(VALU_DEP_3) | instskip(NEXT) | instid1(VALU_DEP_3)
	v_min_u32_e32 v19, 32, v19
	v_xor_b32_e32 v14, v16, v18
	s_delay_alu instid0(VALU_DEP_3) | instskip(SKIP_4) | instid1(VALU_DEP_2)
	v_xor_b32_e32 v13, v13, v18
	v_lshrrev_b32_e32 v18, 29, v0
	v_lshrrev_b32_e32 v0, 30, v0
	v_sub_nc_u32_e32 v16, 31, v19
	v_lshlrev_b32_e32 v20, 23, v19
	v_alignbit_b32 v15, v15, v14, v16
	v_alignbit_b32 v13, v14, v13, v16
	v_lshlrev_b32_e32 v14, 31, v18
	s_delay_alu instid0(VALU_DEP_2) | instskip(NEXT) | instid1(VALU_DEP_2)
	v_alignbit_b32 v16, v15, v13, 9
	v_or_b32_e32 v18, 0.5, v14
	v_lshrrev_b32_e32 v15, 9, v15
	v_or_b32_e32 v14, 0x33000000, v14
	s_delay_alu instid0(VALU_DEP_4) | instskip(NEXT) | instid1(VALU_DEP_4)
	v_clz_i32_u32_e32 v21, v16
	v_sub_nc_u32_e32 v18, v18, v20
	s_delay_alu instid0(VALU_DEP_2) | instskip(NEXT) | instid1(VALU_DEP_2)
	v_min_u32_e32 v20, 32, v21
	v_or_b32_e32 v15, v15, v18
	s_delay_alu instid0(VALU_DEP_2) | instskip(NEXT) | instid1(VALU_DEP_2)
	v_not_b32_e32 v18, v20
	v_mul_f32_e32 v21, 0x3fc90fda, v15
	v_add_lshl_u32 v19, v20, v19, 23
	s_delay_alu instid0(VALU_DEP_3) | instskip(NEXT) | instid1(VALU_DEP_3)
	v_alignbit_b32 v13, v16, v13, v18
	v_fma_f32 v16, 0x3fc90fda, v15, -v21
	s_delay_alu instid0(VALU_DEP_3) | instskip(NEXT) | instid1(VALU_DEP_3)
	v_sub_nc_u32_e32 v14, v14, v19
	v_lshrrev_b32_e32 v13, 9, v13
	s_delay_alu instid0(VALU_DEP_3) | instskip(NEXT) | instid1(VALU_DEP_2)
	v_dual_fmac_f32 v16, 0x33a22168, v15 :: v_dual_add_nc_u32 v15, v17, v0
                                        ; implicit-def: $vgpr0
	v_or_b32_e32 v13, v14, v13
	s_delay_alu instid0(VALU_DEP_1) | instskip(NEXT) | instid1(VALU_DEP_1)
	v_fmac_f32_e32 v16, 0x3fc90fda, v13
	v_add_f32_e32 v13, v21, v16
	s_and_not1_saveexec_b32 s1, s38
	s_cbranch_execnz .LBB349_43
	s_branch .LBB349_44
.LBB349_42:                             ;   in Loop: Header=BB349_13 Depth=3
	s_and_not1_saveexec_b32 s1, s38
.LBB349_43:                             ;   in Loop: Header=BB349_13 Depth=3
	v_fma_f32 v13, 0xbfc90fda, v0, |v11|
	v_cvt_i32_f32_e32 v15, v0
	s_delay_alu instid0(VALU_DEP_2) | instskip(NEXT) | instid1(VALU_DEP_1)
	v_fmac_f32_e32 v13, 0xb3a22168, v0
	v_fmac_f32_e32 v13, 0xa7c234c4, v0
.LBB349_44:                             ;   in Loop: Header=BB349_13 Depth=3
	s_wait_alu 0xfffe
	s_or_b32 exec_lo, exec_lo, s1
	v_and_b32_e32 v14, 0x7fffffff, v5
	v_cmp_ngt_f32_e64 s38, 0x48000000, |v5|
                                        ; implicit-def: $vgpr17
                                        ; implicit-def: $vgpr16
	s_delay_alu instid0(VALU_DEP_2) | instskip(SKIP_1) | instid1(VALU_DEP_2)
	v_lshrrev_b32_e32 v0, 23, v14
	v_and_or_b32 v18, v14, s11, 0x800000
	v_add_nc_u32_e32 v19, 0xffffff88, v0
	s_and_saveexec_b32 s1, s38
	s_wait_alu 0xfffe
	s_xor_b32 s39, exec_lo, s1
	s_cbranch_execz .LBB349_46
; %bb.45:                               ;   in Loop: Header=BB349_13 Depth=3
	v_mad_co_u64_u32 v[16:17], null, 0xfe5163ab, v18, 0
	v_cmp_lt_u32_e32 vcc_lo, 63, v19
	s_delay_alu instid0(VALU_DEP_2) | instskip(SKIP_2) | instid1(VALU_DEP_1)
	v_mov_b32_e32 v0, v17
	s_wait_alu 0xfffd
	v_cndmask_b32_e64 v17, 0, 0xffffffc0, vcc_lo
	v_add_nc_u32_e32 v17, v17, v19
	s_delay_alu instid0(VALU_DEP_1) | instskip(SKIP_1) | instid1(VALU_DEP_1)
	v_cmp_lt_u32_e64 s1, 31, v17
	s_wait_alu 0xf1ff
	v_cndmask_b32_e64 v26, 0, 0xffffffe0, s1
	s_delay_alu instid0(VALU_DEP_1) | instskip(SKIP_1) | instid1(VALU_DEP_2)
	v_add_nc_u32_e32 v17, v26, v17
	v_mad_co_u64_u32 v[20:21], null, 0x3c439041, v18, v[0:1]
	v_cmp_lt_u32_e64 s2, 31, v17
	s_delay_alu instid0(VALU_DEP_2) | instskip(NEXT) | instid1(VALU_DEP_1)
	v_mov_b32_e32 v0, v21
	v_mad_co_u64_u32 v[21:22], null, 0xdb629599, v18, v[0:1]
	s_delay_alu instid0(VALU_DEP_1) | instskip(NEXT) | instid1(VALU_DEP_2)
	v_mov_b32_e32 v0, v22
	v_cndmask_b32_e32 v16, v21, v16, vcc_lo
	s_delay_alu instid0(VALU_DEP_2) | instskip(NEXT) | instid1(VALU_DEP_1)
	v_mad_co_u64_u32 v[22:23], null, 0xf534ddc0, v18, v[0:1]
	v_mov_b32_e32 v0, v23
	s_delay_alu instid0(VALU_DEP_1) | instskip(NEXT) | instid1(VALU_DEP_1)
	v_mad_co_u64_u32 v[23:24], null, 0xfc2757d1, v18, v[0:1]
	v_mov_b32_e32 v0, v24
	s_delay_alu instid0(VALU_DEP_1) | instskip(NEXT) | instid1(VALU_DEP_1)
	v_mad_co_u64_u32 v[24:25], null, 0x4e441529, v18, v[0:1]
	v_dual_mov_b32 v0, v25 :: v_dual_cndmask_b32 v27, v24, v22
	s_delay_alu instid0(VALU_DEP_1) | instskip(SKIP_2) | instid1(VALU_DEP_1)
	v_mad_co_u64_u32 v[25:26], null, 0xa2f9836e, v18, v[0:1]
	s_wait_alu 0xf1ff
	v_cndmask_b32_e64 v0, 0, 0xffffffe0, s2
	v_dual_cndmask_b32 v25, v25, v23 :: v_dual_add_nc_u32 v0, v0, v17
	s_delay_alu instid0(VALU_DEP_3) | instskip(SKIP_1) | instid1(VALU_DEP_3)
	v_dual_cndmask_b32 v24, v26, v24 :: v_dual_cndmask_b32 v23, v23, v21
	v_cndmask_b32_e32 v17, v22, v20, vcc_lo
	v_cmp_eq_u32_e32 vcc_lo, 0, v0
	s_delay_alu instid0(VALU_DEP_4) | instskip(NEXT) | instid1(VALU_DEP_4)
	v_cndmask_b32_e64 v20, v25, v27, s1
	v_cndmask_b32_e64 v22, v24, v25, s1
	v_cndmask_b32_e64 v24, v27, v23, s1
	v_sub_nc_u32_e32 v25, 32, v0
	v_cndmask_b32_e64 v23, v23, v17, s1
	v_cndmask_b32_e64 v16, v17, v16, s1
	;; [unrolled: 1-line block ×4, first 2 shown]
	s_delay_alu instid0(VALU_DEP_4) | instskip(NEXT) | instid1(VALU_DEP_4)
	v_cndmask_b32_e64 v24, v24, v23, s2
	v_cndmask_b32_e64 v16, v23, v16, s2
	s_delay_alu instid0(VALU_DEP_3) | instskip(NEXT) | instid1(VALU_DEP_3)
	v_alignbit_b32 v26, v22, v20, v25
	v_alignbit_b32 v21, v20, v24, v25
	s_delay_alu instid0(VALU_DEP_3) | instskip(SKIP_1) | instid1(VALU_DEP_2)
	v_alignbit_b32 v23, v24, v16, v25
	s_wait_alu 0xfffd
	v_dual_cndmask_b32 v0, v26, v22 :: v_dual_cndmask_b32 v17, v21, v20
	s_delay_alu instid0(VALU_DEP_2) | instskip(NEXT) | instid1(VALU_DEP_2)
	v_cndmask_b32_e32 v23, v23, v24, vcc_lo
	v_bfe_u32 v20, v0, 29, 1
	s_delay_alu instid0(VALU_DEP_3) | instskip(NEXT) | instid1(VALU_DEP_3)
	v_alignbit_b32 v21, v0, v17, 30
	v_alignbit_b32 v17, v17, v23, 30
	;; [unrolled: 1-line block ×3, first 2 shown]
	s_delay_alu instid0(VALU_DEP_4) | instskip(NEXT) | instid1(VALU_DEP_1)
	v_sub_nc_u32_e32 v22, 0, v20
	v_xor_b32_e32 v21, v21, v22
	s_delay_alu instid0(VALU_DEP_4) | instskip(NEXT) | instid1(VALU_DEP_4)
	v_xor_b32_e32 v17, v17, v22
	v_xor_b32_e32 v16, v16, v22
	s_delay_alu instid0(VALU_DEP_3) | instskip(NEXT) | instid1(VALU_DEP_1)
	v_clz_i32_u32_e32 v24, v21
	v_min_u32_e32 v24, 32, v24
	s_delay_alu instid0(VALU_DEP_1) | instskip(SKIP_3) | instid1(VALU_DEP_4)
	v_sub_nc_u32_e32 v23, 31, v24
	v_lshlrev_b32_e32 v25, 23, v24
	v_lshrrev_b32_e32 v22, 29, v0
	v_lshrrev_b32_e32 v0, 30, v0
	v_alignbit_b32 v21, v21, v17, v23
	v_alignbit_b32 v16, v17, v16, v23
	s_delay_alu instid0(VALU_DEP_4) | instskip(NEXT) | instid1(VALU_DEP_2)
	v_lshlrev_b32_e32 v17, 31, v22
	v_alignbit_b32 v22, v21, v16, 9
	s_delay_alu instid0(VALU_DEP_2) | instskip(SKIP_2) | instid1(VALU_DEP_4)
	v_or_b32_e32 v23, 0.5, v17
	v_lshrrev_b32_e32 v21, 9, v21
	v_or_b32_e32 v17, 0x33000000, v17
	v_clz_i32_u32_e32 v26, v22
	s_delay_alu instid0(VALU_DEP_4) | instskip(NEXT) | instid1(VALU_DEP_2)
	v_sub_nc_u32_e32 v23, v23, v25
	v_min_u32_e32 v25, 32, v26
	s_delay_alu instid0(VALU_DEP_2) | instskip(NEXT) | instid1(VALU_DEP_2)
	v_or_b32_e32 v21, v21, v23
	v_not_b32_e32 v23, v25
	v_add_lshl_u32 v24, v25, v24, 23
	s_delay_alu instid0(VALU_DEP_3) | instskip(NEXT) | instid1(VALU_DEP_3)
	v_mul_f32_e32 v26, 0x3fc90fda, v21
	v_alignbit_b32 v16, v22, v16, v23
	s_delay_alu instid0(VALU_DEP_3) | instskip(NEXT) | instid1(VALU_DEP_2)
	v_sub_nc_u32_e32 v17, v17, v24
	v_lshrrev_b32_e32 v16, 9, v16
	s_delay_alu instid0(VALU_DEP_1) | instskip(SKIP_2) | instid1(VALU_DEP_1)
	v_or_b32_e32 v16, v17, v16
	v_add_nc_u32_e32 v17, v20, v0
	v_fma_f32 v22, 0x3fc90fda, v21, -v26
	v_fmac_f32_e32 v22, 0x33a22168, v21
	s_delay_alu instid0(VALU_DEP_1) | instskip(NEXT) | instid1(VALU_DEP_1)
	v_fmac_f32_e32 v22, 0x3fc90fda, v16
	v_add_f32_e32 v16, v26, v22
.LBB349_46:                             ;   in Loop: Header=BB349_13 Depth=3
	s_or_saveexec_b32 s1, s39
	v_mul_f32_e64 v0, 0x3f22f983, |v5|
	s_delay_alu instid0(VALU_DEP_1)
	v_rndne_f32_e32 v21, v0
	s_wait_alu 0xfffe
	s_xor_b32 exec_lo, exec_lo, s1
; %bb.47:                               ;   in Loop: Header=BB349_13 Depth=3
	s_delay_alu instid0(VALU_DEP_1) | instskip(SKIP_1) | instid1(VALU_DEP_2)
	v_fma_f32 v16, 0xbfc90fda, v21, |v5|
	v_cvt_i32_f32_e32 v17, v21
	v_fmac_f32_e32 v16, 0xb3a22168, v21
	s_delay_alu instid0(VALU_DEP_1)
	v_fmac_f32_e32 v16, 0xa7c234c4, v21
; %bb.48:                               ;   in Loop: Header=BB349_13 Depth=3
	s_or_b32 exec_lo, exec_lo, s1
                                        ; implicit-def: $vgpr20
                                        ; implicit-def: $vgpr0
	s_and_saveexec_b32 s1, s38
	s_wait_alu 0xfffe
	s_xor_b32 s38, exec_lo, s1
	s_cbranch_execz .LBB349_50
; %bb.49:                               ;   in Loop: Header=BB349_13 Depth=3
	v_mad_co_u64_u32 v[20:21], null, 0xfe5163ab, v18, 0
	v_cmp_lt_u32_e32 vcc_lo, 63, v19
	s_wait_alu 0xfffd
	v_cndmask_b32_e64 v26, 0, 0xffffffc0, vcc_lo
	s_delay_alu instid0(VALU_DEP_1) | instskip(NEXT) | instid1(VALU_DEP_1)
	v_dual_mov_b32 v0, v21 :: v_dual_add_nc_u32 v19, v26, v19
	v_mad_co_u64_u32 v[21:22], null, 0x3c439041, v18, v[0:1]
	s_delay_alu instid0(VALU_DEP_2) | instskip(NEXT) | instid1(VALU_DEP_2)
	v_cmp_lt_u32_e64 s1, 31, v19
	v_mov_b32_e32 v0, v22
	s_wait_alu 0xf1ff
	s_delay_alu instid0(VALU_DEP_2) | instskip(NEXT) | instid1(VALU_DEP_2)
	v_cndmask_b32_e64 v27, 0, 0xffffffe0, s1
	v_mad_co_u64_u32 v[22:23], null, 0xdb629599, v18, v[0:1]
	s_delay_alu instid0(VALU_DEP_1) | instskip(NEXT) | instid1(VALU_DEP_2)
	v_mov_b32_e32 v0, v23
	v_cndmask_b32_e32 v20, v22, v20, vcc_lo
	s_delay_alu instid0(VALU_DEP_2) | instskip(NEXT) | instid1(VALU_DEP_1)
	v_mad_co_u64_u32 v[23:24], null, 0xf534ddc0, v18, v[0:1]
	v_dual_mov_b32 v0, v24 :: v_dual_cndmask_b32 v21, v23, v21
	s_delay_alu instid0(VALU_DEP_1) | instskip(NEXT) | instid1(VALU_DEP_1)
	v_mad_co_u64_u32 v[24:25], null, 0xfc2757d1, v18, v[0:1]
	v_mov_b32_e32 v0, v25
	s_delay_alu instid0(VALU_DEP_1) | instskip(NEXT) | instid1(VALU_DEP_1)
	v_mad_co_u64_u32 v[25:26], null, 0x4e441529, v18, v[0:1]
	v_mov_b32_e32 v0, v26
	v_add_nc_u32_e32 v26, v27, v19
	s_delay_alu instid0(VALU_DEP_3) | instskip(NEXT) | instid1(VALU_DEP_3)
	v_cndmask_b32_e32 v27, v25, v23, vcc_lo
	v_mad_co_u64_u32 v[18:19], null, 0xa2f9836e, v18, v[0:1]
	s_delay_alu instid0(VALU_DEP_3) | instskip(SKIP_1) | instid1(VALU_DEP_1)
	v_cmp_lt_u32_e64 s2, 31, v26
	s_wait_alu 0xf1ff
	v_cndmask_b32_e64 v0, 0, 0xffffffe0, s2
	s_delay_alu instid0(VALU_DEP_3) | instskip(SKIP_1) | instid1(VALU_DEP_3)
	v_dual_cndmask_b32 v18, v18, v24 :: v_dual_cndmask_b32 v19, v19, v25
	v_cndmask_b32_e32 v24, v24, v22, vcc_lo
	v_add_nc_u32_e32 v0, v0, v26
	s_delay_alu instid0(VALU_DEP_3) | instskip(NEXT) | instid1(VALU_DEP_4)
	v_cndmask_b32_e64 v23, v18, v27, s1
	v_cndmask_b32_e64 v18, v19, v18, s1
	s_delay_alu instid0(VALU_DEP_4)
	v_cndmask_b32_e64 v19, v27, v24, s1
	v_cndmask_b32_e64 v24, v24, v21, s1
	v_sub_nc_u32_e32 v25, 32, v0
	v_cmp_eq_u32_e32 vcc_lo, 0, v0
	v_cndmask_b32_e64 v18, v18, v23, s2
	v_cndmask_b32_e64 v23, v23, v19, s2
	;; [unrolled: 1-line block ×3, first 2 shown]
	s_delay_alu instid0(VALU_DEP_2) | instskip(NEXT) | instid1(VALU_DEP_2)
	v_alignbit_b32 v26, v18, v23, v25
	v_alignbit_b32 v22, v23, v19, v25
	s_wait_alu 0xfffd
	s_delay_alu instid0(VALU_DEP_2) | instskip(SKIP_1) | instid1(VALU_DEP_3)
	v_cndmask_b32_e32 v0, v26, v18, vcc_lo
	v_cndmask_b32_e64 v18, v21, v20, s1
	v_cndmask_b32_e32 v20, v22, v23, vcc_lo
	s_delay_alu instid0(VALU_DEP_3) | instskip(NEXT) | instid1(VALU_DEP_3)
	v_bfe_u32 v21, v0, 29, 1
	v_cndmask_b32_e64 v18, v24, v18, s2
	s_delay_alu instid0(VALU_DEP_3) | instskip(NEXT) | instid1(VALU_DEP_3)
	v_alignbit_b32 v22, v0, v20, 30
	v_sub_nc_u32_e32 v23, 0, v21
	s_delay_alu instid0(VALU_DEP_3) | instskip(NEXT) | instid1(VALU_DEP_2)
	v_alignbit_b32 v24, v19, v18, v25
	v_xor_b32_e32 v22, v22, v23
	s_delay_alu instid0(VALU_DEP_2) | instskip(NEXT) | instid1(VALU_DEP_2)
	v_cndmask_b32_e32 v19, v24, v19, vcc_lo
	v_clz_i32_u32_e32 v24, v22
	s_delay_alu instid0(VALU_DEP_2) | instskip(SKIP_1) | instid1(VALU_DEP_3)
	v_alignbit_b32 v20, v20, v19, 30
	v_alignbit_b32 v18, v19, v18, 30
	v_min_u32_e32 v24, 32, v24
	s_delay_alu instid0(VALU_DEP_3) | instskip(NEXT) | instid1(VALU_DEP_3)
	v_xor_b32_e32 v19, v20, v23
	v_xor_b32_e32 v18, v18, v23
	s_delay_alu instid0(VALU_DEP_3) | instskip(SKIP_2) | instid1(VALU_DEP_3)
	v_sub_nc_u32_e32 v20, 31, v24
	v_lshlrev_b32_e32 v25, 23, v24
	v_lshrrev_b32_e32 v23, 29, v0
	v_alignbit_b32 v22, v22, v19, v20
	v_alignbit_b32 v18, v19, v18, v20
	s_delay_alu instid0(VALU_DEP_3) | instskip(NEXT) | instid1(VALU_DEP_2)
	v_lshlrev_b32_e32 v19, 31, v23
	v_alignbit_b32 v20, v22, v18, 9
	s_delay_alu instid0(VALU_DEP_2) | instskip(SKIP_2) | instid1(VALU_DEP_4)
	v_or_b32_e32 v23, 0.5, v19
	v_lshrrev_b32_e32 v22, 9, v22
	v_or_b32_e32 v19, 0x33000000, v19
	v_clz_i32_u32_e32 v26, v20
	s_delay_alu instid0(VALU_DEP_4) | instskip(NEXT) | instid1(VALU_DEP_2)
	v_sub_nc_u32_e32 v23, v23, v25
	v_min_u32_e32 v25, 32, v26
	s_delay_alu instid0(VALU_DEP_2) | instskip(NEXT) | instid1(VALU_DEP_2)
	v_or_b32_e32 v22, v22, v23
	v_not_b32_e32 v23, v25
	s_delay_alu instid0(VALU_DEP_2) | instskip(SKIP_1) | instid1(VALU_DEP_3)
	v_mul_f32_e32 v26, 0x3fc90fda, v22
	v_add_lshl_u32 v24, v25, v24, 23
	v_alignbit_b32 v18, v20, v18, v23
	s_delay_alu instid0(VALU_DEP_3) | instskip(NEXT) | instid1(VALU_DEP_3)
	v_fma_f32 v20, 0x3fc90fda, v22, -v26
	v_sub_nc_u32_e32 v19, v19, v24
	s_delay_alu instid0(VALU_DEP_3) | instskip(NEXT) | instid1(VALU_DEP_3)
	v_lshrrev_b32_e32 v18, 9, v18
	v_fmac_f32_e32 v20, 0x33a22168, v22
	s_delay_alu instid0(VALU_DEP_2) | instskip(NEXT) | instid1(VALU_DEP_1)
	v_or_b32_e32 v18, v19, v18
	v_fmac_f32_e32 v20, 0x3fc90fda, v18
	v_lshrrev_b32_e32 v18, 30, v0
	s_delay_alu instid0(VALU_DEP_2) | instskip(NEXT) | instid1(VALU_DEP_2)
	v_add_f32_e32 v0, v26, v20
	v_add_nc_u32_e32 v20, v21, v18
                                        ; implicit-def: $vgpr21
	s_and_not1_saveexec_b32 s1, s38
	s_cbranch_execnz .LBB349_51
	s_branch .LBB349_52
.LBB349_50:                             ;   in Loop: Header=BB349_13 Depth=3
	s_and_not1_saveexec_b32 s1, s38
.LBB349_51:                             ;   in Loop: Header=BB349_13 Depth=3
	v_fma_f32 v0, 0xbfc90fda, v21, |v5|
	v_cvt_i32_f32_e32 v20, v21
	s_delay_alu instid0(VALU_DEP_2) | instskip(NEXT) | instid1(VALU_DEP_1)
	v_fmac_f32_e32 v0, 0xb3a22168, v21
	v_fmac_f32_e32 v0, 0xa7c234c4, v21
.LBB349_52:                             ;   in Loop: Header=BB349_13 Depth=3
	s_wait_alu 0xfffe
	s_or_b32 exec_lo, exec_lo, s1
	v_dual_mul_f32 v18, v6, v6 :: v_dual_lshlrev_b32 v19, 30, v7
	v_mul_f32_e32 v21, v13, v13
	v_xor_b32_e32 v4, v4, v12
	v_xor_b32_e32 v14, v14, v5
	s_delay_alu instid0(VALU_DEP_4) | instskip(NEXT) | instid1(VALU_DEP_4)
	v_fmaak_f32 v22, s26, v18, 0x3c0881c4
	v_dual_fmaak_f32 v23, s25, v18, 0xbab64f3b :: v_dual_fmaak_f32 v24, s25, v21, 0xbab64f3b
	v_dual_fmaak_f32 v12, s26, v21, 0x3c0881c4 :: v_dual_and_b32 v7, 1, v7
	s_delay_alu instid0(VALU_DEP_3) | instskip(NEXT) | instid1(VALU_DEP_3)
	v_dual_fmaak_f32 v22, v18, v22, 0xbe2aaa9d :: v_dual_and_b32 v25, 1, v15
	v_dual_fmaak_f32 v23, v18, v23, 0x3d2aabf7 :: v_dual_fmaak_f32 v24, v21, v24, 0x3d2aabf7
	s_delay_alu instid0(VALU_DEP_3) | instskip(NEXT) | instid1(VALU_DEP_3)
	v_dual_fmaak_f32 v12, v21, v12, 0xbe2aaa9d :: v_dual_lshlrev_b32 v15, 30, v15
	v_dual_mul_f32 v22, v18, v22 :: v_dual_and_b32 v19, 0x80000000, v19
	s_delay_alu instid0(VALU_DEP_2) | instskip(SKIP_1) | instid1(VALU_DEP_3)
	v_dual_fmaak_f32 v23, v18, v23, 0xbf000004 :: v_dual_mul_f32 v12, v21, v12
	v_cmp_eq_u32_e32 vcc_lo, 0, v7
	v_fmac_f32_e32 v6, v6, v22
	v_cmp_class_f32_e64 s1, v5, 0x1f8
	s_delay_alu instid0(VALU_DEP_4)
	v_fma_f32 v18, v18, v23, 1.0
	v_fmac_f32_e32 v13, v13, v12
	v_mul_f32_e32 v7, v16, v16
	v_fmaak_f32 v24, v21, v24, 0xbf000004
	v_lshlrev_b32_e32 v22, 30, v17
	s_wait_alu 0xfffd
	v_cndmask_b32_e32 v6, v18, v6, vcc_lo
	v_mul_f32_e32 v18, v0, v0
	v_cmp_eq_u32_e32 vcc_lo, 0, v25
	v_fma_f32 v12, v21, v24, 1.0
	s_delay_alu instid0(VALU_DEP_4) | instskip(SKIP_2) | instid1(VALU_DEP_3)
	v_xor3_b32 v4, v4, v19, v6
	v_and_b32_e32 v17, 1, v17
	s_wait_alu 0xfffd
	v_cndmask_b32_e64 v12, -v13, v12, vcc_lo
	v_fmaak_f32 v13, s26, v7, 0x3c0881c4
	v_fmaak_f32 v19, s26, v18, 0x3c0881c4
	v_cmp_eq_u32_e32 vcc_lo, 0, v17
	s_delay_alu instid0(VALU_DEP_2) | instskip(NEXT) | instid1(VALU_DEP_1)
	v_fmaak_f32 v19, v18, v19, 0xbe2aaa9d
	v_dual_mul_f32 v19, v18, v19 :: v_dual_and_b32 v22, 0x80000000, v22
	s_delay_alu instid0(VALU_DEP_1) | instskip(NEXT) | instid1(VALU_DEP_1)
	v_dual_fmaak_f32 v13, v7, v13, 0xbe2aaa9d :: v_dual_fmac_f32 v0, v0, v19
	v_mul_f32_e32 v13, v7, v13
	s_delay_alu instid0(VALU_DEP_1) | instskip(NEXT) | instid1(VALU_DEP_1)
	v_dual_fmaak_f32 v21, s25, v18, 0xbab64f3b :: v_dual_fmac_f32 v16, v16, v13
	v_fmaak_f32 v21, v18, v21, 0x3d2aabf7
	v_and_b32_e32 v6, 0x80000000, v15
	v_fmaak_f32 v15, s25, v7, 0xbab64f3b
	s_delay_alu instid0(VALU_DEP_3) | instskip(NEXT) | instid1(VALU_DEP_1)
	v_fmaak_f32 v21, v18, v21, 0xbf000004
	v_fma_f32 v13, v18, v21, 1.0
	s_delay_alu instid0(VALU_DEP_3) | instskip(NEXT) | instid1(VALU_DEP_1)
	v_dual_fmaak_f32 v15, v7, v15, 0x3d2aabf7 :: v_dual_lshlrev_b32 v18, 30, v20
	v_fmaak_f32 v15, v7, v15, 0xbf000004
	s_delay_alu instid0(VALU_DEP_1) | instskip(SKIP_2) | instid1(VALU_DEP_2)
	v_fma_f32 v7, v7, v15, 1.0
	v_and_b32_e32 v15, 1, v20
	s_wait_alu 0xfffd
	v_cndmask_b32_e32 v7, v7, v16, vcc_lo
	s_delay_alu instid0(VALU_DEP_2) | instskip(SKIP_1) | instid1(VALU_DEP_3)
	v_cmp_eq_u32_e32 vcc_lo, 0, v15
	v_xor_b32_e32 v6, v6, v12
	v_xor3_b32 v7, v14, v22, v7
	s_wait_alu 0xfffd
	v_cndmask_b32_e64 v0, -v0, v13, vcc_lo
	v_and_b32_e32 v13, 0x80000000, v18
	v_cmp_class_f32_e64 vcc_lo, v11, 0x1f8
	s_delay_alu instid0(VALU_DEP_2)
	v_xor_b32_e32 v0, v13, v0
	s_wait_alu 0xfffd
	v_cndmask_b32_e32 v5, 0x7fc00000, v6, vcc_lo
	v_cndmask_b32_e32 v4, 0x7fc00000, v4, vcc_lo
	s_wait_alu 0xf1ff
	v_cndmask_b32_e64 v6, 0x7fc00000, v7, s1
	v_cndmask_b32_e64 v0, 0x7fc00000, v0, s1
	v_mul_f32_e32 v7, 0x7f800000, v5
	v_cmp_neq_f32_e32 vcc_lo, 0, v5
	s_delay_alu instid0(VALU_DEP_3) | instskip(SKIP_1) | instid1(VALU_DEP_3)
	v_dual_mul_f32 v12, 0x7f800000, v6 :: v_dual_mul_f32 v11, 0x7f800000, v0
	s_wait_alu 0xfffd
	v_cndmask_b32_e32 v5, 0, v7, vcc_lo
	v_cmp_neq_f32_e32 vcc_lo, 0, v0
	s_wait_alu 0xfffd
	v_dual_mul_f32 v7, 0x7f800000, v4 :: v_dual_cndmask_b32 v0, 0, v11
	v_cmp_neq_f32_e32 vcc_lo, 0, v4
	s_wait_alu 0xfffd
	s_delay_alu instid0(VALU_DEP_2) | instskip(SKIP_2) | instid1(VALU_DEP_2)
	v_dual_add_f32 v5, v5, v0 :: v_dual_cndmask_b32 v4, 0, v7
	v_cmp_neq_f32_e32 vcc_lo, 0, v6
	s_wait_alu 0xfffd
	v_dual_add_f32 v13, -1.0, v5 :: v_dual_cndmask_b32 v6, 0, v12
	s_delay_alu instid0(VALU_DEP_1) | instskip(NEXT) | instid1(VALU_DEP_1)
	v_add_f32_e32 v0, v4, v6
	v_max_num_f32_e64 v6, |v13|, |v0|
	s_delay_alu instid0(VALU_DEP_1) | instskip(SKIP_1) | instid1(VALU_DEP_2)
	v_cvt_f64_f32_e32 v[4:5], v6
	v_cmp_eq_f32_e32 vcc_lo, 0x7f800000, v6
	v_frexp_exp_i32_f64_e32 v4, v[4:5]
	s_delay_alu instid0(VALU_DEP_1) | instskip(NEXT) | instid1(VALU_DEP_1)
	v_sub_nc_u32_e32 v5, 0, v4
	v_ldexp_f32 v7, |v0|, v5
	v_ldexp_f32 v5, |v13|, v5
	s_delay_alu instid0(VALU_DEP_2) | instskip(NEXT) | instid1(VALU_DEP_1)
	v_mul_f32_e32 v7, v7, v7
	v_fmac_f32_e32 v7, v5, v5
	s_delay_alu instid0(VALU_DEP_1) | instskip(NEXT) | instid1(TRANS32_DEP_1)
	v_sqrt_f32_e32 v5, v7
	v_ldexp_f32 v5, v5, v4
	v_add_f32_e32 v4, 1.0, v13
	s_delay_alu instid0(VALU_DEP_2) | instskip(NEXT) | instid1(VALU_DEP_2)
	v_cmp_ngt_f32_e64 s1, 0.5, v5
	v_max_num_f32_e64 v5, |v4|, |v0|
	s_or_b32 s1, vcc_lo, s1
	s_wait_alu 0xfffe
	s_and_saveexec_b32 s2, s1
	s_wait_alu 0xfffe
	s_xor_b32 s2, exec_lo, s2
	s_cbranch_execz .LBB349_54
; %bb.53:                               ;   in Loop: Header=BB349_13 Depth=3
	v_cvt_f64_f32_e32 v[6:7], v5
	v_cmp_neq_f32_e32 vcc_lo, 0x7f800000, v5
	s_delay_alu instid0(VALU_DEP_2) | instskip(NEXT) | instid1(VALU_DEP_1)
	v_frexp_exp_i32_f64_e32 v6, v[6:7]
	v_sub_nc_u32_e32 v7, 0, v6
	s_delay_alu instid0(VALU_DEP_1) | instskip(SKIP_1) | instid1(VALU_DEP_2)
	v_ldexp_f32 v11, |v0|, v7
	v_ldexp_f32 v7, |v4|, v7
	v_mul_f32_e32 v11, v11, v11
	s_delay_alu instid0(VALU_DEP_1) | instskip(NEXT) | instid1(VALU_DEP_1)
	v_fmac_f32_e32 v11, v7, v7
	v_sqrt_f32_e32 v7, v11
	s_delay_alu instid0(TRANS32_DEP_1) | instskip(SKIP_1) | instid1(VALU_DEP_1)
	v_ldexp_f32 v6, v7, v6
	s_wait_alu 0xfffd
	v_cndmask_b32_e32 v6, 0x7f800000, v6, vcc_lo
	s_delay_alu instid0(VALU_DEP_1) | instskip(SKIP_2) | instid1(VALU_DEP_1)
	v_cmp_gt_f32_e32 vcc_lo, 0x800000, v6
	s_wait_alu 0xfffd
	v_cndmask_b32_e64 v7, 0, 32, vcc_lo
	v_ldexp_f32 v6, v6, v7
	s_delay_alu instid0(VALU_DEP_1) | instskip(NEXT) | instid1(TRANS32_DEP_1)
	v_log_f32_e32 v6, v6
	v_mul_f32_e32 v7, 0x3f317217, v6
	v_cmp_gt_f32_e64 s1, 0x7f800000, |v6|
	s_delay_alu instid0(VALU_DEP_2) | instskip(NEXT) | instid1(VALU_DEP_1)
	v_fma_f32 v7, 0x3f317217, v6, -v7
	v_fmac_f32_e32 v7, 0x3377d1cf, v6
	s_delay_alu instid0(VALU_DEP_1) | instskip(SKIP_1) | instid1(VALU_DEP_1)
	v_fmac_f32_e32 v7, 0x3f317217, v6
	s_wait_alu 0xf1ff
	v_cndmask_b32_e64 v6, v6, v7, s1
	v_cndmask_b32_e64 v7, 0, 0x41b17218, vcc_lo
	s_delay_alu instid0(VALU_DEP_1)
	v_sub_f32_e32 v13, v6, v7
.LBB349_54:                             ;   in Loop: Header=BB349_13 Depth=3
	s_wait_alu 0xfffe
	s_and_not1_saveexec_b32 s1, s2
	s_cbranch_execz .LBB349_9
; %bb.55:                               ;   in Loop: Header=BB349_13 Depth=3
	s_delay_alu instid0(VALU_DEP_1) | instskip(SKIP_1) | instid1(VALU_DEP_1)
	v_add_f32_e32 v6, 2.0, v13
	s_mov_b32 s2, exec_lo
	v_mul_f32_e32 v6, v13, v6
	s_delay_alu instid0(VALU_DEP_1) | instskip(NEXT) | instid1(VALU_DEP_1)
	v_fmac_f32_e32 v6, v0, v0
	v_cmpx_neq_f32_e32 0, v6
	s_cbranch_execz .LBB349_8
; %bb.56:                               ;   in Loop: Header=BB349_13 Depth=3
	v_add_f32_e32 v7, 1.0, v6
	s_delay_alu instid0(VALU_DEP_1) | instskip(NEXT) | instid1(VALU_DEP_1)
	v_cvt_f64_f32_e32 v[11:12], v7
	v_frexp_exp_i32_f64_e32 v11, v[11:12]
	v_frexp_mant_f32_e32 v12, v7
	s_delay_alu instid0(VALU_DEP_1) | instskip(SKIP_1) | instid1(VALU_DEP_1)
	v_cmp_gt_f32_e32 vcc_lo, 0x3f2aaaab, v12
	v_add_f32_e32 v12, -1.0, v7
	v_sub_f32_e32 v14, v12, v7
	v_sub_f32_e32 v12, v6, v12
	s_wait_alu 0xfffd
	v_subrev_co_ci_u32_e64 v11, null, 0, v11, vcc_lo
	v_cmp_neq_f32_e32 vcc_lo, 0x7f800000, v6
	s_delay_alu instid0(VALU_DEP_2) | instskip(SKIP_1) | instid1(VALU_DEP_2)
	v_sub_nc_u32_e32 v13, 0, v11
	v_cvt_f32_i32_e32 v11, v11
	v_ldexp_f32 v7, v7, v13
	s_delay_alu instid0(VALU_DEP_1) | instskip(NEXT) | instid1(VALU_DEP_1)
	v_dual_add_f32 v14, 1.0, v14 :: v_dual_add_f32 v15, 1.0, v7
	v_add_f32_e32 v12, v12, v14
	s_delay_alu instid0(VALU_DEP_2) | instskip(NEXT) | instid1(VALU_DEP_2)
	v_add_f32_e32 v14, -1.0, v15
	v_ldexp_f32 v12, v12, v13
	s_delay_alu instid0(VALU_DEP_2) | instskip(NEXT) | instid1(VALU_DEP_1)
	v_dual_add_f32 v13, -1.0, v7 :: v_dual_sub_f32 v14, v7, v14
	v_add_f32_e32 v16, 1.0, v13
	s_delay_alu instid0(VALU_DEP_1) | instskip(NEXT) | instid1(VALU_DEP_1)
	v_sub_f32_e32 v7, v7, v16
	v_add_f32_e32 v7, v12, v7
	s_delay_alu instid0(VALU_DEP_1) | instskip(NEXT) | instid1(VALU_DEP_1)
	v_dual_add_f32 v17, v13, v7 :: v_dual_add_f32 v14, v12, v14
	v_dual_sub_f32 v13, v17, v13 :: v_dual_add_f32 v16, v15, v14
	s_delay_alu instid0(VALU_DEP_1) | instskip(NEXT) | instid1(VALU_DEP_2)
	v_sub_f32_e32 v7, v7, v13
	v_rcp_f32_e32 v12, v16
	v_sub_f32_e32 v15, v16, v15
	s_delay_alu instid0(VALU_DEP_1) | instskip(NEXT) | instid1(TRANS32_DEP_1)
	v_sub_f32_e32 v14, v14, v15
	v_mul_f32_e32 v18, v17, v12
	s_delay_alu instid0(VALU_DEP_1) | instskip(NEXT) | instid1(VALU_DEP_1)
	v_mul_f32_e32 v19, v16, v18
	v_fma_f32 v15, v18, v16, -v19
	s_delay_alu instid0(VALU_DEP_1) | instskip(NEXT) | instid1(VALU_DEP_1)
	v_fmac_f32_e32 v15, v18, v14
	v_add_f32_e32 v20, v19, v15
	s_delay_alu instid0(VALU_DEP_1) | instskip(SKIP_1) | instid1(VALU_DEP_2)
	v_sub_f32_e32 v21, v17, v20
	v_sub_f32_e32 v13, v20, v19
	v_sub_f32_e32 v17, v17, v21
	s_delay_alu instid0(VALU_DEP_2) | instskip(NEXT) | instid1(VALU_DEP_2)
	v_sub_f32_e32 v13, v13, v15
	v_sub_f32_e32 v17, v17, v20
	s_delay_alu instid0(VALU_DEP_1) | instskip(NEXT) | instid1(VALU_DEP_1)
	v_add_f32_e32 v7, v7, v17
	v_add_f32_e32 v7, v13, v7
	s_delay_alu instid0(VALU_DEP_1) | instskip(NEXT) | instid1(VALU_DEP_1)
	v_add_f32_e32 v13, v21, v7
	v_mul_f32_e32 v15, v12, v13
	s_delay_alu instid0(VALU_DEP_1) | instskip(NEXT) | instid1(VALU_DEP_1)
	v_dual_sub_f32 v20, v21, v13 :: v_dual_mul_f32 v17, v16, v15
	v_add_f32_e32 v7, v7, v20
	s_delay_alu instid0(VALU_DEP_2) | instskip(NEXT) | instid1(VALU_DEP_1)
	v_fma_f32 v16, v15, v16, -v17
	v_fmac_f32_e32 v16, v15, v14
	s_delay_alu instid0(VALU_DEP_1) | instskip(NEXT) | instid1(VALU_DEP_1)
	v_add_f32_e32 v14, v17, v16
	v_sub_f32_e32 v19, v13, v14
	s_delay_alu instid0(VALU_DEP_1) | instskip(NEXT) | instid1(VALU_DEP_1)
	v_sub_f32_e32 v13, v13, v19
	v_sub_f32_e32 v13, v13, v14
	s_delay_alu instid0(VALU_DEP_1) | instskip(SKIP_2) | instid1(VALU_DEP_1)
	v_add_f32_e32 v7, v7, v13
	v_add_f32_e32 v13, v18, v15
	v_sub_f32_e32 v17, v14, v17
	v_sub_f32_e32 v14, v17, v16
	s_delay_alu instid0(VALU_DEP_1) | instskip(NEXT) | instid1(VALU_DEP_1)
	v_dual_add_f32 v7, v14, v7 :: v_dual_sub_f32 v14, v13, v18
	v_add_f32_e32 v7, v19, v7
	s_delay_alu instid0(VALU_DEP_1) | instskip(NEXT) | instid1(VALU_DEP_1)
	v_dual_sub_f32 v14, v15, v14 :: v_dual_mul_f32 v7, v12, v7
	v_add_f32_e32 v7, v14, v7
	s_delay_alu instid0(VALU_DEP_1) | instskip(NEXT) | instid1(VALU_DEP_1)
	v_add_f32_e32 v12, v13, v7
	v_mul_f32_e32 v14, v12, v12
	s_delay_alu instid0(VALU_DEP_1) | instskip(SKIP_1) | instid1(VALU_DEP_2)
	v_fmaak_f32 v15, s28, v14, 0x3ecc95a3
	v_mul_f32_e32 v16, v12, v14
	v_fmaak_f32 v14, v14, v15, 0x3f2aaada
	v_ldexp_f32 v15, v12, 1
	v_sub_f32_e32 v12, v12, v13
	s_delay_alu instid0(VALU_DEP_3) | instskip(NEXT) | instid1(VALU_DEP_2)
	v_mul_f32_e32 v14, v16, v14
	v_dual_mul_f32 v16, 0x3f317218, v11 :: v_dual_sub_f32 v7, v7, v12
	s_delay_alu instid0(VALU_DEP_2) | instskip(NEXT) | instid1(VALU_DEP_2)
	v_add_f32_e32 v13, v15, v14
	v_ldexp_f32 v7, v7, 1
	s_delay_alu instid0(VALU_DEP_2) | instskip(NEXT) | instid1(VALU_DEP_4)
	v_sub_f32_e32 v12, v13, v15
	v_fma_f32 v15, 0x3f317218, v11, -v16
	s_delay_alu instid0(VALU_DEP_1) | instskip(NEXT) | instid1(VALU_DEP_1)
	v_dual_sub_f32 v12, v14, v12 :: v_dual_fmac_f32 v15, 0xb102e308, v11
	v_add_f32_e32 v7, v7, v12
	s_delay_alu instid0(VALU_DEP_2) | instskip(NEXT) | instid1(VALU_DEP_2)
	v_add_f32_e32 v11, v16, v15
	v_add_f32_e32 v12, v13, v7
	s_delay_alu instid0(VALU_DEP_2) | instskip(NEXT) | instid1(VALU_DEP_2)
	v_sub_f32_e32 v16, v11, v16
	v_dual_add_f32 v14, v11, v12 :: v_dual_sub_f32 v13, v12, v13
	s_delay_alu instid0(VALU_DEP_2) | instskip(NEXT) | instid1(VALU_DEP_2)
	v_sub_f32_e32 v15, v15, v16
	v_sub_f32_e32 v17, v14, v11
	s_delay_alu instid0(VALU_DEP_3) | instskip(NEXT) | instid1(VALU_DEP_2)
	v_sub_f32_e32 v7, v7, v13
	v_sub_f32_e32 v18, v14, v17
	s_delay_alu instid0(VALU_DEP_2) | instskip(NEXT) | instid1(VALU_DEP_2)
	v_dual_sub_f32 v12, v12, v17 :: v_dual_add_f32 v13, v15, v7
	v_sub_f32_e32 v11, v11, v18
	s_delay_alu instid0(VALU_DEP_1) | instskip(NEXT) | instid1(VALU_DEP_3)
	v_add_f32_e32 v11, v12, v11
	v_sub_f32_e32 v12, v13, v15
	s_delay_alu instid0(VALU_DEP_2) | instskip(NEXT) | instid1(VALU_DEP_2)
	v_add_f32_e32 v11, v13, v11
	v_sub_f32_e32 v13, v13, v12
	s_delay_alu instid0(VALU_DEP_2) | instskip(NEXT) | instid1(VALU_DEP_1)
	v_dual_sub_f32 v7, v7, v12 :: v_dual_add_f32 v16, v14, v11
	v_dual_sub_f32 v13, v15, v13 :: v_dual_sub_f32 v12, v16, v14
	s_delay_alu instid0(VALU_DEP_1) | instskip(NEXT) | instid1(VALU_DEP_2)
	v_add_f32_e32 v7, v7, v13
	v_sub_f32_e32 v11, v11, v12
	s_delay_alu instid0(VALU_DEP_1) | instskip(NEXT) | instid1(VALU_DEP_1)
	v_add_f32_e32 v7, v7, v11
	v_add_f32_e32 v7, v16, v7
	s_wait_alu 0xfffd
	s_delay_alu instid0(VALU_DEP_1) | instskip(SKIP_2) | instid1(VALU_DEP_2)
	v_cndmask_b32_e32 v7, 0x7f800000, v7, vcc_lo
	v_cmp_ngt_f32_e32 vcc_lo, -1.0, v6
	s_wait_alu 0xfffd
	v_cndmask_b32_e32 v7, 0x7fc00000, v7, vcc_lo
	v_cmp_neq_f32_e32 vcc_lo, -1.0, v6
	s_wait_alu 0xfffd
	s_delay_alu instid0(VALU_DEP_2) | instskip(SKIP_2) | instid1(VALU_DEP_2)
	v_cndmask_b32_e32 v7, 0xff800000, v7, vcc_lo
	v_cmp_gt_f32_e64 vcc_lo, 0x33800000, |v6|
	s_wait_alu 0xfffd
	v_cndmask_b32_e32 v6, v7, v6, vcc_lo
	s_delay_alu instid0(VALU_DEP_1)
	v_mul_f32_e32 v13, 0.5, v6
	s_branch .LBB349_8
.LBB349_57:
	s_endpgm
	.section	.rodata,"a",@progbits
	.p2align	6, 0x0
	.amdhsa_kernel _ZN2at6native28tensor_kernel_scan_outer_dimIN3c107complexIfEEmZZZNS0_31launch_logcumsumexp_cuda_kernelERKNS_10TensorBaseES7_lENKUlvE_clEvENKUlvE2_clEvEUlS4_S4_E_EEvPT_PKSB_jjjSB_T1_
		.amdhsa_group_segment_fixed_size 0
		.amdhsa_private_segment_fixed_size 0
		.amdhsa_kernarg_size 304
		.amdhsa_user_sgpr_count 2
		.amdhsa_user_sgpr_dispatch_ptr 0
		.amdhsa_user_sgpr_queue_ptr 0
		.amdhsa_user_sgpr_kernarg_segment_ptr 1
		.amdhsa_user_sgpr_dispatch_id 0
		.amdhsa_user_sgpr_private_segment_size 0
		.amdhsa_wavefront_size32 1
		.amdhsa_uses_dynamic_stack 0
		.amdhsa_enable_private_segment 0
		.amdhsa_system_sgpr_workgroup_id_x 1
		.amdhsa_system_sgpr_workgroup_id_y 1
		.amdhsa_system_sgpr_workgroup_id_z 0
		.amdhsa_system_sgpr_workgroup_info 0
		.amdhsa_system_vgpr_workitem_id 0
		.amdhsa_next_free_vgpr 28
		.amdhsa_next_free_sgpr 40
		.amdhsa_reserve_vcc 1
		.amdhsa_float_round_mode_32 0
		.amdhsa_float_round_mode_16_64 0
		.amdhsa_float_denorm_mode_32 3
		.amdhsa_float_denorm_mode_16_64 3
		.amdhsa_fp16_overflow 0
		.amdhsa_workgroup_processor_mode 1
		.amdhsa_memory_ordered 1
		.amdhsa_forward_progress 1
		.amdhsa_inst_pref_size 72
		.amdhsa_round_robin_scheduling 0
		.amdhsa_exception_fp_ieee_invalid_op 0
		.amdhsa_exception_fp_denorm_src 0
		.amdhsa_exception_fp_ieee_div_zero 0
		.amdhsa_exception_fp_ieee_overflow 0
		.amdhsa_exception_fp_ieee_underflow 0
		.amdhsa_exception_fp_ieee_inexact 0
		.amdhsa_exception_int_div_zero 0
	.end_amdhsa_kernel
	.section	.text._ZN2at6native28tensor_kernel_scan_outer_dimIN3c107complexIfEEmZZZNS0_31launch_logcumsumexp_cuda_kernelERKNS_10TensorBaseES7_lENKUlvE_clEvENKUlvE2_clEvEUlS4_S4_E_EEvPT_PKSB_jjjSB_T1_,"axG",@progbits,_ZN2at6native28tensor_kernel_scan_outer_dimIN3c107complexIfEEmZZZNS0_31launch_logcumsumexp_cuda_kernelERKNS_10TensorBaseES7_lENKUlvE_clEvENKUlvE2_clEvEUlS4_S4_E_EEvPT_PKSB_jjjSB_T1_,comdat
.Lfunc_end349:
	.size	_ZN2at6native28tensor_kernel_scan_outer_dimIN3c107complexIfEEmZZZNS0_31launch_logcumsumexp_cuda_kernelERKNS_10TensorBaseES7_lENKUlvE_clEvENKUlvE2_clEvEUlS4_S4_E_EEvPT_PKSB_jjjSB_T1_, .Lfunc_end349-_ZN2at6native28tensor_kernel_scan_outer_dimIN3c107complexIfEEmZZZNS0_31launch_logcumsumexp_cuda_kernelERKNS_10TensorBaseES7_lENKUlvE_clEvENKUlvE2_clEvEUlS4_S4_E_EEvPT_PKSB_jjjSB_T1_
                                        ; -- End function
	.set _ZN2at6native28tensor_kernel_scan_outer_dimIN3c107complexIfEEmZZZNS0_31launch_logcumsumexp_cuda_kernelERKNS_10TensorBaseES7_lENKUlvE_clEvENKUlvE2_clEvEUlS4_S4_E_EEvPT_PKSB_jjjSB_T1_.num_vgpr, 28
	.set _ZN2at6native28tensor_kernel_scan_outer_dimIN3c107complexIfEEmZZZNS0_31launch_logcumsumexp_cuda_kernelERKNS_10TensorBaseES7_lENKUlvE_clEvENKUlvE2_clEvEUlS4_S4_E_EEvPT_PKSB_jjjSB_T1_.num_agpr, 0
	.set _ZN2at6native28tensor_kernel_scan_outer_dimIN3c107complexIfEEmZZZNS0_31launch_logcumsumexp_cuda_kernelERKNS_10TensorBaseES7_lENKUlvE_clEvENKUlvE2_clEvEUlS4_S4_E_EEvPT_PKSB_jjjSB_T1_.numbered_sgpr, 40
	.set _ZN2at6native28tensor_kernel_scan_outer_dimIN3c107complexIfEEmZZZNS0_31launch_logcumsumexp_cuda_kernelERKNS_10TensorBaseES7_lENKUlvE_clEvENKUlvE2_clEvEUlS4_S4_E_EEvPT_PKSB_jjjSB_T1_.num_named_barrier, 0
	.set _ZN2at6native28tensor_kernel_scan_outer_dimIN3c107complexIfEEmZZZNS0_31launch_logcumsumexp_cuda_kernelERKNS_10TensorBaseES7_lENKUlvE_clEvENKUlvE2_clEvEUlS4_S4_E_EEvPT_PKSB_jjjSB_T1_.private_seg_size, 0
	.set _ZN2at6native28tensor_kernel_scan_outer_dimIN3c107complexIfEEmZZZNS0_31launch_logcumsumexp_cuda_kernelERKNS_10TensorBaseES7_lENKUlvE_clEvENKUlvE2_clEvEUlS4_S4_E_EEvPT_PKSB_jjjSB_T1_.uses_vcc, 1
	.set _ZN2at6native28tensor_kernel_scan_outer_dimIN3c107complexIfEEmZZZNS0_31launch_logcumsumexp_cuda_kernelERKNS_10TensorBaseES7_lENKUlvE_clEvENKUlvE2_clEvEUlS4_S4_E_EEvPT_PKSB_jjjSB_T1_.uses_flat_scratch, 0
	.set _ZN2at6native28tensor_kernel_scan_outer_dimIN3c107complexIfEEmZZZNS0_31launch_logcumsumexp_cuda_kernelERKNS_10TensorBaseES7_lENKUlvE_clEvENKUlvE2_clEvEUlS4_S4_E_EEvPT_PKSB_jjjSB_T1_.has_dyn_sized_stack, 0
	.set _ZN2at6native28tensor_kernel_scan_outer_dimIN3c107complexIfEEmZZZNS0_31launch_logcumsumexp_cuda_kernelERKNS_10TensorBaseES7_lENKUlvE_clEvENKUlvE2_clEvEUlS4_S4_E_EEvPT_PKSB_jjjSB_T1_.has_recursion, 0
	.set _ZN2at6native28tensor_kernel_scan_outer_dimIN3c107complexIfEEmZZZNS0_31launch_logcumsumexp_cuda_kernelERKNS_10TensorBaseES7_lENKUlvE_clEvENKUlvE2_clEvEUlS4_S4_E_EEvPT_PKSB_jjjSB_T1_.has_indirect_call, 0
	.section	.AMDGPU.csdata,"",@progbits
; Kernel info:
; codeLenInByte = 9152
; TotalNumSgprs: 42
; NumVgprs: 28
; ScratchSize: 0
; MemoryBound: 0
; FloatMode: 240
; IeeeMode: 1
; LDSByteSize: 0 bytes/workgroup (compile time only)
; SGPRBlocks: 0
; VGPRBlocks: 3
; NumSGPRsForWavesPerEU: 42
; NumVGPRsForWavesPerEU: 28
; Occupancy: 16
; WaveLimiterHint : 0
; COMPUTE_PGM_RSRC2:SCRATCH_EN: 0
; COMPUTE_PGM_RSRC2:USER_SGPR: 2
; COMPUTE_PGM_RSRC2:TRAP_HANDLER: 0
; COMPUTE_PGM_RSRC2:TGID_X_EN: 1
; COMPUTE_PGM_RSRC2:TGID_Y_EN: 1
; COMPUTE_PGM_RSRC2:TGID_Z_EN: 0
; COMPUTE_PGM_RSRC2:TIDIG_COMP_CNT: 0
	.section	.text._ZN7rocprim17ROCPRIM_400000_NS6detail31init_lookback_scan_state_kernelINS1_19lookback_scan_stateIN3c104HalfELb0ELb1EEENS1_16block_id_wrapperIjLb0EEEEEvT_jT0_jPNS9_10value_typeE,"axG",@progbits,_ZN7rocprim17ROCPRIM_400000_NS6detail31init_lookback_scan_state_kernelINS1_19lookback_scan_stateIN3c104HalfELb0ELb1EEENS1_16block_id_wrapperIjLb0EEEEEvT_jT0_jPNS9_10value_typeE,comdat
	.protected	_ZN7rocprim17ROCPRIM_400000_NS6detail31init_lookback_scan_state_kernelINS1_19lookback_scan_stateIN3c104HalfELb0ELb1EEENS1_16block_id_wrapperIjLb0EEEEEvT_jT0_jPNS9_10value_typeE ; -- Begin function _ZN7rocprim17ROCPRIM_400000_NS6detail31init_lookback_scan_state_kernelINS1_19lookback_scan_stateIN3c104HalfELb0ELb1EEENS1_16block_id_wrapperIjLb0EEEEEvT_jT0_jPNS9_10value_typeE
	.globl	_ZN7rocprim17ROCPRIM_400000_NS6detail31init_lookback_scan_state_kernelINS1_19lookback_scan_stateIN3c104HalfELb0ELb1EEENS1_16block_id_wrapperIjLb0EEEEEvT_jT0_jPNS9_10value_typeE
	.p2align	8
	.type	_ZN7rocprim17ROCPRIM_400000_NS6detail31init_lookback_scan_state_kernelINS1_19lookback_scan_stateIN3c104HalfELb0ELb1EEENS1_16block_id_wrapperIjLb0EEEEEvT_jT0_jPNS9_10value_typeE,@function
_ZN7rocprim17ROCPRIM_400000_NS6detail31init_lookback_scan_state_kernelINS1_19lookback_scan_stateIN3c104HalfELb0ELb1EEENS1_16block_id_wrapperIjLb0EEEEEvT_jT0_jPNS9_10value_typeE: ; @_ZN7rocprim17ROCPRIM_400000_NS6detail31init_lookback_scan_state_kernelINS1_19lookback_scan_stateIN3c104HalfELb0ELb1EEENS1_16block_id_wrapperIjLb0EEEEEvT_jT0_jPNS9_10value_typeE
; %bb.0:
	s_clause 0x2
	s_load_b32 s7, s[0:1], 0x2c
	s_load_b64 s[2:3], s[0:1], 0x18
	s_load_b96 s[4:6], s[0:1], 0x0
	s_wait_kmcnt 0x0
	s_and_b32 s7, s7, 0xffff
	s_cmp_eq_u64 s[2:3], 0
	v_mad_co_u64_u32 v[0:1], null, ttmp9, s7, v[0:1]
	s_cbranch_scc1 .LBB350_6
; %bb.1:
	s_load_b32 s0, s[0:1], 0x10
	s_wait_kmcnt 0x0
	s_cmp_lt_u32 s0, s6
	s_cselect_b32 s1, s0, 0
	s_wait_alu 0xfffe
	v_cmp_eq_u32_e32 vcc_lo, s1, v0
	s_mov_b32 s1, 0
	s_and_saveexec_b32 s7, vcc_lo
	s_cbranch_execz .LBB350_5
; %bb.2:
	s_add_co_i32 s0, s0, 32
	v_mov_b32_e32 v2, 0
	s_wait_alu 0xfffe
	s_lshl_b64 s[0:1], s[0:1], 2
	s_wait_alu 0xfffe
	s_add_nc_u64 s[0:1], s[4:5], s[0:1]
	global_load_b32 v1, v2, s[0:1] scope:SCOPE_DEV
	s_wait_loadcnt 0x0
	v_and_b32_e32 v3, 0xff0000, v1
	s_delay_alu instid0(VALU_DEP_1)
	v_cmp_ne_u32_e32 vcc_lo, 0, v3
	s_cbranch_vccnz .LBB350_4
.LBB350_3:                              ; =>This Inner Loop Header: Depth=1
	global_load_b32 v1, v2, s[0:1] scope:SCOPE_DEV
	s_wait_loadcnt 0x0
	v_and_b32_e32 v3, 0xff0000, v1
	s_delay_alu instid0(VALU_DEP_1)
	v_cmp_eq_u32_e32 vcc_lo, 0, v3
	s_cbranch_vccnz .LBB350_3
.LBB350_4:
	v_mov_b32_e32 v2, 0
	global_store_b16 v2, v1, s[2:3]
.LBB350_5:
	s_wait_alu 0xfffe
	s_or_b32 exec_lo, exec_lo, s7
.LBB350_6:
	s_delay_alu instid0(SALU_CYCLE_1)
	s_mov_b32 s0, exec_lo
	v_cmpx_gt_u32_e64 s6, v0
	s_cbranch_execz .LBB350_8
; %bb.7:
	v_dual_mov_b32 v2, 0 :: v_dual_add_nc_u32 v1, 32, v0
	s_delay_alu instid0(VALU_DEP_1) | instskip(NEXT) | instid1(VALU_DEP_1)
	v_lshlrev_b64_e32 v[3:4], 2, v[1:2]
	v_add_co_u32 v3, vcc_lo, s4, v3
	s_delay_alu instid0(VALU_DEP_1)
	v_add_co_ci_u32_e64 v4, null, s5, v4, vcc_lo
	global_store_b32 v[3:4], v2, off
.LBB350_8:
	s_wait_alu 0xfffe
	s_or_b32 exec_lo, exec_lo, s0
	s_delay_alu instid0(SALU_CYCLE_1)
	s_mov_b32 s0, exec_lo
	v_cmpx_gt_u32_e32 32, v0
	s_cbranch_execz .LBB350_10
; %bb.9:
	v_dual_mov_b32 v1, 0 :: v_dual_mov_b32 v2, 0xff0000
	s_delay_alu instid0(VALU_DEP_1) | instskip(NEXT) | instid1(VALU_DEP_1)
	v_lshlrev_b64_e32 v[0:1], 2, v[0:1]
	v_add_co_u32 v0, vcc_lo, s4, v0
	s_wait_alu 0xfffd
	s_delay_alu instid0(VALU_DEP_2)
	v_add_co_ci_u32_e64 v1, null, s5, v1, vcc_lo
	global_store_b32 v[0:1], v2, off
.LBB350_10:
	s_endpgm
	.section	.rodata,"a",@progbits
	.p2align	6, 0x0
	.amdhsa_kernel _ZN7rocprim17ROCPRIM_400000_NS6detail31init_lookback_scan_state_kernelINS1_19lookback_scan_stateIN3c104HalfELb0ELb1EEENS1_16block_id_wrapperIjLb0EEEEEvT_jT0_jPNS9_10value_typeE
		.amdhsa_group_segment_fixed_size 0
		.amdhsa_private_segment_fixed_size 0
		.amdhsa_kernarg_size 288
		.amdhsa_user_sgpr_count 2
		.amdhsa_user_sgpr_dispatch_ptr 0
		.amdhsa_user_sgpr_queue_ptr 0
		.amdhsa_user_sgpr_kernarg_segment_ptr 1
		.amdhsa_user_sgpr_dispatch_id 0
		.amdhsa_user_sgpr_private_segment_size 0
		.amdhsa_wavefront_size32 1
		.amdhsa_uses_dynamic_stack 0
		.amdhsa_enable_private_segment 0
		.amdhsa_system_sgpr_workgroup_id_x 1
		.amdhsa_system_sgpr_workgroup_id_y 0
		.amdhsa_system_sgpr_workgroup_id_z 0
		.amdhsa_system_sgpr_workgroup_info 0
		.amdhsa_system_vgpr_workitem_id 0
		.amdhsa_next_free_vgpr 5
		.amdhsa_next_free_sgpr 8
		.amdhsa_reserve_vcc 1
		.amdhsa_float_round_mode_32 0
		.amdhsa_float_round_mode_16_64 0
		.amdhsa_float_denorm_mode_32 3
		.amdhsa_float_denorm_mode_16_64 3
		.amdhsa_fp16_overflow 0
		.amdhsa_workgroup_processor_mode 1
		.amdhsa_memory_ordered 1
		.amdhsa_forward_progress 1
		.amdhsa_inst_pref_size 3
		.amdhsa_round_robin_scheduling 0
		.amdhsa_exception_fp_ieee_invalid_op 0
		.amdhsa_exception_fp_denorm_src 0
		.amdhsa_exception_fp_ieee_div_zero 0
		.amdhsa_exception_fp_ieee_overflow 0
		.amdhsa_exception_fp_ieee_underflow 0
		.amdhsa_exception_fp_ieee_inexact 0
		.amdhsa_exception_int_div_zero 0
	.end_amdhsa_kernel
	.section	.text._ZN7rocprim17ROCPRIM_400000_NS6detail31init_lookback_scan_state_kernelINS1_19lookback_scan_stateIN3c104HalfELb0ELb1EEENS1_16block_id_wrapperIjLb0EEEEEvT_jT0_jPNS9_10value_typeE,"axG",@progbits,_ZN7rocprim17ROCPRIM_400000_NS6detail31init_lookback_scan_state_kernelINS1_19lookback_scan_stateIN3c104HalfELb0ELb1EEENS1_16block_id_wrapperIjLb0EEEEEvT_jT0_jPNS9_10value_typeE,comdat
.Lfunc_end350:
	.size	_ZN7rocprim17ROCPRIM_400000_NS6detail31init_lookback_scan_state_kernelINS1_19lookback_scan_stateIN3c104HalfELb0ELb1EEENS1_16block_id_wrapperIjLb0EEEEEvT_jT0_jPNS9_10value_typeE, .Lfunc_end350-_ZN7rocprim17ROCPRIM_400000_NS6detail31init_lookback_scan_state_kernelINS1_19lookback_scan_stateIN3c104HalfELb0ELb1EEENS1_16block_id_wrapperIjLb0EEEEEvT_jT0_jPNS9_10value_typeE
                                        ; -- End function
	.set _ZN7rocprim17ROCPRIM_400000_NS6detail31init_lookback_scan_state_kernelINS1_19lookback_scan_stateIN3c104HalfELb0ELb1EEENS1_16block_id_wrapperIjLb0EEEEEvT_jT0_jPNS9_10value_typeE.num_vgpr, 5
	.set _ZN7rocprim17ROCPRIM_400000_NS6detail31init_lookback_scan_state_kernelINS1_19lookback_scan_stateIN3c104HalfELb0ELb1EEENS1_16block_id_wrapperIjLb0EEEEEvT_jT0_jPNS9_10value_typeE.num_agpr, 0
	.set _ZN7rocprim17ROCPRIM_400000_NS6detail31init_lookback_scan_state_kernelINS1_19lookback_scan_stateIN3c104HalfELb0ELb1EEENS1_16block_id_wrapperIjLb0EEEEEvT_jT0_jPNS9_10value_typeE.numbered_sgpr, 8
	.set _ZN7rocprim17ROCPRIM_400000_NS6detail31init_lookback_scan_state_kernelINS1_19lookback_scan_stateIN3c104HalfELb0ELb1EEENS1_16block_id_wrapperIjLb0EEEEEvT_jT0_jPNS9_10value_typeE.num_named_barrier, 0
	.set _ZN7rocprim17ROCPRIM_400000_NS6detail31init_lookback_scan_state_kernelINS1_19lookback_scan_stateIN3c104HalfELb0ELb1EEENS1_16block_id_wrapperIjLb0EEEEEvT_jT0_jPNS9_10value_typeE.private_seg_size, 0
	.set _ZN7rocprim17ROCPRIM_400000_NS6detail31init_lookback_scan_state_kernelINS1_19lookback_scan_stateIN3c104HalfELb0ELb1EEENS1_16block_id_wrapperIjLb0EEEEEvT_jT0_jPNS9_10value_typeE.uses_vcc, 1
	.set _ZN7rocprim17ROCPRIM_400000_NS6detail31init_lookback_scan_state_kernelINS1_19lookback_scan_stateIN3c104HalfELb0ELb1EEENS1_16block_id_wrapperIjLb0EEEEEvT_jT0_jPNS9_10value_typeE.uses_flat_scratch, 0
	.set _ZN7rocprim17ROCPRIM_400000_NS6detail31init_lookback_scan_state_kernelINS1_19lookback_scan_stateIN3c104HalfELb0ELb1EEENS1_16block_id_wrapperIjLb0EEEEEvT_jT0_jPNS9_10value_typeE.has_dyn_sized_stack, 0
	.set _ZN7rocprim17ROCPRIM_400000_NS6detail31init_lookback_scan_state_kernelINS1_19lookback_scan_stateIN3c104HalfELb0ELb1EEENS1_16block_id_wrapperIjLb0EEEEEvT_jT0_jPNS9_10value_typeE.has_recursion, 0
	.set _ZN7rocprim17ROCPRIM_400000_NS6detail31init_lookback_scan_state_kernelINS1_19lookback_scan_stateIN3c104HalfELb0ELb1EEENS1_16block_id_wrapperIjLb0EEEEEvT_jT0_jPNS9_10value_typeE.has_indirect_call, 0
	.section	.AMDGPU.csdata,"",@progbits
; Kernel info:
; codeLenInByte = 368
; TotalNumSgprs: 10
; NumVgprs: 5
; ScratchSize: 0
; MemoryBound: 0
; FloatMode: 240
; IeeeMode: 1
; LDSByteSize: 0 bytes/workgroup (compile time only)
; SGPRBlocks: 0
; VGPRBlocks: 0
; NumSGPRsForWavesPerEU: 10
; NumVGPRsForWavesPerEU: 5
; Occupancy: 16
; WaveLimiterHint : 0
; COMPUTE_PGM_RSRC2:SCRATCH_EN: 0
; COMPUTE_PGM_RSRC2:USER_SGPR: 2
; COMPUTE_PGM_RSRC2:TRAP_HANDLER: 0
; COMPUTE_PGM_RSRC2:TGID_X_EN: 1
; COMPUTE_PGM_RSRC2:TGID_Y_EN: 0
; COMPUTE_PGM_RSRC2:TGID_Z_EN: 0
; COMPUTE_PGM_RSRC2:TIDIG_COMP_CNT: 0
	.section	.text._ZN7rocprim17ROCPRIM_400000_NS6detail17trampoline_kernelINS0_14default_configENS1_20scan_config_selectorIN3c104HalfEEEZZNS1_9scan_implILNS1_25lookback_scan_determinismE0ELb0ELb0ES3_PKS6_PS6_S6_ZZZN2at6native31launch_logcumsumexp_cuda_kernelERKNSD_10TensorBaseESH_lENKUlvE_clEvENKUlvE3_clEvEUlS6_S6_E_S6_EEDaPvRmT3_T4_T5_mT6_P12ihipStream_tbENKUlT_T0_E_clISt17integral_constantIbLb0EESY_EEDaST_SU_EUlST_E_NS1_11comp_targetILNS1_3genE0ELNS1_11target_archE4294967295ELNS1_3gpuE0ELNS1_3repE0EEENS1_30default_config_static_selectorELNS0_4arch9wavefront6targetE0EEEvT1_,"axG",@progbits,_ZN7rocprim17ROCPRIM_400000_NS6detail17trampoline_kernelINS0_14default_configENS1_20scan_config_selectorIN3c104HalfEEEZZNS1_9scan_implILNS1_25lookback_scan_determinismE0ELb0ELb0ES3_PKS6_PS6_S6_ZZZN2at6native31launch_logcumsumexp_cuda_kernelERKNSD_10TensorBaseESH_lENKUlvE_clEvENKUlvE3_clEvEUlS6_S6_E_S6_EEDaPvRmT3_T4_T5_mT6_P12ihipStream_tbENKUlT_T0_E_clISt17integral_constantIbLb0EESY_EEDaST_SU_EUlST_E_NS1_11comp_targetILNS1_3genE0ELNS1_11target_archE4294967295ELNS1_3gpuE0ELNS1_3repE0EEENS1_30default_config_static_selectorELNS0_4arch9wavefront6targetE0EEEvT1_,comdat
	.globl	_ZN7rocprim17ROCPRIM_400000_NS6detail17trampoline_kernelINS0_14default_configENS1_20scan_config_selectorIN3c104HalfEEEZZNS1_9scan_implILNS1_25lookback_scan_determinismE0ELb0ELb0ES3_PKS6_PS6_S6_ZZZN2at6native31launch_logcumsumexp_cuda_kernelERKNSD_10TensorBaseESH_lENKUlvE_clEvENKUlvE3_clEvEUlS6_S6_E_S6_EEDaPvRmT3_T4_T5_mT6_P12ihipStream_tbENKUlT_T0_E_clISt17integral_constantIbLb0EESY_EEDaST_SU_EUlST_E_NS1_11comp_targetILNS1_3genE0ELNS1_11target_archE4294967295ELNS1_3gpuE0ELNS1_3repE0EEENS1_30default_config_static_selectorELNS0_4arch9wavefront6targetE0EEEvT1_ ; -- Begin function _ZN7rocprim17ROCPRIM_400000_NS6detail17trampoline_kernelINS0_14default_configENS1_20scan_config_selectorIN3c104HalfEEEZZNS1_9scan_implILNS1_25lookback_scan_determinismE0ELb0ELb0ES3_PKS6_PS6_S6_ZZZN2at6native31launch_logcumsumexp_cuda_kernelERKNSD_10TensorBaseESH_lENKUlvE_clEvENKUlvE3_clEvEUlS6_S6_E_S6_EEDaPvRmT3_T4_T5_mT6_P12ihipStream_tbENKUlT_T0_E_clISt17integral_constantIbLb0EESY_EEDaST_SU_EUlST_E_NS1_11comp_targetILNS1_3genE0ELNS1_11target_archE4294967295ELNS1_3gpuE0ELNS1_3repE0EEENS1_30default_config_static_selectorELNS0_4arch9wavefront6targetE0EEEvT1_
	.p2align	8
	.type	_ZN7rocprim17ROCPRIM_400000_NS6detail17trampoline_kernelINS0_14default_configENS1_20scan_config_selectorIN3c104HalfEEEZZNS1_9scan_implILNS1_25lookback_scan_determinismE0ELb0ELb0ES3_PKS6_PS6_S6_ZZZN2at6native31launch_logcumsumexp_cuda_kernelERKNSD_10TensorBaseESH_lENKUlvE_clEvENKUlvE3_clEvEUlS6_S6_E_S6_EEDaPvRmT3_T4_T5_mT6_P12ihipStream_tbENKUlT_T0_E_clISt17integral_constantIbLb0EESY_EEDaST_SU_EUlST_E_NS1_11comp_targetILNS1_3genE0ELNS1_11target_archE4294967295ELNS1_3gpuE0ELNS1_3repE0EEENS1_30default_config_static_selectorELNS0_4arch9wavefront6targetE0EEEvT1_,@function
_ZN7rocprim17ROCPRIM_400000_NS6detail17trampoline_kernelINS0_14default_configENS1_20scan_config_selectorIN3c104HalfEEEZZNS1_9scan_implILNS1_25lookback_scan_determinismE0ELb0ELb0ES3_PKS6_PS6_S6_ZZZN2at6native31launch_logcumsumexp_cuda_kernelERKNSD_10TensorBaseESH_lENKUlvE_clEvENKUlvE3_clEvEUlS6_S6_E_S6_EEDaPvRmT3_T4_T5_mT6_P12ihipStream_tbENKUlT_T0_E_clISt17integral_constantIbLb0EESY_EEDaST_SU_EUlST_E_NS1_11comp_targetILNS1_3genE0ELNS1_11target_archE4294967295ELNS1_3gpuE0ELNS1_3repE0EEENS1_30default_config_static_selectorELNS0_4arch9wavefront6targetE0EEEvT1_: ; @_ZN7rocprim17ROCPRIM_400000_NS6detail17trampoline_kernelINS0_14default_configENS1_20scan_config_selectorIN3c104HalfEEEZZNS1_9scan_implILNS1_25lookback_scan_determinismE0ELb0ELb0ES3_PKS6_PS6_S6_ZZZN2at6native31launch_logcumsumexp_cuda_kernelERKNSD_10TensorBaseESH_lENKUlvE_clEvENKUlvE3_clEvEUlS6_S6_E_S6_EEDaPvRmT3_T4_T5_mT6_P12ihipStream_tbENKUlT_T0_E_clISt17integral_constantIbLb0EESY_EEDaST_SU_EUlST_E_NS1_11comp_targetILNS1_3genE0ELNS1_11target_archE4294967295ELNS1_3gpuE0ELNS1_3repE0EEENS1_30default_config_static_selectorELNS0_4arch9wavefront6targetE0EEEvT1_
; %bb.0:
	.section	.rodata,"a",@progbits
	.p2align	6, 0x0
	.amdhsa_kernel _ZN7rocprim17ROCPRIM_400000_NS6detail17trampoline_kernelINS0_14default_configENS1_20scan_config_selectorIN3c104HalfEEEZZNS1_9scan_implILNS1_25lookback_scan_determinismE0ELb0ELb0ES3_PKS6_PS6_S6_ZZZN2at6native31launch_logcumsumexp_cuda_kernelERKNSD_10TensorBaseESH_lENKUlvE_clEvENKUlvE3_clEvEUlS6_S6_E_S6_EEDaPvRmT3_T4_T5_mT6_P12ihipStream_tbENKUlT_T0_E_clISt17integral_constantIbLb0EESY_EEDaST_SU_EUlST_E_NS1_11comp_targetILNS1_3genE0ELNS1_11target_archE4294967295ELNS1_3gpuE0ELNS1_3repE0EEENS1_30default_config_static_selectorELNS0_4arch9wavefront6targetE0EEEvT1_
		.amdhsa_group_segment_fixed_size 0
		.amdhsa_private_segment_fixed_size 0
		.amdhsa_kernarg_size 96
		.amdhsa_user_sgpr_count 2
		.amdhsa_user_sgpr_dispatch_ptr 0
		.amdhsa_user_sgpr_queue_ptr 0
		.amdhsa_user_sgpr_kernarg_segment_ptr 1
		.amdhsa_user_sgpr_dispatch_id 0
		.amdhsa_user_sgpr_private_segment_size 0
		.amdhsa_wavefront_size32 1
		.amdhsa_uses_dynamic_stack 0
		.amdhsa_enable_private_segment 0
		.amdhsa_system_sgpr_workgroup_id_x 1
		.amdhsa_system_sgpr_workgroup_id_y 0
		.amdhsa_system_sgpr_workgroup_id_z 0
		.amdhsa_system_sgpr_workgroup_info 0
		.amdhsa_system_vgpr_workitem_id 0
		.amdhsa_next_free_vgpr 1
		.amdhsa_next_free_sgpr 1
		.amdhsa_reserve_vcc 0
		.amdhsa_float_round_mode_32 0
		.amdhsa_float_round_mode_16_64 0
		.amdhsa_float_denorm_mode_32 3
		.amdhsa_float_denorm_mode_16_64 3
		.amdhsa_fp16_overflow 0
		.amdhsa_workgroup_processor_mode 1
		.amdhsa_memory_ordered 1
		.amdhsa_forward_progress 1
		.amdhsa_inst_pref_size 0
		.amdhsa_round_robin_scheduling 0
		.amdhsa_exception_fp_ieee_invalid_op 0
		.amdhsa_exception_fp_denorm_src 0
		.amdhsa_exception_fp_ieee_div_zero 0
		.amdhsa_exception_fp_ieee_overflow 0
		.amdhsa_exception_fp_ieee_underflow 0
		.amdhsa_exception_fp_ieee_inexact 0
		.amdhsa_exception_int_div_zero 0
	.end_amdhsa_kernel
	.section	.text._ZN7rocprim17ROCPRIM_400000_NS6detail17trampoline_kernelINS0_14default_configENS1_20scan_config_selectorIN3c104HalfEEEZZNS1_9scan_implILNS1_25lookback_scan_determinismE0ELb0ELb0ES3_PKS6_PS6_S6_ZZZN2at6native31launch_logcumsumexp_cuda_kernelERKNSD_10TensorBaseESH_lENKUlvE_clEvENKUlvE3_clEvEUlS6_S6_E_S6_EEDaPvRmT3_T4_T5_mT6_P12ihipStream_tbENKUlT_T0_E_clISt17integral_constantIbLb0EESY_EEDaST_SU_EUlST_E_NS1_11comp_targetILNS1_3genE0ELNS1_11target_archE4294967295ELNS1_3gpuE0ELNS1_3repE0EEENS1_30default_config_static_selectorELNS0_4arch9wavefront6targetE0EEEvT1_,"axG",@progbits,_ZN7rocprim17ROCPRIM_400000_NS6detail17trampoline_kernelINS0_14default_configENS1_20scan_config_selectorIN3c104HalfEEEZZNS1_9scan_implILNS1_25lookback_scan_determinismE0ELb0ELb0ES3_PKS6_PS6_S6_ZZZN2at6native31launch_logcumsumexp_cuda_kernelERKNSD_10TensorBaseESH_lENKUlvE_clEvENKUlvE3_clEvEUlS6_S6_E_S6_EEDaPvRmT3_T4_T5_mT6_P12ihipStream_tbENKUlT_T0_E_clISt17integral_constantIbLb0EESY_EEDaST_SU_EUlST_E_NS1_11comp_targetILNS1_3genE0ELNS1_11target_archE4294967295ELNS1_3gpuE0ELNS1_3repE0EEENS1_30default_config_static_selectorELNS0_4arch9wavefront6targetE0EEEvT1_,comdat
.Lfunc_end351:
	.size	_ZN7rocprim17ROCPRIM_400000_NS6detail17trampoline_kernelINS0_14default_configENS1_20scan_config_selectorIN3c104HalfEEEZZNS1_9scan_implILNS1_25lookback_scan_determinismE0ELb0ELb0ES3_PKS6_PS6_S6_ZZZN2at6native31launch_logcumsumexp_cuda_kernelERKNSD_10TensorBaseESH_lENKUlvE_clEvENKUlvE3_clEvEUlS6_S6_E_S6_EEDaPvRmT3_T4_T5_mT6_P12ihipStream_tbENKUlT_T0_E_clISt17integral_constantIbLb0EESY_EEDaST_SU_EUlST_E_NS1_11comp_targetILNS1_3genE0ELNS1_11target_archE4294967295ELNS1_3gpuE0ELNS1_3repE0EEENS1_30default_config_static_selectorELNS0_4arch9wavefront6targetE0EEEvT1_, .Lfunc_end351-_ZN7rocprim17ROCPRIM_400000_NS6detail17trampoline_kernelINS0_14default_configENS1_20scan_config_selectorIN3c104HalfEEEZZNS1_9scan_implILNS1_25lookback_scan_determinismE0ELb0ELb0ES3_PKS6_PS6_S6_ZZZN2at6native31launch_logcumsumexp_cuda_kernelERKNSD_10TensorBaseESH_lENKUlvE_clEvENKUlvE3_clEvEUlS6_S6_E_S6_EEDaPvRmT3_T4_T5_mT6_P12ihipStream_tbENKUlT_T0_E_clISt17integral_constantIbLb0EESY_EEDaST_SU_EUlST_E_NS1_11comp_targetILNS1_3genE0ELNS1_11target_archE4294967295ELNS1_3gpuE0ELNS1_3repE0EEENS1_30default_config_static_selectorELNS0_4arch9wavefront6targetE0EEEvT1_
                                        ; -- End function
	.set _ZN7rocprim17ROCPRIM_400000_NS6detail17trampoline_kernelINS0_14default_configENS1_20scan_config_selectorIN3c104HalfEEEZZNS1_9scan_implILNS1_25lookback_scan_determinismE0ELb0ELb0ES3_PKS6_PS6_S6_ZZZN2at6native31launch_logcumsumexp_cuda_kernelERKNSD_10TensorBaseESH_lENKUlvE_clEvENKUlvE3_clEvEUlS6_S6_E_S6_EEDaPvRmT3_T4_T5_mT6_P12ihipStream_tbENKUlT_T0_E_clISt17integral_constantIbLb0EESY_EEDaST_SU_EUlST_E_NS1_11comp_targetILNS1_3genE0ELNS1_11target_archE4294967295ELNS1_3gpuE0ELNS1_3repE0EEENS1_30default_config_static_selectorELNS0_4arch9wavefront6targetE0EEEvT1_.num_vgpr, 0
	.set _ZN7rocprim17ROCPRIM_400000_NS6detail17trampoline_kernelINS0_14default_configENS1_20scan_config_selectorIN3c104HalfEEEZZNS1_9scan_implILNS1_25lookback_scan_determinismE0ELb0ELb0ES3_PKS6_PS6_S6_ZZZN2at6native31launch_logcumsumexp_cuda_kernelERKNSD_10TensorBaseESH_lENKUlvE_clEvENKUlvE3_clEvEUlS6_S6_E_S6_EEDaPvRmT3_T4_T5_mT6_P12ihipStream_tbENKUlT_T0_E_clISt17integral_constantIbLb0EESY_EEDaST_SU_EUlST_E_NS1_11comp_targetILNS1_3genE0ELNS1_11target_archE4294967295ELNS1_3gpuE0ELNS1_3repE0EEENS1_30default_config_static_selectorELNS0_4arch9wavefront6targetE0EEEvT1_.num_agpr, 0
	.set _ZN7rocprim17ROCPRIM_400000_NS6detail17trampoline_kernelINS0_14default_configENS1_20scan_config_selectorIN3c104HalfEEEZZNS1_9scan_implILNS1_25lookback_scan_determinismE0ELb0ELb0ES3_PKS6_PS6_S6_ZZZN2at6native31launch_logcumsumexp_cuda_kernelERKNSD_10TensorBaseESH_lENKUlvE_clEvENKUlvE3_clEvEUlS6_S6_E_S6_EEDaPvRmT3_T4_T5_mT6_P12ihipStream_tbENKUlT_T0_E_clISt17integral_constantIbLb0EESY_EEDaST_SU_EUlST_E_NS1_11comp_targetILNS1_3genE0ELNS1_11target_archE4294967295ELNS1_3gpuE0ELNS1_3repE0EEENS1_30default_config_static_selectorELNS0_4arch9wavefront6targetE0EEEvT1_.numbered_sgpr, 0
	.set _ZN7rocprim17ROCPRIM_400000_NS6detail17trampoline_kernelINS0_14default_configENS1_20scan_config_selectorIN3c104HalfEEEZZNS1_9scan_implILNS1_25lookback_scan_determinismE0ELb0ELb0ES3_PKS6_PS6_S6_ZZZN2at6native31launch_logcumsumexp_cuda_kernelERKNSD_10TensorBaseESH_lENKUlvE_clEvENKUlvE3_clEvEUlS6_S6_E_S6_EEDaPvRmT3_T4_T5_mT6_P12ihipStream_tbENKUlT_T0_E_clISt17integral_constantIbLb0EESY_EEDaST_SU_EUlST_E_NS1_11comp_targetILNS1_3genE0ELNS1_11target_archE4294967295ELNS1_3gpuE0ELNS1_3repE0EEENS1_30default_config_static_selectorELNS0_4arch9wavefront6targetE0EEEvT1_.num_named_barrier, 0
	.set _ZN7rocprim17ROCPRIM_400000_NS6detail17trampoline_kernelINS0_14default_configENS1_20scan_config_selectorIN3c104HalfEEEZZNS1_9scan_implILNS1_25lookback_scan_determinismE0ELb0ELb0ES3_PKS6_PS6_S6_ZZZN2at6native31launch_logcumsumexp_cuda_kernelERKNSD_10TensorBaseESH_lENKUlvE_clEvENKUlvE3_clEvEUlS6_S6_E_S6_EEDaPvRmT3_T4_T5_mT6_P12ihipStream_tbENKUlT_T0_E_clISt17integral_constantIbLb0EESY_EEDaST_SU_EUlST_E_NS1_11comp_targetILNS1_3genE0ELNS1_11target_archE4294967295ELNS1_3gpuE0ELNS1_3repE0EEENS1_30default_config_static_selectorELNS0_4arch9wavefront6targetE0EEEvT1_.private_seg_size, 0
	.set _ZN7rocprim17ROCPRIM_400000_NS6detail17trampoline_kernelINS0_14default_configENS1_20scan_config_selectorIN3c104HalfEEEZZNS1_9scan_implILNS1_25lookback_scan_determinismE0ELb0ELb0ES3_PKS6_PS6_S6_ZZZN2at6native31launch_logcumsumexp_cuda_kernelERKNSD_10TensorBaseESH_lENKUlvE_clEvENKUlvE3_clEvEUlS6_S6_E_S6_EEDaPvRmT3_T4_T5_mT6_P12ihipStream_tbENKUlT_T0_E_clISt17integral_constantIbLb0EESY_EEDaST_SU_EUlST_E_NS1_11comp_targetILNS1_3genE0ELNS1_11target_archE4294967295ELNS1_3gpuE0ELNS1_3repE0EEENS1_30default_config_static_selectorELNS0_4arch9wavefront6targetE0EEEvT1_.uses_vcc, 0
	.set _ZN7rocprim17ROCPRIM_400000_NS6detail17trampoline_kernelINS0_14default_configENS1_20scan_config_selectorIN3c104HalfEEEZZNS1_9scan_implILNS1_25lookback_scan_determinismE0ELb0ELb0ES3_PKS6_PS6_S6_ZZZN2at6native31launch_logcumsumexp_cuda_kernelERKNSD_10TensorBaseESH_lENKUlvE_clEvENKUlvE3_clEvEUlS6_S6_E_S6_EEDaPvRmT3_T4_T5_mT6_P12ihipStream_tbENKUlT_T0_E_clISt17integral_constantIbLb0EESY_EEDaST_SU_EUlST_E_NS1_11comp_targetILNS1_3genE0ELNS1_11target_archE4294967295ELNS1_3gpuE0ELNS1_3repE0EEENS1_30default_config_static_selectorELNS0_4arch9wavefront6targetE0EEEvT1_.uses_flat_scratch, 0
	.set _ZN7rocprim17ROCPRIM_400000_NS6detail17trampoline_kernelINS0_14default_configENS1_20scan_config_selectorIN3c104HalfEEEZZNS1_9scan_implILNS1_25lookback_scan_determinismE0ELb0ELb0ES3_PKS6_PS6_S6_ZZZN2at6native31launch_logcumsumexp_cuda_kernelERKNSD_10TensorBaseESH_lENKUlvE_clEvENKUlvE3_clEvEUlS6_S6_E_S6_EEDaPvRmT3_T4_T5_mT6_P12ihipStream_tbENKUlT_T0_E_clISt17integral_constantIbLb0EESY_EEDaST_SU_EUlST_E_NS1_11comp_targetILNS1_3genE0ELNS1_11target_archE4294967295ELNS1_3gpuE0ELNS1_3repE0EEENS1_30default_config_static_selectorELNS0_4arch9wavefront6targetE0EEEvT1_.has_dyn_sized_stack, 0
	.set _ZN7rocprim17ROCPRIM_400000_NS6detail17trampoline_kernelINS0_14default_configENS1_20scan_config_selectorIN3c104HalfEEEZZNS1_9scan_implILNS1_25lookback_scan_determinismE0ELb0ELb0ES3_PKS6_PS6_S6_ZZZN2at6native31launch_logcumsumexp_cuda_kernelERKNSD_10TensorBaseESH_lENKUlvE_clEvENKUlvE3_clEvEUlS6_S6_E_S6_EEDaPvRmT3_T4_T5_mT6_P12ihipStream_tbENKUlT_T0_E_clISt17integral_constantIbLb0EESY_EEDaST_SU_EUlST_E_NS1_11comp_targetILNS1_3genE0ELNS1_11target_archE4294967295ELNS1_3gpuE0ELNS1_3repE0EEENS1_30default_config_static_selectorELNS0_4arch9wavefront6targetE0EEEvT1_.has_recursion, 0
	.set _ZN7rocprim17ROCPRIM_400000_NS6detail17trampoline_kernelINS0_14default_configENS1_20scan_config_selectorIN3c104HalfEEEZZNS1_9scan_implILNS1_25lookback_scan_determinismE0ELb0ELb0ES3_PKS6_PS6_S6_ZZZN2at6native31launch_logcumsumexp_cuda_kernelERKNSD_10TensorBaseESH_lENKUlvE_clEvENKUlvE3_clEvEUlS6_S6_E_S6_EEDaPvRmT3_T4_T5_mT6_P12ihipStream_tbENKUlT_T0_E_clISt17integral_constantIbLb0EESY_EEDaST_SU_EUlST_E_NS1_11comp_targetILNS1_3genE0ELNS1_11target_archE4294967295ELNS1_3gpuE0ELNS1_3repE0EEENS1_30default_config_static_selectorELNS0_4arch9wavefront6targetE0EEEvT1_.has_indirect_call, 0
	.section	.AMDGPU.csdata,"",@progbits
; Kernel info:
; codeLenInByte = 0
; TotalNumSgprs: 0
; NumVgprs: 0
; ScratchSize: 0
; MemoryBound: 0
; FloatMode: 240
; IeeeMode: 1
; LDSByteSize: 0 bytes/workgroup (compile time only)
; SGPRBlocks: 0
; VGPRBlocks: 0
; NumSGPRsForWavesPerEU: 1
; NumVGPRsForWavesPerEU: 1
; Occupancy: 16
; WaveLimiterHint : 0
; COMPUTE_PGM_RSRC2:SCRATCH_EN: 0
; COMPUTE_PGM_RSRC2:USER_SGPR: 2
; COMPUTE_PGM_RSRC2:TRAP_HANDLER: 0
; COMPUTE_PGM_RSRC2:TGID_X_EN: 1
; COMPUTE_PGM_RSRC2:TGID_Y_EN: 0
; COMPUTE_PGM_RSRC2:TGID_Z_EN: 0
; COMPUTE_PGM_RSRC2:TIDIG_COMP_CNT: 0
	.section	.text._ZN7rocprim17ROCPRIM_400000_NS6detail17trampoline_kernelINS0_14default_configENS1_20scan_config_selectorIN3c104HalfEEEZZNS1_9scan_implILNS1_25lookback_scan_determinismE0ELb0ELb0ES3_PKS6_PS6_S6_ZZZN2at6native31launch_logcumsumexp_cuda_kernelERKNSD_10TensorBaseESH_lENKUlvE_clEvENKUlvE3_clEvEUlS6_S6_E_S6_EEDaPvRmT3_T4_T5_mT6_P12ihipStream_tbENKUlT_T0_E_clISt17integral_constantIbLb0EESY_EEDaST_SU_EUlST_E_NS1_11comp_targetILNS1_3genE5ELNS1_11target_archE942ELNS1_3gpuE9ELNS1_3repE0EEENS1_30default_config_static_selectorELNS0_4arch9wavefront6targetE0EEEvT1_,"axG",@progbits,_ZN7rocprim17ROCPRIM_400000_NS6detail17trampoline_kernelINS0_14default_configENS1_20scan_config_selectorIN3c104HalfEEEZZNS1_9scan_implILNS1_25lookback_scan_determinismE0ELb0ELb0ES3_PKS6_PS6_S6_ZZZN2at6native31launch_logcumsumexp_cuda_kernelERKNSD_10TensorBaseESH_lENKUlvE_clEvENKUlvE3_clEvEUlS6_S6_E_S6_EEDaPvRmT3_T4_T5_mT6_P12ihipStream_tbENKUlT_T0_E_clISt17integral_constantIbLb0EESY_EEDaST_SU_EUlST_E_NS1_11comp_targetILNS1_3genE5ELNS1_11target_archE942ELNS1_3gpuE9ELNS1_3repE0EEENS1_30default_config_static_selectorELNS0_4arch9wavefront6targetE0EEEvT1_,comdat
	.globl	_ZN7rocprim17ROCPRIM_400000_NS6detail17trampoline_kernelINS0_14default_configENS1_20scan_config_selectorIN3c104HalfEEEZZNS1_9scan_implILNS1_25lookback_scan_determinismE0ELb0ELb0ES3_PKS6_PS6_S6_ZZZN2at6native31launch_logcumsumexp_cuda_kernelERKNSD_10TensorBaseESH_lENKUlvE_clEvENKUlvE3_clEvEUlS6_S6_E_S6_EEDaPvRmT3_T4_T5_mT6_P12ihipStream_tbENKUlT_T0_E_clISt17integral_constantIbLb0EESY_EEDaST_SU_EUlST_E_NS1_11comp_targetILNS1_3genE5ELNS1_11target_archE942ELNS1_3gpuE9ELNS1_3repE0EEENS1_30default_config_static_selectorELNS0_4arch9wavefront6targetE0EEEvT1_ ; -- Begin function _ZN7rocprim17ROCPRIM_400000_NS6detail17trampoline_kernelINS0_14default_configENS1_20scan_config_selectorIN3c104HalfEEEZZNS1_9scan_implILNS1_25lookback_scan_determinismE0ELb0ELb0ES3_PKS6_PS6_S6_ZZZN2at6native31launch_logcumsumexp_cuda_kernelERKNSD_10TensorBaseESH_lENKUlvE_clEvENKUlvE3_clEvEUlS6_S6_E_S6_EEDaPvRmT3_T4_T5_mT6_P12ihipStream_tbENKUlT_T0_E_clISt17integral_constantIbLb0EESY_EEDaST_SU_EUlST_E_NS1_11comp_targetILNS1_3genE5ELNS1_11target_archE942ELNS1_3gpuE9ELNS1_3repE0EEENS1_30default_config_static_selectorELNS0_4arch9wavefront6targetE0EEEvT1_
	.p2align	8
	.type	_ZN7rocprim17ROCPRIM_400000_NS6detail17trampoline_kernelINS0_14default_configENS1_20scan_config_selectorIN3c104HalfEEEZZNS1_9scan_implILNS1_25lookback_scan_determinismE0ELb0ELb0ES3_PKS6_PS6_S6_ZZZN2at6native31launch_logcumsumexp_cuda_kernelERKNSD_10TensorBaseESH_lENKUlvE_clEvENKUlvE3_clEvEUlS6_S6_E_S6_EEDaPvRmT3_T4_T5_mT6_P12ihipStream_tbENKUlT_T0_E_clISt17integral_constantIbLb0EESY_EEDaST_SU_EUlST_E_NS1_11comp_targetILNS1_3genE5ELNS1_11target_archE942ELNS1_3gpuE9ELNS1_3repE0EEENS1_30default_config_static_selectorELNS0_4arch9wavefront6targetE0EEEvT1_,@function
_ZN7rocprim17ROCPRIM_400000_NS6detail17trampoline_kernelINS0_14default_configENS1_20scan_config_selectorIN3c104HalfEEEZZNS1_9scan_implILNS1_25lookback_scan_determinismE0ELb0ELb0ES3_PKS6_PS6_S6_ZZZN2at6native31launch_logcumsumexp_cuda_kernelERKNSD_10TensorBaseESH_lENKUlvE_clEvENKUlvE3_clEvEUlS6_S6_E_S6_EEDaPvRmT3_T4_T5_mT6_P12ihipStream_tbENKUlT_T0_E_clISt17integral_constantIbLb0EESY_EEDaST_SU_EUlST_E_NS1_11comp_targetILNS1_3genE5ELNS1_11target_archE942ELNS1_3gpuE9ELNS1_3repE0EEENS1_30default_config_static_selectorELNS0_4arch9wavefront6targetE0EEEvT1_: ; @_ZN7rocprim17ROCPRIM_400000_NS6detail17trampoline_kernelINS0_14default_configENS1_20scan_config_selectorIN3c104HalfEEEZZNS1_9scan_implILNS1_25lookback_scan_determinismE0ELb0ELb0ES3_PKS6_PS6_S6_ZZZN2at6native31launch_logcumsumexp_cuda_kernelERKNSD_10TensorBaseESH_lENKUlvE_clEvENKUlvE3_clEvEUlS6_S6_E_S6_EEDaPvRmT3_T4_T5_mT6_P12ihipStream_tbENKUlT_T0_E_clISt17integral_constantIbLb0EESY_EEDaST_SU_EUlST_E_NS1_11comp_targetILNS1_3genE5ELNS1_11target_archE942ELNS1_3gpuE9ELNS1_3repE0EEENS1_30default_config_static_selectorELNS0_4arch9wavefront6targetE0EEEvT1_
; %bb.0:
	.section	.rodata,"a",@progbits
	.p2align	6, 0x0
	.amdhsa_kernel _ZN7rocprim17ROCPRIM_400000_NS6detail17trampoline_kernelINS0_14default_configENS1_20scan_config_selectorIN3c104HalfEEEZZNS1_9scan_implILNS1_25lookback_scan_determinismE0ELb0ELb0ES3_PKS6_PS6_S6_ZZZN2at6native31launch_logcumsumexp_cuda_kernelERKNSD_10TensorBaseESH_lENKUlvE_clEvENKUlvE3_clEvEUlS6_S6_E_S6_EEDaPvRmT3_T4_T5_mT6_P12ihipStream_tbENKUlT_T0_E_clISt17integral_constantIbLb0EESY_EEDaST_SU_EUlST_E_NS1_11comp_targetILNS1_3genE5ELNS1_11target_archE942ELNS1_3gpuE9ELNS1_3repE0EEENS1_30default_config_static_selectorELNS0_4arch9wavefront6targetE0EEEvT1_
		.amdhsa_group_segment_fixed_size 0
		.amdhsa_private_segment_fixed_size 0
		.amdhsa_kernarg_size 96
		.amdhsa_user_sgpr_count 2
		.amdhsa_user_sgpr_dispatch_ptr 0
		.amdhsa_user_sgpr_queue_ptr 0
		.amdhsa_user_sgpr_kernarg_segment_ptr 1
		.amdhsa_user_sgpr_dispatch_id 0
		.amdhsa_user_sgpr_private_segment_size 0
		.amdhsa_wavefront_size32 1
		.amdhsa_uses_dynamic_stack 0
		.amdhsa_enable_private_segment 0
		.amdhsa_system_sgpr_workgroup_id_x 1
		.amdhsa_system_sgpr_workgroup_id_y 0
		.amdhsa_system_sgpr_workgroup_id_z 0
		.amdhsa_system_sgpr_workgroup_info 0
		.amdhsa_system_vgpr_workitem_id 0
		.amdhsa_next_free_vgpr 1
		.amdhsa_next_free_sgpr 1
		.amdhsa_reserve_vcc 0
		.amdhsa_float_round_mode_32 0
		.amdhsa_float_round_mode_16_64 0
		.amdhsa_float_denorm_mode_32 3
		.amdhsa_float_denorm_mode_16_64 3
		.amdhsa_fp16_overflow 0
		.amdhsa_workgroup_processor_mode 1
		.amdhsa_memory_ordered 1
		.amdhsa_forward_progress 1
		.amdhsa_inst_pref_size 0
		.amdhsa_round_robin_scheduling 0
		.amdhsa_exception_fp_ieee_invalid_op 0
		.amdhsa_exception_fp_denorm_src 0
		.amdhsa_exception_fp_ieee_div_zero 0
		.amdhsa_exception_fp_ieee_overflow 0
		.amdhsa_exception_fp_ieee_underflow 0
		.amdhsa_exception_fp_ieee_inexact 0
		.amdhsa_exception_int_div_zero 0
	.end_amdhsa_kernel
	.section	.text._ZN7rocprim17ROCPRIM_400000_NS6detail17trampoline_kernelINS0_14default_configENS1_20scan_config_selectorIN3c104HalfEEEZZNS1_9scan_implILNS1_25lookback_scan_determinismE0ELb0ELb0ES3_PKS6_PS6_S6_ZZZN2at6native31launch_logcumsumexp_cuda_kernelERKNSD_10TensorBaseESH_lENKUlvE_clEvENKUlvE3_clEvEUlS6_S6_E_S6_EEDaPvRmT3_T4_T5_mT6_P12ihipStream_tbENKUlT_T0_E_clISt17integral_constantIbLb0EESY_EEDaST_SU_EUlST_E_NS1_11comp_targetILNS1_3genE5ELNS1_11target_archE942ELNS1_3gpuE9ELNS1_3repE0EEENS1_30default_config_static_selectorELNS0_4arch9wavefront6targetE0EEEvT1_,"axG",@progbits,_ZN7rocprim17ROCPRIM_400000_NS6detail17trampoline_kernelINS0_14default_configENS1_20scan_config_selectorIN3c104HalfEEEZZNS1_9scan_implILNS1_25lookback_scan_determinismE0ELb0ELb0ES3_PKS6_PS6_S6_ZZZN2at6native31launch_logcumsumexp_cuda_kernelERKNSD_10TensorBaseESH_lENKUlvE_clEvENKUlvE3_clEvEUlS6_S6_E_S6_EEDaPvRmT3_T4_T5_mT6_P12ihipStream_tbENKUlT_T0_E_clISt17integral_constantIbLb0EESY_EEDaST_SU_EUlST_E_NS1_11comp_targetILNS1_3genE5ELNS1_11target_archE942ELNS1_3gpuE9ELNS1_3repE0EEENS1_30default_config_static_selectorELNS0_4arch9wavefront6targetE0EEEvT1_,comdat
.Lfunc_end352:
	.size	_ZN7rocprim17ROCPRIM_400000_NS6detail17trampoline_kernelINS0_14default_configENS1_20scan_config_selectorIN3c104HalfEEEZZNS1_9scan_implILNS1_25lookback_scan_determinismE0ELb0ELb0ES3_PKS6_PS6_S6_ZZZN2at6native31launch_logcumsumexp_cuda_kernelERKNSD_10TensorBaseESH_lENKUlvE_clEvENKUlvE3_clEvEUlS6_S6_E_S6_EEDaPvRmT3_T4_T5_mT6_P12ihipStream_tbENKUlT_T0_E_clISt17integral_constantIbLb0EESY_EEDaST_SU_EUlST_E_NS1_11comp_targetILNS1_3genE5ELNS1_11target_archE942ELNS1_3gpuE9ELNS1_3repE0EEENS1_30default_config_static_selectorELNS0_4arch9wavefront6targetE0EEEvT1_, .Lfunc_end352-_ZN7rocprim17ROCPRIM_400000_NS6detail17trampoline_kernelINS0_14default_configENS1_20scan_config_selectorIN3c104HalfEEEZZNS1_9scan_implILNS1_25lookback_scan_determinismE0ELb0ELb0ES3_PKS6_PS6_S6_ZZZN2at6native31launch_logcumsumexp_cuda_kernelERKNSD_10TensorBaseESH_lENKUlvE_clEvENKUlvE3_clEvEUlS6_S6_E_S6_EEDaPvRmT3_T4_T5_mT6_P12ihipStream_tbENKUlT_T0_E_clISt17integral_constantIbLb0EESY_EEDaST_SU_EUlST_E_NS1_11comp_targetILNS1_3genE5ELNS1_11target_archE942ELNS1_3gpuE9ELNS1_3repE0EEENS1_30default_config_static_selectorELNS0_4arch9wavefront6targetE0EEEvT1_
                                        ; -- End function
	.set _ZN7rocprim17ROCPRIM_400000_NS6detail17trampoline_kernelINS0_14default_configENS1_20scan_config_selectorIN3c104HalfEEEZZNS1_9scan_implILNS1_25lookback_scan_determinismE0ELb0ELb0ES3_PKS6_PS6_S6_ZZZN2at6native31launch_logcumsumexp_cuda_kernelERKNSD_10TensorBaseESH_lENKUlvE_clEvENKUlvE3_clEvEUlS6_S6_E_S6_EEDaPvRmT3_T4_T5_mT6_P12ihipStream_tbENKUlT_T0_E_clISt17integral_constantIbLb0EESY_EEDaST_SU_EUlST_E_NS1_11comp_targetILNS1_3genE5ELNS1_11target_archE942ELNS1_3gpuE9ELNS1_3repE0EEENS1_30default_config_static_selectorELNS0_4arch9wavefront6targetE0EEEvT1_.num_vgpr, 0
	.set _ZN7rocprim17ROCPRIM_400000_NS6detail17trampoline_kernelINS0_14default_configENS1_20scan_config_selectorIN3c104HalfEEEZZNS1_9scan_implILNS1_25lookback_scan_determinismE0ELb0ELb0ES3_PKS6_PS6_S6_ZZZN2at6native31launch_logcumsumexp_cuda_kernelERKNSD_10TensorBaseESH_lENKUlvE_clEvENKUlvE3_clEvEUlS6_S6_E_S6_EEDaPvRmT3_T4_T5_mT6_P12ihipStream_tbENKUlT_T0_E_clISt17integral_constantIbLb0EESY_EEDaST_SU_EUlST_E_NS1_11comp_targetILNS1_3genE5ELNS1_11target_archE942ELNS1_3gpuE9ELNS1_3repE0EEENS1_30default_config_static_selectorELNS0_4arch9wavefront6targetE0EEEvT1_.num_agpr, 0
	.set _ZN7rocprim17ROCPRIM_400000_NS6detail17trampoline_kernelINS0_14default_configENS1_20scan_config_selectorIN3c104HalfEEEZZNS1_9scan_implILNS1_25lookback_scan_determinismE0ELb0ELb0ES3_PKS6_PS6_S6_ZZZN2at6native31launch_logcumsumexp_cuda_kernelERKNSD_10TensorBaseESH_lENKUlvE_clEvENKUlvE3_clEvEUlS6_S6_E_S6_EEDaPvRmT3_T4_T5_mT6_P12ihipStream_tbENKUlT_T0_E_clISt17integral_constantIbLb0EESY_EEDaST_SU_EUlST_E_NS1_11comp_targetILNS1_3genE5ELNS1_11target_archE942ELNS1_3gpuE9ELNS1_3repE0EEENS1_30default_config_static_selectorELNS0_4arch9wavefront6targetE0EEEvT1_.numbered_sgpr, 0
	.set _ZN7rocprim17ROCPRIM_400000_NS6detail17trampoline_kernelINS0_14default_configENS1_20scan_config_selectorIN3c104HalfEEEZZNS1_9scan_implILNS1_25lookback_scan_determinismE0ELb0ELb0ES3_PKS6_PS6_S6_ZZZN2at6native31launch_logcumsumexp_cuda_kernelERKNSD_10TensorBaseESH_lENKUlvE_clEvENKUlvE3_clEvEUlS6_S6_E_S6_EEDaPvRmT3_T4_T5_mT6_P12ihipStream_tbENKUlT_T0_E_clISt17integral_constantIbLb0EESY_EEDaST_SU_EUlST_E_NS1_11comp_targetILNS1_3genE5ELNS1_11target_archE942ELNS1_3gpuE9ELNS1_3repE0EEENS1_30default_config_static_selectorELNS0_4arch9wavefront6targetE0EEEvT1_.num_named_barrier, 0
	.set _ZN7rocprim17ROCPRIM_400000_NS6detail17trampoline_kernelINS0_14default_configENS1_20scan_config_selectorIN3c104HalfEEEZZNS1_9scan_implILNS1_25lookback_scan_determinismE0ELb0ELb0ES3_PKS6_PS6_S6_ZZZN2at6native31launch_logcumsumexp_cuda_kernelERKNSD_10TensorBaseESH_lENKUlvE_clEvENKUlvE3_clEvEUlS6_S6_E_S6_EEDaPvRmT3_T4_T5_mT6_P12ihipStream_tbENKUlT_T0_E_clISt17integral_constantIbLb0EESY_EEDaST_SU_EUlST_E_NS1_11comp_targetILNS1_3genE5ELNS1_11target_archE942ELNS1_3gpuE9ELNS1_3repE0EEENS1_30default_config_static_selectorELNS0_4arch9wavefront6targetE0EEEvT1_.private_seg_size, 0
	.set _ZN7rocprim17ROCPRIM_400000_NS6detail17trampoline_kernelINS0_14default_configENS1_20scan_config_selectorIN3c104HalfEEEZZNS1_9scan_implILNS1_25lookback_scan_determinismE0ELb0ELb0ES3_PKS6_PS6_S6_ZZZN2at6native31launch_logcumsumexp_cuda_kernelERKNSD_10TensorBaseESH_lENKUlvE_clEvENKUlvE3_clEvEUlS6_S6_E_S6_EEDaPvRmT3_T4_T5_mT6_P12ihipStream_tbENKUlT_T0_E_clISt17integral_constantIbLb0EESY_EEDaST_SU_EUlST_E_NS1_11comp_targetILNS1_3genE5ELNS1_11target_archE942ELNS1_3gpuE9ELNS1_3repE0EEENS1_30default_config_static_selectorELNS0_4arch9wavefront6targetE0EEEvT1_.uses_vcc, 0
	.set _ZN7rocprim17ROCPRIM_400000_NS6detail17trampoline_kernelINS0_14default_configENS1_20scan_config_selectorIN3c104HalfEEEZZNS1_9scan_implILNS1_25lookback_scan_determinismE0ELb0ELb0ES3_PKS6_PS6_S6_ZZZN2at6native31launch_logcumsumexp_cuda_kernelERKNSD_10TensorBaseESH_lENKUlvE_clEvENKUlvE3_clEvEUlS6_S6_E_S6_EEDaPvRmT3_T4_T5_mT6_P12ihipStream_tbENKUlT_T0_E_clISt17integral_constantIbLb0EESY_EEDaST_SU_EUlST_E_NS1_11comp_targetILNS1_3genE5ELNS1_11target_archE942ELNS1_3gpuE9ELNS1_3repE0EEENS1_30default_config_static_selectorELNS0_4arch9wavefront6targetE0EEEvT1_.uses_flat_scratch, 0
	.set _ZN7rocprim17ROCPRIM_400000_NS6detail17trampoline_kernelINS0_14default_configENS1_20scan_config_selectorIN3c104HalfEEEZZNS1_9scan_implILNS1_25lookback_scan_determinismE0ELb0ELb0ES3_PKS6_PS6_S6_ZZZN2at6native31launch_logcumsumexp_cuda_kernelERKNSD_10TensorBaseESH_lENKUlvE_clEvENKUlvE3_clEvEUlS6_S6_E_S6_EEDaPvRmT3_T4_T5_mT6_P12ihipStream_tbENKUlT_T0_E_clISt17integral_constantIbLb0EESY_EEDaST_SU_EUlST_E_NS1_11comp_targetILNS1_3genE5ELNS1_11target_archE942ELNS1_3gpuE9ELNS1_3repE0EEENS1_30default_config_static_selectorELNS0_4arch9wavefront6targetE0EEEvT1_.has_dyn_sized_stack, 0
	.set _ZN7rocprim17ROCPRIM_400000_NS6detail17trampoline_kernelINS0_14default_configENS1_20scan_config_selectorIN3c104HalfEEEZZNS1_9scan_implILNS1_25lookback_scan_determinismE0ELb0ELb0ES3_PKS6_PS6_S6_ZZZN2at6native31launch_logcumsumexp_cuda_kernelERKNSD_10TensorBaseESH_lENKUlvE_clEvENKUlvE3_clEvEUlS6_S6_E_S6_EEDaPvRmT3_T4_T5_mT6_P12ihipStream_tbENKUlT_T0_E_clISt17integral_constantIbLb0EESY_EEDaST_SU_EUlST_E_NS1_11comp_targetILNS1_3genE5ELNS1_11target_archE942ELNS1_3gpuE9ELNS1_3repE0EEENS1_30default_config_static_selectorELNS0_4arch9wavefront6targetE0EEEvT1_.has_recursion, 0
	.set _ZN7rocprim17ROCPRIM_400000_NS6detail17trampoline_kernelINS0_14default_configENS1_20scan_config_selectorIN3c104HalfEEEZZNS1_9scan_implILNS1_25lookback_scan_determinismE0ELb0ELb0ES3_PKS6_PS6_S6_ZZZN2at6native31launch_logcumsumexp_cuda_kernelERKNSD_10TensorBaseESH_lENKUlvE_clEvENKUlvE3_clEvEUlS6_S6_E_S6_EEDaPvRmT3_T4_T5_mT6_P12ihipStream_tbENKUlT_T0_E_clISt17integral_constantIbLb0EESY_EEDaST_SU_EUlST_E_NS1_11comp_targetILNS1_3genE5ELNS1_11target_archE942ELNS1_3gpuE9ELNS1_3repE0EEENS1_30default_config_static_selectorELNS0_4arch9wavefront6targetE0EEEvT1_.has_indirect_call, 0
	.section	.AMDGPU.csdata,"",@progbits
; Kernel info:
; codeLenInByte = 0
; TotalNumSgprs: 0
; NumVgprs: 0
; ScratchSize: 0
; MemoryBound: 0
; FloatMode: 240
; IeeeMode: 1
; LDSByteSize: 0 bytes/workgroup (compile time only)
; SGPRBlocks: 0
; VGPRBlocks: 0
; NumSGPRsForWavesPerEU: 1
; NumVGPRsForWavesPerEU: 1
; Occupancy: 16
; WaveLimiterHint : 0
; COMPUTE_PGM_RSRC2:SCRATCH_EN: 0
; COMPUTE_PGM_RSRC2:USER_SGPR: 2
; COMPUTE_PGM_RSRC2:TRAP_HANDLER: 0
; COMPUTE_PGM_RSRC2:TGID_X_EN: 1
; COMPUTE_PGM_RSRC2:TGID_Y_EN: 0
; COMPUTE_PGM_RSRC2:TGID_Z_EN: 0
; COMPUTE_PGM_RSRC2:TIDIG_COMP_CNT: 0
	.section	.text._ZN7rocprim17ROCPRIM_400000_NS6detail17trampoline_kernelINS0_14default_configENS1_20scan_config_selectorIN3c104HalfEEEZZNS1_9scan_implILNS1_25lookback_scan_determinismE0ELb0ELb0ES3_PKS6_PS6_S6_ZZZN2at6native31launch_logcumsumexp_cuda_kernelERKNSD_10TensorBaseESH_lENKUlvE_clEvENKUlvE3_clEvEUlS6_S6_E_S6_EEDaPvRmT3_T4_T5_mT6_P12ihipStream_tbENKUlT_T0_E_clISt17integral_constantIbLb0EESY_EEDaST_SU_EUlST_E_NS1_11comp_targetILNS1_3genE4ELNS1_11target_archE910ELNS1_3gpuE8ELNS1_3repE0EEENS1_30default_config_static_selectorELNS0_4arch9wavefront6targetE0EEEvT1_,"axG",@progbits,_ZN7rocprim17ROCPRIM_400000_NS6detail17trampoline_kernelINS0_14default_configENS1_20scan_config_selectorIN3c104HalfEEEZZNS1_9scan_implILNS1_25lookback_scan_determinismE0ELb0ELb0ES3_PKS6_PS6_S6_ZZZN2at6native31launch_logcumsumexp_cuda_kernelERKNSD_10TensorBaseESH_lENKUlvE_clEvENKUlvE3_clEvEUlS6_S6_E_S6_EEDaPvRmT3_T4_T5_mT6_P12ihipStream_tbENKUlT_T0_E_clISt17integral_constantIbLb0EESY_EEDaST_SU_EUlST_E_NS1_11comp_targetILNS1_3genE4ELNS1_11target_archE910ELNS1_3gpuE8ELNS1_3repE0EEENS1_30default_config_static_selectorELNS0_4arch9wavefront6targetE0EEEvT1_,comdat
	.globl	_ZN7rocprim17ROCPRIM_400000_NS6detail17trampoline_kernelINS0_14default_configENS1_20scan_config_selectorIN3c104HalfEEEZZNS1_9scan_implILNS1_25lookback_scan_determinismE0ELb0ELb0ES3_PKS6_PS6_S6_ZZZN2at6native31launch_logcumsumexp_cuda_kernelERKNSD_10TensorBaseESH_lENKUlvE_clEvENKUlvE3_clEvEUlS6_S6_E_S6_EEDaPvRmT3_T4_T5_mT6_P12ihipStream_tbENKUlT_T0_E_clISt17integral_constantIbLb0EESY_EEDaST_SU_EUlST_E_NS1_11comp_targetILNS1_3genE4ELNS1_11target_archE910ELNS1_3gpuE8ELNS1_3repE0EEENS1_30default_config_static_selectorELNS0_4arch9wavefront6targetE0EEEvT1_ ; -- Begin function _ZN7rocprim17ROCPRIM_400000_NS6detail17trampoline_kernelINS0_14default_configENS1_20scan_config_selectorIN3c104HalfEEEZZNS1_9scan_implILNS1_25lookback_scan_determinismE0ELb0ELb0ES3_PKS6_PS6_S6_ZZZN2at6native31launch_logcumsumexp_cuda_kernelERKNSD_10TensorBaseESH_lENKUlvE_clEvENKUlvE3_clEvEUlS6_S6_E_S6_EEDaPvRmT3_T4_T5_mT6_P12ihipStream_tbENKUlT_T0_E_clISt17integral_constantIbLb0EESY_EEDaST_SU_EUlST_E_NS1_11comp_targetILNS1_3genE4ELNS1_11target_archE910ELNS1_3gpuE8ELNS1_3repE0EEENS1_30default_config_static_selectorELNS0_4arch9wavefront6targetE0EEEvT1_
	.p2align	8
	.type	_ZN7rocprim17ROCPRIM_400000_NS6detail17trampoline_kernelINS0_14default_configENS1_20scan_config_selectorIN3c104HalfEEEZZNS1_9scan_implILNS1_25lookback_scan_determinismE0ELb0ELb0ES3_PKS6_PS6_S6_ZZZN2at6native31launch_logcumsumexp_cuda_kernelERKNSD_10TensorBaseESH_lENKUlvE_clEvENKUlvE3_clEvEUlS6_S6_E_S6_EEDaPvRmT3_T4_T5_mT6_P12ihipStream_tbENKUlT_T0_E_clISt17integral_constantIbLb0EESY_EEDaST_SU_EUlST_E_NS1_11comp_targetILNS1_3genE4ELNS1_11target_archE910ELNS1_3gpuE8ELNS1_3repE0EEENS1_30default_config_static_selectorELNS0_4arch9wavefront6targetE0EEEvT1_,@function
_ZN7rocprim17ROCPRIM_400000_NS6detail17trampoline_kernelINS0_14default_configENS1_20scan_config_selectorIN3c104HalfEEEZZNS1_9scan_implILNS1_25lookback_scan_determinismE0ELb0ELb0ES3_PKS6_PS6_S6_ZZZN2at6native31launch_logcumsumexp_cuda_kernelERKNSD_10TensorBaseESH_lENKUlvE_clEvENKUlvE3_clEvEUlS6_S6_E_S6_EEDaPvRmT3_T4_T5_mT6_P12ihipStream_tbENKUlT_T0_E_clISt17integral_constantIbLb0EESY_EEDaST_SU_EUlST_E_NS1_11comp_targetILNS1_3genE4ELNS1_11target_archE910ELNS1_3gpuE8ELNS1_3repE0EEENS1_30default_config_static_selectorELNS0_4arch9wavefront6targetE0EEEvT1_: ; @_ZN7rocprim17ROCPRIM_400000_NS6detail17trampoline_kernelINS0_14default_configENS1_20scan_config_selectorIN3c104HalfEEEZZNS1_9scan_implILNS1_25lookback_scan_determinismE0ELb0ELb0ES3_PKS6_PS6_S6_ZZZN2at6native31launch_logcumsumexp_cuda_kernelERKNSD_10TensorBaseESH_lENKUlvE_clEvENKUlvE3_clEvEUlS6_S6_E_S6_EEDaPvRmT3_T4_T5_mT6_P12ihipStream_tbENKUlT_T0_E_clISt17integral_constantIbLb0EESY_EEDaST_SU_EUlST_E_NS1_11comp_targetILNS1_3genE4ELNS1_11target_archE910ELNS1_3gpuE8ELNS1_3repE0EEENS1_30default_config_static_selectorELNS0_4arch9wavefront6targetE0EEEvT1_
; %bb.0:
	.section	.rodata,"a",@progbits
	.p2align	6, 0x0
	.amdhsa_kernel _ZN7rocprim17ROCPRIM_400000_NS6detail17trampoline_kernelINS0_14default_configENS1_20scan_config_selectorIN3c104HalfEEEZZNS1_9scan_implILNS1_25lookback_scan_determinismE0ELb0ELb0ES3_PKS6_PS6_S6_ZZZN2at6native31launch_logcumsumexp_cuda_kernelERKNSD_10TensorBaseESH_lENKUlvE_clEvENKUlvE3_clEvEUlS6_S6_E_S6_EEDaPvRmT3_T4_T5_mT6_P12ihipStream_tbENKUlT_T0_E_clISt17integral_constantIbLb0EESY_EEDaST_SU_EUlST_E_NS1_11comp_targetILNS1_3genE4ELNS1_11target_archE910ELNS1_3gpuE8ELNS1_3repE0EEENS1_30default_config_static_selectorELNS0_4arch9wavefront6targetE0EEEvT1_
		.amdhsa_group_segment_fixed_size 0
		.amdhsa_private_segment_fixed_size 0
		.amdhsa_kernarg_size 96
		.amdhsa_user_sgpr_count 2
		.amdhsa_user_sgpr_dispatch_ptr 0
		.amdhsa_user_sgpr_queue_ptr 0
		.amdhsa_user_sgpr_kernarg_segment_ptr 1
		.amdhsa_user_sgpr_dispatch_id 0
		.amdhsa_user_sgpr_private_segment_size 0
		.amdhsa_wavefront_size32 1
		.amdhsa_uses_dynamic_stack 0
		.amdhsa_enable_private_segment 0
		.amdhsa_system_sgpr_workgroup_id_x 1
		.amdhsa_system_sgpr_workgroup_id_y 0
		.amdhsa_system_sgpr_workgroup_id_z 0
		.amdhsa_system_sgpr_workgroup_info 0
		.amdhsa_system_vgpr_workitem_id 0
		.amdhsa_next_free_vgpr 1
		.amdhsa_next_free_sgpr 1
		.amdhsa_reserve_vcc 0
		.amdhsa_float_round_mode_32 0
		.amdhsa_float_round_mode_16_64 0
		.amdhsa_float_denorm_mode_32 3
		.amdhsa_float_denorm_mode_16_64 3
		.amdhsa_fp16_overflow 0
		.amdhsa_workgroup_processor_mode 1
		.amdhsa_memory_ordered 1
		.amdhsa_forward_progress 1
		.amdhsa_inst_pref_size 0
		.amdhsa_round_robin_scheduling 0
		.amdhsa_exception_fp_ieee_invalid_op 0
		.amdhsa_exception_fp_denorm_src 0
		.amdhsa_exception_fp_ieee_div_zero 0
		.amdhsa_exception_fp_ieee_overflow 0
		.amdhsa_exception_fp_ieee_underflow 0
		.amdhsa_exception_fp_ieee_inexact 0
		.amdhsa_exception_int_div_zero 0
	.end_amdhsa_kernel
	.section	.text._ZN7rocprim17ROCPRIM_400000_NS6detail17trampoline_kernelINS0_14default_configENS1_20scan_config_selectorIN3c104HalfEEEZZNS1_9scan_implILNS1_25lookback_scan_determinismE0ELb0ELb0ES3_PKS6_PS6_S6_ZZZN2at6native31launch_logcumsumexp_cuda_kernelERKNSD_10TensorBaseESH_lENKUlvE_clEvENKUlvE3_clEvEUlS6_S6_E_S6_EEDaPvRmT3_T4_T5_mT6_P12ihipStream_tbENKUlT_T0_E_clISt17integral_constantIbLb0EESY_EEDaST_SU_EUlST_E_NS1_11comp_targetILNS1_3genE4ELNS1_11target_archE910ELNS1_3gpuE8ELNS1_3repE0EEENS1_30default_config_static_selectorELNS0_4arch9wavefront6targetE0EEEvT1_,"axG",@progbits,_ZN7rocprim17ROCPRIM_400000_NS6detail17trampoline_kernelINS0_14default_configENS1_20scan_config_selectorIN3c104HalfEEEZZNS1_9scan_implILNS1_25lookback_scan_determinismE0ELb0ELb0ES3_PKS6_PS6_S6_ZZZN2at6native31launch_logcumsumexp_cuda_kernelERKNSD_10TensorBaseESH_lENKUlvE_clEvENKUlvE3_clEvEUlS6_S6_E_S6_EEDaPvRmT3_T4_T5_mT6_P12ihipStream_tbENKUlT_T0_E_clISt17integral_constantIbLb0EESY_EEDaST_SU_EUlST_E_NS1_11comp_targetILNS1_3genE4ELNS1_11target_archE910ELNS1_3gpuE8ELNS1_3repE0EEENS1_30default_config_static_selectorELNS0_4arch9wavefront6targetE0EEEvT1_,comdat
.Lfunc_end353:
	.size	_ZN7rocprim17ROCPRIM_400000_NS6detail17trampoline_kernelINS0_14default_configENS1_20scan_config_selectorIN3c104HalfEEEZZNS1_9scan_implILNS1_25lookback_scan_determinismE0ELb0ELb0ES3_PKS6_PS6_S6_ZZZN2at6native31launch_logcumsumexp_cuda_kernelERKNSD_10TensorBaseESH_lENKUlvE_clEvENKUlvE3_clEvEUlS6_S6_E_S6_EEDaPvRmT3_T4_T5_mT6_P12ihipStream_tbENKUlT_T0_E_clISt17integral_constantIbLb0EESY_EEDaST_SU_EUlST_E_NS1_11comp_targetILNS1_3genE4ELNS1_11target_archE910ELNS1_3gpuE8ELNS1_3repE0EEENS1_30default_config_static_selectorELNS0_4arch9wavefront6targetE0EEEvT1_, .Lfunc_end353-_ZN7rocprim17ROCPRIM_400000_NS6detail17trampoline_kernelINS0_14default_configENS1_20scan_config_selectorIN3c104HalfEEEZZNS1_9scan_implILNS1_25lookback_scan_determinismE0ELb0ELb0ES3_PKS6_PS6_S6_ZZZN2at6native31launch_logcumsumexp_cuda_kernelERKNSD_10TensorBaseESH_lENKUlvE_clEvENKUlvE3_clEvEUlS6_S6_E_S6_EEDaPvRmT3_T4_T5_mT6_P12ihipStream_tbENKUlT_T0_E_clISt17integral_constantIbLb0EESY_EEDaST_SU_EUlST_E_NS1_11comp_targetILNS1_3genE4ELNS1_11target_archE910ELNS1_3gpuE8ELNS1_3repE0EEENS1_30default_config_static_selectorELNS0_4arch9wavefront6targetE0EEEvT1_
                                        ; -- End function
	.set _ZN7rocprim17ROCPRIM_400000_NS6detail17trampoline_kernelINS0_14default_configENS1_20scan_config_selectorIN3c104HalfEEEZZNS1_9scan_implILNS1_25lookback_scan_determinismE0ELb0ELb0ES3_PKS6_PS6_S6_ZZZN2at6native31launch_logcumsumexp_cuda_kernelERKNSD_10TensorBaseESH_lENKUlvE_clEvENKUlvE3_clEvEUlS6_S6_E_S6_EEDaPvRmT3_T4_T5_mT6_P12ihipStream_tbENKUlT_T0_E_clISt17integral_constantIbLb0EESY_EEDaST_SU_EUlST_E_NS1_11comp_targetILNS1_3genE4ELNS1_11target_archE910ELNS1_3gpuE8ELNS1_3repE0EEENS1_30default_config_static_selectorELNS0_4arch9wavefront6targetE0EEEvT1_.num_vgpr, 0
	.set _ZN7rocprim17ROCPRIM_400000_NS6detail17trampoline_kernelINS0_14default_configENS1_20scan_config_selectorIN3c104HalfEEEZZNS1_9scan_implILNS1_25lookback_scan_determinismE0ELb0ELb0ES3_PKS6_PS6_S6_ZZZN2at6native31launch_logcumsumexp_cuda_kernelERKNSD_10TensorBaseESH_lENKUlvE_clEvENKUlvE3_clEvEUlS6_S6_E_S6_EEDaPvRmT3_T4_T5_mT6_P12ihipStream_tbENKUlT_T0_E_clISt17integral_constantIbLb0EESY_EEDaST_SU_EUlST_E_NS1_11comp_targetILNS1_3genE4ELNS1_11target_archE910ELNS1_3gpuE8ELNS1_3repE0EEENS1_30default_config_static_selectorELNS0_4arch9wavefront6targetE0EEEvT1_.num_agpr, 0
	.set _ZN7rocprim17ROCPRIM_400000_NS6detail17trampoline_kernelINS0_14default_configENS1_20scan_config_selectorIN3c104HalfEEEZZNS1_9scan_implILNS1_25lookback_scan_determinismE0ELb0ELb0ES3_PKS6_PS6_S6_ZZZN2at6native31launch_logcumsumexp_cuda_kernelERKNSD_10TensorBaseESH_lENKUlvE_clEvENKUlvE3_clEvEUlS6_S6_E_S6_EEDaPvRmT3_T4_T5_mT6_P12ihipStream_tbENKUlT_T0_E_clISt17integral_constantIbLb0EESY_EEDaST_SU_EUlST_E_NS1_11comp_targetILNS1_3genE4ELNS1_11target_archE910ELNS1_3gpuE8ELNS1_3repE0EEENS1_30default_config_static_selectorELNS0_4arch9wavefront6targetE0EEEvT1_.numbered_sgpr, 0
	.set _ZN7rocprim17ROCPRIM_400000_NS6detail17trampoline_kernelINS0_14default_configENS1_20scan_config_selectorIN3c104HalfEEEZZNS1_9scan_implILNS1_25lookback_scan_determinismE0ELb0ELb0ES3_PKS6_PS6_S6_ZZZN2at6native31launch_logcumsumexp_cuda_kernelERKNSD_10TensorBaseESH_lENKUlvE_clEvENKUlvE3_clEvEUlS6_S6_E_S6_EEDaPvRmT3_T4_T5_mT6_P12ihipStream_tbENKUlT_T0_E_clISt17integral_constantIbLb0EESY_EEDaST_SU_EUlST_E_NS1_11comp_targetILNS1_3genE4ELNS1_11target_archE910ELNS1_3gpuE8ELNS1_3repE0EEENS1_30default_config_static_selectorELNS0_4arch9wavefront6targetE0EEEvT1_.num_named_barrier, 0
	.set _ZN7rocprim17ROCPRIM_400000_NS6detail17trampoline_kernelINS0_14default_configENS1_20scan_config_selectorIN3c104HalfEEEZZNS1_9scan_implILNS1_25lookback_scan_determinismE0ELb0ELb0ES3_PKS6_PS6_S6_ZZZN2at6native31launch_logcumsumexp_cuda_kernelERKNSD_10TensorBaseESH_lENKUlvE_clEvENKUlvE3_clEvEUlS6_S6_E_S6_EEDaPvRmT3_T4_T5_mT6_P12ihipStream_tbENKUlT_T0_E_clISt17integral_constantIbLb0EESY_EEDaST_SU_EUlST_E_NS1_11comp_targetILNS1_3genE4ELNS1_11target_archE910ELNS1_3gpuE8ELNS1_3repE0EEENS1_30default_config_static_selectorELNS0_4arch9wavefront6targetE0EEEvT1_.private_seg_size, 0
	.set _ZN7rocprim17ROCPRIM_400000_NS6detail17trampoline_kernelINS0_14default_configENS1_20scan_config_selectorIN3c104HalfEEEZZNS1_9scan_implILNS1_25lookback_scan_determinismE0ELb0ELb0ES3_PKS6_PS6_S6_ZZZN2at6native31launch_logcumsumexp_cuda_kernelERKNSD_10TensorBaseESH_lENKUlvE_clEvENKUlvE3_clEvEUlS6_S6_E_S6_EEDaPvRmT3_T4_T5_mT6_P12ihipStream_tbENKUlT_T0_E_clISt17integral_constantIbLb0EESY_EEDaST_SU_EUlST_E_NS1_11comp_targetILNS1_3genE4ELNS1_11target_archE910ELNS1_3gpuE8ELNS1_3repE0EEENS1_30default_config_static_selectorELNS0_4arch9wavefront6targetE0EEEvT1_.uses_vcc, 0
	.set _ZN7rocprim17ROCPRIM_400000_NS6detail17trampoline_kernelINS0_14default_configENS1_20scan_config_selectorIN3c104HalfEEEZZNS1_9scan_implILNS1_25lookback_scan_determinismE0ELb0ELb0ES3_PKS6_PS6_S6_ZZZN2at6native31launch_logcumsumexp_cuda_kernelERKNSD_10TensorBaseESH_lENKUlvE_clEvENKUlvE3_clEvEUlS6_S6_E_S6_EEDaPvRmT3_T4_T5_mT6_P12ihipStream_tbENKUlT_T0_E_clISt17integral_constantIbLb0EESY_EEDaST_SU_EUlST_E_NS1_11comp_targetILNS1_3genE4ELNS1_11target_archE910ELNS1_3gpuE8ELNS1_3repE0EEENS1_30default_config_static_selectorELNS0_4arch9wavefront6targetE0EEEvT1_.uses_flat_scratch, 0
	.set _ZN7rocprim17ROCPRIM_400000_NS6detail17trampoline_kernelINS0_14default_configENS1_20scan_config_selectorIN3c104HalfEEEZZNS1_9scan_implILNS1_25lookback_scan_determinismE0ELb0ELb0ES3_PKS6_PS6_S6_ZZZN2at6native31launch_logcumsumexp_cuda_kernelERKNSD_10TensorBaseESH_lENKUlvE_clEvENKUlvE3_clEvEUlS6_S6_E_S6_EEDaPvRmT3_T4_T5_mT6_P12ihipStream_tbENKUlT_T0_E_clISt17integral_constantIbLb0EESY_EEDaST_SU_EUlST_E_NS1_11comp_targetILNS1_3genE4ELNS1_11target_archE910ELNS1_3gpuE8ELNS1_3repE0EEENS1_30default_config_static_selectorELNS0_4arch9wavefront6targetE0EEEvT1_.has_dyn_sized_stack, 0
	.set _ZN7rocprim17ROCPRIM_400000_NS6detail17trampoline_kernelINS0_14default_configENS1_20scan_config_selectorIN3c104HalfEEEZZNS1_9scan_implILNS1_25lookback_scan_determinismE0ELb0ELb0ES3_PKS6_PS6_S6_ZZZN2at6native31launch_logcumsumexp_cuda_kernelERKNSD_10TensorBaseESH_lENKUlvE_clEvENKUlvE3_clEvEUlS6_S6_E_S6_EEDaPvRmT3_T4_T5_mT6_P12ihipStream_tbENKUlT_T0_E_clISt17integral_constantIbLb0EESY_EEDaST_SU_EUlST_E_NS1_11comp_targetILNS1_3genE4ELNS1_11target_archE910ELNS1_3gpuE8ELNS1_3repE0EEENS1_30default_config_static_selectorELNS0_4arch9wavefront6targetE0EEEvT1_.has_recursion, 0
	.set _ZN7rocprim17ROCPRIM_400000_NS6detail17trampoline_kernelINS0_14default_configENS1_20scan_config_selectorIN3c104HalfEEEZZNS1_9scan_implILNS1_25lookback_scan_determinismE0ELb0ELb0ES3_PKS6_PS6_S6_ZZZN2at6native31launch_logcumsumexp_cuda_kernelERKNSD_10TensorBaseESH_lENKUlvE_clEvENKUlvE3_clEvEUlS6_S6_E_S6_EEDaPvRmT3_T4_T5_mT6_P12ihipStream_tbENKUlT_T0_E_clISt17integral_constantIbLb0EESY_EEDaST_SU_EUlST_E_NS1_11comp_targetILNS1_3genE4ELNS1_11target_archE910ELNS1_3gpuE8ELNS1_3repE0EEENS1_30default_config_static_selectorELNS0_4arch9wavefront6targetE0EEEvT1_.has_indirect_call, 0
	.section	.AMDGPU.csdata,"",@progbits
; Kernel info:
; codeLenInByte = 0
; TotalNumSgprs: 0
; NumVgprs: 0
; ScratchSize: 0
; MemoryBound: 0
; FloatMode: 240
; IeeeMode: 1
; LDSByteSize: 0 bytes/workgroup (compile time only)
; SGPRBlocks: 0
; VGPRBlocks: 0
; NumSGPRsForWavesPerEU: 1
; NumVGPRsForWavesPerEU: 1
; Occupancy: 16
; WaveLimiterHint : 0
; COMPUTE_PGM_RSRC2:SCRATCH_EN: 0
; COMPUTE_PGM_RSRC2:USER_SGPR: 2
; COMPUTE_PGM_RSRC2:TRAP_HANDLER: 0
; COMPUTE_PGM_RSRC2:TGID_X_EN: 1
; COMPUTE_PGM_RSRC2:TGID_Y_EN: 0
; COMPUTE_PGM_RSRC2:TGID_Z_EN: 0
; COMPUTE_PGM_RSRC2:TIDIG_COMP_CNT: 0
	.section	.text._ZN7rocprim17ROCPRIM_400000_NS6detail17trampoline_kernelINS0_14default_configENS1_20scan_config_selectorIN3c104HalfEEEZZNS1_9scan_implILNS1_25lookback_scan_determinismE0ELb0ELb0ES3_PKS6_PS6_S6_ZZZN2at6native31launch_logcumsumexp_cuda_kernelERKNSD_10TensorBaseESH_lENKUlvE_clEvENKUlvE3_clEvEUlS6_S6_E_S6_EEDaPvRmT3_T4_T5_mT6_P12ihipStream_tbENKUlT_T0_E_clISt17integral_constantIbLb0EESY_EEDaST_SU_EUlST_E_NS1_11comp_targetILNS1_3genE3ELNS1_11target_archE908ELNS1_3gpuE7ELNS1_3repE0EEENS1_30default_config_static_selectorELNS0_4arch9wavefront6targetE0EEEvT1_,"axG",@progbits,_ZN7rocprim17ROCPRIM_400000_NS6detail17trampoline_kernelINS0_14default_configENS1_20scan_config_selectorIN3c104HalfEEEZZNS1_9scan_implILNS1_25lookback_scan_determinismE0ELb0ELb0ES3_PKS6_PS6_S6_ZZZN2at6native31launch_logcumsumexp_cuda_kernelERKNSD_10TensorBaseESH_lENKUlvE_clEvENKUlvE3_clEvEUlS6_S6_E_S6_EEDaPvRmT3_T4_T5_mT6_P12ihipStream_tbENKUlT_T0_E_clISt17integral_constantIbLb0EESY_EEDaST_SU_EUlST_E_NS1_11comp_targetILNS1_3genE3ELNS1_11target_archE908ELNS1_3gpuE7ELNS1_3repE0EEENS1_30default_config_static_selectorELNS0_4arch9wavefront6targetE0EEEvT1_,comdat
	.globl	_ZN7rocprim17ROCPRIM_400000_NS6detail17trampoline_kernelINS0_14default_configENS1_20scan_config_selectorIN3c104HalfEEEZZNS1_9scan_implILNS1_25lookback_scan_determinismE0ELb0ELb0ES3_PKS6_PS6_S6_ZZZN2at6native31launch_logcumsumexp_cuda_kernelERKNSD_10TensorBaseESH_lENKUlvE_clEvENKUlvE3_clEvEUlS6_S6_E_S6_EEDaPvRmT3_T4_T5_mT6_P12ihipStream_tbENKUlT_T0_E_clISt17integral_constantIbLb0EESY_EEDaST_SU_EUlST_E_NS1_11comp_targetILNS1_3genE3ELNS1_11target_archE908ELNS1_3gpuE7ELNS1_3repE0EEENS1_30default_config_static_selectorELNS0_4arch9wavefront6targetE0EEEvT1_ ; -- Begin function _ZN7rocprim17ROCPRIM_400000_NS6detail17trampoline_kernelINS0_14default_configENS1_20scan_config_selectorIN3c104HalfEEEZZNS1_9scan_implILNS1_25lookback_scan_determinismE0ELb0ELb0ES3_PKS6_PS6_S6_ZZZN2at6native31launch_logcumsumexp_cuda_kernelERKNSD_10TensorBaseESH_lENKUlvE_clEvENKUlvE3_clEvEUlS6_S6_E_S6_EEDaPvRmT3_T4_T5_mT6_P12ihipStream_tbENKUlT_T0_E_clISt17integral_constantIbLb0EESY_EEDaST_SU_EUlST_E_NS1_11comp_targetILNS1_3genE3ELNS1_11target_archE908ELNS1_3gpuE7ELNS1_3repE0EEENS1_30default_config_static_selectorELNS0_4arch9wavefront6targetE0EEEvT1_
	.p2align	8
	.type	_ZN7rocprim17ROCPRIM_400000_NS6detail17trampoline_kernelINS0_14default_configENS1_20scan_config_selectorIN3c104HalfEEEZZNS1_9scan_implILNS1_25lookback_scan_determinismE0ELb0ELb0ES3_PKS6_PS6_S6_ZZZN2at6native31launch_logcumsumexp_cuda_kernelERKNSD_10TensorBaseESH_lENKUlvE_clEvENKUlvE3_clEvEUlS6_S6_E_S6_EEDaPvRmT3_T4_T5_mT6_P12ihipStream_tbENKUlT_T0_E_clISt17integral_constantIbLb0EESY_EEDaST_SU_EUlST_E_NS1_11comp_targetILNS1_3genE3ELNS1_11target_archE908ELNS1_3gpuE7ELNS1_3repE0EEENS1_30default_config_static_selectorELNS0_4arch9wavefront6targetE0EEEvT1_,@function
_ZN7rocprim17ROCPRIM_400000_NS6detail17trampoline_kernelINS0_14default_configENS1_20scan_config_selectorIN3c104HalfEEEZZNS1_9scan_implILNS1_25lookback_scan_determinismE0ELb0ELb0ES3_PKS6_PS6_S6_ZZZN2at6native31launch_logcumsumexp_cuda_kernelERKNSD_10TensorBaseESH_lENKUlvE_clEvENKUlvE3_clEvEUlS6_S6_E_S6_EEDaPvRmT3_T4_T5_mT6_P12ihipStream_tbENKUlT_T0_E_clISt17integral_constantIbLb0EESY_EEDaST_SU_EUlST_E_NS1_11comp_targetILNS1_3genE3ELNS1_11target_archE908ELNS1_3gpuE7ELNS1_3repE0EEENS1_30default_config_static_selectorELNS0_4arch9wavefront6targetE0EEEvT1_: ; @_ZN7rocprim17ROCPRIM_400000_NS6detail17trampoline_kernelINS0_14default_configENS1_20scan_config_selectorIN3c104HalfEEEZZNS1_9scan_implILNS1_25lookback_scan_determinismE0ELb0ELb0ES3_PKS6_PS6_S6_ZZZN2at6native31launch_logcumsumexp_cuda_kernelERKNSD_10TensorBaseESH_lENKUlvE_clEvENKUlvE3_clEvEUlS6_S6_E_S6_EEDaPvRmT3_T4_T5_mT6_P12ihipStream_tbENKUlT_T0_E_clISt17integral_constantIbLb0EESY_EEDaST_SU_EUlST_E_NS1_11comp_targetILNS1_3genE3ELNS1_11target_archE908ELNS1_3gpuE7ELNS1_3repE0EEENS1_30default_config_static_selectorELNS0_4arch9wavefront6targetE0EEEvT1_
; %bb.0:
	.section	.rodata,"a",@progbits
	.p2align	6, 0x0
	.amdhsa_kernel _ZN7rocprim17ROCPRIM_400000_NS6detail17trampoline_kernelINS0_14default_configENS1_20scan_config_selectorIN3c104HalfEEEZZNS1_9scan_implILNS1_25lookback_scan_determinismE0ELb0ELb0ES3_PKS6_PS6_S6_ZZZN2at6native31launch_logcumsumexp_cuda_kernelERKNSD_10TensorBaseESH_lENKUlvE_clEvENKUlvE3_clEvEUlS6_S6_E_S6_EEDaPvRmT3_T4_T5_mT6_P12ihipStream_tbENKUlT_T0_E_clISt17integral_constantIbLb0EESY_EEDaST_SU_EUlST_E_NS1_11comp_targetILNS1_3genE3ELNS1_11target_archE908ELNS1_3gpuE7ELNS1_3repE0EEENS1_30default_config_static_selectorELNS0_4arch9wavefront6targetE0EEEvT1_
		.amdhsa_group_segment_fixed_size 0
		.amdhsa_private_segment_fixed_size 0
		.amdhsa_kernarg_size 96
		.amdhsa_user_sgpr_count 2
		.amdhsa_user_sgpr_dispatch_ptr 0
		.amdhsa_user_sgpr_queue_ptr 0
		.amdhsa_user_sgpr_kernarg_segment_ptr 1
		.amdhsa_user_sgpr_dispatch_id 0
		.amdhsa_user_sgpr_private_segment_size 0
		.amdhsa_wavefront_size32 1
		.amdhsa_uses_dynamic_stack 0
		.amdhsa_enable_private_segment 0
		.amdhsa_system_sgpr_workgroup_id_x 1
		.amdhsa_system_sgpr_workgroup_id_y 0
		.amdhsa_system_sgpr_workgroup_id_z 0
		.amdhsa_system_sgpr_workgroup_info 0
		.amdhsa_system_vgpr_workitem_id 0
		.amdhsa_next_free_vgpr 1
		.amdhsa_next_free_sgpr 1
		.amdhsa_reserve_vcc 0
		.amdhsa_float_round_mode_32 0
		.amdhsa_float_round_mode_16_64 0
		.amdhsa_float_denorm_mode_32 3
		.amdhsa_float_denorm_mode_16_64 3
		.amdhsa_fp16_overflow 0
		.amdhsa_workgroup_processor_mode 1
		.amdhsa_memory_ordered 1
		.amdhsa_forward_progress 1
		.amdhsa_inst_pref_size 0
		.amdhsa_round_robin_scheduling 0
		.amdhsa_exception_fp_ieee_invalid_op 0
		.amdhsa_exception_fp_denorm_src 0
		.amdhsa_exception_fp_ieee_div_zero 0
		.amdhsa_exception_fp_ieee_overflow 0
		.amdhsa_exception_fp_ieee_underflow 0
		.amdhsa_exception_fp_ieee_inexact 0
		.amdhsa_exception_int_div_zero 0
	.end_amdhsa_kernel
	.section	.text._ZN7rocprim17ROCPRIM_400000_NS6detail17trampoline_kernelINS0_14default_configENS1_20scan_config_selectorIN3c104HalfEEEZZNS1_9scan_implILNS1_25lookback_scan_determinismE0ELb0ELb0ES3_PKS6_PS6_S6_ZZZN2at6native31launch_logcumsumexp_cuda_kernelERKNSD_10TensorBaseESH_lENKUlvE_clEvENKUlvE3_clEvEUlS6_S6_E_S6_EEDaPvRmT3_T4_T5_mT6_P12ihipStream_tbENKUlT_T0_E_clISt17integral_constantIbLb0EESY_EEDaST_SU_EUlST_E_NS1_11comp_targetILNS1_3genE3ELNS1_11target_archE908ELNS1_3gpuE7ELNS1_3repE0EEENS1_30default_config_static_selectorELNS0_4arch9wavefront6targetE0EEEvT1_,"axG",@progbits,_ZN7rocprim17ROCPRIM_400000_NS6detail17trampoline_kernelINS0_14default_configENS1_20scan_config_selectorIN3c104HalfEEEZZNS1_9scan_implILNS1_25lookback_scan_determinismE0ELb0ELb0ES3_PKS6_PS6_S6_ZZZN2at6native31launch_logcumsumexp_cuda_kernelERKNSD_10TensorBaseESH_lENKUlvE_clEvENKUlvE3_clEvEUlS6_S6_E_S6_EEDaPvRmT3_T4_T5_mT6_P12ihipStream_tbENKUlT_T0_E_clISt17integral_constantIbLb0EESY_EEDaST_SU_EUlST_E_NS1_11comp_targetILNS1_3genE3ELNS1_11target_archE908ELNS1_3gpuE7ELNS1_3repE0EEENS1_30default_config_static_selectorELNS0_4arch9wavefront6targetE0EEEvT1_,comdat
.Lfunc_end354:
	.size	_ZN7rocprim17ROCPRIM_400000_NS6detail17trampoline_kernelINS0_14default_configENS1_20scan_config_selectorIN3c104HalfEEEZZNS1_9scan_implILNS1_25lookback_scan_determinismE0ELb0ELb0ES3_PKS6_PS6_S6_ZZZN2at6native31launch_logcumsumexp_cuda_kernelERKNSD_10TensorBaseESH_lENKUlvE_clEvENKUlvE3_clEvEUlS6_S6_E_S6_EEDaPvRmT3_T4_T5_mT6_P12ihipStream_tbENKUlT_T0_E_clISt17integral_constantIbLb0EESY_EEDaST_SU_EUlST_E_NS1_11comp_targetILNS1_3genE3ELNS1_11target_archE908ELNS1_3gpuE7ELNS1_3repE0EEENS1_30default_config_static_selectorELNS0_4arch9wavefront6targetE0EEEvT1_, .Lfunc_end354-_ZN7rocprim17ROCPRIM_400000_NS6detail17trampoline_kernelINS0_14default_configENS1_20scan_config_selectorIN3c104HalfEEEZZNS1_9scan_implILNS1_25lookback_scan_determinismE0ELb0ELb0ES3_PKS6_PS6_S6_ZZZN2at6native31launch_logcumsumexp_cuda_kernelERKNSD_10TensorBaseESH_lENKUlvE_clEvENKUlvE3_clEvEUlS6_S6_E_S6_EEDaPvRmT3_T4_T5_mT6_P12ihipStream_tbENKUlT_T0_E_clISt17integral_constantIbLb0EESY_EEDaST_SU_EUlST_E_NS1_11comp_targetILNS1_3genE3ELNS1_11target_archE908ELNS1_3gpuE7ELNS1_3repE0EEENS1_30default_config_static_selectorELNS0_4arch9wavefront6targetE0EEEvT1_
                                        ; -- End function
	.set _ZN7rocprim17ROCPRIM_400000_NS6detail17trampoline_kernelINS0_14default_configENS1_20scan_config_selectorIN3c104HalfEEEZZNS1_9scan_implILNS1_25lookback_scan_determinismE0ELb0ELb0ES3_PKS6_PS6_S6_ZZZN2at6native31launch_logcumsumexp_cuda_kernelERKNSD_10TensorBaseESH_lENKUlvE_clEvENKUlvE3_clEvEUlS6_S6_E_S6_EEDaPvRmT3_T4_T5_mT6_P12ihipStream_tbENKUlT_T0_E_clISt17integral_constantIbLb0EESY_EEDaST_SU_EUlST_E_NS1_11comp_targetILNS1_3genE3ELNS1_11target_archE908ELNS1_3gpuE7ELNS1_3repE0EEENS1_30default_config_static_selectorELNS0_4arch9wavefront6targetE0EEEvT1_.num_vgpr, 0
	.set _ZN7rocprim17ROCPRIM_400000_NS6detail17trampoline_kernelINS0_14default_configENS1_20scan_config_selectorIN3c104HalfEEEZZNS1_9scan_implILNS1_25lookback_scan_determinismE0ELb0ELb0ES3_PKS6_PS6_S6_ZZZN2at6native31launch_logcumsumexp_cuda_kernelERKNSD_10TensorBaseESH_lENKUlvE_clEvENKUlvE3_clEvEUlS6_S6_E_S6_EEDaPvRmT3_T4_T5_mT6_P12ihipStream_tbENKUlT_T0_E_clISt17integral_constantIbLb0EESY_EEDaST_SU_EUlST_E_NS1_11comp_targetILNS1_3genE3ELNS1_11target_archE908ELNS1_3gpuE7ELNS1_3repE0EEENS1_30default_config_static_selectorELNS0_4arch9wavefront6targetE0EEEvT1_.num_agpr, 0
	.set _ZN7rocprim17ROCPRIM_400000_NS6detail17trampoline_kernelINS0_14default_configENS1_20scan_config_selectorIN3c104HalfEEEZZNS1_9scan_implILNS1_25lookback_scan_determinismE0ELb0ELb0ES3_PKS6_PS6_S6_ZZZN2at6native31launch_logcumsumexp_cuda_kernelERKNSD_10TensorBaseESH_lENKUlvE_clEvENKUlvE3_clEvEUlS6_S6_E_S6_EEDaPvRmT3_T4_T5_mT6_P12ihipStream_tbENKUlT_T0_E_clISt17integral_constantIbLb0EESY_EEDaST_SU_EUlST_E_NS1_11comp_targetILNS1_3genE3ELNS1_11target_archE908ELNS1_3gpuE7ELNS1_3repE0EEENS1_30default_config_static_selectorELNS0_4arch9wavefront6targetE0EEEvT1_.numbered_sgpr, 0
	.set _ZN7rocprim17ROCPRIM_400000_NS6detail17trampoline_kernelINS0_14default_configENS1_20scan_config_selectorIN3c104HalfEEEZZNS1_9scan_implILNS1_25lookback_scan_determinismE0ELb0ELb0ES3_PKS6_PS6_S6_ZZZN2at6native31launch_logcumsumexp_cuda_kernelERKNSD_10TensorBaseESH_lENKUlvE_clEvENKUlvE3_clEvEUlS6_S6_E_S6_EEDaPvRmT3_T4_T5_mT6_P12ihipStream_tbENKUlT_T0_E_clISt17integral_constantIbLb0EESY_EEDaST_SU_EUlST_E_NS1_11comp_targetILNS1_3genE3ELNS1_11target_archE908ELNS1_3gpuE7ELNS1_3repE0EEENS1_30default_config_static_selectorELNS0_4arch9wavefront6targetE0EEEvT1_.num_named_barrier, 0
	.set _ZN7rocprim17ROCPRIM_400000_NS6detail17trampoline_kernelINS0_14default_configENS1_20scan_config_selectorIN3c104HalfEEEZZNS1_9scan_implILNS1_25lookback_scan_determinismE0ELb0ELb0ES3_PKS6_PS6_S6_ZZZN2at6native31launch_logcumsumexp_cuda_kernelERKNSD_10TensorBaseESH_lENKUlvE_clEvENKUlvE3_clEvEUlS6_S6_E_S6_EEDaPvRmT3_T4_T5_mT6_P12ihipStream_tbENKUlT_T0_E_clISt17integral_constantIbLb0EESY_EEDaST_SU_EUlST_E_NS1_11comp_targetILNS1_3genE3ELNS1_11target_archE908ELNS1_3gpuE7ELNS1_3repE0EEENS1_30default_config_static_selectorELNS0_4arch9wavefront6targetE0EEEvT1_.private_seg_size, 0
	.set _ZN7rocprim17ROCPRIM_400000_NS6detail17trampoline_kernelINS0_14default_configENS1_20scan_config_selectorIN3c104HalfEEEZZNS1_9scan_implILNS1_25lookback_scan_determinismE0ELb0ELb0ES3_PKS6_PS6_S6_ZZZN2at6native31launch_logcumsumexp_cuda_kernelERKNSD_10TensorBaseESH_lENKUlvE_clEvENKUlvE3_clEvEUlS6_S6_E_S6_EEDaPvRmT3_T4_T5_mT6_P12ihipStream_tbENKUlT_T0_E_clISt17integral_constantIbLb0EESY_EEDaST_SU_EUlST_E_NS1_11comp_targetILNS1_3genE3ELNS1_11target_archE908ELNS1_3gpuE7ELNS1_3repE0EEENS1_30default_config_static_selectorELNS0_4arch9wavefront6targetE0EEEvT1_.uses_vcc, 0
	.set _ZN7rocprim17ROCPRIM_400000_NS6detail17trampoline_kernelINS0_14default_configENS1_20scan_config_selectorIN3c104HalfEEEZZNS1_9scan_implILNS1_25lookback_scan_determinismE0ELb0ELb0ES3_PKS6_PS6_S6_ZZZN2at6native31launch_logcumsumexp_cuda_kernelERKNSD_10TensorBaseESH_lENKUlvE_clEvENKUlvE3_clEvEUlS6_S6_E_S6_EEDaPvRmT3_T4_T5_mT6_P12ihipStream_tbENKUlT_T0_E_clISt17integral_constantIbLb0EESY_EEDaST_SU_EUlST_E_NS1_11comp_targetILNS1_3genE3ELNS1_11target_archE908ELNS1_3gpuE7ELNS1_3repE0EEENS1_30default_config_static_selectorELNS0_4arch9wavefront6targetE0EEEvT1_.uses_flat_scratch, 0
	.set _ZN7rocprim17ROCPRIM_400000_NS6detail17trampoline_kernelINS0_14default_configENS1_20scan_config_selectorIN3c104HalfEEEZZNS1_9scan_implILNS1_25lookback_scan_determinismE0ELb0ELb0ES3_PKS6_PS6_S6_ZZZN2at6native31launch_logcumsumexp_cuda_kernelERKNSD_10TensorBaseESH_lENKUlvE_clEvENKUlvE3_clEvEUlS6_S6_E_S6_EEDaPvRmT3_T4_T5_mT6_P12ihipStream_tbENKUlT_T0_E_clISt17integral_constantIbLb0EESY_EEDaST_SU_EUlST_E_NS1_11comp_targetILNS1_3genE3ELNS1_11target_archE908ELNS1_3gpuE7ELNS1_3repE0EEENS1_30default_config_static_selectorELNS0_4arch9wavefront6targetE0EEEvT1_.has_dyn_sized_stack, 0
	.set _ZN7rocprim17ROCPRIM_400000_NS6detail17trampoline_kernelINS0_14default_configENS1_20scan_config_selectorIN3c104HalfEEEZZNS1_9scan_implILNS1_25lookback_scan_determinismE0ELb0ELb0ES3_PKS6_PS6_S6_ZZZN2at6native31launch_logcumsumexp_cuda_kernelERKNSD_10TensorBaseESH_lENKUlvE_clEvENKUlvE3_clEvEUlS6_S6_E_S6_EEDaPvRmT3_T4_T5_mT6_P12ihipStream_tbENKUlT_T0_E_clISt17integral_constantIbLb0EESY_EEDaST_SU_EUlST_E_NS1_11comp_targetILNS1_3genE3ELNS1_11target_archE908ELNS1_3gpuE7ELNS1_3repE0EEENS1_30default_config_static_selectorELNS0_4arch9wavefront6targetE0EEEvT1_.has_recursion, 0
	.set _ZN7rocprim17ROCPRIM_400000_NS6detail17trampoline_kernelINS0_14default_configENS1_20scan_config_selectorIN3c104HalfEEEZZNS1_9scan_implILNS1_25lookback_scan_determinismE0ELb0ELb0ES3_PKS6_PS6_S6_ZZZN2at6native31launch_logcumsumexp_cuda_kernelERKNSD_10TensorBaseESH_lENKUlvE_clEvENKUlvE3_clEvEUlS6_S6_E_S6_EEDaPvRmT3_T4_T5_mT6_P12ihipStream_tbENKUlT_T0_E_clISt17integral_constantIbLb0EESY_EEDaST_SU_EUlST_E_NS1_11comp_targetILNS1_3genE3ELNS1_11target_archE908ELNS1_3gpuE7ELNS1_3repE0EEENS1_30default_config_static_selectorELNS0_4arch9wavefront6targetE0EEEvT1_.has_indirect_call, 0
	.section	.AMDGPU.csdata,"",@progbits
; Kernel info:
; codeLenInByte = 0
; TotalNumSgprs: 0
; NumVgprs: 0
; ScratchSize: 0
; MemoryBound: 0
; FloatMode: 240
; IeeeMode: 1
; LDSByteSize: 0 bytes/workgroup (compile time only)
; SGPRBlocks: 0
; VGPRBlocks: 0
; NumSGPRsForWavesPerEU: 1
; NumVGPRsForWavesPerEU: 1
; Occupancy: 16
; WaveLimiterHint : 0
; COMPUTE_PGM_RSRC2:SCRATCH_EN: 0
; COMPUTE_PGM_RSRC2:USER_SGPR: 2
; COMPUTE_PGM_RSRC2:TRAP_HANDLER: 0
; COMPUTE_PGM_RSRC2:TGID_X_EN: 1
; COMPUTE_PGM_RSRC2:TGID_Y_EN: 0
; COMPUTE_PGM_RSRC2:TGID_Z_EN: 0
; COMPUTE_PGM_RSRC2:TIDIG_COMP_CNT: 0
	.section	.text._ZN7rocprim17ROCPRIM_400000_NS6detail17trampoline_kernelINS0_14default_configENS1_20scan_config_selectorIN3c104HalfEEEZZNS1_9scan_implILNS1_25lookback_scan_determinismE0ELb0ELb0ES3_PKS6_PS6_S6_ZZZN2at6native31launch_logcumsumexp_cuda_kernelERKNSD_10TensorBaseESH_lENKUlvE_clEvENKUlvE3_clEvEUlS6_S6_E_S6_EEDaPvRmT3_T4_T5_mT6_P12ihipStream_tbENKUlT_T0_E_clISt17integral_constantIbLb0EESY_EEDaST_SU_EUlST_E_NS1_11comp_targetILNS1_3genE2ELNS1_11target_archE906ELNS1_3gpuE6ELNS1_3repE0EEENS1_30default_config_static_selectorELNS0_4arch9wavefront6targetE0EEEvT1_,"axG",@progbits,_ZN7rocprim17ROCPRIM_400000_NS6detail17trampoline_kernelINS0_14default_configENS1_20scan_config_selectorIN3c104HalfEEEZZNS1_9scan_implILNS1_25lookback_scan_determinismE0ELb0ELb0ES3_PKS6_PS6_S6_ZZZN2at6native31launch_logcumsumexp_cuda_kernelERKNSD_10TensorBaseESH_lENKUlvE_clEvENKUlvE3_clEvEUlS6_S6_E_S6_EEDaPvRmT3_T4_T5_mT6_P12ihipStream_tbENKUlT_T0_E_clISt17integral_constantIbLb0EESY_EEDaST_SU_EUlST_E_NS1_11comp_targetILNS1_3genE2ELNS1_11target_archE906ELNS1_3gpuE6ELNS1_3repE0EEENS1_30default_config_static_selectorELNS0_4arch9wavefront6targetE0EEEvT1_,comdat
	.globl	_ZN7rocprim17ROCPRIM_400000_NS6detail17trampoline_kernelINS0_14default_configENS1_20scan_config_selectorIN3c104HalfEEEZZNS1_9scan_implILNS1_25lookback_scan_determinismE0ELb0ELb0ES3_PKS6_PS6_S6_ZZZN2at6native31launch_logcumsumexp_cuda_kernelERKNSD_10TensorBaseESH_lENKUlvE_clEvENKUlvE3_clEvEUlS6_S6_E_S6_EEDaPvRmT3_T4_T5_mT6_P12ihipStream_tbENKUlT_T0_E_clISt17integral_constantIbLb0EESY_EEDaST_SU_EUlST_E_NS1_11comp_targetILNS1_3genE2ELNS1_11target_archE906ELNS1_3gpuE6ELNS1_3repE0EEENS1_30default_config_static_selectorELNS0_4arch9wavefront6targetE0EEEvT1_ ; -- Begin function _ZN7rocprim17ROCPRIM_400000_NS6detail17trampoline_kernelINS0_14default_configENS1_20scan_config_selectorIN3c104HalfEEEZZNS1_9scan_implILNS1_25lookback_scan_determinismE0ELb0ELb0ES3_PKS6_PS6_S6_ZZZN2at6native31launch_logcumsumexp_cuda_kernelERKNSD_10TensorBaseESH_lENKUlvE_clEvENKUlvE3_clEvEUlS6_S6_E_S6_EEDaPvRmT3_T4_T5_mT6_P12ihipStream_tbENKUlT_T0_E_clISt17integral_constantIbLb0EESY_EEDaST_SU_EUlST_E_NS1_11comp_targetILNS1_3genE2ELNS1_11target_archE906ELNS1_3gpuE6ELNS1_3repE0EEENS1_30default_config_static_selectorELNS0_4arch9wavefront6targetE0EEEvT1_
	.p2align	8
	.type	_ZN7rocprim17ROCPRIM_400000_NS6detail17trampoline_kernelINS0_14default_configENS1_20scan_config_selectorIN3c104HalfEEEZZNS1_9scan_implILNS1_25lookback_scan_determinismE0ELb0ELb0ES3_PKS6_PS6_S6_ZZZN2at6native31launch_logcumsumexp_cuda_kernelERKNSD_10TensorBaseESH_lENKUlvE_clEvENKUlvE3_clEvEUlS6_S6_E_S6_EEDaPvRmT3_T4_T5_mT6_P12ihipStream_tbENKUlT_T0_E_clISt17integral_constantIbLb0EESY_EEDaST_SU_EUlST_E_NS1_11comp_targetILNS1_3genE2ELNS1_11target_archE906ELNS1_3gpuE6ELNS1_3repE0EEENS1_30default_config_static_selectorELNS0_4arch9wavefront6targetE0EEEvT1_,@function
_ZN7rocprim17ROCPRIM_400000_NS6detail17trampoline_kernelINS0_14default_configENS1_20scan_config_selectorIN3c104HalfEEEZZNS1_9scan_implILNS1_25lookback_scan_determinismE0ELb0ELb0ES3_PKS6_PS6_S6_ZZZN2at6native31launch_logcumsumexp_cuda_kernelERKNSD_10TensorBaseESH_lENKUlvE_clEvENKUlvE3_clEvEUlS6_S6_E_S6_EEDaPvRmT3_T4_T5_mT6_P12ihipStream_tbENKUlT_T0_E_clISt17integral_constantIbLb0EESY_EEDaST_SU_EUlST_E_NS1_11comp_targetILNS1_3genE2ELNS1_11target_archE906ELNS1_3gpuE6ELNS1_3repE0EEENS1_30default_config_static_selectorELNS0_4arch9wavefront6targetE0EEEvT1_: ; @_ZN7rocprim17ROCPRIM_400000_NS6detail17trampoline_kernelINS0_14default_configENS1_20scan_config_selectorIN3c104HalfEEEZZNS1_9scan_implILNS1_25lookback_scan_determinismE0ELb0ELb0ES3_PKS6_PS6_S6_ZZZN2at6native31launch_logcumsumexp_cuda_kernelERKNSD_10TensorBaseESH_lENKUlvE_clEvENKUlvE3_clEvEUlS6_S6_E_S6_EEDaPvRmT3_T4_T5_mT6_P12ihipStream_tbENKUlT_T0_E_clISt17integral_constantIbLb0EESY_EEDaST_SU_EUlST_E_NS1_11comp_targetILNS1_3genE2ELNS1_11target_archE906ELNS1_3gpuE6ELNS1_3repE0EEENS1_30default_config_static_selectorELNS0_4arch9wavefront6targetE0EEEvT1_
; %bb.0:
	.section	.rodata,"a",@progbits
	.p2align	6, 0x0
	.amdhsa_kernel _ZN7rocprim17ROCPRIM_400000_NS6detail17trampoline_kernelINS0_14default_configENS1_20scan_config_selectorIN3c104HalfEEEZZNS1_9scan_implILNS1_25lookback_scan_determinismE0ELb0ELb0ES3_PKS6_PS6_S6_ZZZN2at6native31launch_logcumsumexp_cuda_kernelERKNSD_10TensorBaseESH_lENKUlvE_clEvENKUlvE3_clEvEUlS6_S6_E_S6_EEDaPvRmT3_T4_T5_mT6_P12ihipStream_tbENKUlT_T0_E_clISt17integral_constantIbLb0EESY_EEDaST_SU_EUlST_E_NS1_11comp_targetILNS1_3genE2ELNS1_11target_archE906ELNS1_3gpuE6ELNS1_3repE0EEENS1_30default_config_static_selectorELNS0_4arch9wavefront6targetE0EEEvT1_
		.amdhsa_group_segment_fixed_size 0
		.amdhsa_private_segment_fixed_size 0
		.amdhsa_kernarg_size 96
		.amdhsa_user_sgpr_count 2
		.amdhsa_user_sgpr_dispatch_ptr 0
		.amdhsa_user_sgpr_queue_ptr 0
		.amdhsa_user_sgpr_kernarg_segment_ptr 1
		.amdhsa_user_sgpr_dispatch_id 0
		.amdhsa_user_sgpr_private_segment_size 0
		.amdhsa_wavefront_size32 1
		.amdhsa_uses_dynamic_stack 0
		.amdhsa_enable_private_segment 0
		.amdhsa_system_sgpr_workgroup_id_x 1
		.amdhsa_system_sgpr_workgroup_id_y 0
		.amdhsa_system_sgpr_workgroup_id_z 0
		.amdhsa_system_sgpr_workgroup_info 0
		.amdhsa_system_vgpr_workitem_id 0
		.amdhsa_next_free_vgpr 1
		.amdhsa_next_free_sgpr 1
		.amdhsa_reserve_vcc 0
		.amdhsa_float_round_mode_32 0
		.amdhsa_float_round_mode_16_64 0
		.amdhsa_float_denorm_mode_32 3
		.amdhsa_float_denorm_mode_16_64 3
		.amdhsa_fp16_overflow 0
		.amdhsa_workgroup_processor_mode 1
		.amdhsa_memory_ordered 1
		.amdhsa_forward_progress 1
		.amdhsa_inst_pref_size 0
		.amdhsa_round_robin_scheduling 0
		.amdhsa_exception_fp_ieee_invalid_op 0
		.amdhsa_exception_fp_denorm_src 0
		.amdhsa_exception_fp_ieee_div_zero 0
		.amdhsa_exception_fp_ieee_overflow 0
		.amdhsa_exception_fp_ieee_underflow 0
		.amdhsa_exception_fp_ieee_inexact 0
		.amdhsa_exception_int_div_zero 0
	.end_amdhsa_kernel
	.section	.text._ZN7rocprim17ROCPRIM_400000_NS6detail17trampoline_kernelINS0_14default_configENS1_20scan_config_selectorIN3c104HalfEEEZZNS1_9scan_implILNS1_25lookback_scan_determinismE0ELb0ELb0ES3_PKS6_PS6_S6_ZZZN2at6native31launch_logcumsumexp_cuda_kernelERKNSD_10TensorBaseESH_lENKUlvE_clEvENKUlvE3_clEvEUlS6_S6_E_S6_EEDaPvRmT3_T4_T5_mT6_P12ihipStream_tbENKUlT_T0_E_clISt17integral_constantIbLb0EESY_EEDaST_SU_EUlST_E_NS1_11comp_targetILNS1_3genE2ELNS1_11target_archE906ELNS1_3gpuE6ELNS1_3repE0EEENS1_30default_config_static_selectorELNS0_4arch9wavefront6targetE0EEEvT1_,"axG",@progbits,_ZN7rocprim17ROCPRIM_400000_NS6detail17trampoline_kernelINS0_14default_configENS1_20scan_config_selectorIN3c104HalfEEEZZNS1_9scan_implILNS1_25lookback_scan_determinismE0ELb0ELb0ES3_PKS6_PS6_S6_ZZZN2at6native31launch_logcumsumexp_cuda_kernelERKNSD_10TensorBaseESH_lENKUlvE_clEvENKUlvE3_clEvEUlS6_S6_E_S6_EEDaPvRmT3_T4_T5_mT6_P12ihipStream_tbENKUlT_T0_E_clISt17integral_constantIbLb0EESY_EEDaST_SU_EUlST_E_NS1_11comp_targetILNS1_3genE2ELNS1_11target_archE906ELNS1_3gpuE6ELNS1_3repE0EEENS1_30default_config_static_selectorELNS0_4arch9wavefront6targetE0EEEvT1_,comdat
.Lfunc_end355:
	.size	_ZN7rocprim17ROCPRIM_400000_NS6detail17trampoline_kernelINS0_14default_configENS1_20scan_config_selectorIN3c104HalfEEEZZNS1_9scan_implILNS1_25lookback_scan_determinismE0ELb0ELb0ES3_PKS6_PS6_S6_ZZZN2at6native31launch_logcumsumexp_cuda_kernelERKNSD_10TensorBaseESH_lENKUlvE_clEvENKUlvE3_clEvEUlS6_S6_E_S6_EEDaPvRmT3_T4_T5_mT6_P12ihipStream_tbENKUlT_T0_E_clISt17integral_constantIbLb0EESY_EEDaST_SU_EUlST_E_NS1_11comp_targetILNS1_3genE2ELNS1_11target_archE906ELNS1_3gpuE6ELNS1_3repE0EEENS1_30default_config_static_selectorELNS0_4arch9wavefront6targetE0EEEvT1_, .Lfunc_end355-_ZN7rocprim17ROCPRIM_400000_NS6detail17trampoline_kernelINS0_14default_configENS1_20scan_config_selectorIN3c104HalfEEEZZNS1_9scan_implILNS1_25lookback_scan_determinismE0ELb0ELb0ES3_PKS6_PS6_S6_ZZZN2at6native31launch_logcumsumexp_cuda_kernelERKNSD_10TensorBaseESH_lENKUlvE_clEvENKUlvE3_clEvEUlS6_S6_E_S6_EEDaPvRmT3_T4_T5_mT6_P12ihipStream_tbENKUlT_T0_E_clISt17integral_constantIbLb0EESY_EEDaST_SU_EUlST_E_NS1_11comp_targetILNS1_3genE2ELNS1_11target_archE906ELNS1_3gpuE6ELNS1_3repE0EEENS1_30default_config_static_selectorELNS0_4arch9wavefront6targetE0EEEvT1_
                                        ; -- End function
	.set _ZN7rocprim17ROCPRIM_400000_NS6detail17trampoline_kernelINS0_14default_configENS1_20scan_config_selectorIN3c104HalfEEEZZNS1_9scan_implILNS1_25lookback_scan_determinismE0ELb0ELb0ES3_PKS6_PS6_S6_ZZZN2at6native31launch_logcumsumexp_cuda_kernelERKNSD_10TensorBaseESH_lENKUlvE_clEvENKUlvE3_clEvEUlS6_S6_E_S6_EEDaPvRmT3_T4_T5_mT6_P12ihipStream_tbENKUlT_T0_E_clISt17integral_constantIbLb0EESY_EEDaST_SU_EUlST_E_NS1_11comp_targetILNS1_3genE2ELNS1_11target_archE906ELNS1_3gpuE6ELNS1_3repE0EEENS1_30default_config_static_selectorELNS0_4arch9wavefront6targetE0EEEvT1_.num_vgpr, 0
	.set _ZN7rocprim17ROCPRIM_400000_NS6detail17trampoline_kernelINS0_14default_configENS1_20scan_config_selectorIN3c104HalfEEEZZNS1_9scan_implILNS1_25lookback_scan_determinismE0ELb0ELb0ES3_PKS6_PS6_S6_ZZZN2at6native31launch_logcumsumexp_cuda_kernelERKNSD_10TensorBaseESH_lENKUlvE_clEvENKUlvE3_clEvEUlS6_S6_E_S6_EEDaPvRmT3_T4_T5_mT6_P12ihipStream_tbENKUlT_T0_E_clISt17integral_constantIbLb0EESY_EEDaST_SU_EUlST_E_NS1_11comp_targetILNS1_3genE2ELNS1_11target_archE906ELNS1_3gpuE6ELNS1_3repE0EEENS1_30default_config_static_selectorELNS0_4arch9wavefront6targetE0EEEvT1_.num_agpr, 0
	.set _ZN7rocprim17ROCPRIM_400000_NS6detail17trampoline_kernelINS0_14default_configENS1_20scan_config_selectorIN3c104HalfEEEZZNS1_9scan_implILNS1_25lookback_scan_determinismE0ELb0ELb0ES3_PKS6_PS6_S6_ZZZN2at6native31launch_logcumsumexp_cuda_kernelERKNSD_10TensorBaseESH_lENKUlvE_clEvENKUlvE3_clEvEUlS6_S6_E_S6_EEDaPvRmT3_T4_T5_mT6_P12ihipStream_tbENKUlT_T0_E_clISt17integral_constantIbLb0EESY_EEDaST_SU_EUlST_E_NS1_11comp_targetILNS1_3genE2ELNS1_11target_archE906ELNS1_3gpuE6ELNS1_3repE0EEENS1_30default_config_static_selectorELNS0_4arch9wavefront6targetE0EEEvT1_.numbered_sgpr, 0
	.set _ZN7rocprim17ROCPRIM_400000_NS6detail17trampoline_kernelINS0_14default_configENS1_20scan_config_selectorIN3c104HalfEEEZZNS1_9scan_implILNS1_25lookback_scan_determinismE0ELb0ELb0ES3_PKS6_PS6_S6_ZZZN2at6native31launch_logcumsumexp_cuda_kernelERKNSD_10TensorBaseESH_lENKUlvE_clEvENKUlvE3_clEvEUlS6_S6_E_S6_EEDaPvRmT3_T4_T5_mT6_P12ihipStream_tbENKUlT_T0_E_clISt17integral_constantIbLb0EESY_EEDaST_SU_EUlST_E_NS1_11comp_targetILNS1_3genE2ELNS1_11target_archE906ELNS1_3gpuE6ELNS1_3repE0EEENS1_30default_config_static_selectorELNS0_4arch9wavefront6targetE0EEEvT1_.num_named_barrier, 0
	.set _ZN7rocprim17ROCPRIM_400000_NS6detail17trampoline_kernelINS0_14default_configENS1_20scan_config_selectorIN3c104HalfEEEZZNS1_9scan_implILNS1_25lookback_scan_determinismE0ELb0ELb0ES3_PKS6_PS6_S6_ZZZN2at6native31launch_logcumsumexp_cuda_kernelERKNSD_10TensorBaseESH_lENKUlvE_clEvENKUlvE3_clEvEUlS6_S6_E_S6_EEDaPvRmT3_T4_T5_mT6_P12ihipStream_tbENKUlT_T0_E_clISt17integral_constantIbLb0EESY_EEDaST_SU_EUlST_E_NS1_11comp_targetILNS1_3genE2ELNS1_11target_archE906ELNS1_3gpuE6ELNS1_3repE0EEENS1_30default_config_static_selectorELNS0_4arch9wavefront6targetE0EEEvT1_.private_seg_size, 0
	.set _ZN7rocprim17ROCPRIM_400000_NS6detail17trampoline_kernelINS0_14default_configENS1_20scan_config_selectorIN3c104HalfEEEZZNS1_9scan_implILNS1_25lookback_scan_determinismE0ELb0ELb0ES3_PKS6_PS6_S6_ZZZN2at6native31launch_logcumsumexp_cuda_kernelERKNSD_10TensorBaseESH_lENKUlvE_clEvENKUlvE3_clEvEUlS6_S6_E_S6_EEDaPvRmT3_T4_T5_mT6_P12ihipStream_tbENKUlT_T0_E_clISt17integral_constantIbLb0EESY_EEDaST_SU_EUlST_E_NS1_11comp_targetILNS1_3genE2ELNS1_11target_archE906ELNS1_3gpuE6ELNS1_3repE0EEENS1_30default_config_static_selectorELNS0_4arch9wavefront6targetE0EEEvT1_.uses_vcc, 0
	.set _ZN7rocprim17ROCPRIM_400000_NS6detail17trampoline_kernelINS0_14default_configENS1_20scan_config_selectorIN3c104HalfEEEZZNS1_9scan_implILNS1_25lookback_scan_determinismE0ELb0ELb0ES3_PKS6_PS6_S6_ZZZN2at6native31launch_logcumsumexp_cuda_kernelERKNSD_10TensorBaseESH_lENKUlvE_clEvENKUlvE3_clEvEUlS6_S6_E_S6_EEDaPvRmT3_T4_T5_mT6_P12ihipStream_tbENKUlT_T0_E_clISt17integral_constantIbLb0EESY_EEDaST_SU_EUlST_E_NS1_11comp_targetILNS1_3genE2ELNS1_11target_archE906ELNS1_3gpuE6ELNS1_3repE0EEENS1_30default_config_static_selectorELNS0_4arch9wavefront6targetE0EEEvT1_.uses_flat_scratch, 0
	.set _ZN7rocprim17ROCPRIM_400000_NS6detail17trampoline_kernelINS0_14default_configENS1_20scan_config_selectorIN3c104HalfEEEZZNS1_9scan_implILNS1_25lookback_scan_determinismE0ELb0ELb0ES3_PKS6_PS6_S6_ZZZN2at6native31launch_logcumsumexp_cuda_kernelERKNSD_10TensorBaseESH_lENKUlvE_clEvENKUlvE3_clEvEUlS6_S6_E_S6_EEDaPvRmT3_T4_T5_mT6_P12ihipStream_tbENKUlT_T0_E_clISt17integral_constantIbLb0EESY_EEDaST_SU_EUlST_E_NS1_11comp_targetILNS1_3genE2ELNS1_11target_archE906ELNS1_3gpuE6ELNS1_3repE0EEENS1_30default_config_static_selectorELNS0_4arch9wavefront6targetE0EEEvT1_.has_dyn_sized_stack, 0
	.set _ZN7rocprim17ROCPRIM_400000_NS6detail17trampoline_kernelINS0_14default_configENS1_20scan_config_selectorIN3c104HalfEEEZZNS1_9scan_implILNS1_25lookback_scan_determinismE0ELb0ELb0ES3_PKS6_PS6_S6_ZZZN2at6native31launch_logcumsumexp_cuda_kernelERKNSD_10TensorBaseESH_lENKUlvE_clEvENKUlvE3_clEvEUlS6_S6_E_S6_EEDaPvRmT3_T4_T5_mT6_P12ihipStream_tbENKUlT_T0_E_clISt17integral_constantIbLb0EESY_EEDaST_SU_EUlST_E_NS1_11comp_targetILNS1_3genE2ELNS1_11target_archE906ELNS1_3gpuE6ELNS1_3repE0EEENS1_30default_config_static_selectorELNS0_4arch9wavefront6targetE0EEEvT1_.has_recursion, 0
	.set _ZN7rocprim17ROCPRIM_400000_NS6detail17trampoline_kernelINS0_14default_configENS1_20scan_config_selectorIN3c104HalfEEEZZNS1_9scan_implILNS1_25lookback_scan_determinismE0ELb0ELb0ES3_PKS6_PS6_S6_ZZZN2at6native31launch_logcumsumexp_cuda_kernelERKNSD_10TensorBaseESH_lENKUlvE_clEvENKUlvE3_clEvEUlS6_S6_E_S6_EEDaPvRmT3_T4_T5_mT6_P12ihipStream_tbENKUlT_T0_E_clISt17integral_constantIbLb0EESY_EEDaST_SU_EUlST_E_NS1_11comp_targetILNS1_3genE2ELNS1_11target_archE906ELNS1_3gpuE6ELNS1_3repE0EEENS1_30default_config_static_selectorELNS0_4arch9wavefront6targetE0EEEvT1_.has_indirect_call, 0
	.section	.AMDGPU.csdata,"",@progbits
; Kernel info:
; codeLenInByte = 0
; TotalNumSgprs: 0
; NumVgprs: 0
; ScratchSize: 0
; MemoryBound: 0
; FloatMode: 240
; IeeeMode: 1
; LDSByteSize: 0 bytes/workgroup (compile time only)
; SGPRBlocks: 0
; VGPRBlocks: 0
; NumSGPRsForWavesPerEU: 1
; NumVGPRsForWavesPerEU: 1
; Occupancy: 16
; WaveLimiterHint : 0
; COMPUTE_PGM_RSRC2:SCRATCH_EN: 0
; COMPUTE_PGM_RSRC2:USER_SGPR: 2
; COMPUTE_PGM_RSRC2:TRAP_HANDLER: 0
; COMPUTE_PGM_RSRC2:TGID_X_EN: 1
; COMPUTE_PGM_RSRC2:TGID_Y_EN: 0
; COMPUTE_PGM_RSRC2:TGID_Z_EN: 0
; COMPUTE_PGM_RSRC2:TIDIG_COMP_CNT: 0
	.section	.text._ZN7rocprim17ROCPRIM_400000_NS6detail17trampoline_kernelINS0_14default_configENS1_20scan_config_selectorIN3c104HalfEEEZZNS1_9scan_implILNS1_25lookback_scan_determinismE0ELb0ELb0ES3_PKS6_PS6_S6_ZZZN2at6native31launch_logcumsumexp_cuda_kernelERKNSD_10TensorBaseESH_lENKUlvE_clEvENKUlvE3_clEvEUlS6_S6_E_S6_EEDaPvRmT3_T4_T5_mT6_P12ihipStream_tbENKUlT_T0_E_clISt17integral_constantIbLb0EESY_EEDaST_SU_EUlST_E_NS1_11comp_targetILNS1_3genE10ELNS1_11target_archE1201ELNS1_3gpuE5ELNS1_3repE0EEENS1_30default_config_static_selectorELNS0_4arch9wavefront6targetE0EEEvT1_,"axG",@progbits,_ZN7rocprim17ROCPRIM_400000_NS6detail17trampoline_kernelINS0_14default_configENS1_20scan_config_selectorIN3c104HalfEEEZZNS1_9scan_implILNS1_25lookback_scan_determinismE0ELb0ELb0ES3_PKS6_PS6_S6_ZZZN2at6native31launch_logcumsumexp_cuda_kernelERKNSD_10TensorBaseESH_lENKUlvE_clEvENKUlvE3_clEvEUlS6_S6_E_S6_EEDaPvRmT3_T4_T5_mT6_P12ihipStream_tbENKUlT_T0_E_clISt17integral_constantIbLb0EESY_EEDaST_SU_EUlST_E_NS1_11comp_targetILNS1_3genE10ELNS1_11target_archE1201ELNS1_3gpuE5ELNS1_3repE0EEENS1_30default_config_static_selectorELNS0_4arch9wavefront6targetE0EEEvT1_,comdat
	.globl	_ZN7rocprim17ROCPRIM_400000_NS6detail17trampoline_kernelINS0_14default_configENS1_20scan_config_selectorIN3c104HalfEEEZZNS1_9scan_implILNS1_25lookback_scan_determinismE0ELb0ELb0ES3_PKS6_PS6_S6_ZZZN2at6native31launch_logcumsumexp_cuda_kernelERKNSD_10TensorBaseESH_lENKUlvE_clEvENKUlvE3_clEvEUlS6_S6_E_S6_EEDaPvRmT3_T4_T5_mT6_P12ihipStream_tbENKUlT_T0_E_clISt17integral_constantIbLb0EESY_EEDaST_SU_EUlST_E_NS1_11comp_targetILNS1_3genE10ELNS1_11target_archE1201ELNS1_3gpuE5ELNS1_3repE0EEENS1_30default_config_static_selectorELNS0_4arch9wavefront6targetE0EEEvT1_ ; -- Begin function _ZN7rocprim17ROCPRIM_400000_NS6detail17trampoline_kernelINS0_14default_configENS1_20scan_config_selectorIN3c104HalfEEEZZNS1_9scan_implILNS1_25lookback_scan_determinismE0ELb0ELb0ES3_PKS6_PS6_S6_ZZZN2at6native31launch_logcumsumexp_cuda_kernelERKNSD_10TensorBaseESH_lENKUlvE_clEvENKUlvE3_clEvEUlS6_S6_E_S6_EEDaPvRmT3_T4_T5_mT6_P12ihipStream_tbENKUlT_T0_E_clISt17integral_constantIbLb0EESY_EEDaST_SU_EUlST_E_NS1_11comp_targetILNS1_3genE10ELNS1_11target_archE1201ELNS1_3gpuE5ELNS1_3repE0EEENS1_30default_config_static_selectorELNS0_4arch9wavefront6targetE0EEEvT1_
	.p2align	8
	.type	_ZN7rocprim17ROCPRIM_400000_NS6detail17trampoline_kernelINS0_14default_configENS1_20scan_config_selectorIN3c104HalfEEEZZNS1_9scan_implILNS1_25lookback_scan_determinismE0ELb0ELb0ES3_PKS6_PS6_S6_ZZZN2at6native31launch_logcumsumexp_cuda_kernelERKNSD_10TensorBaseESH_lENKUlvE_clEvENKUlvE3_clEvEUlS6_S6_E_S6_EEDaPvRmT3_T4_T5_mT6_P12ihipStream_tbENKUlT_T0_E_clISt17integral_constantIbLb0EESY_EEDaST_SU_EUlST_E_NS1_11comp_targetILNS1_3genE10ELNS1_11target_archE1201ELNS1_3gpuE5ELNS1_3repE0EEENS1_30default_config_static_selectorELNS0_4arch9wavefront6targetE0EEEvT1_,@function
_ZN7rocprim17ROCPRIM_400000_NS6detail17trampoline_kernelINS0_14default_configENS1_20scan_config_selectorIN3c104HalfEEEZZNS1_9scan_implILNS1_25lookback_scan_determinismE0ELb0ELb0ES3_PKS6_PS6_S6_ZZZN2at6native31launch_logcumsumexp_cuda_kernelERKNSD_10TensorBaseESH_lENKUlvE_clEvENKUlvE3_clEvEUlS6_S6_E_S6_EEDaPvRmT3_T4_T5_mT6_P12ihipStream_tbENKUlT_T0_E_clISt17integral_constantIbLb0EESY_EEDaST_SU_EUlST_E_NS1_11comp_targetILNS1_3genE10ELNS1_11target_archE1201ELNS1_3gpuE5ELNS1_3repE0EEENS1_30default_config_static_selectorELNS0_4arch9wavefront6targetE0EEEvT1_: ; @_ZN7rocprim17ROCPRIM_400000_NS6detail17trampoline_kernelINS0_14default_configENS1_20scan_config_selectorIN3c104HalfEEEZZNS1_9scan_implILNS1_25lookback_scan_determinismE0ELb0ELb0ES3_PKS6_PS6_S6_ZZZN2at6native31launch_logcumsumexp_cuda_kernelERKNSD_10TensorBaseESH_lENKUlvE_clEvENKUlvE3_clEvEUlS6_S6_E_S6_EEDaPvRmT3_T4_T5_mT6_P12ihipStream_tbENKUlT_T0_E_clISt17integral_constantIbLb0EESY_EEDaST_SU_EUlST_E_NS1_11comp_targetILNS1_3genE10ELNS1_11target_archE1201ELNS1_3gpuE5ELNS1_3repE0EEENS1_30default_config_static_selectorELNS0_4arch9wavefront6targetE0EEEvT1_
; %bb.0:
	s_clause 0x1
	s_load_b256 s[16:23], s[0:1], 0x0
	s_load_b32 s2, s[0:1], 0x30
	s_mov_b32 s3, 0
	s_mul_i32 s4, ttmp9, 0xc00
	s_mov_b32 s5, s3
	v_lshlrev_b32_e32 v11, 1, v0
	s_mov_b32 s6, -1
	s_wait_kmcnt 0x0
	s_lshl_b64 s[34:35], s[18:19], 1
	s_add_co_i32 s2, s2, -1
	s_add_nc_u64 s[8:9], s[16:17], s[34:35]
	s_cmp_lg_u32 ttmp9, s2
	s_mulk_i32 s2, 0xc00
	s_cselect_b32 s17, -1, 0
	s_lshl_b64 s[36:37], s[4:5], 1
	s_and_b32 vcc_lo, exec_lo, s17
	s_add_nc_u64 s[4:5], s[8:9], s[36:37]
	s_cbranch_vccz .LBB356_2
; %bb.1:
	s_clause 0xb
	global_load_u16 v1, v11, s[4:5]
	global_load_u16 v2, v11, s[4:5] offset:512
	global_load_u16 v3, v11, s[4:5] offset:1024
	;; [unrolled: 1-line block ×11, first 2 shown]
	s_mov_b32 s6, s3
	s_wait_loadcnt 0xb
	ds_store_b16 v11, v1
	s_wait_loadcnt 0xa
	ds_store_b16 v11, v2 offset:512
	s_wait_loadcnt 0x9
	ds_store_b16 v11, v3 offset:1024
	;; [unrolled: 2-line block ×11, first 2 shown]
	s_wait_dscnt 0x0
	s_barrier_signal -1
	s_barrier_wait -1
.LBB356_2:
	s_load_b64 s[38:39], s[0:1], 0x28
	s_sub_nc_u64 s[18:19], s[22:23], s[2:3]
	s_and_not1_b32 vcc_lo, exec_lo, s6
	v_cmp_gt_u32_e64 s2, s18, v0
	s_cbranch_vccnz .LBB356_28
; %bb.3:
	v_mov_b32_e32 v1, 0
	global_load_u16 v1, v1, s[4:5]
	s_wait_loadcnt 0x0
	v_mov_b32_e32 v2, v1
	s_and_saveexec_b32 s3, s2
	s_cbranch_execz .LBB356_5
; %bb.4:
	global_load_u16 v2, v11, s[4:5]
.LBB356_5:
	s_or_b32 exec_lo, exec_lo, s3
	v_or_b32_e32 v3, 0x100, v0
	s_delay_alu instid0(VALU_DEP_1)
	v_cmp_gt_u32_e32 vcc_lo, s18, v3
	v_mov_b32_e32 v3, v1
	s_and_saveexec_b32 s2, vcc_lo
	s_cbranch_execz .LBB356_7
; %bb.6:
	global_load_u16 v3, v11, s[4:5] offset:512
.LBB356_7:
	s_or_b32 exec_lo, exec_lo, s2
	v_or_b32_e32 v4, 0x200, v0
	s_delay_alu instid0(VALU_DEP_1)
	v_cmp_gt_u32_e32 vcc_lo, s18, v4
	v_mov_b32_e32 v4, v1
	s_and_saveexec_b32 s2, vcc_lo
	s_cbranch_execz .LBB356_9
; %bb.8:
	global_load_u16 v4, v11, s[4:5] offset:1024
.LBB356_9:
	;; [unrolled: 10-line block ×10, first 2 shown]
	s_or_b32 exec_lo, exec_lo, s2
	v_or_b32_e32 v14, 0xb00, v0
	s_mov_b32 s2, exec_lo
	s_delay_alu instid0(VALU_DEP_1)
	v_cmpx_gt_u32_e64 s18, v14
	s_cbranch_execz .LBB356_27
; %bb.26:
	global_load_u16 v1, v11, s[4:5] offset:5632
.LBB356_27:
	s_or_b32 exec_lo, exec_lo, s2
	s_wait_loadcnt 0x0
	ds_store_b16 v11, v2
	ds_store_b16 v11, v3 offset:512
	ds_store_b16 v11, v4 offset:1024
	;; [unrolled: 1-line block ×11, first 2 shown]
	s_wait_dscnt 0x0
	s_barrier_signal -1
	s_barrier_wait -1
.LBB356_28:
	v_mul_u32_u24_e32 v12, 24, v0
	global_inv scope:SCOPE_SE
	s_cmp_lg_u32 ttmp9, 0
	ds_load_2addr_b64 v[1:4], v12 offset1:1
	ds_load_b64 v[5:6], v12 offset:16
	s_wait_loadcnt_dscnt 0x0
	s_barrier_signal -1
	s_barrier_wait -1
	global_inv scope:SCOPE_SE
	v_lshrrev_b32_e32 v19, 16, v1
	v_lshrrev_b32_e32 v18, 16, v2
	;; [unrolled: 1-line block ×6, first 2 shown]
	v_cvt_f32_f16_e32 v13, v19
	v_cmp_u_f16_e64 s2, v19, v19
	s_cbranch_scc0 .LBB356_162
; %bb.29:
	v_cvt_f32_f16_e32 v30, v1
	v_cmp_u_f16_e64 s13, v1, v1
	v_mov_b32_e32 v31, v1
	s_delay_alu instid0(VALU_DEP_3) | instskip(SKIP_1) | instid1(VALU_DEP_2)
	v_min_num_f32_e32 v7, v30, v13
	v_max_num_f32_e32 v8, v30, v13
	v_cndmask_b32_e64 v7, v7, v30, s13
	s_delay_alu instid0(VALU_DEP_1) | instskip(SKIP_1) | instid1(VALU_DEP_4)
	v_cndmask_b32_e64 v10, v7, v13, s2
	v_mov_b32_e32 v7, v1
	v_cndmask_b32_e64 v8, v8, v30, s13
	s_delay_alu instid0(VALU_DEP_3) | instskip(NEXT) | instid1(VALU_DEP_2)
	v_cmp_class_f32_e64 s3, v10, 0x1f8
	v_cndmask_b32_e64 v9, v8, v13, s2
	v_mov_b32_e32 v8, v30
	s_delay_alu instid0(VALU_DEP_2) | instskip(SKIP_1) | instid1(SALU_CYCLE_1)
	v_cmp_neq_f32_e32 vcc_lo, v10, v9
	s_or_b32 s4, vcc_lo, s3
	s_and_saveexec_b32 s3, s4
	s_cbranch_execz .LBB356_31
; %bb.30:
	v_sub_f32_e32 v7, v10, v9
	s_mov_b32 s4, 0x3e9b6dac
	s_delay_alu instid0(VALU_DEP_1) | instskip(NEXT) | instid1(VALU_DEP_1)
	v_mul_f32_e32 v8, 0x3fb8aa3b, v7
	v_fma_f32 v10, 0x3fb8aa3b, v7, -v8
	v_rndne_f32_e32 v20, v8
	s_delay_alu instid0(VALU_DEP_1) | instskip(NEXT) | instid1(VALU_DEP_3)
	v_sub_f32_e32 v8, v8, v20
	v_fmamk_f32 v10, v7, 0x32a5705f, v10
	v_cmp_ngt_f32_e32 vcc_lo, 0xc2ce8ed0, v7
	s_delay_alu instid0(VALU_DEP_2) | instskip(SKIP_1) | instid1(VALU_DEP_2)
	v_add_f32_e32 v8, v8, v10
	v_cvt_i32_f32_e32 v10, v20
	v_exp_f32_e32 v8, v8
	s_delay_alu instid0(TRANS32_DEP_1) | instskip(NEXT) | instid1(VALU_DEP_1)
	v_ldexp_f32 v8, v8, v10
	v_cndmask_b32_e32 v8, 0, v8, vcc_lo
	v_cmp_nlt_f32_e32 vcc_lo, 0x42b17218, v7
	s_wait_alu 0xfffd
	s_delay_alu instid0(VALU_DEP_2) | instskip(NEXT) | instid1(VALU_DEP_1)
	v_cndmask_b32_e32 v10, 0x7f800000, v8, vcc_lo
	v_add_f32_e32 v20, 1.0, v10
	s_delay_alu instid0(VALU_DEP_1) | instskip(NEXT) | instid1(VALU_DEP_1)
	v_cvt_f64_f32_e32 v[7:8], v20
	v_frexp_exp_i32_f64_e32 v7, v[7:8]
	v_frexp_mant_f32_e32 v8, v20
	s_delay_alu instid0(VALU_DEP_1) | instskip(SKIP_1) | instid1(VALU_DEP_1)
	v_cmp_gt_f32_e32 vcc_lo, 0x3f2aaaab, v8
	v_add_f32_e32 v8, -1.0, v20
	v_sub_f32_e32 v22, v8, v20
	v_sub_f32_e32 v8, v10, v8
	s_delay_alu instid0(VALU_DEP_2) | instskip(NEXT) | instid1(VALU_DEP_1)
	v_add_f32_e32 v22, 1.0, v22
	v_add_f32_e32 v8, v8, v22
	s_wait_alu 0xfffd
	v_subrev_co_ci_u32_e64 v7, null, 0, v7, vcc_lo
	s_delay_alu instid0(VALU_DEP_1) | instskip(SKIP_1) | instid1(VALU_DEP_2)
	v_sub_nc_u32_e32 v21, 0, v7
	v_cvt_f32_i32_e32 v7, v7
	v_ldexp_f32 v20, v20, v21
	v_ldexp_f32 v8, v8, v21
	s_delay_alu instid0(VALU_DEP_2) | instskip(NEXT) | instid1(VALU_DEP_1)
	v_add_f32_e32 v23, 1.0, v20
	v_dual_add_f32 v21, -1.0, v20 :: v_dual_add_f32 v22, -1.0, v23
	s_delay_alu instid0(VALU_DEP_1) | instskip(NEXT) | instid1(VALU_DEP_2)
	v_add_f32_e32 v24, 1.0, v21
	v_sub_f32_e32 v22, v20, v22
	s_delay_alu instid0(VALU_DEP_2) | instskip(NEXT) | instid1(VALU_DEP_2)
	v_sub_f32_e32 v20, v20, v24
	v_add_f32_e32 v22, v8, v22
	s_delay_alu instid0(VALU_DEP_2) | instskip(NEXT) | instid1(VALU_DEP_1)
	v_add_f32_e32 v8, v8, v20
	v_dual_add_f32 v24, v23, v22 :: v_dual_add_f32 v25, v21, v8
	s_delay_alu instid0(VALU_DEP_1) | instskip(SKIP_1) | instid1(VALU_DEP_1)
	v_rcp_f32_e32 v20, v24
	v_sub_f32_e32 v23, v23, v24
	v_dual_sub_f32 v21, v21, v25 :: v_dual_add_f32 v22, v22, v23
	s_delay_alu instid0(TRANS32_DEP_1) | instskip(NEXT) | instid1(VALU_DEP_2)
	v_mul_f32_e32 v26, v25, v20
	v_add_f32_e32 v8, v8, v21
	s_delay_alu instid0(VALU_DEP_2) | instskip(NEXT) | instid1(VALU_DEP_1)
	v_mul_f32_e32 v27, v24, v26
	v_fma_f32 v23, v26, v24, -v27
	s_delay_alu instid0(VALU_DEP_1) | instskip(SKIP_1) | instid1(VALU_DEP_2)
	v_fmac_f32_e32 v23, v26, v22
	v_cmp_neq_f32_e32 vcc_lo, 0x7f800000, v10
	v_add_f32_e32 v28, v27, v23
	s_delay_alu instid0(VALU_DEP_1) | instskip(SKIP_1) | instid1(VALU_DEP_2)
	v_sub_f32_e32 v29, v25, v28
	v_sub_f32_e32 v21, v28, v27
	;; [unrolled: 1-line block ×3, first 2 shown]
	s_delay_alu instid0(VALU_DEP_2) | instskip(NEXT) | instid1(VALU_DEP_2)
	v_sub_f32_e32 v21, v21, v23
	v_sub_f32_e32 v25, v25, v28
	s_delay_alu instid0(VALU_DEP_1) | instskip(NEXT) | instid1(VALU_DEP_1)
	v_add_f32_e32 v8, v8, v25
	v_add_f32_e32 v8, v21, v8
	s_delay_alu instid0(VALU_DEP_1) | instskip(NEXT) | instid1(VALU_DEP_1)
	v_add_f32_e32 v21, v29, v8
	v_mul_f32_e32 v23, v20, v21
	s_delay_alu instid0(VALU_DEP_1) | instskip(NEXT) | instid1(VALU_DEP_1)
	v_dual_sub_f32 v28, v29, v21 :: v_dual_mul_f32 v25, v24, v23
	v_add_f32_e32 v8, v8, v28
	s_delay_alu instid0(VALU_DEP_2) | instskip(NEXT) | instid1(VALU_DEP_1)
	v_fma_f32 v24, v23, v24, -v25
	v_fmac_f32_e32 v24, v23, v22
	s_delay_alu instid0(VALU_DEP_1) | instskip(NEXT) | instid1(VALU_DEP_1)
	v_add_f32_e32 v22, v25, v24
	v_sub_f32_e32 v27, v21, v22
	v_sub_f32_e32 v25, v22, v25
	s_delay_alu instid0(VALU_DEP_2) | instskip(NEXT) | instid1(VALU_DEP_1)
	v_sub_f32_e32 v21, v21, v27
	v_sub_f32_e32 v21, v21, v22
	s_delay_alu instid0(VALU_DEP_3) | instskip(NEXT) | instid1(VALU_DEP_2)
	v_sub_f32_e32 v22, v25, v24
	v_dual_add_f32 v8, v8, v21 :: v_dual_add_f32 v21, v26, v23
	s_delay_alu instid0(VALU_DEP_1) | instskip(NEXT) | instid1(VALU_DEP_2)
	v_add_f32_e32 v8, v22, v8
	v_sub_f32_e32 v22, v21, v26
	s_delay_alu instid0(VALU_DEP_2) | instskip(NEXT) | instid1(VALU_DEP_2)
	v_add_f32_e32 v8, v27, v8
	v_sub_f32_e32 v22, v23, v22
	s_delay_alu instid0(VALU_DEP_2) | instskip(NEXT) | instid1(VALU_DEP_1)
	v_mul_f32_e32 v8, v20, v8
	v_add_f32_e32 v8, v22, v8
	s_delay_alu instid0(VALU_DEP_1) | instskip(NEXT) | instid1(VALU_DEP_1)
	v_add_f32_e32 v20, v21, v8
	v_mul_f32_e32 v22, v20, v20
	s_delay_alu instid0(VALU_DEP_1) | instskip(SKIP_1) | instid1(VALU_DEP_2)
	v_fmaak_f32 v23, s4, v22, 0x3ecc95a3
	v_mul_f32_e32 v24, v20, v22
	v_fmaak_f32 v22, v22, v23, 0x3f2aaada
	v_ldexp_f32 v23, v20, 1
	v_sub_f32_e32 v20, v20, v21
	s_delay_alu instid0(VALU_DEP_3) | instskip(SKIP_1) | instid1(VALU_DEP_2)
	v_mul_f32_e32 v22, v24, v22
	v_mul_f32_e32 v24, 0x3f317218, v7
	v_dual_sub_f32 v8, v8, v20 :: v_dual_add_f32 v21, v23, v22
	s_delay_alu instid0(VALU_DEP_1) | instskip(NEXT) | instid1(VALU_DEP_2)
	v_ldexp_f32 v8, v8, 1
	v_sub_f32_e32 v20, v21, v23
	s_delay_alu instid0(VALU_DEP_4) | instskip(NEXT) | instid1(VALU_DEP_1)
	v_fma_f32 v23, 0x3f317218, v7, -v24
	v_dual_sub_f32 v20, v22, v20 :: v_dual_fmamk_f32 v7, v7, 0xb102e308, v23
	s_delay_alu instid0(VALU_DEP_1) | instskip(NEXT) | instid1(VALU_DEP_2)
	v_add_f32_e32 v8, v8, v20
	v_add_f32_e32 v20, v24, v7
	s_delay_alu instid0(VALU_DEP_2) | instskip(NEXT) | instid1(VALU_DEP_2)
	v_add_f32_e32 v22, v21, v8
	v_sub_f32_e32 v24, v20, v24
	s_delay_alu instid0(VALU_DEP_2) | instskip(SKIP_1) | instid1(VALU_DEP_3)
	v_add_f32_e32 v23, v20, v22
	v_sub_f32_e32 v21, v22, v21
	v_sub_f32_e32 v7, v7, v24
	s_delay_alu instid0(VALU_DEP_2) | instskip(NEXT) | instid1(VALU_DEP_1)
	v_dual_sub_f32 v25, v23, v20 :: v_dual_sub_f32 v8, v8, v21
	v_sub_f32_e32 v26, v23, v25
	s_delay_alu instid0(VALU_DEP_2) | instskip(NEXT) | instid1(VALU_DEP_2)
	v_dual_sub_f32 v21, v22, v25 :: v_dual_add_f32 v22, v7, v8
	v_sub_f32_e32 v20, v20, v26
	s_delay_alu instid0(VALU_DEP_1) | instskip(NEXT) | instid1(VALU_DEP_1)
	v_dual_add_f32 v20, v21, v20 :: v_dual_sub_f32 v21, v22, v7
	v_add_f32_e32 v20, v22, v20
	s_delay_alu instid0(VALU_DEP_2) | instskip(SKIP_1) | instid1(VALU_DEP_3)
	v_sub_f32_e32 v22, v22, v21
	v_sub_f32_e32 v8, v8, v21
	v_add_f32_e32 v24, v23, v20
	s_delay_alu instid0(VALU_DEP_3) | instskip(NEXT) | instid1(VALU_DEP_2)
	v_sub_f32_e32 v7, v7, v22
	v_sub_f32_e32 v21, v24, v23
	s_delay_alu instid0(VALU_DEP_2) | instskip(NEXT) | instid1(VALU_DEP_2)
	v_add_f32_e32 v7, v8, v7
	v_sub_f32_e32 v8, v20, v21
	s_delay_alu instid0(VALU_DEP_1) | instskip(NEXT) | instid1(VALU_DEP_1)
	v_add_f32_e32 v7, v7, v8
	v_add_f32_e32 v7, v24, v7
	s_wait_alu 0xfffd
	s_delay_alu instid0(VALU_DEP_1) | instskip(SKIP_2) | instid1(VALU_DEP_2)
	v_cndmask_b32_e32 v7, 0x7f800000, v7, vcc_lo
	v_cmp_gt_f32_e64 vcc_lo, 0x33800000, |v10|
	s_wait_alu 0xfffd
	v_cndmask_b32_e32 v7, v7, v10, vcc_lo
	s_delay_alu instid0(VALU_DEP_1) | instskip(NEXT) | instid1(VALU_DEP_1)
	v_add_f32_e32 v7, v9, v7
	v_cvt_f16_f32_e32 v7, v7
	s_delay_alu instid0(VALU_DEP_1)
	v_cvt_f32_f16_e32 v8, v7
	v_mov_b32_e32 v31, v7
.LBB356_31:
	s_wait_alu 0xfffe
	s_or_b32 exec_lo, exec_lo, s3
	v_cvt_f32_f16_e32 v20, v2
	v_max_num_f32_e32 v9, v8, v8
	v_cmp_u_f16_e32 vcc_lo, v7, v7
	v_cmp_u_f16_e64 s3, v2, v2
	s_delay_alu instid0(VALU_DEP_3) | instskip(SKIP_2) | instid1(VALU_DEP_2)
	v_min_num_f32_e32 v10, v9, v20
	v_max_num_f32_e32 v9, v9, v20
	s_wait_alu 0xfffd
	v_cndmask_b32_e32 v10, v10, v8, vcc_lo
	s_delay_alu instid0(VALU_DEP_2) | instskip(SKIP_1) | instid1(VALU_DEP_2)
	v_cndmask_b32_e32 v9, v9, v8, vcc_lo
	s_wait_alu 0xf1ff
	v_cndmask_b32_e64 v10, v10, v20, s3
	s_delay_alu instid0(VALU_DEP_2) | instskip(NEXT) | instid1(VALU_DEP_2)
	v_cndmask_b32_e64 v9, v9, v20, s3
	v_cmp_class_f32_e64 s4, v10, 0x1f8
	s_delay_alu instid0(VALU_DEP_2)
	v_cmp_neq_f32_e32 vcc_lo, v10, v9
	s_or_b32 s5, vcc_lo, s4
	s_wait_alu 0xfffe
	s_and_saveexec_b32 s4, s5
	s_cbranch_execz .LBB356_33
; %bb.32:
	v_sub_f32_e32 v7, v10, v9
	s_mov_b32 s5, 0x3e9b6dac
	s_delay_alu instid0(VALU_DEP_1) | instskip(NEXT) | instid1(VALU_DEP_1)
	v_mul_f32_e32 v8, 0x3fb8aa3b, v7
	v_fma_f32 v10, 0x3fb8aa3b, v7, -v8
	v_rndne_f32_e32 v21, v8
	s_delay_alu instid0(VALU_DEP_2) | instskip(NEXT) | instid1(VALU_DEP_2)
	v_fmamk_f32 v10, v7, 0x32a5705f, v10
	v_sub_f32_e32 v8, v8, v21
	s_delay_alu instid0(VALU_DEP_1) | instskip(SKIP_2) | instid1(VALU_DEP_3)
	v_add_f32_e32 v8, v8, v10
	v_cvt_i32_f32_e32 v10, v21
	v_cmp_ngt_f32_e32 vcc_lo, 0xc2ce8ed0, v7
	v_exp_f32_e32 v8, v8
	s_delay_alu instid0(TRANS32_DEP_1) | instskip(SKIP_1) | instid1(VALU_DEP_1)
	v_ldexp_f32 v8, v8, v10
	s_wait_alu 0xfffd
	v_cndmask_b32_e32 v8, 0, v8, vcc_lo
	v_cmp_nlt_f32_e32 vcc_lo, 0x42b17218, v7
	s_wait_alu 0xfffd
	s_delay_alu instid0(VALU_DEP_2) | instskip(NEXT) | instid1(VALU_DEP_1)
	v_cndmask_b32_e32 v10, 0x7f800000, v8, vcc_lo
	v_add_f32_e32 v21, 1.0, v10
	s_delay_alu instid0(VALU_DEP_1) | instskip(NEXT) | instid1(VALU_DEP_1)
	v_cvt_f64_f32_e32 v[7:8], v21
	v_frexp_exp_i32_f64_e32 v7, v[7:8]
	v_frexp_mant_f32_e32 v8, v21
	s_delay_alu instid0(VALU_DEP_1) | instskip(SKIP_1) | instid1(VALU_DEP_1)
	v_cmp_gt_f32_e32 vcc_lo, 0x3f2aaaab, v8
	v_add_f32_e32 v8, -1.0, v21
	v_sub_f32_e32 v23, v8, v21
	s_delay_alu instid0(VALU_DEP_1) | instskip(SKIP_2) | instid1(VALU_DEP_1)
	v_add_f32_e32 v23, 1.0, v23
	s_wait_alu 0xfffd
	v_subrev_co_ci_u32_e64 v7, null, 0, v7, vcc_lo
	v_sub_nc_u32_e32 v22, 0, v7
	v_cvt_f32_i32_e32 v7, v7
	s_delay_alu instid0(VALU_DEP_2) | instskip(SKIP_1) | instid1(VALU_DEP_1)
	v_ldexp_f32 v21, v21, v22
	v_sub_f32_e32 v8, v10, v8
	v_add_f32_e32 v8, v8, v23
	s_delay_alu instid0(VALU_DEP_1) | instskip(NEXT) | instid1(VALU_DEP_4)
	v_ldexp_f32 v8, v8, v22
	v_add_f32_e32 v24, 1.0, v21
	s_delay_alu instid0(VALU_DEP_1) | instskip(NEXT) | instid1(VALU_DEP_1)
	v_add_f32_e32 v23, -1.0, v24
	v_sub_f32_e32 v23, v21, v23
	s_delay_alu instid0(VALU_DEP_1) | instskip(NEXT) | instid1(VALU_DEP_1)
	v_dual_add_f32 v23, v8, v23 :: v_dual_add_f32 v22, -1.0, v21
	v_add_f32_e32 v25, 1.0, v22
	v_cmp_neq_f32_e32 vcc_lo, 0x7f800000, v10
	s_delay_alu instid0(VALU_DEP_2) | instskip(NEXT) | instid1(VALU_DEP_4)
	v_sub_f32_e32 v21, v21, v25
	v_add_f32_e32 v25, v24, v23
	s_delay_alu instid0(VALU_DEP_1) | instskip(NEXT) | instid1(VALU_DEP_3)
	v_sub_f32_e32 v24, v24, v25
	v_add_f32_e32 v8, v8, v21
	v_rcp_f32_e32 v21, v25
	s_delay_alu instid0(VALU_DEP_2) | instskip(NEXT) | instid1(VALU_DEP_2)
	v_add_f32_e32 v23, v23, v24
	v_add_f32_e32 v26, v22, v8
	s_delay_alu instid0(VALU_DEP_1)
	v_sub_f32_e32 v22, v22, v26
	s_delay_alu instid0(TRANS32_DEP_1) | instid1(VALU_DEP_1)
	v_dual_mul_f32 v27, v26, v21 :: v_dual_add_f32 v8, v8, v22
	s_delay_alu instid0(VALU_DEP_1) | instskip(NEXT) | instid1(VALU_DEP_1)
	v_mul_f32_e32 v28, v25, v27
	v_fma_f32 v24, v27, v25, -v28
	s_delay_alu instid0(VALU_DEP_1) | instskip(NEXT) | instid1(VALU_DEP_1)
	v_fmac_f32_e32 v24, v27, v23
	v_add_f32_e32 v29, v28, v24
	s_delay_alu instid0(VALU_DEP_1) | instskip(NEXT) | instid1(VALU_DEP_1)
	v_dual_sub_f32 v31, v26, v29 :: v_dual_sub_f32 v22, v29, v28
	v_sub_f32_e32 v26, v26, v31
	s_delay_alu instid0(VALU_DEP_2) | instskip(NEXT) | instid1(VALU_DEP_2)
	v_sub_f32_e32 v22, v22, v24
	v_sub_f32_e32 v26, v26, v29
	s_delay_alu instid0(VALU_DEP_1) | instskip(NEXT) | instid1(VALU_DEP_1)
	v_add_f32_e32 v8, v8, v26
	v_add_f32_e32 v8, v22, v8
	s_delay_alu instid0(VALU_DEP_1) | instskip(NEXT) | instid1(VALU_DEP_1)
	v_add_f32_e32 v22, v31, v8
	v_mul_f32_e32 v24, v21, v22
	s_delay_alu instid0(VALU_DEP_1) | instskip(NEXT) | instid1(VALU_DEP_1)
	v_dual_sub_f32 v29, v31, v22 :: v_dual_mul_f32 v26, v25, v24
	v_add_f32_e32 v8, v8, v29
	s_delay_alu instid0(VALU_DEP_2) | instskip(NEXT) | instid1(VALU_DEP_1)
	v_fma_f32 v25, v24, v25, -v26
	v_fmac_f32_e32 v25, v24, v23
	s_delay_alu instid0(VALU_DEP_1) | instskip(NEXT) | instid1(VALU_DEP_1)
	v_add_f32_e32 v23, v26, v25
	v_sub_f32_e32 v28, v22, v23
	v_sub_f32_e32 v26, v23, v26
	s_delay_alu instid0(VALU_DEP_2) | instskip(NEXT) | instid1(VALU_DEP_1)
	v_sub_f32_e32 v22, v22, v28
	v_sub_f32_e32 v22, v22, v23
	s_delay_alu instid0(VALU_DEP_1) | instskip(SKIP_1) | instid1(VALU_DEP_1)
	v_dual_sub_f32 v23, v26, v25 :: v_dual_add_f32 v8, v8, v22
	v_add_f32_e32 v22, v27, v24
	v_dual_add_f32 v8, v23, v8 :: v_dual_sub_f32 v23, v22, v27
	s_delay_alu instid0(VALU_DEP_1) | instskip(NEXT) | instid1(VALU_DEP_1)
	v_add_f32_e32 v8, v28, v8
	v_dual_sub_f32 v23, v24, v23 :: v_dual_mul_f32 v8, v21, v8
	s_delay_alu instid0(VALU_DEP_1) | instskip(NEXT) | instid1(VALU_DEP_1)
	v_add_f32_e32 v8, v23, v8
	v_add_f32_e32 v21, v22, v8
	s_delay_alu instid0(VALU_DEP_1) | instskip(SKIP_1) | instid1(VALU_DEP_1)
	v_mul_f32_e32 v23, v21, v21
	s_wait_alu 0xfffe
	v_fmaak_f32 v24, s5, v23, 0x3ecc95a3
	v_mul_f32_e32 v25, v21, v23
	s_delay_alu instid0(VALU_DEP_2) | instskip(SKIP_2) | instid1(VALU_DEP_3)
	v_fmaak_f32 v23, v23, v24, 0x3f2aaada
	v_ldexp_f32 v24, v21, 1
	v_sub_f32_e32 v21, v21, v22
	v_mul_f32_e32 v23, v25, v23
	s_delay_alu instid0(VALU_DEP_2) | instskip(NEXT) | instid1(VALU_DEP_2)
	v_dual_mul_f32 v25, 0x3f317218, v7 :: v_dual_sub_f32 v8, v8, v21
	v_add_f32_e32 v22, v24, v23
	s_delay_alu instid0(VALU_DEP_2) | instskip(NEXT) | instid1(VALU_DEP_2)
	v_ldexp_f32 v8, v8, 1
	v_sub_f32_e32 v21, v22, v24
	s_delay_alu instid0(VALU_DEP_4) | instskip(NEXT) | instid1(VALU_DEP_2)
	v_fma_f32 v24, 0x3f317218, v7, -v25
	v_sub_f32_e32 v21, v23, v21
	s_delay_alu instid0(VALU_DEP_1) | instskip(NEXT) | instid1(VALU_DEP_1)
	v_dual_fmamk_f32 v7, v7, 0xb102e308, v24 :: v_dual_add_f32 v8, v8, v21
	v_add_f32_e32 v21, v25, v7
	s_delay_alu instid0(VALU_DEP_2) | instskip(NEXT) | instid1(VALU_DEP_2)
	v_add_f32_e32 v23, v22, v8
	v_sub_f32_e32 v25, v21, v25
	s_delay_alu instid0(VALU_DEP_2) | instskip(SKIP_1) | instid1(VALU_DEP_3)
	v_add_f32_e32 v24, v21, v23
	v_sub_f32_e32 v22, v23, v22
	v_sub_f32_e32 v7, v7, v25
	s_delay_alu instid0(VALU_DEP_3) | instskip(NEXT) | instid1(VALU_DEP_3)
	v_sub_f32_e32 v26, v24, v21
	v_sub_f32_e32 v8, v8, v22
	s_delay_alu instid0(VALU_DEP_2) | instskip(SKIP_1) | instid1(VALU_DEP_3)
	v_sub_f32_e32 v27, v24, v26
	v_sub_f32_e32 v22, v23, v26
	v_add_f32_e32 v23, v7, v8
	s_delay_alu instid0(VALU_DEP_3) | instskip(NEXT) | instid1(VALU_DEP_1)
	v_sub_f32_e32 v21, v21, v27
	v_dual_add_f32 v21, v22, v21 :: v_dual_sub_f32 v22, v23, v7
	s_delay_alu instid0(VALU_DEP_1) | instskip(NEXT) | instid1(VALU_DEP_2)
	v_add_f32_e32 v21, v23, v21
	v_sub_f32_e32 v23, v23, v22
	v_sub_f32_e32 v8, v8, v22
	s_delay_alu instid0(VALU_DEP_3) | instskip(NEXT) | instid1(VALU_DEP_1)
	v_add_f32_e32 v25, v24, v21
	v_dual_sub_f32 v7, v7, v23 :: v_dual_sub_f32 v22, v25, v24
	s_delay_alu instid0(VALU_DEP_1) | instskip(NEXT) | instid1(VALU_DEP_1)
	v_dual_add_f32 v7, v8, v7 :: v_dual_sub_f32 v8, v21, v22
	v_add_f32_e32 v7, v7, v8
	s_delay_alu instid0(VALU_DEP_1) | instskip(SKIP_1) | instid1(VALU_DEP_1)
	v_add_f32_e32 v7, v25, v7
	s_wait_alu 0xfffd
	v_cndmask_b32_e32 v7, 0x7f800000, v7, vcc_lo
	v_cmp_gt_f32_e64 vcc_lo, 0x33800000, |v10|
	s_wait_alu 0xfffd
	s_delay_alu instid0(VALU_DEP_2) | instskip(NEXT) | instid1(VALU_DEP_1)
	v_cndmask_b32_e32 v7, v7, v10, vcc_lo
	v_add_f32_e32 v7, v9, v7
	s_delay_alu instid0(VALU_DEP_1) | instskip(NEXT) | instid1(VALU_DEP_1)
	v_cvt_f16_f32_e32 v7, v7
	v_cvt_f32_f16_e32 v8, v7
	v_mov_b32_e32 v31, v7
.LBB356_33:
	s_wait_alu 0xfffe
	s_or_b32 exec_lo, exec_lo, s4
	v_cvt_f32_f16_e32 v21, v18
	v_max_num_f32_e32 v9, v8, v8
	v_cmp_u_f16_e32 vcc_lo, v7, v7
	v_cmp_u_f16_e64 s4, v18, v18
	s_delay_alu instid0(VALU_DEP_3) | instskip(SKIP_1) | instid1(VALU_DEP_1)
	v_min_num_f32_e32 v10, v9, v21
	s_wait_alu 0xfffd
	v_dual_max_num_f32 v9, v9, v21 :: v_dual_cndmask_b32 v10, v10, v8
	s_delay_alu instid0(VALU_DEP_1) | instskip(SKIP_1) | instid1(VALU_DEP_2)
	v_cndmask_b32_e32 v9, v9, v8, vcc_lo
	s_wait_alu 0xf1ff
	v_cndmask_b32_e64 v10, v10, v21, s4
	s_delay_alu instid0(VALU_DEP_2) | instskip(NEXT) | instid1(VALU_DEP_2)
	v_cndmask_b32_e64 v9, v9, v21, s4
	v_cmp_class_f32_e64 s5, v10, 0x1f8
	s_delay_alu instid0(VALU_DEP_2) | instskip(SKIP_1) | instid1(SALU_CYCLE_1)
	v_cmp_neq_f32_e32 vcc_lo, v10, v9
	s_or_b32 s6, vcc_lo, s5
	s_and_saveexec_b32 s5, s6
	s_cbranch_execz .LBB356_35
; %bb.34:
	v_sub_f32_e32 v7, v10, v9
	s_mov_b32 s6, 0x3e9b6dac
	s_delay_alu instid0(VALU_DEP_1) | instskip(NEXT) | instid1(VALU_DEP_1)
	v_mul_f32_e32 v8, 0x3fb8aa3b, v7
	v_fma_f32 v10, 0x3fb8aa3b, v7, -v8
	v_rndne_f32_e32 v22, v8
	s_delay_alu instid0(VALU_DEP_1) | instskip(NEXT) | instid1(VALU_DEP_3)
	v_sub_f32_e32 v8, v8, v22
	v_fmamk_f32 v10, v7, 0x32a5705f, v10
	v_cmp_ngt_f32_e32 vcc_lo, 0xc2ce8ed0, v7
	s_delay_alu instid0(VALU_DEP_2) | instskip(SKIP_1) | instid1(VALU_DEP_2)
	v_add_f32_e32 v8, v8, v10
	v_cvt_i32_f32_e32 v10, v22
	v_exp_f32_e32 v8, v8
	s_delay_alu instid0(TRANS32_DEP_1) | instskip(SKIP_1) | instid1(VALU_DEP_1)
	v_ldexp_f32 v8, v8, v10
	s_wait_alu 0xfffd
	v_cndmask_b32_e32 v8, 0, v8, vcc_lo
	v_cmp_nlt_f32_e32 vcc_lo, 0x42b17218, v7
	s_wait_alu 0xfffd
	s_delay_alu instid0(VALU_DEP_2) | instskip(NEXT) | instid1(VALU_DEP_1)
	v_cndmask_b32_e32 v10, 0x7f800000, v8, vcc_lo
	v_add_f32_e32 v22, 1.0, v10
	s_delay_alu instid0(VALU_DEP_1) | instskip(NEXT) | instid1(VALU_DEP_1)
	v_cvt_f64_f32_e32 v[7:8], v22
	v_frexp_exp_i32_f64_e32 v7, v[7:8]
	v_frexp_mant_f32_e32 v8, v22
	s_delay_alu instid0(VALU_DEP_1) | instskip(SKIP_1) | instid1(VALU_DEP_1)
	v_cmp_gt_f32_e32 vcc_lo, 0x3f2aaaab, v8
	v_add_f32_e32 v8, -1.0, v22
	v_sub_f32_e32 v24, v8, v22
	v_sub_f32_e32 v8, v10, v8
	s_delay_alu instid0(VALU_DEP_2) | instskip(NEXT) | instid1(VALU_DEP_1)
	v_add_f32_e32 v24, 1.0, v24
	v_add_f32_e32 v8, v8, v24
	s_wait_alu 0xfffd
	v_subrev_co_ci_u32_e64 v7, null, 0, v7, vcc_lo
	s_delay_alu instid0(VALU_DEP_1) | instskip(SKIP_1) | instid1(VALU_DEP_2)
	v_sub_nc_u32_e32 v23, 0, v7
	v_cvt_f32_i32_e32 v7, v7
	v_ldexp_f32 v22, v22, v23
	v_ldexp_f32 v8, v8, v23
	s_delay_alu instid0(VALU_DEP_2) | instskip(NEXT) | instid1(VALU_DEP_1)
	v_add_f32_e32 v25, 1.0, v22
	v_dual_add_f32 v23, -1.0, v22 :: v_dual_add_f32 v24, -1.0, v25
	s_delay_alu instid0(VALU_DEP_1) | instskip(NEXT) | instid1(VALU_DEP_2)
	v_add_f32_e32 v26, 1.0, v23
	v_sub_f32_e32 v24, v22, v24
	s_delay_alu instid0(VALU_DEP_2) | instskip(NEXT) | instid1(VALU_DEP_2)
	v_sub_f32_e32 v22, v22, v26
	v_add_f32_e32 v24, v8, v24
	s_delay_alu instid0(VALU_DEP_1) | instskip(NEXT) | instid1(VALU_DEP_3)
	v_add_f32_e32 v26, v25, v24
	v_add_f32_e32 v8, v8, v22
	s_delay_alu instid0(VALU_DEP_2) | instskip(NEXT) | instid1(VALU_DEP_1)
	v_rcp_f32_e32 v22, v26
	v_add_f32_e32 v27, v23, v8
	v_sub_f32_e32 v25, v25, v26
	s_delay_alu instid0(VALU_DEP_1) | instskip(NEXT) | instid1(TRANS32_DEP_1)
	v_dual_sub_f32 v23, v23, v27 :: v_dual_add_f32 v24, v24, v25
	v_mul_f32_e32 v28, v27, v22
	s_delay_alu instid0(VALU_DEP_1) | instskip(NEXT) | instid1(VALU_DEP_1)
	v_dual_add_f32 v8, v8, v23 :: v_dual_mul_f32 v29, v26, v28
	v_fma_f32 v25, v28, v26, -v29
	s_delay_alu instid0(VALU_DEP_1) | instskip(NEXT) | instid1(VALU_DEP_1)
	v_fmac_f32_e32 v25, v28, v24
	v_add_f32_e32 v31, v29, v25
	v_cmp_neq_f32_e32 vcc_lo, 0x7f800000, v10
	s_delay_alu instid0(VALU_DEP_2) | instskip(SKIP_1) | instid1(VALU_DEP_2)
	v_sub_f32_e32 v32, v27, v31
	v_sub_f32_e32 v23, v31, v29
	;; [unrolled: 1-line block ×3, first 2 shown]
	s_delay_alu instid0(VALU_DEP_2) | instskip(NEXT) | instid1(VALU_DEP_2)
	v_sub_f32_e32 v23, v23, v25
	v_sub_f32_e32 v27, v27, v31
	s_delay_alu instid0(VALU_DEP_1) | instskip(NEXT) | instid1(VALU_DEP_1)
	v_add_f32_e32 v8, v8, v27
	v_add_f32_e32 v8, v23, v8
	s_delay_alu instid0(VALU_DEP_1) | instskip(NEXT) | instid1(VALU_DEP_1)
	v_add_f32_e32 v23, v32, v8
	v_mul_f32_e32 v25, v22, v23
	v_sub_f32_e32 v31, v32, v23
	s_delay_alu instid0(VALU_DEP_1) | instskip(NEXT) | instid1(VALU_DEP_1)
	v_dual_mul_f32 v27, v26, v25 :: v_dual_add_f32 v8, v8, v31
	v_fma_f32 v26, v25, v26, -v27
	s_delay_alu instid0(VALU_DEP_1) | instskip(NEXT) | instid1(VALU_DEP_1)
	v_fmac_f32_e32 v26, v25, v24
	v_add_f32_e32 v24, v27, v26
	s_delay_alu instid0(VALU_DEP_1) | instskip(SKIP_1) | instid1(VALU_DEP_2)
	v_sub_f32_e32 v29, v23, v24
	v_sub_f32_e32 v27, v24, v27
	;; [unrolled: 1-line block ×3, first 2 shown]
	s_delay_alu instid0(VALU_DEP_1) | instskip(NEXT) | instid1(VALU_DEP_3)
	v_sub_f32_e32 v23, v23, v24
	v_sub_f32_e32 v24, v27, v26
	s_delay_alu instid0(VALU_DEP_2) | instskip(SKIP_1) | instid1(VALU_DEP_2)
	v_add_f32_e32 v8, v8, v23
	v_add_f32_e32 v23, v28, v25
	;; [unrolled: 1-line block ×3, first 2 shown]
	s_delay_alu instid0(VALU_DEP_2) | instskip(NEXT) | instid1(VALU_DEP_2)
	v_sub_f32_e32 v24, v23, v28
	v_add_f32_e32 v8, v29, v8
	s_delay_alu instid0(VALU_DEP_2) | instskip(NEXT) | instid1(VALU_DEP_2)
	v_sub_f32_e32 v24, v25, v24
	v_mul_f32_e32 v8, v22, v8
	s_delay_alu instid0(VALU_DEP_1) | instskip(NEXT) | instid1(VALU_DEP_1)
	v_add_f32_e32 v8, v24, v8
	v_add_f32_e32 v22, v23, v8
	s_delay_alu instid0(VALU_DEP_1) | instskip(NEXT) | instid1(VALU_DEP_1)
	v_mul_f32_e32 v24, v22, v22
	v_fmaak_f32 v25, s6, v24, 0x3ecc95a3
	v_mul_f32_e32 v26, v22, v24
	s_delay_alu instid0(VALU_DEP_2) | instskip(SKIP_2) | instid1(VALU_DEP_3)
	v_fmaak_f32 v24, v24, v25, 0x3f2aaada
	v_ldexp_f32 v25, v22, 1
	v_sub_f32_e32 v22, v22, v23
	v_mul_f32_e32 v24, v26, v24
	v_mul_f32_e32 v26, 0x3f317218, v7
	s_delay_alu instid0(VALU_DEP_2) | instskip(NEXT) | instid1(VALU_DEP_1)
	v_dual_sub_f32 v8, v8, v22 :: v_dual_add_f32 v23, v25, v24
	v_ldexp_f32 v8, v8, 1
	s_delay_alu instid0(VALU_DEP_2) | instskip(NEXT) | instid1(VALU_DEP_4)
	v_sub_f32_e32 v22, v23, v25
	v_fma_f32 v25, 0x3f317218, v7, -v26
	s_delay_alu instid0(VALU_DEP_1) | instskip(NEXT) | instid1(VALU_DEP_1)
	v_dual_sub_f32 v22, v24, v22 :: v_dual_fmamk_f32 v7, v7, 0xb102e308, v25
	v_add_f32_e32 v8, v8, v22
	s_delay_alu instid0(VALU_DEP_2) | instskip(NEXT) | instid1(VALU_DEP_2)
	v_add_f32_e32 v22, v26, v7
	v_add_f32_e32 v24, v23, v8
	s_delay_alu instid0(VALU_DEP_2) | instskip(NEXT) | instid1(VALU_DEP_2)
	v_sub_f32_e32 v26, v22, v26
	v_add_f32_e32 v25, v22, v24
	v_sub_f32_e32 v23, v24, v23
	s_delay_alu instid0(VALU_DEP_3) | instskip(NEXT) | instid1(VALU_DEP_2)
	v_sub_f32_e32 v7, v7, v26
	v_dual_sub_f32 v27, v25, v22 :: v_dual_sub_f32 v8, v8, v23
	s_delay_alu instid0(VALU_DEP_1) | instskip(NEXT) | instid1(VALU_DEP_2)
	v_sub_f32_e32 v28, v25, v27
	v_dual_sub_f32 v23, v24, v27 :: v_dual_add_f32 v24, v7, v8
	s_delay_alu instid0(VALU_DEP_2) | instskip(NEXT) | instid1(VALU_DEP_1)
	v_sub_f32_e32 v22, v22, v28
	v_dual_add_f32 v22, v23, v22 :: v_dual_sub_f32 v23, v24, v7
	s_delay_alu instid0(VALU_DEP_1) | instskip(NEXT) | instid1(VALU_DEP_2)
	v_add_f32_e32 v22, v24, v22
	v_sub_f32_e32 v24, v24, v23
	v_sub_f32_e32 v8, v8, v23
	s_delay_alu instid0(VALU_DEP_2) | instskip(NEXT) | instid1(VALU_DEP_1)
	v_dual_add_f32 v26, v25, v22 :: v_dual_sub_f32 v7, v7, v24
	v_sub_f32_e32 v23, v26, v25
	s_delay_alu instid0(VALU_DEP_2) | instskip(NEXT) | instid1(VALU_DEP_2)
	v_add_f32_e32 v7, v8, v7
	v_sub_f32_e32 v8, v22, v23
	s_delay_alu instid0(VALU_DEP_1) | instskip(NEXT) | instid1(VALU_DEP_1)
	v_add_f32_e32 v7, v7, v8
	v_add_f32_e32 v7, v26, v7
	s_wait_alu 0xfffd
	s_delay_alu instid0(VALU_DEP_1) | instskip(SKIP_2) | instid1(VALU_DEP_2)
	v_cndmask_b32_e32 v7, 0x7f800000, v7, vcc_lo
	v_cmp_gt_f32_e64 vcc_lo, 0x33800000, |v10|
	s_wait_alu 0xfffd
	v_cndmask_b32_e32 v7, v7, v10, vcc_lo
	s_delay_alu instid0(VALU_DEP_1) | instskip(NEXT) | instid1(VALU_DEP_1)
	v_add_f32_e32 v7, v9, v7
	v_cvt_f16_f32_e32 v7, v7
	s_delay_alu instid0(VALU_DEP_1)
	v_cvt_f32_f16_e32 v8, v7
	v_mov_b32_e32 v31, v7
.LBB356_35:
	s_wait_alu 0xfffe
	s_or_b32 exec_lo, exec_lo, s5
	v_cvt_f32_f16_e32 v22, v3
	v_max_num_f32_e32 v9, v8, v8
	v_cmp_u_f16_e32 vcc_lo, v7, v7
	v_cmp_u_f16_e64 s5, v3, v3
	s_delay_alu instid0(VALU_DEP_3) | instskip(SKIP_1) | instid1(VALU_DEP_1)
	v_min_num_f32_e32 v10, v9, v22
	s_wait_alu 0xfffd
	v_dual_max_num_f32 v9, v9, v22 :: v_dual_cndmask_b32 v10, v10, v8
	s_delay_alu instid0(VALU_DEP_1) | instskip(SKIP_1) | instid1(VALU_DEP_2)
	v_cndmask_b32_e32 v9, v9, v8, vcc_lo
	s_wait_alu 0xf1ff
	v_cndmask_b32_e64 v10, v10, v22, s5
	s_delay_alu instid0(VALU_DEP_2) | instskip(NEXT) | instid1(VALU_DEP_2)
	v_cndmask_b32_e64 v9, v9, v22, s5
	v_cmp_class_f32_e64 s6, v10, 0x1f8
	s_delay_alu instid0(VALU_DEP_2)
	v_cmp_neq_f32_e32 vcc_lo, v10, v9
	s_or_b32 s7, vcc_lo, s6
	s_wait_alu 0xfffe
	s_and_saveexec_b32 s6, s7
	s_cbranch_execz .LBB356_37
; %bb.36:
	v_sub_f32_e32 v7, v10, v9
	s_mov_b32 s7, 0x3e9b6dac
	s_delay_alu instid0(VALU_DEP_1) | instskip(NEXT) | instid1(VALU_DEP_1)
	v_mul_f32_e32 v8, 0x3fb8aa3b, v7
	v_fma_f32 v10, 0x3fb8aa3b, v7, -v8
	v_rndne_f32_e32 v23, v8
	s_delay_alu instid0(VALU_DEP_1) | instskip(NEXT) | instid1(VALU_DEP_3)
	v_sub_f32_e32 v8, v8, v23
	v_fmamk_f32 v10, v7, 0x32a5705f, v10
	v_cmp_ngt_f32_e32 vcc_lo, 0xc2ce8ed0, v7
	s_delay_alu instid0(VALU_DEP_2) | instskip(SKIP_1) | instid1(VALU_DEP_2)
	v_add_f32_e32 v8, v8, v10
	v_cvt_i32_f32_e32 v10, v23
	v_exp_f32_e32 v8, v8
	s_delay_alu instid0(TRANS32_DEP_1) | instskip(SKIP_1) | instid1(VALU_DEP_1)
	v_ldexp_f32 v8, v8, v10
	s_wait_alu 0xfffd
	v_cndmask_b32_e32 v8, 0, v8, vcc_lo
	v_cmp_nlt_f32_e32 vcc_lo, 0x42b17218, v7
	s_wait_alu 0xfffd
	s_delay_alu instid0(VALU_DEP_2) | instskip(NEXT) | instid1(VALU_DEP_1)
	v_cndmask_b32_e32 v10, 0x7f800000, v8, vcc_lo
	v_add_f32_e32 v23, 1.0, v10
	s_delay_alu instid0(VALU_DEP_1) | instskip(NEXT) | instid1(VALU_DEP_1)
	v_cvt_f64_f32_e32 v[7:8], v23
	v_frexp_exp_i32_f64_e32 v7, v[7:8]
	v_frexp_mant_f32_e32 v8, v23
	s_delay_alu instid0(VALU_DEP_1) | instskip(SKIP_1) | instid1(VALU_DEP_1)
	v_cmp_gt_f32_e32 vcc_lo, 0x3f2aaaab, v8
	v_add_f32_e32 v8, -1.0, v23
	v_sub_f32_e32 v25, v8, v23
	s_delay_alu instid0(VALU_DEP_1) | instskip(SKIP_2) | instid1(VALU_DEP_1)
	v_add_f32_e32 v25, 1.0, v25
	s_wait_alu 0xfffd
	v_subrev_co_ci_u32_e64 v7, null, 0, v7, vcc_lo
	v_sub_nc_u32_e32 v24, 0, v7
	v_cvt_f32_i32_e32 v7, v7
	s_delay_alu instid0(VALU_DEP_2) | instskip(SKIP_1) | instid1(VALU_DEP_1)
	v_ldexp_f32 v23, v23, v24
	v_sub_f32_e32 v8, v10, v8
	v_add_f32_e32 v8, v8, v25
	s_delay_alu instid0(VALU_DEP_1) | instskip(NEXT) | instid1(VALU_DEP_4)
	v_ldexp_f32 v8, v8, v24
	v_add_f32_e32 v26, 1.0, v23
	s_delay_alu instid0(VALU_DEP_1) | instskip(NEXT) | instid1(VALU_DEP_1)
	v_add_f32_e32 v25, -1.0, v26
	v_sub_f32_e32 v25, v23, v25
	v_cmp_neq_f32_e32 vcc_lo, 0x7f800000, v10
	s_delay_alu instid0(VALU_DEP_2) | instskip(NEXT) | instid1(VALU_DEP_1)
	v_dual_add_f32 v25, v8, v25 :: v_dual_add_f32 v24, -1.0, v23
	v_add_f32_e32 v27, 1.0, v24
	s_delay_alu instid0(VALU_DEP_1) | instskip(NEXT) | instid1(VALU_DEP_1)
	v_sub_f32_e32 v23, v23, v27
	v_dual_add_f32 v27, v26, v25 :: v_dual_add_f32 v8, v8, v23
	s_delay_alu instid0(VALU_DEP_1) | instskip(SKIP_1) | instid1(VALU_DEP_1)
	v_rcp_f32_e32 v23, v27
	v_sub_f32_e32 v26, v26, v27
	v_dual_add_f32 v25, v25, v26 :: v_dual_add_f32 v28, v24, v8
	s_delay_alu instid0(TRANS32_DEP_1) | instid1(VALU_DEP_1)
	v_mul_f32_e32 v29, v28, v23
	s_delay_alu instid0(VALU_DEP_1) | instskip(NEXT) | instid1(VALU_DEP_1)
	v_dual_sub_f32 v24, v24, v28 :: v_dual_mul_f32 v31, v27, v29
	v_add_f32_e32 v8, v8, v24
	s_delay_alu instid0(VALU_DEP_2) | instskip(NEXT) | instid1(VALU_DEP_1)
	v_fma_f32 v26, v29, v27, -v31
	v_fmac_f32_e32 v26, v29, v25
	s_delay_alu instid0(VALU_DEP_1) | instskip(NEXT) | instid1(VALU_DEP_1)
	v_add_f32_e32 v32, v31, v26
	v_sub_f32_e32 v33, v28, v32
	v_sub_f32_e32 v24, v32, v31
	s_delay_alu instid0(VALU_DEP_2) | instskip(NEXT) | instid1(VALU_DEP_2)
	v_sub_f32_e32 v28, v28, v33
	v_sub_f32_e32 v24, v24, v26
	s_delay_alu instid0(VALU_DEP_2) | instskip(NEXT) | instid1(VALU_DEP_1)
	v_sub_f32_e32 v28, v28, v32
	v_add_f32_e32 v8, v8, v28
	s_delay_alu instid0(VALU_DEP_1) | instskip(NEXT) | instid1(VALU_DEP_1)
	v_add_f32_e32 v8, v24, v8
	v_add_f32_e32 v24, v33, v8
	s_delay_alu instid0(VALU_DEP_1) | instskip(SKIP_1) | instid1(VALU_DEP_2)
	v_mul_f32_e32 v26, v23, v24
	v_sub_f32_e32 v32, v33, v24
	v_mul_f32_e32 v28, v27, v26
	s_delay_alu instid0(VALU_DEP_2) | instskip(NEXT) | instid1(VALU_DEP_2)
	v_add_f32_e32 v8, v8, v32
	v_fma_f32 v27, v26, v27, -v28
	s_delay_alu instid0(VALU_DEP_1) | instskip(NEXT) | instid1(VALU_DEP_1)
	v_fmac_f32_e32 v27, v26, v25
	v_add_f32_e32 v25, v28, v27
	s_delay_alu instid0(VALU_DEP_1) | instskip(NEXT) | instid1(VALU_DEP_1)
	v_dual_sub_f32 v31, v24, v25 :: v_dual_sub_f32 v28, v25, v28
	v_sub_f32_e32 v24, v24, v31
	s_delay_alu instid0(VALU_DEP_1) | instskip(NEXT) | instid1(VALU_DEP_3)
	v_sub_f32_e32 v24, v24, v25
	v_sub_f32_e32 v25, v28, v27
	s_delay_alu instid0(VALU_DEP_2) | instskip(SKIP_1) | instid1(VALU_DEP_1)
	v_add_f32_e32 v8, v8, v24
	v_add_f32_e32 v24, v29, v26
	v_dual_add_f32 v8, v25, v8 :: v_dual_sub_f32 v25, v24, v29
	s_delay_alu instid0(VALU_DEP_1) | instskip(NEXT) | instid1(VALU_DEP_1)
	v_dual_add_f32 v8, v31, v8 :: v_dual_sub_f32 v25, v26, v25
	v_mul_f32_e32 v8, v23, v8
	s_delay_alu instid0(VALU_DEP_1) | instskip(NEXT) | instid1(VALU_DEP_1)
	v_add_f32_e32 v8, v25, v8
	v_add_f32_e32 v23, v24, v8
	s_delay_alu instid0(VALU_DEP_1) | instskip(SKIP_1) | instid1(VALU_DEP_1)
	v_mul_f32_e32 v25, v23, v23
	s_wait_alu 0xfffe
	v_fmaak_f32 v26, s7, v25, 0x3ecc95a3
	v_mul_f32_e32 v27, v23, v25
	s_delay_alu instid0(VALU_DEP_2) | instskip(SKIP_1) | instid1(VALU_DEP_2)
	v_fmaak_f32 v25, v25, v26, 0x3f2aaada
	v_ldexp_f32 v26, v23, 1
	v_mul_f32_e32 v25, v27, v25
	v_sub_f32_e32 v23, v23, v24
	s_delay_alu instid0(VALU_DEP_2) | instskip(NEXT) | instid1(VALU_DEP_2)
	v_dual_mul_f32 v27, 0x3f317218, v7 :: v_dual_add_f32 v24, v26, v25
	v_sub_f32_e32 v8, v8, v23
	s_delay_alu instid0(VALU_DEP_2) | instskip(NEXT) | instid1(VALU_DEP_3)
	v_sub_f32_e32 v23, v24, v26
	v_fma_f32 v26, 0x3f317218, v7, -v27
	s_delay_alu instid0(VALU_DEP_3) | instskip(NEXT) | instid1(VALU_DEP_3)
	v_ldexp_f32 v8, v8, 1
	v_sub_f32_e32 v23, v25, v23
	s_delay_alu instid0(VALU_DEP_1) | instskip(NEXT) | instid1(VALU_DEP_1)
	v_dual_fmamk_f32 v7, v7, 0xb102e308, v26 :: v_dual_add_f32 v8, v8, v23
	v_add_f32_e32 v23, v27, v7
	s_delay_alu instid0(VALU_DEP_2) | instskip(NEXT) | instid1(VALU_DEP_2)
	v_add_f32_e32 v25, v24, v8
	v_sub_f32_e32 v27, v23, v27
	s_delay_alu instid0(VALU_DEP_2) | instskip(NEXT) | instid1(VALU_DEP_2)
	v_add_f32_e32 v26, v23, v25
	v_sub_f32_e32 v7, v7, v27
	s_delay_alu instid0(VALU_DEP_2) | instskip(SKIP_1) | instid1(VALU_DEP_2)
	v_sub_f32_e32 v28, v26, v23
	v_sub_f32_e32 v24, v25, v24
	;; [unrolled: 1-line block ×3, first 2 shown]
	s_delay_alu instid0(VALU_DEP_2) | instskip(NEXT) | instid1(VALU_DEP_2)
	v_sub_f32_e32 v8, v8, v24
	v_dual_sub_f32 v24, v25, v28 :: v_dual_sub_f32 v23, v23, v29
	s_delay_alu instid0(VALU_DEP_2) | instskip(NEXT) | instid1(VALU_DEP_2)
	v_add_f32_e32 v25, v7, v8
	v_add_f32_e32 v23, v24, v23
	s_delay_alu instid0(VALU_DEP_2) | instskip(NEXT) | instid1(VALU_DEP_2)
	v_sub_f32_e32 v24, v25, v7
	v_add_f32_e32 v23, v25, v23
	s_delay_alu instid0(VALU_DEP_2) | instskip(NEXT) | instid1(VALU_DEP_1)
	v_sub_f32_e32 v25, v25, v24
	v_dual_sub_f32 v8, v8, v24 :: v_dual_sub_f32 v7, v7, v25
	s_delay_alu instid0(VALU_DEP_1) | instskip(NEXT) | instid1(VALU_DEP_4)
	v_add_f32_e32 v7, v8, v7
	v_add_f32_e32 v27, v26, v23
	s_delay_alu instid0(VALU_DEP_1) | instskip(NEXT) | instid1(VALU_DEP_1)
	v_sub_f32_e32 v24, v27, v26
	v_sub_f32_e32 v8, v23, v24
	s_delay_alu instid0(VALU_DEP_1) | instskip(NEXT) | instid1(VALU_DEP_1)
	v_add_f32_e32 v7, v7, v8
	v_add_f32_e32 v7, v27, v7
	s_wait_alu 0xfffd
	s_delay_alu instid0(VALU_DEP_1) | instskip(SKIP_2) | instid1(VALU_DEP_2)
	v_cndmask_b32_e32 v7, 0x7f800000, v7, vcc_lo
	v_cmp_gt_f32_e64 vcc_lo, 0x33800000, |v10|
	s_wait_alu 0xfffd
	v_cndmask_b32_e32 v7, v7, v10, vcc_lo
	s_delay_alu instid0(VALU_DEP_1) | instskip(NEXT) | instid1(VALU_DEP_1)
	v_add_f32_e32 v7, v9, v7
	v_cvt_f16_f32_e32 v7, v7
	s_delay_alu instid0(VALU_DEP_1)
	v_cvt_f32_f16_e32 v8, v7
	v_mov_b32_e32 v31, v7
.LBB356_37:
	s_wait_alu 0xfffe
	s_or_b32 exec_lo, exec_lo, s6
	v_cvt_f32_f16_e32 v23, v17
	v_max_num_f32_e32 v9, v8, v8
	v_cmp_u_f16_e32 vcc_lo, v7, v7
	v_cmp_u_f16_e64 s6, v17, v17
	s_delay_alu instid0(VALU_DEP_3) | instskip(SKIP_1) | instid1(VALU_DEP_1)
	v_min_num_f32_e32 v10, v9, v23
	s_wait_alu 0xfffd
	v_dual_max_num_f32 v9, v9, v23 :: v_dual_cndmask_b32 v10, v10, v8
	s_delay_alu instid0(VALU_DEP_1) | instskip(SKIP_1) | instid1(VALU_DEP_2)
	v_cndmask_b32_e32 v9, v9, v8, vcc_lo
	s_wait_alu 0xf1ff
	v_cndmask_b32_e64 v10, v10, v23, s6
	s_delay_alu instid0(VALU_DEP_2) | instskip(NEXT) | instid1(VALU_DEP_2)
	v_cndmask_b32_e64 v9, v9, v23, s6
	v_cmp_class_f32_e64 s7, v10, 0x1f8
	s_delay_alu instid0(VALU_DEP_2) | instskip(SKIP_1) | instid1(SALU_CYCLE_1)
	v_cmp_neq_f32_e32 vcc_lo, v10, v9
	s_or_b32 s8, vcc_lo, s7
	s_and_saveexec_b32 s7, s8
	s_cbranch_execz .LBB356_39
; %bb.38:
	v_sub_f32_e32 v7, v10, v9
	s_mov_b32 s8, 0x3e9b6dac
	s_delay_alu instid0(VALU_DEP_1) | instskip(NEXT) | instid1(VALU_DEP_1)
	v_mul_f32_e32 v8, 0x3fb8aa3b, v7
	v_fma_f32 v10, 0x3fb8aa3b, v7, -v8
	v_rndne_f32_e32 v24, v8
	s_delay_alu instid0(VALU_DEP_1) | instskip(NEXT) | instid1(VALU_DEP_3)
	v_sub_f32_e32 v8, v8, v24
	v_fmamk_f32 v10, v7, 0x32a5705f, v10
	v_cmp_ngt_f32_e32 vcc_lo, 0xc2ce8ed0, v7
	s_delay_alu instid0(VALU_DEP_2) | instskip(SKIP_1) | instid1(VALU_DEP_2)
	v_add_f32_e32 v8, v8, v10
	v_cvt_i32_f32_e32 v10, v24
	v_exp_f32_e32 v8, v8
	s_delay_alu instid0(TRANS32_DEP_1) | instskip(SKIP_1) | instid1(VALU_DEP_1)
	v_ldexp_f32 v8, v8, v10
	s_wait_alu 0xfffd
	v_cndmask_b32_e32 v8, 0, v8, vcc_lo
	v_cmp_nlt_f32_e32 vcc_lo, 0x42b17218, v7
	s_wait_alu 0xfffd
	s_delay_alu instid0(VALU_DEP_2) | instskip(NEXT) | instid1(VALU_DEP_1)
	v_cndmask_b32_e32 v10, 0x7f800000, v8, vcc_lo
	v_add_f32_e32 v24, 1.0, v10
	s_delay_alu instid0(VALU_DEP_1) | instskip(NEXT) | instid1(VALU_DEP_1)
	v_cvt_f64_f32_e32 v[7:8], v24
	v_frexp_exp_i32_f64_e32 v7, v[7:8]
	v_frexp_mant_f32_e32 v8, v24
	s_delay_alu instid0(VALU_DEP_1) | instskip(SKIP_1) | instid1(VALU_DEP_1)
	v_cmp_gt_f32_e32 vcc_lo, 0x3f2aaaab, v8
	v_add_f32_e32 v8, -1.0, v24
	v_sub_f32_e32 v26, v8, v24
	v_sub_f32_e32 v8, v10, v8
	s_wait_alu 0xfffd
	v_subrev_co_ci_u32_e64 v7, null, 0, v7, vcc_lo
	s_delay_alu instid0(VALU_DEP_1) | instskip(SKIP_1) | instid1(VALU_DEP_2)
	v_sub_nc_u32_e32 v25, 0, v7
	v_cvt_f32_i32_e32 v7, v7
	v_ldexp_f32 v24, v24, v25
	s_delay_alu instid0(VALU_DEP_1) | instskip(NEXT) | instid1(VALU_DEP_1)
	v_dual_add_f32 v27, 1.0, v24 :: v_dual_add_f32 v26, 1.0, v26
	v_add_f32_e32 v8, v8, v26
	s_delay_alu instid0(VALU_DEP_2) | instskip(NEXT) | instid1(VALU_DEP_2)
	v_add_f32_e32 v26, -1.0, v27
	v_ldexp_f32 v8, v8, v25
	s_delay_alu instid0(VALU_DEP_2) | instskip(NEXT) | instid1(VALU_DEP_1)
	v_dual_add_f32 v25, -1.0, v24 :: v_dual_sub_f32 v26, v24, v26
	v_add_f32_e32 v28, 1.0, v25
	s_delay_alu instid0(VALU_DEP_2) | instskip(NEXT) | instid1(VALU_DEP_2)
	v_add_f32_e32 v26, v8, v26
	v_sub_f32_e32 v24, v24, v28
	s_delay_alu instid0(VALU_DEP_2) | instskip(NEXT) | instid1(VALU_DEP_2)
	v_add_f32_e32 v28, v27, v26
	v_add_f32_e32 v8, v8, v24
	s_delay_alu instid0(VALU_DEP_2) | instskip(SKIP_1) | instid1(VALU_DEP_1)
	v_rcp_f32_e32 v24, v28
	v_sub_f32_e32 v27, v27, v28
	v_dual_add_f32 v29, v25, v8 :: v_dual_add_f32 v26, v26, v27
	s_delay_alu instid0(VALU_DEP_1)
	v_sub_f32_e32 v25, v25, v29
	s_delay_alu instid0(TRANS32_DEP_1) | instid1(VALU_DEP_1)
	v_dual_mul_f32 v31, v29, v24 :: v_dual_add_f32 v8, v8, v25
	s_delay_alu instid0(VALU_DEP_1) | instskip(NEXT) | instid1(VALU_DEP_1)
	v_mul_f32_e32 v32, v28, v31
	v_fma_f32 v27, v31, v28, -v32
	s_delay_alu instid0(VALU_DEP_1) | instskip(NEXT) | instid1(VALU_DEP_1)
	v_fmac_f32_e32 v27, v31, v26
	v_add_f32_e32 v33, v32, v27
	v_cmp_neq_f32_e32 vcc_lo, 0x7f800000, v10
	s_delay_alu instid0(VALU_DEP_2) | instskip(SKIP_1) | instid1(VALU_DEP_2)
	v_sub_f32_e32 v34, v29, v33
	v_sub_f32_e32 v25, v33, v32
	;; [unrolled: 1-line block ×3, first 2 shown]
	s_delay_alu instid0(VALU_DEP_2) | instskip(NEXT) | instid1(VALU_DEP_2)
	v_sub_f32_e32 v25, v25, v27
	v_sub_f32_e32 v29, v29, v33
	s_delay_alu instid0(VALU_DEP_1) | instskip(NEXT) | instid1(VALU_DEP_1)
	v_add_f32_e32 v8, v8, v29
	v_add_f32_e32 v8, v25, v8
	s_delay_alu instid0(VALU_DEP_1) | instskip(NEXT) | instid1(VALU_DEP_1)
	v_add_f32_e32 v25, v34, v8
	v_mul_f32_e32 v27, v24, v25
	s_delay_alu instid0(VALU_DEP_1) | instskip(SKIP_1) | instid1(VALU_DEP_2)
	v_mul_f32_e32 v29, v28, v27
	v_sub_f32_e32 v33, v34, v25
	v_fma_f32 v28, v27, v28, -v29
	s_delay_alu instid0(VALU_DEP_2) | instskip(NEXT) | instid1(VALU_DEP_2)
	v_add_f32_e32 v8, v8, v33
	v_fmac_f32_e32 v28, v27, v26
	s_delay_alu instid0(VALU_DEP_1) | instskip(NEXT) | instid1(VALU_DEP_1)
	v_add_f32_e32 v26, v29, v28
	v_dual_sub_f32 v32, v25, v26 :: v_dual_sub_f32 v29, v26, v29
	s_delay_alu instid0(VALU_DEP_1) | instskip(NEXT) | instid1(VALU_DEP_1)
	v_sub_f32_e32 v25, v25, v32
	v_sub_f32_e32 v25, v25, v26
	s_delay_alu instid0(VALU_DEP_3) | instskip(NEXT) | instid1(VALU_DEP_2)
	v_sub_f32_e32 v26, v29, v28
	v_dual_add_f32 v8, v8, v25 :: v_dual_add_f32 v25, v31, v27
	s_delay_alu instid0(VALU_DEP_1) | instskip(NEXT) | instid1(VALU_DEP_2)
	v_add_f32_e32 v8, v26, v8
	v_sub_f32_e32 v26, v25, v31
	s_delay_alu instid0(VALU_DEP_2) | instskip(NEXT) | instid1(VALU_DEP_2)
	v_add_f32_e32 v8, v32, v8
	v_sub_f32_e32 v26, v27, v26
	s_delay_alu instid0(VALU_DEP_2) | instskip(NEXT) | instid1(VALU_DEP_1)
	v_mul_f32_e32 v8, v24, v8
	v_add_f32_e32 v8, v26, v8
	s_delay_alu instid0(VALU_DEP_1) | instskip(NEXT) | instid1(VALU_DEP_1)
	v_add_f32_e32 v24, v25, v8
	v_mul_f32_e32 v26, v24, v24
	s_delay_alu instid0(VALU_DEP_1) | instskip(SKIP_1) | instid1(VALU_DEP_2)
	v_fmaak_f32 v27, s8, v26, 0x3ecc95a3
	v_mul_f32_e32 v28, v24, v26
	v_fmaak_f32 v26, v26, v27, 0x3f2aaada
	v_ldexp_f32 v27, v24, 1
	v_sub_f32_e32 v24, v24, v25
	s_delay_alu instid0(VALU_DEP_3) | instskip(SKIP_1) | instid1(VALU_DEP_2)
	v_mul_f32_e32 v26, v28, v26
	v_mul_f32_e32 v28, 0x3f317218, v7
	v_dual_sub_f32 v8, v8, v24 :: v_dual_add_f32 v25, v27, v26
	s_delay_alu instid0(VALU_DEP_1) | instskip(NEXT) | instid1(VALU_DEP_2)
	v_ldexp_f32 v8, v8, 1
	v_sub_f32_e32 v24, v25, v27
	s_delay_alu instid0(VALU_DEP_4) | instskip(NEXT) | instid1(VALU_DEP_1)
	v_fma_f32 v27, 0x3f317218, v7, -v28
	v_dual_sub_f32 v24, v26, v24 :: v_dual_fmamk_f32 v7, v7, 0xb102e308, v27
	s_delay_alu instid0(VALU_DEP_1) | instskip(NEXT) | instid1(VALU_DEP_2)
	v_add_f32_e32 v8, v8, v24
	v_add_f32_e32 v24, v28, v7
	s_delay_alu instid0(VALU_DEP_2) | instskip(NEXT) | instid1(VALU_DEP_2)
	v_add_f32_e32 v26, v25, v8
	v_sub_f32_e32 v28, v24, v28
	s_delay_alu instid0(VALU_DEP_2) | instskip(SKIP_1) | instid1(VALU_DEP_3)
	v_add_f32_e32 v27, v24, v26
	v_sub_f32_e32 v25, v26, v25
	v_sub_f32_e32 v7, v7, v28
	s_delay_alu instid0(VALU_DEP_2) | instskip(NEXT) | instid1(VALU_DEP_1)
	v_dual_sub_f32 v29, v27, v24 :: v_dual_sub_f32 v8, v8, v25
	v_sub_f32_e32 v31, v27, v29
	s_delay_alu instid0(VALU_DEP_2) | instskip(NEXT) | instid1(VALU_DEP_2)
	v_dual_sub_f32 v25, v26, v29 :: v_dual_add_f32 v26, v7, v8
	v_sub_f32_e32 v24, v24, v31
	s_delay_alu instid0(VALU_DEP_1) | instskip(NEXT) | instid1(VALU_DEP_1)
	v_dual_add_f32 v24, v25, v24 :: v_dual_sub_f32 v25, v26, v7
	v_add_f32_e32 v24, v26, v24
	s_delay_alu instid0(VALU_DEP_2) | instskip(SKIP_1) | instid1(VALU_DEP_3)
	v_sub_f32_e32 v26, v26, v25
	v_sub_f32_e32 v8, v8, v25
	v_add_f32_e32 v28, v27, v24
	s_delay_alu instid0(VALU_DEP_3) | instskip(NEXT) | instid1(VALU_DEP_2)
	v_sub_f32_e32 v7, v7, v26
	v_sub_f32_e32 v25, v28, v27
	s_delay_alu instid0(VALU_DEP_2) | instskip(NEXT) | instid1(VALU_DEP_2)
	v_add_f32_e32 v7, v8, v7
	v_sub_f32_e32 v8, v24, v25
	s_delay_alu instid0(VALU_DEP_1) | instskip(NEXT) | instid1(VALU_DEP_1)
	v_add_f32_e32 v7, v7, v8
	v_add_f32_e32 v7, v28, v7
	s_wait_alu 0xfffd
	s_delay_alu instid0(VALU_DEP_1) | instskip(SKIP_2) | instid1(VALU_DEP_2)
	v_cndmask_b32_e32 v7, 0x7f800000, v7, vcc_lo
	v_cmp_gt_f32_e64 vcc_lo, 0x33800000, |v10|
	s_wait_alu 0xfffd
	v_cndmask_b32_e32 v7, v7, v10, vcc_lo
	s_delay_alu instid0(VALU_DEP_1) | instskip(NEXT) | instid1(VALU_DEP_1)
	v_add_f32_e32 v7, v9, v7
	v_cvt_f16_f32_e32 v7, v7
	s_delay_alu instid0(VALU_DEP_1)
	v_cvt_f32_f16_e32 v8, v7
	v_mov_b32_e32 v31, v7
.LBB356_39:
	s_wait_alu 0xfffe
	s_or_b32 exec_lo, exec_lo, s7
	v_cvt_f32_f16_e32 v24, v4
	v_max_num_f32_e32 v9, v8, v8
	v_cmp_u_f16_e32 vcc_lo, v7, v7
	v_cmp_u_f16_e64 s7, v4, v4
	s_delay_alu instid0(VALU_DEP_3) | instskip(SKIP_2) | instid1(VALU_DEP_2)
	v_min_num_f32_e32 v10, v9, v24
	v_max_num_f32_e32 v9, v9, v24
	s_wait_alu 0xfffd
	v_cndmask_b32_e32 v10, v10, v8, vcc_lo
	s_delay_alu instid0(VALU_DEP_2) | instskip(SKIP_1) | instid1(VALU_DEP_2)
	v_cndmask_b32_e32 v9, v9, v8, vcc_lo
	s_wait_alu 0xf1ff
	v_cndmask_b32_e64 v10, v10, v24, s7
	s_delay_alu instid0(VALU_DEP_2) | instskip(NEXT) | instid1(VALU_DEP_2)
	v_cndmask_b32_e64 v9, v9, v24, s7
	v_cmp_class_f32_e64 s8, v10, 0x1f8
	s_delay_alu instid0(VALU_DEP_2)
	v_cmp_neq_f32_e32 vcc_lo, v10, v9
	s_or_b32 s9, vcc_lo, s8
	s_wait_alu 0xfffe
	s_and_saveexec_b32 s8, s9
	s_cbranch_execz .LBB356_41
; %bb.40:
	v_sub_f32_e32 v7, v10, v9
	s_mov_b32 s9, 0x3e9b6dac
	s_delay_alu instid0(VALU_DEP_1) | instskip(NEXT) | instid1(VALU_DEP_1)
	v_mul_f32_e32 v8, 0x3fb8aa3b, v7
	v_fma_f32 v10, 0x3fb8aa3b, v7, -v8
	v_rndne_f32_e32 v25, v8
	s_delay_alu instid0(VALU_DEP_2) | instskip(NEXT) | instid1(VALU_DEP_2)
	v_fmamk_f32 v10, v7, 0x32a5705f, v10
	v_sub_f32_e32 v8, v8, v25
	s_delay_alu instid0(VALU_DEP_1) | instskip(SKIP_2) | instid1(VALU_DEP_3)
	v_add_f32_e32 v8, v8, v10
	v_cvt_i32_f32_e32 v10, v25
	v_cmp_ngt_f32_e32 vcc_lo, 0xc2ce8ed0, v7
	v_exp_f32_e32 v8, v8
	s_delay_alu instid0(TRANS32_DEP_1) | instskip(SKIP_1) | instid1(VALU_DEP_1)
	v_ldexp_f32 v8, v8, v10
	s_wait_alu 0xfffd
	v_cndmask_b32_e32 v8, 0, v8, vcc_lo
	v_cmp_nlt_f32_e32 vcc_lo, 0x42b17218, v7
	s_wait_alu 0xfffd
	s_delay_alu instid0(VALU_DEP_2) | instskip(NEXT) | instid1(VALU_DEP_1)
	v_cndmask_b32_e32 v10, 0x7f800000, v8, vcc_lo
	v_add_f32_e32 v25, 1.0, v10
	s_delay_alu instid0(VALU_DEP_1) | instskip(NEXT) | instid1(VALU_DEP_1)
	v_cvt_f64_f32_e32 v[7:8], v25
	v_frexp_exp_i32_f64_e32 v7, v[7:8]
	v_frexp_mant_f32_e32 v8, v25
	s_delay_alu instid0(VALU_DEP_1) | instskip(SKIP_1) | instid1(VALU_DEP_1)
	v_cmp_gt_f32_e32 vcc_lo, 0x3f2aaaab, v8
	v_add_f32_e32 v8, -1.0, v25
	v_sub_f32_e32 v27, v8, v25
	s_delay_alu instid0(VALU_DEP_1) | instskip(SKIP_2) | instid1(VALU_DEP_1)
	v_add_f32_e32 v27, 1.0, v27
	s_wait_alu 0xfffd
	v_subrev_co_ci_u32_e64 v7, null, 0, v7, vcc_lo
	v_sub_nc_u32_e32 v26, 0, v7
	v_cvt_f32_i32_e32 v7, v7
	s_delay_alu instid0(VALU_DEP_2) | instskip(SKIP_1) | instid1(VALU_DEP_1)
	v_ldexp_f32 v25, v25, v26
	v_sub_f32_e32 v8, v10, v8
	v_add_f32_e32 v8, v8, v27
	s_delay_alu instid0(VALU_DEP_1) | instskip(NEXT) | instid1(VALU_DEP_4)
	v_ldexp_f32 v8, v8, v26
	v_add_f32_e32 v28, 1.0, v25
	s_delay_alu instid0(VALU_DEP_1) | instskip(NEXT) | instid1(VALU_DEP_1)
	v_add_f32_e32 v27, -1.0, v28
	v_sub_f32_e32 v27, v25, v27
	s_delay_alu instid0(VALU_DEP_1) | instskip(NEXT) | instid1(VALU_DEP_1)
	v_dual_add_f32 v27, v8, v27 :: v_dual_add_f32 v26, -1.0, v25
	v_add_f32_e32 v29, 1.0, v26
	v_cmp_neq_f32_e32 vcc_lo, 0x7f800000, v10
	s_delay_alu instid0(VALU_DEP_2) | instskip(NEXT) | instid1(VALU_DEP_4)
	v_sub_f32_e32 v25, v25, v29
	v_add_f32_e32 v29, v28, v27
	s_delay_alu instid0(VALU_DEP_1) | instskip(NEXT) | instid1(VALU_DEP_3)
	v_sub_f32_e32 v28, v28, v29
	v_add_f32_e32 v8, v8, v25
	v_rcp_f32_e32 v25, v29
	s_delay_alu instid0(VALU_DEP_2) | instskip(NEXT) | instid1(VALU_DEP_2)
	v_add_f32_e32 v27, v27, v28
	v_add_f32_e32 v31, v26, v8
	s_delay_alu instid0(TRANS32_DEP_1) | instid1(VALU_DEP_1)
	v_mul_f32_e32 v32, v31, v25
	s_delay_alu instid0(VALU_DEP_1) | instskip(NEXT) | instid1(VALU_DEP_1)
	v_mul_f32_e32 v33, v29, v32
	v_fma_f32 v28, v32, v29, -v33
	s_delay_alu instid0(VALU_DEP_1) | instskip(NEXT) | instid1(VALU_DEP_1)
	v_fmac_f32_e32 v28, v32, v27
	v_add_f32_e32 v34, v33, v28
	s_delay_alu instid0(VALU_DEP_1) | instskip(NEXT) | instid1(VALU_DEP_1)
	v_dual_sub_f32 v26, v26, v31 :: v_dual_sub_f32 v35, v31, v34
	v_sub_f32_e32 v31, v31, v35
	s_delay_alu instid0(VALU_DEP_1) | instskip(NEXT) | instid1(VALU_DEP_3)
	v_sub_f32_e32 v31, v31, v34
	v_add_f32_e32 v8, v8, v26
	v_sub_f32_e32 v26, v34, v33
	s_delay_alu instid0(VALU_DEP_2) | instskip(NEXT) | instid1(VALU_DEP_2)
	v_add_f32_e32 v8, v8, v31
	v_sub_f32_e32 v26, v26, v28
	s_delay_alu instid0(VALU_DEP_1) | instskip(NEXT) | instid1(VALU_DEP_1)
	v_add_f32_e32 v8, v26, v8
	v_add_f32_e32 v26, v35, v8
	s_delay_alu instid0(VALU_DEP_1) | instskip(NEXT) | instid1(VALU_DEP_1)
	v_mul_f32_e32 v28, v25, v26
	v_dual_mul_f32 v31, v29, v28 :: v_dual_sub_f32 v34, v35, v26
	s_delay_alu instid0(VALU_DEP_1) | instskip(NEXT) | instid1(VALU_DEP_2)
	v_fma_f32 v29, v28, v29, -v31
	v_add_f32_e32 v8, v8, v34
	s_delay_alu instid0(VALU_DEP_2) | instskip(NEXT) | instid1(VALU_DEP_1)
	v_fmac_f32_e32 v29, v28, v27
	v_add_f32_e32 v27, v31, v29
	s_delay_alu instid0(VALU_DEP_1) | instskip(NEXT) | instid1(VALU_DEP_1)
	v_sub_f32_e32 v33, v26, v27
	v_dual_sub_f32 v31, v27, v31 :: v_dual_sub_f32 v26, v26, v33
	s_delay_alu instid0(VALU_DEP_1) | instskip(NEXT) | instid1(VALU_DEP_1)
	v_dual_sub_f32 v26, v26, v27 :: v_dual_sub_f32 v27, v31, v29
	v_add_f32_e32 v8, v8, v26
	v_add_f32_e32 v26, v32, v28
	s_delay_alu instid0(VALU_DEP_2) | instskip(NEXT) | instid1(VALU_DEP_2)
	v_add_f32_e32 v8, v27, v8
	v_sub_f32_e32 v27, v26, v32
	s_delay_alu instid0(VALU_DEP_1) | instskip(NEXT) | instid1(VALU_DEP_1)
	v_dual_add_f32 v8, v33, v8 :: v_dual_sub_f32 v27, v28, v27
	v_mul_f32_e32 v8, v25, v8
	s_delay_alu instid0(VALU_DEP_1) | instskip(NEXT) | instid1(VALU_DEP_1)
	v_add_f32_e32 v8, v27, v8
	v_add_f32_e32 v25, v26, v8
	s_delay_alu instid0(VALU_DEP_1) | instskip(SKIP_1) | instid1(VALU_DEP_1)
	v_mul_f32_e32 v27, v25, v25
	s_wait_alu 0xfffe
	v_fmaak_f32 v28, s9, v27, 0x3ecc95a3
	v_mul_f32_e32 v29, v25, v27
	s_delay_alu instid0(VALU_DEP_2) | instskip(SKIP_1) | instid1(VALU_DEP_2)
	v_fmaak_f32 v27, v27, v28, 0x3f2aaada
	v_ldexp_f32 v28, v25, 1
	v_mul_f32_e32 v27, v29, v27
	v_mul_f32_e32 v29, 0x3f317218, v7
	s_delay_alu instid0(VALU_DEP_2) | instskip(NEXT) | instid1(VALU_DEP_1)
	v_dual_sub_f32 v25, v25, v26 :: v_dual_add_f32 v26, v28, v27
	v_dual_sub_f32 v8, v8, v25 :: v_dual_sub_f32 v25, v26, v28
	s_delay_alu instid0(VALU_DEP_3) | instskip(NEXT) | instid1(VALU_DEP_2)
	v_fma_f32 v28, 0x3f317218, v7, -v29
	v_ldexp_f32 v8, v8, 1
	s_delay_alu instid0(VALU_DEP_3) | instskip(NEXT) | instid1(VALU_DEP_1)
	v_sub_f32_e32 v25, v27, v25
	v_dual_fmamk_f32 v7, v7, 0xb102e308, v28 :: v_dual_add_f32 v8, v8, v25
	s_delay_alu instid0(VALU_DEP_1) | instskip(NEXT) | instid1(VALU_DEP_1)
	v_add_f32_e32 v25, v29, v7
	v_sub_f32_e32 v29, v25, v29
	s_delay_alu instid0(VALU_DEP_3) | instskip(NEXT) | instid1(VALU_DEP_1)
	v_add_f32_e32 v27, v26, v8
	v_dual_sub_f32 v7, v7, v29 :: v_dual_add_f32 v28, v25, v27
	s_delay_alu instid0(VALU_DEP_1) | instskip(NEXT) | instid1(VALU_DEP_1)
	v_sub_f32_e32 v31, v28, v25
	v_sub_f32_e32 v32, v28, v31
	s_delay_alu instid0(VALU_DEP_1) | instskip(NEXT) | instid1(VALU_DEP_1)
	v_dual_sub_f32 v26, v27, v26 :: v_dual_sub_f32 v25, v25, v32
	v_sub_f32_e32 v8, v8, v26
	v_sub_f32_e32 v26, v27, v31
	s_delay_alu instid0(VALU_DEP_1) | instskip(NEXT) | instid1(VALU_DEP_3)
	v_add_f32_e32 v25, v26, v25
	v_add_f32_e32 v27, v7, v8
	s_delay_alu instid0(VALU_DEP_1) | instskip(NEXT) | instid1(VALU_DEP_1)
	v_sub_f32_e32 v26, v27, v7
	v_dual_sub_f32 v8, v8, v26 :: v_dual_add_f32 v25, v27, v25
	v_sub_f32_e32 v27, v27, v26
	s_delay_alu instid0(VALU_DEP_2) | instskip(NEXT) | instid1(VALU_DEP_1)
	v_add_f32_e32 v29, v28, v25
	v_dual_sub_f32 v26, v29, v28 :: v_dual_sub_f32 v7, v7, v27
	s_delay_alu instid0(VALU_DEP_1) | instskip(NEXT) | instid1(VALU_DEP_1)
	v_dual_add_f32 v7, v8, v7 :: v_dual_sub_f32 v8, v25, v26
	v_add_f32_e32 v7, v7, v8
	s_delay_alu instid0(VALU_DEP_1) | instskip(SKIP_1) | instid1(VALU_DEP_1)
	v_add_f32_e32 v7, v29, v7
	s_wait_alu 0xfffd
	v_cndmask_b32_e32 v7, 0x7f800000, v7, vcc_lo
	v_cmp_gt_f32_e64 vcc_lo, 0x33800000, |v10|
	s_wait_alu 0xfffd
	s_delay_alu instid0(VALU_DEP_2) | instskip(NEXT) | instid1(VALU_DEP_1)
	v_cndmask_b32_e32 v7, v7, v10, vcc_lo
	v_add_f32_e32 v7, v9, v7
	s_delay_alu instid0(VALU_DEP_1) | instskip(NEXT) | instid1(VALU_DEP_1)
	v_cvt_f16_f32_e32 v7, v7
	v_cvt_f32_f16_e32 v8, v7
	v_mov_b32_e32 v31, v7
.LBB356_41:
	s_wait_alu 0xfffe
	s_or_b32 exec_lo, exec_lo, s8
	v_cvt_f32_f16_e32 v25, v16
	v_max_num_f32_e32 v9, v8, v8
	v_cmp_u_f16_e32 vcc_lo, v7, v7
	v_cmp_u_f16_e64 s8, v16, v16
	s_delay_alu instid0(VALU_DEP_3) | instskip(SKIP_1) | instid1(VALU_DEP_1)
	v_min_num_f32_e32 v10, v9, v25
	s_wait_alu 0xfffd
	v_dual_max_num_f32 v9, v9, v25 :: v_dual_cndmask_b32 v10, v10, v8
	s_delay_alu instid0(VALU_DEP_1) | instskip(SKIP_1) | instid1(VALU_DEP_2)
	v_cndmask_b32_e32 v9, v9, v8, vcc_lo
	s_wait_alu 0xf1ff
	v_cndmask_b32_e64 v10, v10, v25, s8
	s_delay_alu instid0(VALU_DEP_2) | instskip(NEXT) | instid1(VALU_DEP_2)
	v_cndmask_b32_e64 v9, v9, v25, s8
	v_cmp_class_f32_e64 s9, v10, 0x1f8
	s_delay_alu instid0(VALU_DEP_2) | instskip(SKIP_1) | instid1(SALU_CYCLE_1)
	v_cmp_neq_f32_e32 vcc_lo, v10, v9
	s_or_b32 s10, vcc_lo, s9
	s_and_saveexec_b32 s9, s10
	s_cbranch_execz .LBB356_43
; %bb.42:
	v_sub_f32_e32 v7, v10, v9
	s_mov_b32 s10, 0x3e9b6dac
	s_delay_alu instid0(VALU_DEP_1) | instskip(NEXT) | instid1(VALU_DEP_1)
	v_mul_f32_e32 v8, 0x3fb8aa3b, v7
	v_fma_f32 v10, 0x3fb8aa3b, v7, -v8
	v_rndne_f32_e32 v26, v8
	s_delay_alu instid0(VALU_DEP_1) | instskip(NEXT) | instid1(VALU_DEP_3)
	v_sub_f32_e32 v8, v8, v26
	v_fmamk_f32 v10, v7, 0x32a5705f, v10
	v_cmp_ngt_f32_e32 vcc_lo, 0xc2ce8ed0, v7
	s_delay_alu instid0(VALU_DEP_2) | instskip(SKIP_1) | instid1(VALU_DEP_2)
	v_add_f32_e32 v8, v8, v10
	v_cvt_i32_f32_e32 v10, v26
	v_exp_f32_e32 v8, v8
	s_delay_alu instid0(TRANS32_DEP_1) | instskip(SKIP_1) | instid1(VALU_DEP_1)
	v_ldexp_f32 v8, v8, v10
	s_wait_alu 0xfffd
	v_cndmask_b32_e32 v8, 0, v8, vcc_lo
	v_cmp_nlt_f32_e32 vcc_lo, 0x42b17218, v7
	s_wait_alu 0xfffd
	s_delay_alu instid0(VALU_DEP_2) | instskip(NEXT) | instid1(VALU_DEP_1)
	v_cndmask_b32_e32 v10, 0x7f800000, v8, vcc_lo
	v_add_f32_e32 v26, 1.0, v10
	s_delay_alu instid0(VALU_DEP_1) | instskip(NEXT) | instid1(VALU_DEP_1)
	v_cvt_f64_f32_e32 v[7:8], v26
	v_frexp_exp_i32_f64_e32 v7, v[7:8]
	v_frexp_mant_f32_e32 v8, v26
	s_delay_alu instid0(VALU_DEP_1) | instskip(SKIP_1) | instid1(VALU_DEP_1)
	v_cmp_gt_f32_e32 vcc_lo, 0x3f2aaaab, v8
	v_add_f32_e32 v8, -1.0, v26
	v_sub_f32_e32 v28, v8, v26
	v_sub_f32_e32 v8, v10, v8
	s_delay_alu instid0(VALU_DEP_2) | instskip(NEXT) | instid1(VALU_DEP_1)
	v_add_f32_e32 v28, 1.0, v28
	v_add_f32_e32 v8, v8, v28
	s_wait_alu 0xfffd
	v_subrev_co_ci_u32_e64 v7, null, 0, v7, vcc_lo
	s_delay_alu instid0(VALU_DEP_1) | instskip(SKIP_1) | instid1(VALU_DEP_2)
	v_sub_nc_u32_e32 v27, 0, v7
	v_cvt_f32_i32_e32 v7, v7
	v_ldexp_f32 v26, v26, v27
	v_ldexp_f32 v8, v8, v27
	s_delay_alu instid0(VALU_DEP_2) | instskip(NEXT) | instid1(VALU_DEP_1)
	v_add_f32_e32 v29, 1.0, v26
	v_dual_add_f32 v27, -1.0, v26 :: v_dual_add_f32 v28, -1.0, v29
	s_delay_alu instid0(VALU_DEP_1) | instskip(NEXT) | instid1(VALU_DEP_1)
	v_dual_add_f32 v31, 1.0, v27 :: v_dual_sub_f32 v28, v26, v28
	v_sub_f32_e32 v26, v26, v31
	s_delay_alu instid0(VALU_DEP_2) | instskip(NEXT) | instid1(VALU_DEP_1)
	v_add_f32_e32 v28, v8, v28
	v_add_f32_e32 v31, v29, v28
	s_delay_alu instid0(VALU_DEP_1) | instskip(SKIP_1) | instid1(VALU_DEP_2)
	v_sub_f32_e32 v29, v29, v31
	v_cmp_neq_f32_e32 vcc_lo, 0x7f800000, v10
	v_add_f32_e32 v28, v28, v29
	v_add_f32_e32 v8, v8, v26
	v_rcp_f32_e32 v26, v31
	s_delay_alu instid0(VALU_DEP_1) | instskip(NEXT) | instid1(VALU_DEP_1)
	v_add_f32_e32 v32, v27, v8
	v_sub_f32_e32 v27, v27, v32
	s_delay_alu instid0(TRANS32_DEP_1) | instskip(NEXT) | instid1(VALU_DEP_2)
	v_mul_f32_e32 v33, v32, v26
	v_add_f32_e32 v8, v8, v27
	s_delay_alu instid0(VALU_DEP_2) | instskip(NEXT) | instid1(VALU_DEP_1)
	v_mul_f32_e32 v34, v31, v33
	v_fma_f32 v29, v33, v31, -v34
	s_delay_alu instid0(VALU_DEP_1) | instskip(NEXT) | instid1(VALU_DEP_1)
	v_fmac_f32_e32 v29, v33, v28
	v_add_f32_e32 v35, v34, v29
	s_delay_alu instid0(VALU_DEP_1) | instskip(NEXT) | instid1(VALU_DEP_1)
	v_dual_sub_f32 v36, v32, v35 :: v_dual_sub_f32 v27, v35, v34
	v_dual_sub_f32 v32, v32, v36 :: v_dual_sub_f32 v27, v27, v29
	s_delay_alu instid0(VALU_DEP_1) | instskip(NEXT) | instid1(VALU_DEP_1)
	v_sub_f32_e32 v32, v32, v35
	v_add_f32_e32 v8, v8, v32
	s_delay_alu instid0(VALU_DEP_1) | instskip(NEXT) | instid1(VALU_DEP_1)
	v_add_f32_e32 v8, v27, v8
	v_add_f32_e32 v27, v36, v8
	s_delay_alu instid0(VALU_DEP_1) | instskip(NEXT) | instid1(VALU_DEP_1)
	v_mul_f32_e32 v29, v26, v27
	v_dual_sub_f32 v35, v36, v27 :: v_dual_mul_f32 v32, v31, v29
	s_delay_alu instid0(VALU_DEP_1) | instskip(NEXT) | instid1(VALU_DEP_2)
	v_add_f32_e32 v8, v8, v35
	v_fma_f32 v31, v29, v31, -v32
	s_delay_alu instid0(VALU_DEP_1) | instskip(NEXT) | instid1(VALU_DEP_1)
	v_fmac_f32_e32 v31, v29, v28
	v_add_f32_e32 v28, v32, v31
	s_delay_alu instid0(VALU_DEP_1) | instskip(NEXT) | instid1(VALU_DEP_1)
	v_sub_f32_e32 v34, v27, v28
	v_dual_sub_f32 v32, v28, v32 :: v_dual_sub_f32 v27, v27, v34
	s_delay_alu instid0(VALU_DEP_1) | instskip(NEXT) | instid1(VALU_DEP_1)
	v_dual_sub_f32 v27, v27, v28 :: v_dual_sub_f32 v28, v32, v31
	v_dual_add_f32 v8, v8, v27 :: v_dual_add_f32 v27, v33, v29
	s_delay_alu instid0(VALU_DEP_1) | instskip(NEXT) | instid1(VALU_DEP_2)
	v_add_f32_e32 v8, v28, v8
	v_sub_f32_e32 v28, v27, v33
	s_delay_alu instid0(VALU_DEP_2) | instskip(NEXT) | instid1(VALU_DEP_2)
	v_add_f32_e32 v8, v34, v8
	v_sub_f32_e32 v28, v29, v28
	s_delay_alu instid0(VALU_DEP_2) | instskip(NEXT) | instid1(VALU_DEP_1)
	v_mul_f32_e32 v8, v26, v8
	v_add_f32_e32 v8, v28, v8
	s_delay_alu instid0(VALU_DEP_1) | instskip(NEXT) | instid1(VALU_DEP_1)
	v_add_f32_e32 v26, v27, v8
	v_mul_f32_e32 v28, v26, v26
	s_delay_alu instid0(VALU_DEP_1) | instskip(NEXT) | instid1(VALU_DEP_1)
	v_fmaak_f32 v29, s10, v28, 0x3ecc95a3
	v_dual_mul_f32 v31, v26, v28 :: v_dual_fmaak_f32 v28, v28, v29, 0x3f2aaada
	v_ldexp_f32 v29, v26, 1
	v_sub_f32_e32 v26, v26, v27
	s_delay_alu instid0(VALU_DEP_3) | instskip(NEXT) | instid1(VALU_DEP_1)
	v_dual_mul_f32 v28, v31, v28 :: v_dual_mul_f32 v31, 0x3f317218, v7
	v_dual_sub_f32 v8, v8, v26 :: v_dual_add_f32 v27, v29, v28
	s_delay_alu instid0(VALU_DEP_1) | instskip(NEXT) | instid1(VALU_DEP_2)
	v_ldexp_f32 v8, v8, 1
	v_sub_f32_e32 v26, v27, v29
	s_delay_alu instid0(VALU_DEP_4) | instskip(NEXT) | instid1(VALU_DEP_1)
	v_fma_f32 v29, 0x3f317218, v7, -v31
	v_dual_sub_f32 v26, v28, v26 :: v_dual_fmamk_f32 v7, v7, 0xb102e308, v29
	s_delay_alu instid0(VALU_DEP_1) | instskip(NEXT) | instid1(VALU_DEP_2)
	v_add_f32_e32 v8, v8, v26
	v_add_f32_e32 v26, v31, v7
	s_delay_alu instid0(VALU_DEP_1) | instskip(NEXT) | instid1(VALU_DEP_1)
	v_dual_add_f32 v28, v27, v8 :: v_dual_sub_f32 v31, v26, v31
	v_add_f32_e32 v29, v26, v28
	v_sub_f32_e32 v27, v28, v27
	s_delay_alu instid0(VALU_DEP_2) | instskip(NEXT) | instid1(VALU_DEP_1)
	v_dual_sub_f32 v7, v7, v31 :: v_dual_sub_f32 v32, v29, v26
	v_dual_sub_f32 v8, v8, v27 :: v_dual_sub_f32 v33, v29, v32
	v_sub_f32_e32 v27, v28, v32
	s_delay_alu instid0(VALU_DEP_2) | instskip(NEXT) | instid1(VALU_DEP_3)
	v_add_f32_e32 v28, v7, v8
	v_sub_f32_e32 v26, v26, v33
	s_delay_alu instid0(VALU_DEP_1) | instskip(NEXT) | instid1(VALU_DEP_1)
	v_dual_add_f32 v26, v27, v26 :: v_dual_sub_f32 v27, v28, v7
	v_add_f32_e32 v26, v28, v26
	s_delay_alu instid0(VALU_DEP_2) | instskip(NEXT) | instid1(VALU_DEP_2)
	v_sub_f32_e32 v28, v28, v27
	v_dual_sub_f32 v8, v8, v27 :: v_dual_add_f32 v31, v29, v26
	s_delay_alu instid0(VALU_DEP_2) | instskip(NEXT) | instid1(VALU_DEP_2)
	v_sub_f32_e32 v7, v7, v28
	v_sub_f32_e32 v27, v31, v29
	s_delay_alu instid0(VALU_DEP_2) | instskip(NEXT) | instid1(VALU_DEP_2)
	v_add_f32_e32 v7, v8, v7
	v_sub_f32_e32 v8, v26, v27
	s_delay_alu instid0(VALU_DEP_1) | instskip(NEXT) | instid1(VALU_DEP_1)
	v_add_f32_e32 v7, v7, v8
	v_add_f32_e32 v7, v31, v7
	s_wait_alu 0xfffd
	s_delay_alu instid0(VALU_DEP_1) | instskip(SKIP_2) | instid1(VALU_DEP_2)
	v_cndmask_b32_e32 v7, 0x7f800000, v7, vcc_lo
	v_cmp_gt_f32_e64 vcc_lo, 0x33800000, |v10|
	s_wait_alu 0xfffd
	v_cndmask_b32_e32 v7, v7, v10, vcc_lo
	s_delay_alu instid0(VALU_DEP_1) | instskip(NEXT) | instid1(VALU_DEP_1)
	v_add_f32_e32 v7, v9, v7
	v_cvt_f16_f32_e32 v7, v7
	s_delay_alu instid0(VALU_DEP_1)
	v_cvt_f32_f16_e32 v8, v7
	v_mov_b32_e32 v31, v7
.LBB356_43:
	s_wait_alu 0xfffe
	s_or_b32 exec_lo, exec_lo, s9
	v_cvt_f32_f16_e32 v26, v5
	v_max_num_f32_e32 v9, v8, v8
	v_cmp_u_f16_e32 vcc_lo, v7, v7
	v_cmp_u_f16_e64 s9, v5, v5
	s_delay_alu instid0(VALU_DEP_3) | instskip(SKIP_1) | instid1(VALU_DEP_1)
	v_min_num_f32_e32 v10, v9, v26
	s_wait_alu 0xfffd
	v_dual_max_num_f32 v9, v9, v26 :: v_dual_cndmask_b32 v10, v10, v8
	s_delay_alu instid0(VALU_DEP_1) | instskip(SKIP_1) | instid1(VALU_DEP_2)
	v_cndmask_b32_e32 v9, v9, v8, vcc_lo
	s_wait_alu 0xf1ff
	v_cndmask_b32_e64 v10, v10, v26, s9
	s_delay_alu instid0(VALU_DEP_2) | instskip(NEXT) | instid1(VALU_DEP_2)
	v_cndmask_b32_e64 v9, v9, v26, s9
	v_cmp_class_f32_e64 s10, v10, 0x1f8
	s_delay_alu instid0(VALU_DEP_2)
	v_cmp_neq_f32_e32 vcc_lo, v10, v9
	s_or_b32 s11, vcc_lo, s10
	s_wait_alu 0xfffe
	s_and_saveexec_b32 s10, s11
	s_cbranch_execz .LBB356_45
; %bb.44:
	v_sub_f32_e32 v7, v10, v9
	s_mov_b32 s11, 0x3e9b6dac
	s_delay_alu instid0(VALU_DEP_1) | instskip(NEXT) | instid1(VALU_DEP_1)
	v_mul_f32_e32 v8, 0x3fb8aa3b, v7
	v_fma_f32 v10, 0x3fb8aa3b, v7, -v8
	v_rndne_f32_e32 v27, v8
	s_delay_alu instid0(VALU_DEP_1) | instskip(NEXT) | instid1(VALU_DEP_3)
	v_sub_f32_e32 v8, v8, v27
	v_fmamk_f32 v10, v7, 0x32a5705f, v10
	v_cmp_ngt_f32_e32 vcc_lo, 0xc2ce8ed0, v7
	s_delay_alu instid0(VALU_DEP_2) | instskip(SKIP_1) | instid1(VALU_DEP_2)
	v_add_f32_e32 v8, v8, v10
	v_cvt_i32_f32_e32 v10, v27
	v_exp_f32_e32 v8, v8
	s_delay_alu instid0(TRANS32_DEP_1) | instskip(SKIP_1) | instid1(VALU_DEP_1)
	v_ldexp_f32 v8, v8, v10
	s_wait_alu 0xfffd
	v_cndmask_b32_e32 v8, 0, v8, vcc_lo
	v_cmp_nlt_f32_e32 vcc_lo, 0x42b17218, v7
	s_wait_alu 0xfffd
	s_delay_alu instid0(VALU_DEP_2) | instskip(NEXT) | instid1(VALU_DEP_1)
	v_cndmask_b32_e32 v10, 0x7f800000, v8, vcc_lo
	v_add_f32_e32 v27, 1.0, v10
	s_delay_alu instid0(VALU_DEP_1) | instskip(NEXT) | instid1(VALU_DEP_1)
	v_cvt_f64_f32_e32 v[7:8], v27
	v_frexp_exp_i32_f64_e32 v7, v[7:8]
	v_frexp_mant_f32_e32 v8, v27
	s_delay_alu instid0(VALU_DEP_1) | instskip(SKIP_1) | instid1(VALU_DEP_1)
	v_cmp_gt_f32_e32 vcc_lo, 0x3f2aaaab, v8
	v_add_f32_e32 v8, -1.0, v27
	v_dual_sub_f32 v29, v8, v27 :: v_dual_sub_f32 v8, v10, v8
	s_delay_alu instid0(VALU_DEP_1) | instskip(SKIP_2) | instid1(VALU_DEP_1)
	v_add_f32_e32 v29, 1.0, v29
	s_wait_alu 0xfffd
	v_subrev_co_ci_u32_e64 v7, null, 0, v7, vcc_lo
	v_sub_nc_u32_e32 v28, 0, v7
	v_cvt_f32_i32_e32 v7, v7
	s_delay_alu instid0(VALU_DEP_2) | instskip(NEXT) | instid1(VALU_DEP_1)
	v_ldexp_f32 v27, v27, v28
	v_dual_add_f32 v8, v8, v29 :: v_dual_add_f32 v31, 1.0, v27
	s_delay_alu instid0(VALU_DEP_1) | instskip(NEXT) | instid1(VALU_DEP_2)
	v_ldexp_f32 v8, v8, v28
	v_add_f32_e32 v29, -1.0, v31
	v_cmp_neq_f32_e32 vcc_lo, 0x7f800000, v10
	s_delay_alu instid0(VALU_DEP_2) | instskip(NEXT) | instid1(VALU_DEP_1)
	v_dual_sub_f32 v29, v27, v29 :: v_dual_add_f32 v28, -1.0, v27
	v_dual_add_f32 v29, v8, v29 :: v_dual_add_f32 v32, 1.0, v28
	s_delay_alu instid0(VALU_DEP_1) | instskip(NEXT) | instid1(VALU_DEP_1)
	v_sub_f32_e32 v27, v27, v32
	v_add_f32_e32 v8, v8, v27
	s_delay_alu instid0(VALU_DEP_1) | instskip(NEXT) | instid1(VALU_DEP_1)
	v_dual_add_f32 v32, v31, v29 :: v_dual_add_f32 v33, v28, v8
	v_rcp_f32_e32 v27, v32
	s_delay_alu instid0(VALU_DEP_1) | instskip(NEXT) | instid1(VALU_DEP_1)
	v_dual_sub_f32 v31, v31, v32 :: v_dual_sub_f32 v28, v28, v33
	v_dual_add_f32 v29, v29, v31 :: v_dual_add_f32 v8, v8, v28
	s_delay_alu instid0(TRANS32_DEP_1) | instskip(NEXT) | instid1(VALU_DEP_1)
	v_mul_f32_e32 v34, v33, v27
	v_mul_f32_e32 v35, v32, v34
	s_delay_alu instid0(VALU_DEP_1) | instskip(NEXT) | instid1(VALU_DEP_1)
	v_fma_f32 v31, v34, v32, -v35
	v_fmac_f32_e32 v31, v34, v29
	s_delay_alu instid0(VALU_DEP_1) | instskip(NEXT) | instid1(VALU_DEP_1)
	v_add_f32_e32 v36, v35, v31
	v_sub_f32_e32 v37, v33, v36
	s_delay_alu instid0(VALU_DEP_1) | instskip(NEXT) | instid1(VALU_DEP_1)
	v_dual_sub_f32 v33, v33, v37 :: v_dual_sub_f32 v28, v36, v35
	v_dual_sub_f32 v33, v33, v36 :: v_dual_sub_f32 v28, v28, v31
	s_delay_alu instid0(VALU_DEP_1) | instskip(NEXT) | instid1(VALU_DEP_1)
	v_add_f32_e32 v8, v8, v33
	v_add_f32_e32 v8, v28, v8
	s_delay_alu instid0(VALU_DEP_1) | instskip(NEXT) | instid1(VALU_DEP_1)
	v_add_f32_e32 v28, v37, v8
	v_mul_f32_e32 v31, v27, v28
	s_delay_alu instid0(VALU_DEP_1) | instskip(NEXT) | instid1(VALU_DEP_1)
	v_dual_mul_f32 v33, v32, v31 :: v_dual_sub_f32 v36, v37, v28
	v_fma_f32 v32, v31, v32, -v33
	s_delay_alu instid0(VALU_DEP_1) | instskip(NEXT) | instid1(VALU_DEP_1)
	v_fmac_f32_e32 v32, v31, v29
	v_add_f32_e32 v29, v33, v32
	s_delay_alu instid0(VALU_DEP_1) | instskip(SKIP_1) | instid1(VALU_DEP_2)
	v_sub_f32_e32 v35, v28, v29
	v_dual_sub_f32 v33, v29, v33 :: v_dual_add_f32 v8, v8, v36
	v_sub_f32_e32 v28, v28, v35
	s_delay_alu instid0(VALU_DEP_1) | instskip(NEXT) | instid1(VALU_DEP_1)
	v_dual_sub_f32 v28, v28, v29 :: v_dual_sub_f32 v29, v33, v32
	v_add_f32_e32 v8, v8, v28
	v_add_f32_e32 v28, v34, v31
	s_delay_alu instid0(VALU_DEP_1) | instskip(NEXT) | instid1(VALU_DEP_1)
	v_dual_add_f32 v8, v29, v8 :: v_dual_sub_f32 v29, v28, v34
	v_add_f32_e32 v8, v35, v8
	s_delay_alu instid0(VALU_DEP_2) | instskip(NEXT) | instid1(VALU_DEP_2)
	v_sub_f32_e32 v29, v31, v29
	v_mul_f32_e32 v8, v27, v8
	s_delay_alu instid0(VALU_DEP_1) | instskip(NEXT) | instid1(VALU_DEP_1)
	v_add_f32_e32 v8, v29, v8
	v_add_f32_e32 v27, v28, v8
	s_delay_alu instid0(VALU_DEP_1) | instskip(SKIP_1) | instid1(VALU_DEP_1)
	v_mul_f32_e32 v29, v27, v27
	s_wait_alu 0xfffe
	v_fmaak_f32 v31, s11, v29, 0x3ecc95a3
	s_delay_alu instid0(VALU_DEP_1) | instskip(SKIP_1) | instid1(VALU_DEP_2)
	v_dual_mul_f32 v32, v27, v29 :: v_dual_fmaak_f32 v29, v29, v31, 0x3f2aaada
	v_ldexp_f32 v31, v27, 1
	v_mul_f32_e32 v29, v32, v29
	v_dual_sub_f32 v27, v27, v28 :: v_dual_mul_f32 v32, 0x3f317218, v7
	s_delay_alu instid0(VALU_DEP_2) | instskip(NEXT) | instid1(VALU_DEP_2)
	v_add_f32_e32 v28, v31, v29
	v_sub_f32_e32 v8, v8, v27
	s_delay_alu instid0(VALU_DEP_2) | instskip(NEXT) | instid1(VALU_DEP_4)
	v_sub_f32_e32 v27, v28, v31
	v_fma_f32 v31, 0x3f317218, v7, -v32
	s_delay_alu instid0(VALU_DEP_3) | instskip(NEXT) | instid1(VALU_DEP_3)
	v_ldexp_f32 v8, v8, 1
	v_sub_f32_e32 v27, v29, v27
	s_delay_alu instid0(VALU_DEP_1) | instskip(NEXT) | instid1(VALU_DEP_1)
	v_dual_fmamk_f32 v7, v7, 0xb102e308, v31 :: v_dual_add_f32 v8, v8, v27
	v_add_f32_e32 v27, v32, v7
	s_delay_alu instid0(VALU_DEP_1) | instskip(NEXT) | instid1(VALU_DEP_1)
	v_sub_f32_e32 v32, v27, v32
	v_sub_f32_e32 v7, v7, v32
	s_delay_alu instid0(VALU_DEP_4) | instskip(NEXT) | instid1(VALU_DEP_1)
	v_add_f32_e32 v29, v28, v8
	v_dual_add_f32 v31, v27, v29 :: v_dual_sub_f32 v28, v29, v28
	s_delay_alu instid0(VALU_DEP_1) | instskip(NEXT) | instid1(VALU_DEP_1)
	v_dual_sub_f32 v33, v31, v27 :: v_dual_sub_f32 v8, v8, v28
	v_dual_sub_f32 v28, v29, v33 :: v_dual_add_f32 v29, v7, v8
	v_sub_f32_e32 v34, v31, v33
	s_delay_alu instid0(VALU_DEP_1) | instskip(NEXT) | instid1(VALU_DEP_1)
	v_sub_f32_e32 v27, v27, v34
	v_add_f32_e32 v27, v28, v27
	s_delay_alu instid0(VALU_DEP_4) | instskip(NEXT) | instid1(VALU_DEP_2)
	v_sub_f32_e32 v28, v29, v7
	v_add_f32_e32 v27, v29, v27
	s_delay_alu instid0(VALU_DEP_1) | instskip(NEXT) | instid1(VALU_DEP_1)
	v_dual_sub_f32 v29, v29, v28 :: v_dual_add_f32 v32, v31, v27
	v_dual_sub_f32 v7, v7, v29 :: v_dual_sub_f32 v8, v8, v28
	s_delay_alu instid0(VALU_DEP_1) | instskip(NEXT) | instid1(VALU_DEP_3)
	v_add_f32_e32 v7, v8, v7
	v_sub_f32_e32 v28, v32, v31
	s_delay_alu instid0(VALU_DEP_1) | instskip(NEXT) | instid1(VALU_DEP_1)
	v_sub_f32_e32 v8, v27, v28
	v_add_f32_e32 v7, v7, v8
	s_delay_alu instid0(VALU_DEP_1) | instskip(SKIP_1) | instid1(VALU_DEP_1)
	v_add_f32_e32 v7, v32, v7
	s_wait_alu 0xfffd
	v_cndmask_b32_e32 v7, 0x7f800000, v7, vcc_lo
	v_cmp_gt_f32_e64 vcc_lo, 0x33800000, |v10|
	s_wait_alu 0xfffd
	s_delay_alu instid0(VALU_DEP_2) | instskip(NEXT) | instid1(VALU_DEP_1)
	v_cndmask_b32_e32 v7, v7, v10, vcc_lo
	v_add_f32_e32 v7, v9, v7
	s_delay_alu instid0(VALU_DEP_1) | instskip(NEXT) | instid1(VALU_DEP_1)
	v_cvt_f16_f32_e32 v7, v7
	v_cvt_f32_f16_e32 v8, v7
	v_mov_b32_e32 v31, v7
.LBB356_45:
	s_wait_alu 0xfffe
	s_or_b32 exec_lo, exec_lo, s10
	v_cvt_f32_f16_e32 v27, v15
	v_max_num_f32_e32 v9, v8, v8
	v_cmp_u_f16_e32 vcc_lo, v7, v7
	v_cmp_u_f16_e64 s10, v15, v15
	s_delay_alu instid0(VALU_DEP_3) | instskip(SKIP_1) | instid1(VALU_DEP_1)
	v_min_num_f32_e32 v10, v9, v27
	s_wait_alu 0xfffd
	v_dual_max_num_f32 v9, v9, v27 :: v_dual_cndmask_b32 v10, v10, v8
	s_delay_alu instid0(VALU_DEP_1) | instskip(SKIP_1) | instid1(VALU_DEP_2)
	v_cndmask_b32_e32 v9, v9, v8, vcc_lo
	s_wait_alu 0xf1ff
	v_cndmask_b32_e64 v10, v10, v27, s10
	s_delay_alu instid0(VALU_DEP_2) | instskip(NEXT) | instid1(VALU_DEP_2)
	v_cndmask_b32_e64 v9, v9, v27, s10
	v_cmp_class_f32_e64 s11, v10, 0x1f8
	s_delay_alu instid0(VALU_DEP_2)
	v_cmp_neq_f32_e32 vcc_lo, v10, v9
	s_or_b32 s12, vcc_lo, s11
	s_wait_alu 0xfffe
	s_and_saveexec_b32 s11, s12
	s_cbranch_execz .LBB356_47
; %bb.46:
	v_sub_f32_e32 v7, v10, v9
	s_mov_b32 s12, 0x3e9b6dac
	s_delay_alu instid0(VALU_DEP_1) | instskip(NEXT) | instid1(VALU_DEP_1)
	v_mul_f32_e32 v8, 0x3fb8aa3b, v7
	v_fma_f32 v10, 0x3fb8aa3b, v7, -v8
	v_rndne_f32_e32 v28, v8
	s_delay_alu instid0(VALU_DEP_1) | instskip(NEXT) | instid1(VALU_DEP_3)
	v_sub_f32_e32 v8, v8, v28
	v_fmamk_f32 v10, v7, 0x32a5705f, v10
	v_cmp_ngt_f32_e32 vcc_lo, 0xc2ce8ed0, v7
	s_delay_alu instid0(VALU_DEP_2) | instskip(SKIP_1) | instid1(VALU_DEP_2)
	v_add_f32_e32 v8, v8, v10
	v_cvt_i32_f32_e32 v10, v28
	v_exp_f32_e32 v8, v8
	s_delay_alu instid0(TRANS32_DEP_1) | instskip(SKIP_1) | instid1(VALU_DEP_1)
	v_ldexp_f32 v8, v8, v10
	s_wait_alu 0xfffd
	v_cndmask_b32_e32 v8, 0, v8, vcc_lo
	v_cmp_nlt_f32_e32 vcc_lo, 0x42b17218, v7
	s_wait_alu 0xfffd
	s_delay_alu instid0(VALU_DEP_2) | instskip(NEXT) | instid1(VALU_DEP_1)
	v_cndmask_b32_e32 v10, 0x7f800000, v8, vcc_lo
	v_add_f32_e32 v28, 1.0, v10
	s_delay_alu instid0(VALU_DEP_1) | instskip(NEXT) | instid1(VALU_DEP_1)
	v_cvt_f64_f32_e32 v[7:8], v28
	v_frexp_exp_i32_f64_e32 v7, v[7:8]
	v_frexp_mant_f32_e32 v8, v28
	s_delay_alu instid0(VALU_DEP_1) | instskip(SKIP_1) | instid1(VALU_DEP_1)
	v_cmp_gt_f32_e32 vcc_lo, 0x3f2aaaab, v8
	v_add_f32_e32 v8, -1.0, v28
	v_sub_f32_e32 v31, v8, v28
	s_delay_alu instid0(VALU_DEP_1) | instskip(SKIP_2) | instid1(VALU_DEP_1)
	v_dual_sub_f32 v8, v10, v8 :: v_dual_add_f32 v31, 1.0, v31
	s_wait_alu 0xfffd
	v_subrev_co_ci_u32_e64 v7, null, 0, v7, vcc_lo
	v_sub_nc_u32_e32 v29, 0, v7
	v_cvt_f32_i32_e32 v7, v7
	s_delay_alu instid0(VALU_DEP_2) | instskip(SKIP_1) | instid1(VALU_DEP_2)
	v_ldexp_f32 v28, v28, v29
	v_add_f32_e32 v8, v8, v31
	v_add_f32_e32 v32, 1.0, v28
	s_delay_alu instid0(VALU_DEP_2) | instskip(SKIP_1) | instid1(VALU_DEP_3)
	v_ldexp_f32 v8, v8, v29
	v_add_f32_e32 v29, -1.0, v28
	v_add_f32_e32 v31, -1.0, v32
	s_delay_alu instid0(VALU_DEP_2) | instskip(SKIP_1) | instid1(VALU_DEP_3)
	v_add_f32_e32 v33, 1.0, v29
	v_cmp_neq_f32_e32 vcc_lo, 0x7f800000, v10
	v_sub_f32_e32 v31, v28, v31
	s_delay_alu instid0(VALU_DEP_1) | instskip(NEXT) | instid1(VALU_DEP_4)
	v_add_f32_e32 v31, v8, v31
	v_sub_f32_e32 v28, v28, v33
	s_delay_alu instid0(VALU_DEP_2) | instskip(NEXT) | instid1(VALU_DEP_1)
	v_add_f32_e32 v33, v32, v31
	v_sub_f32_e32 v32, v32, v33
	s_delay_alu instid0(VALU_DEP_1) | instskip(NEXT) | instid1(VALU_DEP_4)
	v_add_f32_e32 v31, v31, v32
	v_add_f32_e32 v8, v8, v28
	v_rcp_f32_e32 v28, v33
	s_delay_alu instid0(VALU_DEP_1) | instskip(NEXT) | instid1(VALU_DEP_1)
	v_add_f32_e32 v34, v29, v8
	v_sub_f32_e32 v29, v29, v34
	s_delay_alu instid0(TRANS32_DEP_1) | instid1(VALU_DEP_1)
	v_dual_mul_f32 v35, v34, v28 :: v_dual_add_f32 v8, v8, v29
	s_delay_alu instid0(VALU_DEP_1) | instskip(NEXT) | instid1(VALU_DEP_1)
	v_mul_f32_e32 v36, v33, v35
	v_fma_f32 v32, v35, v33, -v36
	s_delay_alu instid0(VALU_DEP_1) | instskip(NEXT) | instid1(VALU_DEP_1)
	v_fmac_f32_e32 v32, v35, v31
	v_add_f32_e32 v37, v36, v32
	s_delay_alu instid0(VALU_DEP_1) | instskip(NEXT) | instid1(VALU_DEP_1)
	v_sub_f32_e32 v38, v34, v37
	v_dual_sub_f32 v34, v34, v38 :: v_dual_sub_f32 v29, v37, v36
	s_delay_alu instid0(VALU_DEP_1) | instskip(NEXT) | instid1(VALU_DEP_1)
	v_dual_sub_f32 v34, v34, v37 :: v_dual_sub_f32 v29, v29, v32
	v_add_f32_e32 v8, v8, v34
	s_delay_alu instid0(VALU_DEP_1) | instskip(NEXT) | instid1(VALU_DEP_1)
	v_add_f32_e32 v8, v29, v8
	v_add_f32_e32 v29, v38, v8
	s_delay_alu instid0(VALU_DEP_1) | instskip(NEXT) | instid1(VALU_DEP_1)
	v_mul_f32_e32 v32, v28, v29
	v_dual_sub_f32 v37, v38, v29 :: v_dual_mul_f32 v34, v33, v32
	s_delay_alu instid0(VALU_DEP_1) | instskip(NEXT) | instid1(VALU_DEP_2)
	v_add_f32_e32 v8, v8, v37
	v_fma_f32 v33, v32, v33, -v34
	s_delay_alu instid0(VALU_DEP_1) | instskip(NEXT) | instid1(VALU_DEP_1)
	v_fmac_f32_e32 v33, v32, v31
	v_add_f32_e32 v31, v34, v33
	s_delay_alu instid0(VALU_DEP_1) | instskip(NEXT) | instid1(VALU_DEP_1)
	v_sub_f32_e32 v36, v29, v31
	v_dual_sub_f32 v34, v31, v34 :: v_dual_sub_f32 v29, v29, v36
	s_delay_alu instid0(VALU_DEP_1) | instskip(NEXT) | instid1(VALU_DEP_2)
	v_sub_f32_e32 v29, v29, v31
	v_sub_f32_e32 v31, v34, v33
	s_delay_alu instid0(VALU_DEP_2) | instskip(NEXT) | instid1(VALU_DEP_1)
	v_dual_add_f32 v8, v8, v29 :: v_dual_add_f32 v29, v35, v32
	v_dual_add_f32 v8, v31, v8 :: v_dual_sub_f32 v31, v29, v35
	s_delay_alu instid0(VALU_DEP_1) | instskip(NEXT) | instid1(VALU_DEP_2)
	v_add_f32_e32 v8, v36, v8
	v_sub_f32_e32 v31, v32, v31
	s_delay_alu instid0(VALU_DEP_2) | instskip(NEXT) | instid1(VALU_DEP_1)
	v_mul_f32_e32 v8, v28, v8
	v_add_f32_e32 v8, v31, v8
	s_delay_alu instid0(VALU_DEP_1) | instskip(NEXT) | instid1(VALU_DEP_1)
	v_add_f32_e32 v28, v29, v8
	v_mul_f32_e32 v31, v28, v28
	s_wait_alu 0xfffe
	s_delay_alu instid0(VALU_DEP_1) | instskip(SKIP_1) | instid1(VALU_DEP_2)
	v_fmaak_f32 v32, s12, v31, 0x3ecc95a3
	v_mul_f32_e32 v33, v28, v31
	v_fmaak_f32 v31, v31, v32, 0x3f2aaada
	v_ldexp_f32 v32, v28, 1
	s_delay_alu instid0(VALU_DEP_2) | instskip(NEXT) | instid1(VALU_DEP_1)
	v_dual_sub_f32 v28, v28, v29 :: v_dual_mul_f32 v31, v33, v31
	v_dual_mul_f32 v33, 0x3f317218, v7 :: v_dual_sub_f32 v8, v8, v28
	s_delay_alu instid0(VALU_DEP_2) | instskip(NEXT) | instid1(VALU_DEP_2)
	v_add_f32_e32 v29, v32, v31
	v_ldexp_f32 v8, v8, 1
	s_delay_alu instid0(VALU_DEP_2) | instskip(NEXT) | instid1(VALU_DEP_4)
	v_sub_f32_e32 v28, v29, v32
	v_fma_f32 v32, 0x3f317218, v7, -v33
	s_delay_alu instid0(VALU_DEP_2) | instskip(NEXT) | instid1(VALU_DEP_1)
	v_sub_f32_e32 v28, v31, v28
	v_dual_fmamk_f32 v7, v7, 0xb102e308, v32 :: v_dual_add_f32 v8, v8, v28
	s_delay_alu instid0(VALU_DEP_1) | instskip(NEXT) | instid1(VALU_DEP_1)
	v_add_f32_e32 v31, v29, v8
	v_sub_f32_e32 v29, v31, v29
	s_delay_alu instid0(VALU_DEP_1) | instskip(NEXT) | instid1(VALU_DEP_4)
	v_sub_f32_e32 v8, v8, v29
	v_add_f32_e32 v28, v33, v7
	s_delay_alu instid0(VALU_DEP_1) | instskip(SKIP_1) | instid1(VALU_DEP_1)
	v_add_f32_e32 v32, v28, v31
	v_sub_f32_e32 v33, v28, v33
	v_dual_sub_f32 v7, v7, v33 :: v_dual_sub_f32 v34, v32, v28
	s_delay_alu instid0(VALU_DEP_1) | instskip(SKIP_1) | instid1(VALU_DEP_2)
	v_sub_f32_e32 v35, v32, v34
	v_sub_f32_e32 v29, v31, v34
	v_dual_add_f32 v31, v7, v8 :: v_dual_sub_f32 v28, v28, v35
	s_delay_alu instid0(VALU_DEP_1) | instskip(NEXT) | instid1(VALU_DEP_1)
	v_dual_add_f32 v28, v29, v28 :: v_dual_sub_f32 v29, v31, v7
	v_add_f32_e32 v28, v31, v28
	s_delay_alu instid0(VALU_DEP_2) | instskip(SKIP_1) | instid1(VALU_DEP_3)
	v_sub_f32_e32 v31, v31, v29
	v_sub_f32_e32 v8, v8, v29
	v_add_f32_e32 v33, v32, v28
	s_delay_alu instid0(VALU_DEP_3) | instskip(NEXT) | instid1(VALU_DEP_2)
	v_sub_f32_e32 v7, v7, v31
	v_sub_f32_e32 v29, v33, v32
	s_delay_alu instid0(VALU_DEP_2) | instskip(NEXT) | instid1(VALU_DEP_2)
	v_add_f32_e32 v7, v8, v7
	v_sub_f32_e32 v8, v28, v29
	s_delay_alu instid0(VALU_DEP_1) | instskip(NEXT) | instid1(VALU_DEP_1)
	v_add_f32_e32 v7, v7, v8
	v_add_f32_e32 v7, v33, v7
	s_wait_alu 0xfffd
	s_delay_alu instid0(VALU_DEP_1) | instskip(SKIP_2) | instid1(VALU_DEP_2)
	v_cndmask_b32_e32 v7, 0x7f800000, v7, vcc_lo
	v_cmp_gt_f32_e64 vcc_lo, 0x33800000, |v10|
	s_wait_alu 0xfffd
	v_cndmask_b32_e32 v7, v7, v10, vcc_lo
	s_delay_alu instid0(VALU_DEP_1) | instskip(NEXT) | instid1(VALU_DEP_1)
	v_add_f32_e32 v7, v9, v7
	v_cvt_f16_f32_e32 v7, v7
	s_delay_alu instid0(VALU_DEP_1)
	v_cvt_f32_f16_e32 v8, v7
	v_mov_b32_e32 v31, v7
.LBB356_47:
	s_wait_alu 0xfffe
	s_or_b32 exec_lo, exec_lo, s11
	v_cvt_f32_f16_e32 v28, v6
	v_max_num_f32_e32 v9, v8, v8
	v_cmp_u_f16_e32 vcc_lo, v7, v7
	v_cmp_u_f16_e64 s11, v6, v6
	s_delay_alu instid0(VALU_DEP_3) | instskip(SKIP_2) | instid1(VALU_DEP_2)
	v_min_num_f32_e32 v10, v9, v28
	v_max_num_f32_e32 v9, v9, v28
	s_wait_alu 0xfffd
	v_cndmask_b32_e32 v10, v10, v8, vcc_lo
	s_delay_alu instid0(VALU_DEP_2) | instskip(SKIP_1) | instid1(VALU_DEP_2)
	v_cndmask_b32_e32 v9, v9, v8, vcc_lo
	s_wait_alu 0xf1ff
	v_cndmask_b32_e64 v10, v10, v28, s11
	s_delay_alu instid0(VALU_DEP_2) | instskip(NEXT) | instid1(VALU_DEP_2)
	v_cndmask_b32_e64 v9, v9, v28, s11
	v_cmp_class_f32_e64 s12, v10, 0x1f8
	s_delay_alu instid0(VALU_DEP_2) | instskip(SKIP_1) | instid1(SALU_CYCLE_1)
	v_cmp_neq_f32_e32 vcc_lo, v10, v9
	s_or_b32 s14, vcc_lo, s12
	s_and_saveexec_b32 s12, s14
	s_cbranch_execz .LBB356_49
; %bb.48:
	v_sub_f32_e32 v7, v10, v9
	s_mov_b32 s14, 0x3e9b6dac
	s_delay_alu instid0(VALU_DEP_1) | instskip(NEXT) | instid1(VALU_DEP_1)
	v_mul_f32_e32 v8, 0x3fb8aa3b, v7
	v_fma_f32 v10, 0x3fb8aa3b, v7, -v8
	v_rndne_f32_e32 v29, v8
	s_delay_alu instid0(VALU_DEP_2) | instskip(NEXT) | instid1(VALU_DEP_2)
	v_fmamk_f32 v10, v7, 0x32a5705f, v10
	v_sub_f32_e32 v8, v8, v29
	s_delay_alu instid0(VALU_DEP_1) | instskip(SKIP_2) | instid1(VALU_DEP_3)
	v_add_f32_e32 v8, v8, v10
	v_cvt_i32_f32_e32 v10, v29
	v_cmp_ngt_f32_e32 vcc_lo, 0xc2ce8ed0, v7
	v_exp_f32_e32 v8, v8
	s_delay_alu instid0(TRANS32_DEP_1) | instskip(SKIP_1) | instid1(VALU_DEP_1)
	v_ldexp_f32 v8, v8, v10
	s_wait_alu 0xfffd
	v_cndmask_b32_e32 v8, 0, v8, vcc_lo
	v_cmp_nlt_f32_e32 vcc_lo, 0x42b17218, v7
	s_wait_alu 0xfffd
	s_delay_alu instid0(VALU_DEP_2) | instskip(NEXT) | instid1(VALU_DEP_1)
	v_cndmask_b32_e32 v10, 0x7f800000, v8, vcc_lo
	v_add_f32_e32 v29, 1.0, v10
	s_delay_alu instid0(VALU_DEP_1) | instskip(NEXT) | instid1(VALU_DEP_1)
	v_cvt_f64_f32_e32 v[7:8], v29
	v_frexp_exp_i32_f64_e32 v7, v[7:8]
	v_frexp_mant_f32_e32 v8, v29
	s_delay_alu instid0(VALU_DEP_1) | instskip(SKIP_1) | instid1(VALU_DEP_1)
	v_cmp_gt_f32_e32 vcc_lo, 0x3f2aaaab, v8
	v_add_f32_e32 v8, -1.0, v29
	v_sub_f32_e32 v32, v8, v29
	v_sub_f32_e32 v8, v10, v8
	s_delay_alu instid0(VALU_DEP_2) | instskip(NEXT) | instid1(VALU_DEP_1)
	v_add_f32_e32 v32, 1.0, v32
	v_add_f32_e32 v8, v8, v32
	s_wait_alu 0xfffd
	v_subrev_co_ci_u32_e64 v7, null, 0, v7, vcc_lo
	s_delay_alu instid0(VALU_DEP_1) | instskip(SKIP_1) | instid1(VALU_DEP_2)
	v_sub_nc_u32_e32 v31, 0, v7
	v_cvt_f32_i32_e32 v7, v7
	v_ldexp_f32 v29, v29, v31
	v_ldexp_f32 v8, v8, v31
	s_delay_alu instid0(VALU_DEP_2) | instskip(SKIP_1) | instid1(VALU_DEP_2)
	v_add_f32_e32 v33, 1.0, v29
	v_add_f32_e32 v31, -1.0, v29
	v_add_f32_e32 v32, -1.0, v33
	s_delay_alu instid0(VALU_DEP_2) | instskip(NEXT) | instid1(VALU_DEP_2)
	v_add_f32_e32 v34, 1.0, v31
	v_sub_f32_e32 v32, v29, v32
	s_delay_alu instid0(VALU_DEP_1) | instskip(NEXT) | instid1(VALU_DEP_1)
	v_dual_sub_f32 v29, v29, v34 :: v_dual_add_f32 v32, v8, v32
	v_add_f32_e32 v8, v8, v29
	s_delay_alu instid0(VALU_DEP_2) | instskip(NEXT) | instid1(VALU_DEP_2)
	v_add_f32_e32 v34, v33, v32
	v_add_f32_e32 v35, v31, v8
	s_delay_alu instid0(VALU_DEP_2) | instskip(SKIP_1) | instid1(VALU_DEP_2)
	v_rcp_f32_e32 v29, v34
	v_sub_f32_e32 v33, v33, v34
	v_sub_f32_e32 v31, v31, v35
	v_cmp_neq_f32_e32 vcc_lo, 0x7f800000, v10
	s_delay_alu instid0(VALU_DEP_3) | instskip(NEXT) | instid1(VALU_DEP_3)
	v_add_f32_e32 v32, v32, v33
	v_add_f32_e32 v8, v8, v31
	s_delay_alu instid0(TRANS32_DEP_1) | instskip(NEXT) | instid1(VALU_DEP_1)
	v_mul_f32_e32 v36, v35, v29
	v_mul_f32_e32 v37, v34, v36
	s_delay_alu instid0(VALU_DEP_1) | instskip(NEXT) | instid1(VALU_DEP_1)
	v_fma_f32 v33, v36, v34, -v37
	v_fmac_f32_e32 v33, v36, v32
	s_delay_alu instid0(VALU_DEP_1) | instskip(NEXT) | instid1(VALU_DEP_1)
	v_add_f32_e32 v38, v37, v33
	v_sub_f32_e32 v39, v35, v38
	v_sub_f32_e32 v31, v38, v37
	s_delay_alu instid0(VALU_DEP_2) | instskip(NEXT) | instid1(VALU_DEP_2)
	v_sub_f32_e32 v35, v35, v39
	v_sub_f32_e32 v31, v31, v33
	s_delay_alu instid0(VALU_DEP_2) | instskip(NEXT) | instid1(VALU_DEP_1)
	v_sub_f32_e32 v35, v35, v38
	v_add_f32_e32 v8, v8, v35
	s_delay_alu instid0(VALU_DEP_1) | instskip(NEXT) | instid1(VALU_DEP_1)
	v_add_f32_e32 v8, v31, v8
	v_add_f32_e32 v31, v39, v8
	s_delay_alu instid0(VALU_DEP_1) | instskip(NEXT) | instid1(VALU_DEP_1)
	v_mul_f32_e32 v33, v29, v31
	v_dual_sub_f32 v38, v39, v31 :: v_dual_mul_f32 v35, v34, v33
	s_delay_alu instid0(VALU_DEP_1) | instskip(NEXT) | instid1(VALU_DEP_2)
	v_add_f32_e32 v8, v8, v38
	v_fma_f32 v34, v33, v34, -v35
	s_delay_alu instid0(VALU_DEP_1) | instskip(NEXT) | instid1(VALU_DEP_1)
	v_fmac_f32_e32 v34, v33, v32
	v_add_f32_e32 v32, v35, v34
	s_delay_alu instid0(VALU_DEP_1) | instskip(SKIP_1) | instid1(VALU_DEP_2)
	v_sub_f32_e32 v37, v31, v32
	v_sub_f32_e32 v35, v32, v35
	;; [unrolled: 1-line block ×3, first 2 shown]
	s_delay_alu instid0(VALU_DEP_1) | instskip(NEXT) | instid1(VALU_DEP_3)
	v_sub_f32_e32 v31, v31, v32
	v_sub_f32_e32 v32, v35, v34
	s_delay_alu instid0(VALU_DEP_2) | instskip(SKIP_1) | instid1(VALU_DEP_2)
	v_add_f32_e32 v8, v8, v31
	v_add_f32_e32 v31, v36, v33
	;; [unrolled: 1-line block ×3, first 2 shown]
	s_delay_alu instid0(VALU_DEP_2) | instskip(NEXT) | instid1(VALU_DEP_2)
	v_sub_f32_e32 v32, v31, v36
	v_add_f32_e32 v8, v37, v8
	s_delay_alu instid0(VALU_DEP_2) | instskip(NEXT) | instid1(VALU_DEP_2)
	v_sub_f32_e32 v32, v33, v32
	v_mul_f32_e32 v8, v29, v8
	s_delay_alu instid0(VALU_DEP_1) | instskip(NEXT) | instid1(VALU_DEP_1)
	v_add_f32_e32 v8, v32, v8
	v_add_f32_e32 v29, v31, v8
	s_delay_alu instid0(VALU_DEP_1) | instskip(NEXT) | instid1(VALU_DEP_1)
	v_mul_f32_e32 v32, v29, v29
	v_fmaak_f32 v33, s14, v32, 0x3ecc95a3
	v_mul_f32_e32 v34, v29, v32
	s_delay_alu instid0(VALU_DEP_2) | instskip(SKIP_1) | instid1(VALU_DEP_2)
	v_fmaak_f32 v32, v32, v33, 0x3f2aaada
	v_ldexp_f32 v33, v29, 1
	v_dual_sub_f32 v29, v29, v31 :: v_dual_mul_f32 v32, v34, v32
	s_delay_alu instid0(VALU_DEP_1) | instskip(NEXT) | instid1(VALU_DEP_1)
	v_dual_sub_f32 v8, v8, v29 :: v_dual_add_f32 v31, v33, v32
	v_ldexp_f32 v8, v8, 1
	s_delay_alu instid0(VALU_DEP_2) | instskip(NEXT) | instid1(VALU_DEP_1)
	v_sub_f32_e32 v29, v31, v33
	v_sub_f32_e32 v29, v32, v29
	s_delay_alu instid0(VALU_DEP_1) | instskip(NEXT) | instid1(VALU_DEP_1)
	v_add_f32_e32 v8, v8, v29
	v_add_f32_e32 v32, v31, v8
	v_mul_f32_e32 v34, 0x3f317218, v7
	s_delay_alu instid0(VALU_DEP_2) | instskip(NEXT) | instid1(VALU_DEP_2)
	v_sub_f32_e32 v31, v32, v31
	v_fma_f32 v33, 0x3f317218, v7, -v34
	s_delay_alu instid0(VALU_DEP_1) | instskip(NEXT) | instid1(VALU_DEP_1)
	v_dual_sub_f32 v8, v8, v31 :: v_dual_fmamk_f32 v7, v7, 0xb102e308, v33
	v_add_f32_e32 v29, v34, v7
	s_delay_alu instid0(VALU_DEP_1) | instskip(SKIP_1) | instid1(VALU_DEP_2)
	v_add_f32_e32 v33, v29, v32
	v_sub_f32_e32 v34, v29, v34
	v_sub_f32_e32 v35, v33, v29
	s_delay_alu instid0(VALU_DEP_2) | instskip(NEXT) | instid1(VALU_DEP_1)
	v_sub_f32_e32 v7, v7, v34
	v_dual_sub_f32 v31, v32, v35 :: v_dual_add_f32 v32, v7, v8
	v_sub_f32_e32 v36, v33, v35
	s_delay_alu instid0(VALU_DEP_1) | instskip(NEXT) | instid1(VALU_DEP_1)
	v_sub_f32_e32 v29, v29, v36
	v_add_f32_e32 v29, v31, v29
	s_delay_alu instid0(VALU_DEP_4) | instskip(NEXT) | instid1(VALU_DEP_2)
	v_sub_f32_e32 v31, v32, v7
	v_add_f32_e32 v29, v32, v29
	s_delay_alu instid0(VALU_DEP_2) | instskip(SKIP_1) | instid1(VALU_DEP_2)
	v_sub_f32_e32 v32, v32, v31
	v_sub_f32_e32 v8, v8, v31
	v_dual_add_f32 v34, v33, v29 :: v_dual_sub_f32 v7, v7, v32
	s_delay_alu instid0(VALU_DEP_1) | instskip(NEXT) | instid1(VALU_DEP_2)
	v_sub_f32_e32 v31, v34, v33
	v_add_f32_e32 v7, v8, v7
	s_delay_alu instid0(VALU_DEP_2) | instskip(NEXT) | instid1(VALU_DEP_1)
	v_sub_f32_e32 v8, v29, v31
	v_add_f32_e32 v7, v7, v8
	s_delay_alu instid0(VALU_DEP_1) | instskip(SKIP_1) | instid1(VALU_DEP_1)
	v_add_f32_e32 v7, v34, v7
	s_wait_alu 0xfffd
	v_cndmask_b32_e32 v7, 0x7f800000, v7, vcc_lo
	v_cmp_gt_f32_e64 vcc_lo, 0x33800000, |v10|
	s_wait_alu 0xfffd
	s_delay_alu instid0(VALU_DEP_2) | instskip(NEXT) | instid1(VALU_DEP_1)
	v_cndmask_b32_e32 v7, v7, v10, vcc_lo
	v_add_f32_e32 v7, v9, v7
	s_delay_alu instid0(VALU_DEP_1) | instskip(NEXT) | instid1(VALU_DEP_1)
	v_cvt_f16_f32_e32 v7, v7
	v_cvt_f32_f16_e32 v8, v7
	v_mov_b32_e32 v31, v7
.LBB356_49:
	s_wait_alu 0xfffe
	s_or_b32 exec_lo, exec_lo, s12
	v_cvt_f32_f16_e32 v29, v14
	v_max_num_f32_e32 v9, v8, v8
	v_cmp_u_f16_e32 vcc_lo, v7, v7
	v_cmp_u_f16_e64 s12, v14, v14
	s_delay_alu instid0(VALU_DEP_3) | instskip(SKIP_2) | instid1(VALU_DEP_2)
	v_min_num_f32_e32 v10, v9, v29
	v_max_num_f32_e32 v9, v9, v29
	s_wait_alu 0xfffd
	v_cndmask_b32_e32 v7, v10, v8, vcc_lo
	s_delay_alu instid0(VALU_DEP_2) | instskip(SKIP_1) | instid1(VALU_DEP_2)
	v_cndmask_b32_e32 v9, v9, v8, vcc_lo
	s_wait_alu 0xf1ff
	v_cndmask_b32_e64 v8, v7, v29, s12
	s_delay_alu instid0(VALU_DEP_2) | instskip(NEXT) | instid1(VALU_DEP_2)
	v_cndmask_b32_e64 v7, v9, v29, s12
	v_cmp_class_f32_e64 s14, v8, 0x1f8
	s_delay_alu instid0(VALU_DEP_2)
	v_cmp_neq_f32_e32 vcc_lo, v8, v7
	s_or_b32 s15, vcc_lo, s14
	s_wait_alu 0xfffe
	s_and_saveexec_b32 s14, s15
	s_cbranch_execz .LBB356_51
; %bb.50:
	v_sub_f32_e32 v8, v8, v7
	s_mov_b32 s15, 0x3e9b6dac
	s_delay_alu instid0(VALU_DEP_1) | instskip(NEXT) | instid1(VALU_DEP_1)
	v_mul_f32_e32 v9, 0x3fb8aa3b, v8
	v_fma_f32 v10, 0x3fb8aa3b, v8, -v9
	v_rndne_f32_e32 v31, v9
	s_delay_alu instid0(VALU_DEP_1) | instskip(NEXT) | instid1(VALU_DEP_1)
	v_dual_fmamk_f32 v10, v8, 0x32a5705f, v10 :: v_dual_sub_f32 v9, v9, v31
	v_add_f32_e32 v9, v9, v10
	v_cvt_i32_f32_e32 v10, v31
	v_cmp_ngt_f32_e32 vcc_lo, 0xc2ce8ed0, v8
	s_delay_alu instid0(VALU_DEP_3) | instskip(NEXT) | instid1(TRANS32_DEP_1)
	v_exp_f32_e32 v9, v9
	v_ldexp_f32 v9, v9, v10
	s_wait_alu 0xfffd
	s_delay_alu instid0(VALU_DEP_1) | instskip(SKIP_2) | instid1(VALU_DEP_2)
	v_cndmask_b32_e32 v9, 0, v9, vcc_lo
	v_cmp_nlt_f32_e32 vcc_lo, 0x42b17218, v8
	s_wait_alu 0xfffd
	v_cndmask_b32_e32 v10, 0x7f800000, v9, vcc_lo
	s_delay_alu instid0(VALU_DEP_1) | instskip(NEXT) | instid1(VALU_DEP_1)
	v_add_f32_e32 v31, 1.0, v10
	v_cvt_f64_f32_e32 v[8:9], v31
	s_delay_alu instid0(VALU_DEP_1) | instskip(SKIP_1) | instid1(VALU_DEP_1)
	v_frexp_exp_i32_f64_e32 v8, v[8:9]
	v_frexp_mant_f32_e32 v9, v31
	v_cmp_gt_f32_e32 vcc_lo, 0x3f2aaaab, v9
	v_add_f32_e32 v9, -1.0, v31
	s_delay_alu instid0(VALU_DEP_1) | instskip(SKIP_4) | instid1(VALU_DEP_2)
	v_sub_f32_e32 v33, v9, v31
	v_sub_f32_e32 v9, v10, v9
	s_wait_alu 0xfffd
	v_subrev_co_ci_u32_e64 v8, null, 0, v8, vcc_lo
	v_cmp_neq_f32_e32 vcc_lo, 0x7f800000, v10
	v_sub_nc_u32_e32 v32, 0, v8
	v_cvt_f32_i32_e32 v8, v8
	s_delay_alu instid0(VALU_DEP_2) | instskip(NEXT) | instid1(VALU_DEP_1)
	v_ldexp_f32 v31, v31, v32
	v_dual_add_f32 v34, 1.0, v31 :: v_dual_add_f32 v33, 1.0, v33
	s_delay_alu instid0(VALU_DEP_1) | instskip(NEXT) | instid1(VALU_DEP_2)
	v_add_f32_e32 v9, v9, v33
	v_add_f32_e32 v33, -1.0, v34
	s_delay_alu instid0(VALU_DEP_2) | instskip(NEXT) | instid1(VALU_DEP_2)
	v_ldexp_f32 v9, v9, v32
	v_dual_add_f32 v32, -1.0, v31 :: v_dual_sub_f32 v33, v31, v33
	s_delay_alu instid0(VALU_DEP_1) | instskip(NEXT) | instid1(VALU_DEP_2)
	v_add_f32_e32 v35, 1.0, v32
	v_add_f32_e32 v33, v9, v33
	s_delay_alu instid0(VALU_DEP_2) | instskip(NEXT) | instid1(VALU_DEP_2)
	v_sub_f32_e32 v31, v31, v35
	v_add_f32_e32 v35, v34, v33
	s_delay_alu instid0(VALU_DEP_2) | instskip(NEXT) | instid1(VALU_DEP_2)
	v_add_f32_e32 v9, v9, v31
	v_rcp_f32_e32 v31, v35
	v_sub_f32_e32 v34, v34, v35
	s_delay_alu instid0(VALU_DEP_1) | instskip(NEXT) | instid1(VALU_DEP_1)
	v_dual_add_f32 v36, v32, v9 :: v_dual_add_f32 v33, v33, v34
	v_sub_f32_e32 v32, v32, v36
	s_delay_alu instid0(TRANS32_DEP_1) | instskip(NEXT) | instid1(VALU_DEP_1)
	v_mul_f32_e32 v37, v36, v31
	v_dual_add_f32 v9, v9, v32 :: v_dual_mul_f32 v38, v35, v37
	s_delay_alu instid0(VALU_DEP_1) | instskip(NEXT) | instid1(VALU_DEP_1)
	v_fma_f32 v34, v37, v35, -v38
	v_fmac_f32_e32 v34, v37, v33
	s_delay_alu instid0(VALU_DEP_1) | instskip(NEXT) | instid1(VALU_DEP_1)
	v_add_f32_e32 v39, v38, v34
	v_sub_f32_e32 v40, v36, v39
	v_sub_f32_e32 v32, v39, v38
	s_delay_alu instid0(VALU_DEP_2) | instskip(NEXT) | instid1(VALU_DEP_2)
	v_sub_f32_e32 v36, v36, v40
	v_sub_f32_e32 v32, v32, v34
	s_delay_alu instid0(VALU_DEP_2) | instskip(NEXT) | instid1(VALU_DEP_1)
	v_sub_f32_e32 v36, v36, v39
	v_add_f32_e32 v9, v9, v36
	s_delay_alu instid0(VALU_DEP_1) | instskip(NEXT) | instid1(VALU_DEP_1)
	v_add_f32_e32 v9, v32, v9
	v_add_f32_e32 v32, v40, v9
	s_delay_alu instid0(VALU_DEP_1) | instskip(NEXT) | instid1(VALU_DEP_1)
	v_mul_f32_e32 v34, v31, v32
	v_dual_sub_f32 v39, v40, v32 :: v_dual_mul_f32 v36, v35, v34
	s_delay_alu instid0(VALU_DEP_1) | instskip(NEXT) | instid1(VALU_DEP_2)
	v_add_f32_e32 v9, v9, v39
	v_fma_f32 v35, v34, v35, -v36
	s_delay_alu instid0(VALU_DEP_1) | instskip(NEXT) | instid1(VALU_DEP_1)
	v_fmac_f32_e32 v35, v34, v33
	v_add_f32_e32 v33, v36, v35
	s_delay_alu instid0(VALU_DEP_1) | instskip(SKIP_1) | instid1(VALU_DEP_2)
	v_sub_f32_e32 v38, v32, v33
	v_sub_f32_e32 v36, v33, v36
	;; [unrolled: 1-line block ×3, first 2 shown]
	s_delay_alu instid0(VALU_DEP_1) | instskip(NEXT) | instid1(VALU_DEP_3)
	v_sub_f32_e32 v32, v32, v33
	v_sub_f32_e32 v33, v36, v35
	s_delay_alu instid0(VALU_DEP_2) | instskip(SKIP_1) | instid1(VALU_DEP_2)
	v_add_f32_e32 v9, v9, v32
	v_add_f32_e32 v32, v37, v34
	;; [unrolled: 1-line block ×3, first 2 shown]
	s_delay_alu instid0(VALU_DEP_2) | instskip(NEXT) | instid1(VALU_DEP_2)
	v_sub_f32_e32 v33, v32, v37
	v_add_f32_e32 v9, v38, v9
	s_delay_alu instid0(VALU_DEP_2) | instskip(NEXT) | instid1(VALU_DEP_2)
	v_sub_f32_e32 v33, v34, v33
	v_mul_f32_e32 v9, v31, v9
	s_delay_alu instid0(VALU_DEP_1) | instskip(NEXT) | instid1(VALU_DEP_1)
	v_add_f32_e32 v9, v33, v9
	v_add_f32_e32 v31, v32, v9
	s_delay_alu instid0(VALU_DEP_1) | instskip(SKIP_1) | instid1(VALU_DEP_1)
	v_mul_f32_e32 v33, v31, v31
	s_wait_alu 0xfffe
	v_fmaak_f32 v34, s15, v33, 0x3ecc95a3
	v_mul_f32_e32 v35, v31, v33
	s_delay_alu instid0(VALU_DEP_2) | instskip(SKIP_2) | instid1(VALU_DEP_3)
	v_fmaak_f32 v33, v33, v34, 0x3f2aaada
	v_ldexp_f32 v34, v31, 1
	v_sub_f32_e32 v31, v31, v32
	v_mul_f32_e32 v33, v35, v33
	v_mul_f32_e32 v35, 0x3f317218, v8
	s_delay_alu instid0(VALU_DEP_2) | instskip(NEXT) | instid1(VALU_DEP_1)
	v_dual_sub_f32 v9, v9, v31 :: v_dual_add_f32 v32, v34, v33
	v_ldexp_f32 v9, v9, 1
	s_delay_alu instid0(VALU_DEP_2) | instskip(NEXT) | instid1(VALU_DEP_4)
	v_sub_f32_e32 v31, v32, v34
	v_fma_f32 v34, 0x3f317218, v8, -v35
	s_delay_alu instid0(VALU_DEP_1) | instskip(NEXT) | instid1(VALU_DEP_1)
	v_dual_sub_f32 v31, v33, v31 :: v_dual_fmamk_f32 v8, v8, 0xb102e308, v34
	v_add_f32_e32 v9, v9, v31
	s_delay_alu instid0(VALU_DEP_2) | instskip(NEXT) | instid1(VALU_DEP_2)
	v_add_f32_e32 v31, v35, v8
	v_add_f32_e32 v33, v32, v9
	s_delay_alu instid0(VALU_DEP_2) | instskip(NEXT) | instid1(VALU_DEP_2)
	v_sub_f32_e32 v35, v31, v35
	v_add_f32_e32 v34, v31, v33
	v_sub_f32_e32 v32, v33, v32
	s_delay_alu instid0(VALU_DEP_3) | instskip(NEXT) | instid1(VALU_DEP_2)
	v_sub_f32_e32 v8, v8, v35
	v_dual_sub_f32 v36, v34, v31 :: v_dual_sub_f32 v9, v9, v32
	s_delay_alu instid0(VALU_DEP_1) | instskip(NEXT) | instid1(VALU_DEP_2)
	v_sub_f32_e32 v37, v34, v36
	v_dual_sub_f32 v32, v33, v36 :: v_dual_add_f32 v33, v8, v9
	s_delay_alu instid0(VALU_DEP_2) | instskip(NEXT) | instid1(VALU_DEP_1)
	v_sub_f32_e32 v31, v31, v37
	v_dual_add_f32 v31, v32, v31 :: v_dual_sub_f32 v32, v33, v8
	s_delay_alu instid0(VALU_DEP_1) | instskip(NEXT) | instid1(VALU_DEP_2)
	v_add_f32_e32 v31, v33, v31
	v_sub_f32_e32 v33, v33, v32
	v_sub_f32_e32 v9, v9, v32
	s_delay_alu instid0(VALU_DEP_2) | instskip(NEXT) | instid1(VALU_DEP_1)
	v_dual_add_f32 v35, v34, v31 :: v_dual_sub_f32 v8, v8, v33
	v_sub_f32_e32 v32, v35, v34
	s_delay_alu instid0(VALU_DEP_2) | instskip(NEXT) | instid1(VALU_DEP_2)
	v_add_f32_e32 v8, v9, v8
	v_sub_f32_e32 v9, v31, v32
	s_delay_alu instid0(VALU_DEP_1) | instskip(NEXT) | instid1(VALU_DEP_1)
	v_add_f32_e32 v8, v8, v9
	v_add_f32_e32 v8, v35, v8
	s_wait_alu 0xfffd
	s_delay_alu instid0(VALU_DEP_1) | instskip(SKIP_2) | instid1(VALU_DEP_2)
	v_cndmask_b32_e32 v8, 0x7f800000, v8, vcc_lo
	v_cmp_gt_f32_e64 vcc_lo, 0x33800000, |v10|
	s_wait_alu 0xfffd
	v_cndmask_b32_e32 v8, v8, v10, vcc_lo
	s_delay_alu instid0(VALU_DEP_1) | instskip(NEXT) | instid1(VALU_DEP_1)
	v_add_f32_e32 v7, v7, v8
	v_cvt_f16_f32_e32 v31, v7
.LBB356_51:
	s_wait_alu 0xfffe
	s_or_b32 exec_lo, exec_lo, s14
	v_lshrrev_b32_e32 v7, 4, v0
	v_cmp_gt_u32_e32 vcc_lo, 32, v0
	s_delay_alu instid0(VALU_DEP_2) | instskip(NEXT) | instid1(VALU_DEP_1)
	v_and_b32_e32 v7, 14, v7
	v_lshl_add_u32 v7, v0, 1, v7
	ds_store_b16 v7, v31
	s_wait_loadcnt_dscnt 0x0
	s_barrier_signal -1
	s_barrier_wait -1
	global_inv scope:SCOPE_SE
	s_and_saveexec_b32 s16, vcc_lo
	s_cbranch_execz .LBB356_103
; %bb.52:
	v_lshrrev_b32_e32 v7, 1, v0
	v_lshlrev_b32_e32 v8, 4, v0
	s_delay_alu instid0(VALU_DEP_2) | instskip(NEXT) | instid1(VALU_DEP_1)
	v_and_b32_e32 v7, 0x7e, v7
	v_add_nc_u32_e32 v7, v7, v8
	ds_load_u16 v32, v7
	ds_load_u16 v9, v7 offset:2
	s_wait_dscnt 0x1
	v_cvt_f32_f16_e32 v8, v32
	s_wait_dscnt 0x0
	v_cvt_f32_f16_e32 v10, v9
	v_cmp_u_f16_e64 s14, v32, v32
	v_cmp_u_f16_e64 s15, v9, v9
	v_mov_b32_e32 v9, v8
	s_delay_alu instid0(VALU_DEP_4) | instskip(SKIP_2) | instid1(VALU_DEP_2)
	v_min_num_f32_e32 v33, v8, v10
	v_max_num_f32_e32 v34, v8, v10
	s_wait_alu 0xf1ff
	v_cndmask_b32_e64 v33, v33, v8, s14
	s_delay_alu instid0(VALU_DEP_2) | instskip(NEXT) | instid1(VALU_DEP_2)
	v_cndmask_b32_e64 v34, v34, v8, s14
	v_cndmask_b32_e64 v33, v33, v10, s15
	s_delay_alu instid0(VALU_DEP_2) | instskip(NEXT) | instid1(VALU_DEP_2)
	v_cndmask_b32_e64 v10, v34, v10, s15
	v_cmp_class_f32_e64 s22, v33, 0x1f8
	s_delay_alu instid0(VALU_DEP_2)
	v_cmp_neq_f32_e64 s15, v33, v10
	s_or_b32 s15, s15, s22
	s_wait_alu 0xfffe
	s_and_saveexec_b32 s22, s15
	s_cbranch_execz .LBB356_54
; %bb.53:
	v_sub_f32_e32 v9, v33, v10
	s_delay_alu instid0(VALU_DEP_1) | instskip(NEXT) | instid1(VALU_DEP_1)
	v_mul_f32_e32 v32, 0x3fb8aa3b, v9
	v_fma_f32 v33, 0x3fb8aa3b, v9, -v32
	v_rndne_f32_e32 v34, v32
	s_delay_alu instid0(VALU_DEP_1) | instskip(NEXT) | instid1(VALU_DEP_1)
	v_dual_fmamk_f32 v33, v9, 0x32a5705f, v33 :: v_dual_sub_f32 v32, v32, v34
	v_add_f32_e32 v32, v32, v33
	v_cvt_i32_f32_e32 v33, v34
	v_cmp_ngt_f32_e64 s15, 0xc2ce8ed0, v9
	s_delay_alu instid0(VALU_DEP_3) | instskip(NEXT) | instid1(TRANS32_DEP_1)
	v_exp_f32_e32 v32, v32
	v_ldexp_f32 v32, v32, v33
	s_wait_alu 0xf1ff
	s_delay_alu instid0(VALU_DEP_1) | instskip(SKIP_2) | instid1(VALU_DEP_1)
	v_cndmask_b32_e64 v32, 0, v32, s15
	v_cmp_nlt_f32_e64 s15, 0x42b17218, v9
	s_wait_alu 0xf1ff
	v_cndmask_b32_e64 v9, 0x7f800000, v32, s15
	s_delay_alu instid0(VALU_DEP_1) | instskip(NEXT) | instid1(VALU_DEP_1)
	v_add_f32_e32 v34, 1.0, v9
	v_cvt_f64_f32_e32 v[32:33], v34
	s_delay_alu instid0(VALU_DEP_1) | instskip(SKIP_1) | instid1(VALU_DEP_1)
	v_frexp_exp_i32_f64_e32 v32, v[32:33]
	v_frexp_mant_f32_e32 v33, v34
	v_cmp_gt_f32_e64 s15, 0x3f2aaaab, v33
	v_add_f32_e32 v33, -1.0, v34
	s_delay_alu instid0(VALU_DEP_1) | instskip(NEXT) | instid1(VALU_DEP_1)
	v_sub_f32_e32 v36, v33, v34
	v_dual_sub_f32 v33, v9, v33 :: v_dual_add_f32 v36, 1.0, v36
	s_delay_alu instid0(VALU_DEP_1)
	v_add_f32_e32 v33, v33, v36
	s_wait_alu 0xf1ff
	v_subrev_co_ci_u32_e64 v32, null, 0, v32, s15
	s_mov_b32 s15, 0x3e9b6dac
	v_sub_nc_u32_e32 v35, 0, v32
	v_cvt_f32_i32_e32 v32, v32
	s_delay_alu instid0(VALU_DEP_2) | instskip(SKIP_1) | instid1(VALU_DEP_2)
	v_ldexp_f32 v34, v34, v35
	v_ldexp_f32 v33, v33, v35
	v_add_f32_e32 v37, 1.0, v34
	s_delay_alu instid0(VALU_DEP_1) | instskip(NEXT) | instid1(VALU_DEP_1)
	v_dual_add_f32 v35, -1.0, v34 :: v_dual_add_f32 v36, -1.0, v37
	v_add_f32_e32 v38, 1.0, v35
	s_delay_alu instid0(VALU_DEP_2) | instskip(NEXT) | instid1(VALU_DEP_2)
	v_sub_f32_e32 v36, v34, v36
	v_sub_f32_e32 v34, v34, v38
	s_delay_alu instid0(VALU_DEP_2) | instskip(NEXT) | instid1(VALU_DEP_2)
	v_add_f32_e32 v36, v33, v36
	v_add_f32_e32 v33, v33, v34
	s_delay_alu instid0(VALU_DEP_1) | instskip(NEXT) | instid1(VALU_DEP_1)
	v_dual_add_f32 v39, v35, v33 :: v_dual_add_f32 v38, v37, v36
	v_sub_f32_e32 v35, v35, v39
	s_delay_alu instid0(VALU_DEP_2) | instskip(SKIP_1) | instid1(VALU_DEP_1)
	v_rcp_f32_e32 v34, v38
	v_sub_f32_e32 v37, v37, v38
	v_dual_add_f32 v33, v33, v35 :: v_dual_add_f32 v36, v36, v37
	s_delay_alu instid0(TRANS32_DEP_1) | instskip(NEXT) | instid1(VALU_DEP_1)
	v_mul_f32_e32 v40, v39, v34
	v_mul_f32_e32 v41, v38, v40
	s_delay_alu instid0(VALU_DEP_1) | instskip(NEXT) | instid1(VALU_DEP_1)
	v_fma_f32 v37, v40, v38, -v41
	v_fmac_f32_e32 v37, v40, v36
	s_delay_alu instid0(VALU_DEP_1) | instskip(NEXT) | instid1(VALU_DEP_1)
	v_add_f32_e32 v42, v41, v37
	v_sub_f32_e32 v43, v39, v42
	s_delay_alu instid0(VALU_DEP_1) | instskip(SKIP_1) | instid1(VALU_DEP_2)
	v_sub_f32_e32 v39, v39, v43
	v_sub_f32_e32 v35, v42, v41
	;; [unrolled: 1-line block ×3, first 2 shown]
	s_delay_alu instid0(VALU_DEP_2) | instskip(NEXT) | instid1(VALU_DEP_2)
	v_sub_f32_e32 v35, v35, v37
	v_add_f32_e32 v33, v33, v39
	s_delay_alu instid0(VALU_DEP_1) | instskip(NEXT) | instid1(VALU_DEP_1)
	v_add_f32_e32 v33, v35, v33
	v_add_f32_e32 v35, v43, v33
	s_delay_alu instid0(VALU_DEP_1) | instskip(NEXT) | instid1(VALU_DEP_1)
	v_mul_f32_e32 v37, v34, v35
	v_dual_sub_f32 v42, v43, v35 :: v_dual_mul_f32 v39, v38, v37
	s_delay_alu instid0(VALU_DEP_1) | instskip(NEXT) | instid1(VALU_DEP_2)
	v_add_f32_e32 v33, v33, v42
	v_fma_f32 v38, v37, v38, -v39
	s_delay_alu instid0(VALU_DEP_1) | instskip(NEXT) | instid1(VALU_DEP_1)
	v_fmac_f32_e32 v38, v37, v36
	v_add_f32_e32 v36, v39, v38
	s_delay_alu instid0(VALU_DEP_1) | instskip(SKIP_1) | instid1(VALU_DEP_2)
	v_sub_f32_e32 v41, v35, v36
	v_sub_f32_e32 v39, v36, v39
	;; [unrolled: 1-line block ×3, first 2 shown]
	s_delay_alu instid0(VALU_DEP_1) | instskip(NEXT) | instid1(VALU_DEP_1)
	v_sub_f32_e32 v35, v35, v36
	v_dual_sub_f32 v36, v39, v38 :: v_dual_add_f32 v33, v33, v35
	v_add_f32_e32 v35, v40, v37
	s_delay_alu instid0(VALU_DEP_1) | instskip(NEXT) | instid1(VALU_DEP_1)
	v_dual_add_f32 v33, v36, v33 :: v_dual_sub_f32 v36, v35, v40
	v_add_f32_e32 v33, v41, v33
	s_delay_alu instid0(VALU_DEP_1) | instskip(NEXT) | instid1(VALU_DEP_1)
	v_dual_sub_f32 v36, v37, v36 :: v_dual_mul_f32 v33, v34, v33
	v_add_f32_e32 v33, v36, v33
	s_delay_alu instid0(VALU_DEP_1) | instskip(NEXT) | instid1(VALU_DEP_1)
	v_add_f32_e32 v34, v35, v33
	v_mul_f32_e32 v36, v34, v34
	s_wait_alu 0xfffe
	s_delay_alu instid0(VALU_DEP_1) | instskip(SKIP_2) | instid1(VALU_DEP_3)
	v_fmaak_f32 v37, s15, v36, 0x3ecc95a3
	v_mul_f32_e32 v38, v34, v36
	v_cmp_neq_f32_e64 s15, 0x7f800000, v9
	v_fmaak_f32 v36, v36, v37, 0x3f2aaada
	v_ldexp_f32 v37, v34, 1
	v_sub_f32_e32 v34, v34, v35
	s_delay_alu instid0(VALU_DEP_3) | instskip(NEXT) | instid1(VALU_DEP_2)
	v_mul_f32_e32 v36, v38, v36
	v_dual_mul_f32 v38, 0x3f317218, v32 :: v_dual_sub_f32 v33, v33, v34
	s_delay_alu instid0(VALU_DEP_2) | instskip(NEXT) | instid1(VALU_DEP_2)
	v_add_f32_e32 v35, v37, v36
	v_ldexp_f32 v33, v33, 1
	s_delay_alu instid0(VALU_DEP_2) | instskip(NEXT) | instid1(VALU_DEP_4)
	v_sub_f32_e32 v34, v35, v37
	v_fma_f32 v37, 0x3f317218, v32, -v38
	s_delay_alu instid0(VALU_DEP_2) | instskip(NEXT) | instid1(VALU_DEP_1)
	v_sub_f32_e32 v34, v36, v34
	v_dual_fmamk_f32 v32, v32, 0xb102e308, v37 :: v_dual_add_f32 v33, v33, v34
	s_delay_alu instid0(VALU_DEP_1) | instskip(NEXT) | instid1(VALU_DEP_1)
	v_add_f32_e32 v34, v38, v32
	v_sub_f32_e32 v38, v34, v38
	s_delay_alu instid0(VALU_DEP_1) | instskip(NEXT) | instid1(VALU_DEP_4)
	v_sub_f32_e32 v32, v32, v38
	v_add_f32_e32 v36, v35, v33
	s_delay_alu instid0(VALU_DEP_1) | instskip(NEXT) | instid1(VALU_DEP_1)
	v_sub_f32_e32 v35, v36, v35
	v_sub_f32_e32 v33, v33, v35
	v_add_f32_e32 v37, v34, v36
	s_delay_alu instid0(VALU_DEP_1) | instskip(NEXT) | instid1(VALU_DEP_1)
	v_sub_f32_e32 v39, v37, v34
	v_sub_f32_e32 v35, v36, v39
	s_delay_alu instid0(VALU_DEP_4) | instskip(SKIP_1) | instid1(VALU_DEP_1)
	v_add_f32_e32 v36, v32, v33
	v_sub_f32_e32 v40, v37, v39
	v_sub_f32_e32 v34, v34, v40
	s_delay_alu instid0(VALU_DEP_1) | instskip(NEXT) | instid1(VALU_DEP_1)
	v_dual_add_f32 v34, v35, v34 :: v_dual_sub_f32 v35, v36, v32
	v_dual_add_f32 v34, v36, v34 :: v_dual_sub_f32 v33, v33, v35
	v_sub_f32_e32 v36, v36, v35
	s_delay_alu instid0(VALU_DEP_2) | instskip(NEXT) | instid1(VALU_DEP_1)
	v_add_f32_e32 v38, v37, v34
	v_dual_sub_f32 v32, v32, v36 :: v_dual_sub_f32 v35, v38, v37
	s_delay_alu instid0(VALU_DEP_1) | instskip(NEXT) | instid1(VALU_DEP_1)
	v_dual_add_f32 v32, v33, v32 :: v_dual_sub_f32 v33, v34, v35
	v_add_f32_e32 v32, v32, v33
	s_delay_alu instid0(VALU_DEP_1) | instskip(SKIP_1) | instid1(VALU_DEP_1)
	v_add_f32_e32 v32, v38, v32
	s_wait_alu 0xf1ff
	v_cndmask_b32_e64 v32, 0x7f800000, v32, s15
	v_cmp_gt_f32_e64 s15, 0x33800000, |v9|
	s_wait_alu 0xf1ff
	s_delay_alu instid0(VALU_DEP_1) | instskip(NEXT) | instid1(VALU_DEP_1)
	v_cndmask_b32_e64 v9, v32, v9, s15
	v_add_f32_e32 v9, v10, v9
	s_delay_alu instid0(VALU_DEP_1) | instskip(NEXT) | instid1(VALU_DEP_1)
	v_cvt_f16_f32_e32 v32, v9
	v_cvt_f32_f16_e32 v9, v32
.LBB356_54:
	s_or_b32 exec_lo, exec_lo, s22
	ds_load_u16 v10, v7 offset:4
	v_max_num_f32_e32 v33, v9, v9
	v_cmp_u_f16_e64 s15, v32, v32
	s_wait_dscnt 0x0
	v_cvt_f32_f16_e32 v34, v10
	s_delay_alu instid0(VALU_DEP_1) | instskip(SKIP_2) | instid1(VALU_DEP_2)
	v_min_num_f32_e32 v35, v33, v34
	v_max_num_f32_e32 v33, v33, v34
	s_wait_alu 0xf1ff
	v_cndmask_b32_e64 v35, v35, v9, s15
	s_delay_alu instid0(VALU_DEP_2) | instskip(SKIP_2) | instid1(VALU_DEP_1)
	v_cndmask_b32_e64 v36, v33, v9, s15
	v_cmp_u_f16_e64 s15, v10, v10
	s_wait_alu 0xf1ff
	v_cndmask_b32_e64 v33, v35, v34, s15
	s_delay_alu instid0(VALU_DEP_3) | instskip(NEXT) | instid1(VALU_DEP_2)
	v_cndmask_b32_e64 v10, v36, v34, s15
	v_cmp_class_f32_e64 s22, v33, 0x1f8
	s_delay_alu instid0(VALU_DEP_2)
	v_cmp_neq_f32_e64 s15, v33, v10
	s_or_b32 s15, s15, s22
	s_wait_alu 0xfffe
	s_and_saveexec_b32 s22, s15
	s_cbranch_execz .LBB356_56
; %bb.55:
	v_sub_f32_e32 v9, v33, v10
	s_delay_alu instid0(VALU_DEP_1) | instskip(NEXT) | instid1(VALU_DEP_1)
	v_mul_f32_e32 v32, 0x3fb8aa3b, v9
	v_fma_f32 v33, 0x3fb8aa3b, v9, -v32
	v_rndne_f32_e32 v34, v32
	s_delay_alu instid0(VALU_DEP_1) | instskip(NEXT) | instid1(VALU_DEP_1)
	v_dual_fmamk_f32 v33, v9, 0x32a5705f, v33 :: v_dual_sub_f32 v32, v32, v34
	v_add_f32_e32 v32, v32, v33
	v_cvt_i32_f32_e32 v33, v34
	v_cmp_ngt_f32_e64 s15, 0xc2ce8ed0, v9
	s_delay_alu instid0(VALU_DEP_3) | instskip(NEXT) | instid1(TRANS32_DEP_1)
	v_exp_f32_e32 v32, v32
	v_ldexp_f32 v32, v32, v33
	s_wait_alu 0xf1ff
	s_delay_alu instid0(VALU_DEP_1) | instskip(SKIP_2) | instid1(VALU_DEP_1)
	v_cndmask_b32_e64 v32, 0, v32, s15
	v_cmp_nlt_f32_e64 s15, 0x42b17218, v9
	s_wait_alu 0xf1ff
	v_cndmask_b32_e64 v9, 0x7f800000, v32, s15
	s_delay_alu instid0(VALU_DEP_1) | instskip(NEXT) | instid1(VALU_DEP_1)
	v_add_f32_e32 v34, 1.0, v9
	v_cvt_f64_f32_e32 v[32:33], v34
	s_delay_alu instid0(VALU_DEP_1) | instskip(SKIP_1) | instid1(VALU_DEP_1)
	v_frexp_exp_i32_f64_e32 v32, v[32:33]
	v_frexp_mant_f32_e32 v33, v34
	v_cmp_gt_f32_e64 s15, 0x3f2aaaab, v33
	v_add_f32_e32 v33, -1.0, v34
	s_delay_alu instid0(VALU_DEP_1) | instskip(NEXT) | instid1(VALU_DEP_1)
	v_sub_f32_e32 v36, v33, v34
	v_dual_sub_f32 v33, v9, v33 :: v_dual_add_f32 v36, 1.0, v36
	s_delay_alu instid0(VALU_DEP_1)
	v_add_f32_e32 v33, v33, v36
	s_wait_alu 0xf1ff
	v_subrev_co_ci_u32_e64 v32, null, 0, v32, s15
	s_mov_b32 s15, 0x3e9b6dac
	v_sub_nc_u32_e32 v35, 0, v32
	v_cvt_f32_i32_e32 v32, v32
	s_delay_alu instid0(VALU_DEP_2) | instskip(SKIP_1) | instid1(VALU_DEP_2)
	v_ldexp_f32 v34, v34, v35
	v_ldexp_f32 v33, v33, v35
	v_add_f32_e32 v37, 1.0, v34
	s_delay_alu instid0(VALU_DEP_1) | instskip(NEXT) | instid1(VALU_DEP_1)
	v_dual_add_f32 v35, -1.0, v34 :: v_dual_add_f32 v36, -1.0, v37
	v_add_f32_e32 v38, 1.0, v35
	s_delay_alu instid0(VALU_DEP_2) | instskip(NEXT) | instid1(VALU_DEP_2)
	v_sub_f32_e32 v36, v34, v36
	v_sub_f32_e32 v34, v34, v38
	s_delay_alu instid0(VALU_DEP_2) | instskip(NEXT) | instid1(VALU_DEP_2)
	v_add_f32_e32 v36, v33, v36
	v_add_f32_e32 v33, v33, v34
	s_delay_alu instid0(VALU_DEP_1) | instskip(NEXT) | instid1(VALU_DEP_1)
	v_dual_add_f32 v39, v35, v33 :: v_dual_add_f32 v38, v37, v36
	v_sub_f32_e32 v35, v35, v39
	s_delay_alu instid0(VALU_DEP_2) | instskip(SKIP_1) | instid1(VALU_DEP_1)
	v_rcp_f32_e32 v34, v38
	v_sub_f32_e32 v37, v37, v38
	v_dual_add_f32 v33, v33, v35 :: v_dual_add_f32 v36, v36, v37
	s_delay_alu instid0(TRANS32_DEP_1) | instskip(NEXT) | instid1(VALU_DEP_1)
	v_mul_f32_e32 v40, v39, v34
	v_mul_f32_e32 v41, v38, v40
	s_delay_alu instid0(VALU_DEP_1) | instskip(NEXT) | instid1(VALU_DEP_1)
	v_fma_f32 v37, v40, v38, -v41
	v_fmac_f32_e32 v37, v40, v36
	s_delay_alu instid0(VALU_DEP_1) | instskip(NEXT) | instid1(VALU_DEP_1)
	v_add_f32_e32 v42, v41, v37
	v_sub_f32_e32 v43, v39, v42
	s_delay_alu instid0(VALU_DEP_1) | instskip(SKIP_1) | instid1(VALU_DEP_2)
	v_sub_f32_e32 v39, v39, v43
	v_sub_f32_e32 v35, v42, v41
	;; [unrolled: 1-line block ×3, first 2 shown]
	s_delay_alu instid0(VALU_DEP_2) | instskip(NEXT) | instid1(VALU_DEP_2)
	v_sub_f32_e32 v35, v35, v37
	v_add_f32_e32 v33, v33, v39
	s_delay_alu instid0(VALU_DEP_1) | instskip(NEXT) | instid1(VALU_DEP_1)
	v_add_f32_e32 v33, v35, v33
	v_add_f32_e32 v35, v43, v33
	s_delay_alu instid0(VALU_DEP_1) | instskip(NEXT) | instid1(VALU_DEP_1)
	v_mul_f32_e32 v37, v34, v35
	v_dual_sub_f32 v42, v43, v35 :: v_dual_mul_f32 v39, v38, v37
	s_delay_alu instid0(VALU_DEP_1) | instskip(NEXT) | instid1(VALU_DEP_2)
	v_add_f32_e32 v33, v33, v42
	v_fma_f32 v38, v37, v38, -v39
	s_delay_alu instid0(VALU_DEP_1) | instskip(NEXT) | instid1(VALU_DEP_1)
	v_fmac_f32_e32 v38, v37, v36
	v_add_f32_e32 v36, v39, v38
	s_delay_alu instid0(VALU_DEP_1) | instskip(SKIP_1) | instid1(VALU_DEP_2)
	v_sub_f32_e32 v41, v35, v36
	v_sub_f32_e32 v39, v36, v39
	v_sub_f32_e32 v35, v35, v41
	s_delay_alu instid0(VALU_DEP_1) | instskip(NEXT) | instid1(VALU_DEP_1)
	v_sub_f32_e32 v35, v35, v36
	v_dual_sub_f32 v36, v39, v38 :: v_dual_add_f32 v33, v33, v35
	v_add_f32_e32 v35, v40, v37
	s_delay_alu instid0(VALU_DEP_1) | instskip(NEXT) | instid1(VALU_DEP_1)
	v_dual_add_f32 v33, v36, v33 :: v_dual_sub_f32 v36, v35, v40
	v_add_f32_e32 v33, v41, v33
	s_delay_alu instid0(VALU_DEP_1) | instskip(NEXT) | instid1(VALU_DEP_1)
	v_dual_sub_f32 v36, v37, v36 :: v_dual_mul_f32 v33, v34, v33
	v_add_f32_e32 v33, v36, v33
	s_delay_alu instid0(VALU_DEP_1) | instskip(NEXT) | instid1(VALU_DEP_1)
	v_add_f32_e32 v34, v35, v33
	v_mul_f32_e32 v36, v34, v34
	s_wait_alu 0xfffe
	s_delay_alu instid0(VALU_DEP_1) | instskip(SKIP_2) | instid1(VALU_DEP_3)
	v_fmaak_f32 v37, s15, v36, 0x3ecc95a3
	v_mul_f32_e32 v38, v34, v36
	v_cmp_neq_f32_e64 s15, 0x7f800000, v9
	v_fmaak_f32 v36, v36, v37, 0x3f2aaada
	v_ldexp_f32 v37, v34, 1
	v_sub_f32_e32 v34, v34, v35
	s_delay_alu instid0(VALU_DEP_3) | instskip(NEXT) | instid1(VALU_DEP_2)
	v_mul_f32_e32 v36, v38, v36
	v_dual_mul_f32 v38, 0x3f317218, v32 :: v_dual_sub_f32 v33, v33, v34
	s_delay_alu instid0(VALU_DEP_2) | instskip(NEXT) | instid1(VALU_DEP_2)
	v_add_f32_e32 v35, v37, v36
	v_ldexp_f32 v33, v33, 1
	s_delay_alu instid0(VALU_DEP_2) | instskip(NEXT) | instid1(VALU_DEP_4)
	v_sub_f32_e32 v34, v35, v37
	v_fma_f32 v37, 0x3f317218, v32, -v38
	s_delay_alu instid0(VALU_DEP_2) | instskip(NEXT) | instid1(VALU_DEP_1)
	v_sub_f32_e32 v34, v36, v34
	v_dual_fmamk_f32 v32, v32, 0xb102e308, v37 :: v_dual_add_f32 v33, v33, v34
	s_delay_alu instid0(VALU_DEP_1) | instskip(NEXT) | instid1(VALU_DEP_1)
	v_add_f32_e32 v34, v38, v32
	v_sub_f32_e32 v38, v34, v38
	s_delay_alu instid0(VALU_DEP_1) | instskip(NEXT) | instid1(VALU_DEP_4)
	v_sub_f32_e32 v32, v32, v38
	v_add_f32_e32 v36, v35, v33
	s_delay_alu instid0(VALU_DEP_1) | instskip(NEXT) | instid1(VALU_DEP_1)
	v_sub_f32_e32 v35, v36, v35
	v_sub_f32_e32 v33, v33, v35
	v_add_f32_e32 v37, v34, v36
	s_delay_alu instid0(VALU_DEP_1) | instskip(NEXT) | instid1(VALU_DEP_1)
	v_sub_f32_e32 v39, v37, v34
	v_sub_f32_e32 v35, v36, v39
	s_delay_alu instid0(VALU_DEP_4) | instskip(SKIP_1) | instid1(VALU_DEP_1)
	v_add_f32_e32 v36, v32, v33
	v_sub_f32_e32 v40, v37, v39
	v_sub_f32_e32 v34, v34, v40
	s_delay_alu instid0(VALU_DEP_1) | instskip(NEXT) | instid1(VALU_DEP_1)
	v_dual_add_f32 v34, v35, v34 :: v_dual_sub_f32 v35, v36, v32
	v_dual_add_f32 v34, v36, v34 :: v_dual_sub_f32 v33, v33, v35
	v_sub_f32_e32 v36, v36, v35
	s_delay_alu instid0(VALU_DEP_2) | instskip(NEXT) | instid1(VALU_DEP_1)
	v_add_f32_e32 v38, v37, v34
	v_dual_sub_f32 v32, v32, v36 :: v_dual_sub_f32 v35, v38, v37
	s_delay_alu instid0(VALU_DEP_1) | instskip(NEXT) | instid1(VALU_DEP_1)
	v_dual_add_f32 v32, v33, v32 :: v_dual_sub_f32 v33, v34, v35
	v_add_f32_e32 v32, v32, v33
	s_delay_alu instid0(VALU_DEP_1) | instskip(SKIP_1) | instid1(VALU_DEP_1)
	v_add_f32_e32 v32, v38, v32
	s_wait_alu 0xf1ff
	v_cndmask_b32_e64 v32, 0x7f800000, v32, s15
	v_cmp_gt_f32_e64 s15, 0x33800000, |v9|
	s_wait_alu 0xf1ff
	s_delay_alu instid0(VALU_DEP_1) | instskip(NEXT) | instid1(VALU_DEP_1)
	v_cndmask_b32_e64 v9, v32, v9, s15
	v_add_f32_e32 v9, v10, v9
	s_delay_alu instid0(VALU_DEP_1) | instskip(NEXT) | instid1(VALU_DEP_1)
	v_cvt_f16_f32_e32 v32, v9
	v_cvt_f32_f16_e32 v9, v32
.LBB356_56:
	s_or_b32 exec_lo, exec_lo, s22
	ds_load_u16 v10, v7 offset:6
	v_max_num_f32_e32 v33, v9, v9
	v_cmp_u_f16_e64 s15, v32, v32
	s_wait_dscnt 0x0
	v_cvt_f32_f16_e32 v34, v10
	s_delay_alu instid0(VALU_DEP_1) | instskip(SKIP_2) | instid1(VALU_DEP_2)
	v_min_num_f32_e32 v35, v33, v34
	v_max_num_f32_e32 v33, v33, v34
	s_wait_alu 0xf1ff
	v_cndmask_b32_e64 v35, v35, v9, s15
	s_delay_alu instid0(VALU_DEP_2) | instskip(SKIP_2) | instid1(VALU_DEP_1)
	v_cndmask_b32_e64 v36, v33, v9, s15
	v_cmp_u_f16_e64 s15, v10, v10
	s_wait_alu 0xf1ff
	v_cndmask_b32_e64 v33, v35, v34, s15
	s_delay_alu instid0(VALU_DEP_3) | instskip(NEXT) | instid1(VALU_DEP_2)
	v_cndmask_b32_e64 v10, v36, v34, s15
	v_cmp_class_f32_e64 s22, v33, 0x1f8
	s_delay_alu instid0(VALU_DEP_2)
	v_cmp_neq_f32_e64 s15, v33, v10
	s_or_b32 s15, s15, s22
	s_wait_alu 0xfffe
	s_and_saveexec_b32 s22, s15
	s_cbranch_execz .LBB356_58
; %bb.57:
	v_sub_f32_e32 v9, v33, v10
	s_delay_alu instid0(VALU_DEP_1) | instskip(NEXT) | instid1(VALU_DEP_1)
	v_mul_f32_e32 v32, 0x3fb8aa3b, v9
	v_fma_f32 v33, 0x3fb8aa3b, v9, -v32
	v_rndne_f32_e32 v34, v32
	s_delay_alu instid0(VALU_DEP_1) | instskip(NEXT) | instid1(VALU_DEP_1)
	v_dual_fmamk_f32 v33, v9, 0x32a5705f, v33 :: v_dual_sub_f32 v32, v32, v34
	v_add_f32_e32 v32, v32, v33
	v_cvt_i32_f32_e32 v33, v34
	v_cmp_ngt_f32_e64 s15, 0xc2ce8ed0, v9
	s_delay_alu instid0(VALU_DEP_3) | instskip(NEXT) | instid1(TRANS32_DEP_1)
	v_exp_f32_e32 v32, v32
	v_ldexp_f32 v32, v32, v33
	s_wait_alu 0xf1ff
	s_delay_alu instid0(VALU_DEP_1) | instskip(SKIP_2) | instid1(VALU_DEP_1)
	v_cndmask_b32_e64 v32, 0, v32, s15
	v_cmp_nlt_f32_e64 s15, 0x42b17218, v9
	s_wait_alu 0xf1ff
	v_cndmask_b32_e64 v9, 0x7f800000, v32, s15
	s_delay_alu instid0(VALU_DEP_1) | instskip(NEXT) | instid1(VALU_DEP_1)
	v_add_f32_e32 v34, 1.0, v9
	v_cvt_f64_f32_e32 v[32:33], v34
	s_delay_alu instid0(VALU_DEP_1) | instskip(SKIP_1) | instid1(VALU_DEP_1)
	v_frexp_exp_i32_f64_e32 v32, v[32:33]
	v_frexp_mant_f32_e32 v33, v34
	v_cmp_gt_f32_e64 s15, 0x3f2aaaab, v33
	v_add_f32_e32 v33, -1.0, v34
	s_delay_alu instid0(VALU_DEP_1) | instskip(NEXT) | instid1(VALU_DEP_1)
	v_sub_f32_e32 v36, v33, v34
	v_dual_sub_f32 v33, v9, v33 :: v_dual_add_f32 v36, 1.0, v36
	s_delay_alu instid0(VALU_DEP_1)
	v_add_f32_e32 v33, v33, v36
	s_wait_alu 0xf1ff
	v_subrev_co_ci_u32_e64 v32, null, 0, v32, s15
	s_mov_b32 s15, 0x3e9b6dac
	v_sub_nc_u32_e32 v35, 0, v32
	v_cvt_f32_i32_e32 v32, v32
	s_delay_alu instid0(VALU_DEP_2) | instskip(SKIP_1) | instid1(VALU_DEP_2)
	v_ldexp_f32 v34, v34, v35
	v_ldexp_f32 v33, v33, v35
	v_add_f32_e32 v37, 1.0, v34
	s_delay_alu instid0(VALU_DEP_1) | instskip(NEXT) | instid1(VALU_DEP_1)
	v_dual_add_f32 v35, -1.0, v34 :: v_dual_add_f32 v36, -1.0, v37
	v_add_f32_e32 v38, 1.0, v35
	s_delay_alu instid0(VALU_DEP_2) | instskip(NEXT) | instid1(VALU_DEP_2)
	v_sub_f32_e32 v36, v34, v36
	v_sub_f32_e32 v34, v34, v38
	s_delay_alu instid0(VALU_DEP_2) | instskip(NEXT) | instid1(VALU_DEP_2)
	v_add_f32_e32 v36, v33, v36
	v_add_f32_e32 v33, v33, v34
	s_delay_alu instid0(VALU_DEP_1) | instskip(NEXT) | instid1(VALU_DEP_1)
	v_dual_add_f32 v39, v35, v33 :: v_dual_add_f32 v38, v37, v36
	v_sub_f32_e32 v35, v35, v39
	s_delay_alu instid0(VALU_DEP_2) | instskip(SKIP_1) | instid1(VALU_DEP_1)
	v_rcp_f32_e32 v34, v38
	v_sub_f32_e32 v37, v37, v38
	v_dual_add_f32 v33, v33, v35 :: v_dual_add_f32 v36, v36, v37
	s_delay_alu instid0(TRANS32_DEP_1) | instskip(NEXT) | instid1(VALU_DEP_1)
	v_mul_f32_e32 v40, v39, v34
	v_mul_f32_e32 v41, v38, v40
	s_delay_alu instid0(VALU_DEP_1) | instskip(NEXT) | instid1(VALU_DEP_1)
	v_fma_f32 v37, v40, v38, -v41
	v_fmac_f32_e32 v37, v40, v36
	s_delay_alu instid0(VALU_DEP_1) | instskip(NEXT) | instid1(VALU_DEP_1)
	v_add_f32_e32 v42, v41, v37
	v_sub_f32_e32 v43, v39, v42
	s_delay_alu instid0(VALU_DEP_1) | instskip(SKIP_1) | instid1(VALU_DEP_2)
	v_sub_f32_e32 v39, v39, v43
	v_sub_f32_e32 v35, v42, v41
	;; [unrolled: 1-line block ×3, first 2 shown]
	s_delay_alu instid0(VALU_DEP_2) | instskip(NEXT) | instid1(VALU_DEP_2)
	v_sub_f32_e32 v35, v35, v37
	v_add_f32_e32 v33, v33, v39
	s_delay_alu instid0(VALU_DEP_1) | instskip(NEXT) | instid1(VALU_DEP_1)
	v_add_f32_e32 v33, v35, v33
	v_add_f32_e32 v35, v43, v33
	s_delay_alu instid0(VALU_DEP_1) | instskip(NEXT) | instid1(VALU_DEP_1)
	v_mul_f32_e32 v37, v34, v35
	v_dual_sub_f32 v42, v43, v35 :: v_dual_mul_f32 v39, v38, v37
	s_delay_alu instid0(VALU_DEP_1) | instskip(NEXT) | instid1(VALU_DEP_2)
	v_add_f32_e32 v33, v33, v42
	v_fma_f32 v38, v37, v38, -v39
	s_delay_alu instid0(VALU_DEP_1) | instskip(NEXT) | instid1(VALU_DEP_1)
	v_fmac_f32_e32 v38, v37, v36
	v_add_f32_e32 v36, v39, v38
	s_delay_alu instid0(VALU_DEP_1) | instskip(SKIP_1) | instid1(VALU_DEP_2)
	v_sub_f32_e32 v41, v35, v36
	v_sub_f32_e32 v39, v36, v39
	v_sub_f32_e32 v35, v35, v41
	s_delay_alu instid0(VALU_DEP_1) | instskip(NEXT) | instid1(VALU_DEP_1)
	v_sub_f32_e32 v35, v35, v36
	v_dual_sub_f32 v36, v39, v38 :: v_dual_add_f32 v33, v33, v35
	v_add_f32_e32 v35, v40, v37
	s_delay_alu instid0(VALU_DEP_1) | instskip(NEXT) | instid1(VALU_DEP_1)
	v_dual_add_f32 v33, v36, v33 :: v_dual_sub_f32 v36, v35, v40
	v_add_f32_e32 v33, v41, v33
	s_delay_alu instid0(VALU_DEP_1) | instskip(NEXT) | instid1(VALU_DEP_1)
	v_dual_sub_f32 v36, v37, v36 :: v_dual_mul_f32 v33, v34, v33
	v_add_f32_e32 v33, v36, v33
	s_delay_alu instid0(VALU_DEP_1) | instskip(NEXT) | instid1(VALU_DEP_1)
	v_add_f32_e32 v34, v35, v33
	v_mul_f32_e32 v36, v34, v34
	s_wait_alu 0xfffe
	s_delay_alu instid0(VALU_DEP_1) | instskip(SKIP_2) | instid1(VALU_DEP_3)
	v_fmaak_f32 v37, s15, v36, 0x3ecc95a3
	v_mul_f32_e32 v38, v34, v36
	v_cmp_neq_f32_e64 s15, 0x7f800000, v9
	v_fmaak_f32 v36, v36, v37, 0x3f2aaada
	v_ldexp_f32 v37, v34, 1
	v_sub_f32_e32 v34, v34, v35
	s_delay_alu instid0(VALU_DEP_3) | instskip(NEXT) | instid1(VALU_DEP_2)
	v_mul_f32_e32 v36, v38, v36
	v_dual_mul_f32 v38, 0x3f317218, v32 :: v_dual_sub_f32 v33, v33, v34
	s_delay_alu instid0(VALU_DEP_2) | instskip(NEXT) | instid1(VALU_DEP_2)
	v_add_f32_e32 v35, v37, v36
	v_ldexp_f32 v33, v33, 1
	s_delay_alu instid0(VALU_DEP_2) | instskip(NEXT) | instid1(VALU_DEP_4)
	v_sub_f32_e32 v34, v35, v37
	v_fma_f32 v37, 0x3f317218, v32, -v38
	s_delay_alu instid0(VALU_DEP_2) | instskip(NEXT) | instid1(VALU_DEP_1)
	v_sub_f32_e32 v34, v36, v34
	v_dual_fmamk_f32 v32, v32, 0xb102e308, v37 :: v_dual_add_f32 v33, v33, v34
	s_delay_alu instid0(VALU_DEP_1) | instskip(NEXT) | instid1(VALU_DEP_1)
	v_add_f32_e32 v34, v38, v32
	v_sub_f32_e32 v38, v34, v38
	s_delay_alu instid0(VALU_DEP_1) | instskip(NEXT) | instid1(VALU_DEP_4)
	v_sub_f32_e32 v32, v32, v38
	v_add_f32_e32 v36, v35, v33
	s_delay_alu instid0(VALU_DEP_1) | instskip(NEXT) | instid1(VALU_DEP_1)
	v_sub_f32_e32 v35, v36, v35
	v_sub_f32_e32 v33, v33, v35
	v_add_f32_e32 v37, v34, v36
	s_delay_alu instid0(VALU_DEP_1) | instskip(NEXT) | instid1(VALU_DEP_1)
	v_sub_f32_e32 v39, v37, v34
	v_sub_f32_e32 v35, v36, v39
	s_delay_alu instid0(VALU_DEP_4) | instskip(SKIP_1) | instid1(VALU_DEP_1)
	v_add_f32_e32 v36, v32, v33
	v_sub_f32_e32 v40, v37, v39
	v_sub_f32_e32 v34, v34, v40
	s_delay_alu instid0(VALU_DEP_1) | instskip(NEXT) | instid1(VALU_DEP_1)
	v_dual_add_f32 v34, v35, v34 :: v_dual_sub_f32 v35, v36, v32
	v_dual_add_f32 v34, v36, v34 :: v_dual_sub_f32 v33, v33, v35
	v_sub_f32_e32 v36, v36, v35
	s_delay_alu instid0(VALU_DEP_2) | instskip(NEXT) | instid1(VALU_DEP_1)
	v_add_f32_e32 v38, v37, v34
	v_dual_sub_f32 v32, v32, v36 :: v_dual_sub_f32 v35, v38, v37
	s_delay_alu instid0(VALU_DEP_1) | instskip(NEXT) | instid1(VALU_DEP_1)
	v_dual_add_f32 v32, v33, v32 :: v_dual_sub_f32 v33, v34, v35
	v_add_f32_e32 v32, v32, v33
	s_delay_alu instid0(VALU_DEP_1) | instskip(SKIP_1) | instid1(VALU_DEP_1)
	v_add_f32_e32 v32, v38, v32
	s_wait_alu 0xf1ff
	v_cndmask_b32_e64 v32, 0x7f800000, v32, s15
	v_cmp_gt_f32_e64 s15, 0x33800000, |v9|
	s_wait_alu 0xf1ff
	s_delay_alu instid0(VALU_DEP_1) | instskip(NEXT) | instid1(VALU_DEP_1)
	v_cndmask_b32_e64 v9, v32, v9, s15
	v_add_f32_e32 v9, v10, v9
	s_delay_alu instid0(VALU_DEP_1) | instskip(NEXT) | instid1(VALU_DEP_1)
	v_cvt_f16_f32_e32 v32, v9
	v_cvt_f32_f16_e32 v9, v32
.LBB356_58:
	s_or_b32 exec_lo, exec_lo, s22
	ds_load_u16 v10, v7 offset:8
	v_max_num_f32_e32 v33, v9, v9
	v_cmp_u_f16_e64 s15, v32, v32
	s_wait_dscnt 0x0
	v_cvt_f32_f16_e32 v34, v10
	s_delay_alu instid0(VALU_DEP_1) | instskip(SKIP_2) | instid1(VALU_DEP_2)
	v_min_num_f32_e32 v35, v33, v34
	v_max_num_f32_e32 v33, v33, v34
	s_wait_alu 0xf1ff
	v_cndmask_b32_e64 v35, v35, v9, s15
	s_delay_alu instid0(VALU_DEP_2) | instskip(SKIP_2) | instid1(VALU_DEP_1)
	v_cndmask_b32_e64 v36, v33, v9, s15
	v_cmp_u_f16_e64 s15, v10, v10
	s_wait_alu 0xf1ff
	v_cndmask_b32_e64 v33, v35, v34, s15
	s_delay_alu instid0(VALU_DEP_3) | instskip(NEXT) | instid1(VALU_DEP_2)
	v_cndmask_b32_e64 v10, v36, v34, s15
	v_cmp_class_f32_e64 s22, v33, 0x1f8
	s_delay_alu instid0(VALU_DEP_2)
	v_cmp_neq_f32_e64 s15, v33, v10
	s_or_b32 s15, s15, s22
	s_wait_alu 0xfffe
	s_and_saveexec_b32 s22, s15
	s_cbranch_execz .LBB356_60
; %bb.59:
	v_sub_f32_e32 v9, v33, v10
	s_delay_alu instid0(VALU_DEP_1) | instskip(NEXT) | instid1(VALU_DEP_1)
	v_mul_f32_e32 v32, 0x3fb8aa3b, v9
	v_fma_f32 v33, 0x3fb8aa3b, v9, -v32
	v_rndne_f32_e32 v34, v32
	s_delay_alu instid0(VALU_DEP_1) | instskip(NEXT) | instid1(VALU_DEP_1)
	v_dual_fmamk_f32 v33, v9, 0x32a5705f, v33 :: v_dual_sub_f32 v32, v32, v34
	v_add_f32_e32 v32, v32, v33
	v_cvt_i32_f32_e32 v33, v34
	v_cmp_ngt_f32_e64 s15, 0xc2ce8ed0, v9
	s_delay_alu instid0(VALU_DEP_3) | instskip(NEXT) | instid1(TRANS32_DEP_1)
	v_exp_f32_e32 v32, v32
	v_ldexp_f32 v32, v32, v33
	s_wait_alu 0xf1ff
	s_delay_alu instid0(VALU_DEP_1) | instskip(SKIP_2) | instid1(VALU_DEP_1)
	v_cndmask_b32_e64 v32, 0, v32, s15
	v_cmp_nlt_f32_e64 s15, 0x42b17218, v9
	s_wait_alu 0xf1ff
	v_cndmask_b32_e64 v9, 0x7f800000, v32, s15
	s_delay_alu instid0(VALU_DEP_1) | instskip(NEXT) | instid1(VALU_DEP_1)
	v_add_f32_e32 v34, 1.0, v9
	v_cvt_f64_f32_e32 v[32:33], v34
	s_delay_alu instid0(VALU_DEP_1) | instskip(SKIP_1) | instid1(VALU_DEP_1)
	v_frexp_exp_i32_f64_e32 v32, v[32:33]
	v_frexp_mant_f32_e32 v33, v34
	v_cmp_gt_f32_e64 s15, 0x3f2aaaab, v33
	v_add_f32_e32 v33, -1.0, v34
	s_delay_alu instid0(VALU_DEP_1) | instskip(NEXT) | instid1(VALU_DEP_1)
	v_sub_f32_e32 v36, v33, v34
	v_dual_sub_f32 v33, v9, v33 :: v_dual_add_f32 v36, 1.0, v36
	s_delay_alu instid0(VALU_DEP_1)
	v_add_f32_e32 v33, v33, v36
	s_wait_alu 0xf1ff
	v_subrev_co_ci_u32_e64 v32, null, 0, v32, s15
	s_mov_b32 s15, 0x3e9b6dac
	v_sub_nc_u32_e32 v35, 0, v32
	v_cvt_f32_i32_e32 v32, v32
	s_delay_alu instid0(VALU_DEP_2) | instskip(SKIP_1) | instid1(VALU_DEP_2)
	v_ldexp_f32 v34, v34, v35
	v_ldexp_f32 v33, v33, v35
	v_add_f32_e32 v37, 1.0, v34
	s_delay_alu instid0(VALU_DEP_1) | instskip(NEXT) | instid1(VALU_DEP_1)
	v_dual_add_f32 v35, -1.0, v34 :: v_dual_add_f32 v36, -1.0, v37
	v_add_f32_e32 v38, 1.0, v35
	s_delay_alu instid0(VALU_DEP_2) | instskip(NEXT) | instid1(VALU_DEP_2)
	v_sub_f32_e32 v36, v34, v36
	v_sub_f32_e32 v34, v34, v38
	s_delay_alu instid0(VALU_DEP_2) | instskip(NEXT) | instid1(VALU_DEP_2)
	v_add_f32_e32 v36, v33, v36
	v_add_f32_e32 v33, v33, v34
	s_delay_alu instid0(VALU_DEP_1) | instskip(NEXT) | instid1(VALU_DEP_1)
	v_dual_add_f32 v39, v35, v33 :: v_dual_add_f32 v38, v37, v36
	v_sub_f32_e32 v35, v35, v39
	s_delay_alu instid0(VALU_DEP_2) | instskip(SKIP_1) | instid1(VALU_DEP_1)
	v_rcp_f32_e32 v34, v38
	v_sub_f32_e32 v37, v37, v38
	v_dual_add_f32 v33, v33, v35 :: v_dual_add_f32 v36, v36, v37
	s_delay_alu instid0(TRANS32_DEP_1) | instskip(NEXT) | instid1(VALU_DEP_1)
	v_mul_f32_e32 v40, v39, v34
	v_mul_f32_e32 v41, v38, v40
	s_delay_alu instid0(VALU_DEP_1) | instskip(NEXT) | instid1(VALU_DEP_1)
	v_fma_f32 v37, v40, v38, -v41
	v_fmac_f32_e32 v37, v40, v36
	s_delay_alu instid0(VALU_DEP_1) | instskip(NEXT) | instid1(VALU_DEP_1)
	v_add_f32_e32 v42, v41, v37
	v_sub_f32_e32 v43, v39, v42
	s_delay_alu instid0(VALU_DEP_1) | instskip(SKIP_1) | instid1(VALU_DEP_2)
	v_sub_f32_e32 v39, v39, v43
	v_sub_f32_e32 v35, v42, v41
	;; [unrolled: 1-line block ×3, first 2 shown]
	s_delay_alu instid0(VALU_DEP_2) | instskip(NEXT) | instid1(VALU_DEP_2)
	v_sub_f32_e32 v35, v35, v37
	v_add_f32_e32 v33, v33, v39
	s_delay_alu instid0(VALU_DEP_1) | instskip(NEXT) | instid1(VALU_DEP_1)
	v_add_f32_e32 v33, v35, v33
	v_add_f32_e32 v35, v43, v33
	s_delay_alu instid0(VALU_DEP_1) | instskip(NEXT) | instid1(VALU_DEP_1)
	v_mul_f32_e32 v37, v34, v35
	v_dual_sub_f32 v42, v43, v35 :: v_dual_mul_f32 v39, v38, v37
	s_delay_alu instid0(VALU_DEP_1) | instskip(NEXT) | instid1(VALU_DEP_2)
	v_add_f32_e32 v33, v33, v42
	v_fma_f32 v38, v37, v38, -v39
	s_delay_alu instid0(VALU_DEP_1) | instskip(NEXT) | instid1(VALU_DEP_1)
	v_fmac_f32_e32 v38, v37, v36
	v_add_f32_e32 v36, v39, v38
	s_delay_alu instid0(VALU_DEP_1) | instskip(SKIP_1) | instid1(VALU_DEP_2)
	v_sub_f32_e32 v41, v35, v36
	v_sub_f32_e32 v39, v36, v39
	;; [unrolled: 1-line block ×3, first 2 shown]
	s_delay_alu instid0(VALU_DEP_1) | instskip(NEXT) | instid1(VALU_DEP_1)
	v_sub_f32_e32 v35, v35, v36
	v_dual_sub_f32 v36, v39, v38 :: v_dual_add_f32 v33, v33, v35
	v_add_f32_e32 v35, v40, v37
	s_delay_alu instid0(VALU_DEP_1) | instskip(NEXT) | instid1(VALU_DEP_1)
	v_dual_add_f32 v33, v36, v33 :: v_dual_sub_f32 v36, v35, v40
	v_add_f32_e32 v33, v41, v33
	s_delay_alu instid0(VALU_DEP_1) | instskip(NEXT) | instid1(VALU_DEP_1)
	v_dual_sub_f32 v36, v37, v36 :: v_dual_mul_f32 v33, v34, v33
	v_add_f32_e32 v33, v36, v33
	s_delay_alu instid0(VALU_DEP_1) | instskip(NEXT) | instid1(VALU_DEP_1)
	v_add_f32_e32 v34, v35, v33
	v_mul_f32_e32 v36, v34, v34
	s_wait_alu 0xfffe
	s_delay_alu instid0(VALU_DEP_1) | instskip(SKIP_2) | instid1(VALU_DEP_3)
	v_fmaak_f32 v37, s15, v36, 0x3ecc95a3
	v_mul_f32_e32 v38, v34, v36
	v_cmp_neq_f32_e64 s15, 0x7f800000, v9
	v_fmaak_f32 v36, v36, v37, 0x3f2aaada
	v_ldexp_f32 v37, v34, 1
	v_sub_f32_e32 v34, v34, v35
	s_delay_alu instid0(VALU_DEP_3) | instskip(NEXT) | instid1(VALU_DEP_2)
	v_mul_f32_e32 v36, v38, v36
	v_dual_mul_f32 v38, 0x3f317218, v32 :: v_dual_sub_f32 v33, v33, v34
	s_delay_alu instid0(VALU_DEP_2) | instskip(NEXT) | instid1(VALU_DEP_2)
	v_add_f32_e32 v35, v37, v36
	v_ldexp_f32 v33, v33, 1
	s_delay_alu instid0(VALU_DEP_2) | instskip(NEXT) | instid1(VALU_DEP_4)
	v_sub_f32_e32 v34, v35, v37
	v_fma_f32 v37, 0x3f317218, v32, -v38
	s_delay_alu instid0(VALU_DEP_2) | instskip(NEXT) | instid1(VALU_DEP_1)
	v_sub_f32_e32 v34, v36, v34
	v_dual_fmamk_f32 v32, v32, 0xb102e308, v37 :: v_dual_add_f32 v33, v33, v34
	s_delay_alu instid0(VALU_DEP_1) | instskip(NEXT) | instid1(VALU_DEP_1)
	v_add_f32_e32 v34, v38, v32
	v_sub_f32_e32 v38, v34, v38
	s_delay_alu instid0(VALU_DEP_1) | instskip(NEXT) | instid1(VALU_DEP_4)
	v_sub_f32_e32 v32, v32, v38
	v_add_f32_e32 v36, v35, v33
	s_delay_alu instid0(VALU_DEP_1) | instskip(NEXT) | instid1(VALU_DEP_1)
	v_sub_f32_e32 v35, v36, v35
	v_sub_f32_e32 v33, v33, v35
	v_add_f32_e32 v37, v34, v36
	s_delay_alu instid0(VALU_DEP_1) | instskip(NEXT) | instid1(VALU_DEP_1)
	v_sub_f32_e32 v39, v37, v34
	v_sub_f32_e32 v35, v36, v39
	s_delay_alu instid0(VALU_DEP_4) | instskip(SKIP_1) | instid1(VALU_DEP_1)
	v_add_f32_e32 v36, v32, v33
	v_sub_f32_e32 v40, v37, v39
	v_sub_f32_e32 v34, v34, v40
	s_delay_alu instid0(VALU_DEP_1) | instskip(NEXT) | instid1(VALU_DEP_1)
	v_dual_add_f32 v34, v35, v34 :: v_dual_sub_f32 v35, v36, v32
	v_dual_add_f32 v34, v36, v34 :: v_dual_sub_f32 v33, v33, v35
	v_sub_f32_e32 v36, v36, v35
	s_delay_alu instid0(VALU_DEP_2) | instskip(NEXT) | instid1(VALU_DEP_1)
	v_add_f32_e32 v38, v37, v34
	v_dual_sub_f32 v32, v32, v36 :: v_dual_sub_f32 v35, v38, v37
	s_delay_alu instid0(VALU_DEP_1) | instskip(NEXT) | instid1(VALU_DEP_1)
	v_dual_add_f32 v32, v33, v32 :: v_dual_sub_f32 v33, v34, v35
	v_add_f32_e32 v32, v32, v33
	s_delay_alu instid0(VALU_DEP_1) | instskip(SKIP_1) | instid1(VALU_DEP_1)
	v_add_f32_e32 v32, v38, v32
	s_wait_alu 0xf1ff
	v_cndmask_b32_e64 v32, 0x7f800000, v32, s15
	v_cmp_gt_f32_e64 s15, 0x33800000, |v9|
	s_wait_alu 0xf1ff
	s_delay_alu instid0(VALU_DEP_1) | instskip(NEXT) | instid1(VALU_DEP_1)
	v_cndmask_b32_e64 v9, v32, v9, s15
	v_add_f32_e32 v9, v10, v9
	s_delay_alu instid0(VALU_DEP_1) | instskip(NEXT) | instid1(VALU_DEP_1)
	v_cvt_f16_f32_e32 v32, v9
	v_cvt_f32_f16_e32 v9, v32
.LBB356_60:
	s_or_b32 exec_lo, exec_lo, s22
	ds_load_u16 v10, v7 offset:10
	v_max_num_f32_e32 v33, v9, v9
	v_cmp_u_f16_e64 s15, v32, v32
	s_wait_dscnt 0x0
	v_cvt_f32_f16_e32 v34, v10
	s_delay_alu instid0(VALU_DEP_1) | instskip(SKIP_2) | instid1(VALU_DEP_2)
	v_min_num_f32_e32 v35, v33, v34
	v_max_num_f32_e32 v33, v33, v34
	s_wait_alu 0xf1ff
	v_cndmask_b32_e64 v35, v35, v9, s15
	s_delay_alu instid0(VALU_DEP_2) | instskip(SKIP_2) | instid1(VALU_DEP_1)
	v_cndmask_b32_e64 v36, v33, v9, s15
	v_cmp_u_f16_e64 s15, v10, v10
	s_wait_alu 0xf1ff
	v_cndmask_b32_e64 v33, v35, v34, s15
	s_delay_alu instid0(VALU_DEP_3) | instskip(NEXT) | instid1(VALU_DEP_2)
	v_cndmask_b32_e64 v10, v36, v34, s15
	v_cmp_class_f32_e64 s22, v33, 0x1f8
	s_delay_alu instid0(VALU_DEP_2)
	v_cmp_neq_f32_e64 s15, v33, v10
	s_or_b32 s15, s15, s22
	s_wait_alu 0xfffe
	s_and_saveexec_b32 s22, s15
	s_cbranch_execz .LBB356_62
; %bb.61:
	v_sub_f32_e32 v9, v33, v10
	s_delay_alu instid0(VALU_DEP_1) | instskip(NEXT) | instid1(VALU_DEP_1)
	v_mul_f32_e32 v32, 0x3fb8aa3b, v9
	v_fma_f32 v33, 0x3fb8aa3b, v9, -v32
	v_rndne_f32_e32 v34, v32
	s_delay_alu instid0(VALU_DEP_1) | instskip(NEXT) | instid1(VALU_DEP_1)
	v_dual_fmamk_f32 v33, v9, 0x32a5705f, v33 :: v_dual_sub_f32 v32, v32, v34
	v_add_f32_e32 v32, v32, v33
	v_cvt_i32_f32_e32 v33, v34
	v_cmp_ngt_f32_e64 s15, 0xc2ce8ed0, v9
	s_delay_alu instid0(VALU_DEP_3) | instskip(NEXT) | instid1(TRANS32_DEP_1)
	v_exp_f32_e32 v32, v32
	v_ldexp_f32 v32, v32, v33
	s_wait_alu 0xf1ff
	s_delay_alu instid0(VALU_DEP_1) | instskip(SKIP_2) | instid1(VALU_DEP_1)
	v_cndmask_b32_e64 v32, 0, v32, s15
	v_cmp_nlt_f32_e64 s15, 0x42b17218, v9
	s_wait_alu 0xf1ff
	v_cndmask_b32_e64 v9, 0x7f800000, v32, s15
	s_delay_alu instid0(VALU_DEP_1) | instskip(NEXT) | instid1(VALU_DEP_1)
	v_add_f32_e32 v34, 1.0, v9
	v_cvt_f64_f32_e32 v[32:33], v34
	s_delay_alu instid0(VALU_DEP_1) | instskip(SKIP_1) | instid1(VALU_DEP_1)
	v_frexp_exp_i32_f64_e32 v32, v[32:33]
	v_frexp_mant_f32_e32 v33, v34
	v_cmp_gt_f32_e64 s15, 0x3f2aaaab, v33
	v_add_f32_e32 v33, -1.0, v34
	s_delay_alu instid0(VALU_DEP_1) | instskip(NEXT) | instid1(VALU_DEP_1)
	v_sub_f32_e32 v36, v33, v34
	v_dual_sub_f32 v33, v9, v33 :: v_dual_add_f32 v36, 1.0, v36
	s_delay_alu instid0(VALU_DEP_1)
	v_add_f32_e32 v33, v33, v36
	s_wait_alu 0xf1ff
	v_subrev_co_ci_u32_e64 v32, null, 0, v32, s15
	s_mov_b32 s15, 0x3e9b6dac
	v_sub_nc_u32_e32 v35, 0, v32
	v_cvt_f32_i32_e32 v32, v32
	s_delay_alu instid0(VALU_DEP_2) | instskip(SKIP_1) | instid1(VALU_DEP_2)
	v_ldexp_f32 v34, v34, v35
	v_ldexp_f32 v33, v33, v35
	v_add_f32_e32 v37, 1.0, v34
	s_delay_alu instid0(VALU_DEP_1) | instskip(NEXT) | instid1(VALU_DEP_1)
	v_dual_add_f32 v35, -1.0, v34 :: v_dual_add_f32 v36, -1.0, v37
	v_add_f32_e32 v38, 1.0, v35
	s_delay_alu instid0(VALU_DEP_2) | instskip(NEXT) | instid1(VALU_DEP_2)
	v_sub_f32_e32 v36, v34, v36
	v_sub_f32_e32 v34, v34, v38
	s_delay_alu instid0(VALU_DEP_2) | instskip(NEXT) | instid1(VALU_DEP_2)
	v_add_f32_e32 v36, v33, v36
	v_add_f32_e32 v33, v33, v34
	s_delay_alu instid0(VALU_DEP_1) | instskip(NEXT) | instid1(VALU_DEP_1)
	v_dual_add_f32 v39, v35, v33 :: v_dual_add_f32 v38, v37, v36
	v_sub_f32_e32 v35, v35, v39
	s_delay_alu instid0(VALU_DEP_2) | instskip(SKIP_1) | instid1(VALU_DEP_1)
	v_rcp_f32_e32 v34, v38
	v_sub_f32_e32 v37, v37, v38
	v_dual_add_f32 v33, v33, v35 :: v_dual_add_f32 v36, v36, v37
	s_delay_alu instid0(TRANS32_DEP_1) | instskip(NEXT) | instid1(VALU_DEP_1)
	v_mul_f32_e32 v40, v39, v34
	v_mul_f32_e32 v41, v38, v40
	s_delay_alu instid0(VALU_DEP_1) | instskip(NEXT) | instid1(VALU_DEP_1)
	v_fma_f32 v37, v40, v38, -v41
	v_fmac_f32_e32 v37, v40, v36
	s_delay_alu instid0(VALU_DEP_1) | instskip(NEXT) | instid1(VALU_DEP_1)
	v_add_f32_e32 v42, v41, v37
	v_sub_f32_e32 v43, v39, v42
	s_delay_alu instid0(VALU_DEP_1) | instskip(SKIP_1) | instid1(VALU_DEP_2)
	v_sub_f32_e32 v39, v39, v43
	v_sub_f32_e32 v35, v42, v41
	;; [unrolled: 1-line block ×3, first 2 shown]
	s_delay_alu instid0(VALU_DEP_2) | instskip(NEXT) | instid1(VALU_DEP_2)
	v_sub_f32_e32 v35, v35, v37
	v_add_f32_e32 v33, v33, v39
	s_delay_alu instid0(VALU_DEP_1) | instskip(NEXT) | instid1(VALU_DEP_1)
	v_add_f32_e32 v33, v35, v33
	v_add_f32_e32 v35, v43, v33
	s_delay_alu instid0(VALU_DEP_1) | instskip(NEXT) | instid1(VALU_DEP_1)
	v_mul_f32_e32 v37, v34, v35
	v_dual_sub_f32 v42, v43, v35 :: v_dual_mul_f32 v39, v38, v37
	s_delay_alu instid0(VALU_DEP_1) | instskip(NEXT) | instid1(VALU_DEP_2)
	v_add_f32_e32 v33, v33, v42
	v_fma_f32 v38, v37, v38, -v39
	s_delay_alu instid0(VALU_DEP_1) | instskip(NEXT) | instid1(VALU_DEP_1)
	v_fmac_f32_e32 v38, v37, v36
	v_add_f32_e32 v36, v39, v38
	s_delay_alu instid0(VALU_DEP_1) | instskip(SKIP_1) | instid1(VALU_DEP_2)
	v_sub_f32_e32 v41, v35, v36
	v_sub_f32_e32 v39, v36, v39
	;; [unrolled: 1-line block ×3, first 2 shown]
	s_delay_alu instid0(VALU_DEP_1) | instskip(NEXT) | instid1(VALU_DEP_1)
	v_sub_f32_e32 v35, v35, v36
	v_dual_sub_f32 v36, v39, v38 :: v_dual_add_f32 v33, v33, v35
	v_add_f32_e32 v35, v40, v37
	s_delay_alu instid0(VALU_DEP_1) | instskip(NEXT) | instid1(VALU_DEP_1)
	v_dual_add_f32 v33, v36, v33 :: v_dual_sub_f32 v36, v35, v40
	v_add_f32_e32 v33, v41, v33
	s_delay_alu instid0(VALU_DEP_1) | instskip(NEXT) | instid1(VALU_DEP_1)
	v_dual_sub_f32 v36, v37, v36 :: v_dual_mul_f32 v33, v34, v33
	v_add_f32_e32 v33, v36, v33
	s_delay_alu instid0(VALU_DEP_1) | instskip(NEXT) | instid1(VALU_DEP_1)
	v_add_f32_e32 v34, v35, v33
	v_mul_f32_e32 v36, v34, v34
	s_wait_alu 0xfffe
	s_delay_alu instid0(VALU_DEP_1) | instskip(SKIP_2) | instid1(VALU_DEP_3)
	v_fmaak_f32 v37, s15, v36, 0x3ecc95a3
	v_mul_f32_e32 v38, v34, v36
	v_cmp_neq_f32_e64 s15, 0x7f800000, v9
	v_fmaak_f32 v36, v36, v37, 0x3f2aaada
	v_ldexp_f32 v37, v34, 1
	v_sub_f32_e32 v34, v34, v35
	s_delay_alu instid0(VALU_DEP_3) | instskip(NEXT) | instid1(VALU_DEP_2)
	v_mul_f32_e32 v36, v38, v36
	v_dual_mul_f32 v38, 0x3f317218, v32 :: v_dual_sub_f32 v33, v33, v34
	s_delay_alu instid0(VALU_DEP_2) | instskip(NEXT) | instid1(VALU_DEP_2)
	v_add_f32_e32 v35, v37, v36
	v_ldexp_f32 v33, v33, 1
	s_delay_alu instid0(VALU_DEP_2) | instskip(NEXT) | instid1(VALU_DEP_4)
	v_sub_f32_e32 v34, v35, v37
	v_fma_f32 v37, 0x3f317218, v32, -v38
	s_delay_alu instid0(VALU_DEP_2) | instskip(NEXT) | instid1(VALU_DEP_1)
	v_sub_f32_e32 v34, v36, v34
	v_dual_fmamk_f32 v32, v32, 0xb102e308, v37 :: v_dual_add_f32 v33, v33, v34
	s_delay_alu instid0(VALU_DEP_1) | instskip(NEXT) | instid1(VALU_DEP_1)
	v_add_f32_e32 v34, v38, v32
	v_sub_f32_e32 v38, v34, v38
	s_delay_alu instid0(VALU_DEP_1) | instskip(NEXT) | instid1(VALU_DEP_4)
	v_sub_f32_e32 v32, v32, v38
	v_add_f32_e32 v36, v35, v33
	s_delay_alu instid0(VALU_DEP_1) | instskip(NEXT) | instid1(VALU_DEP_1)
	v_sub_f32_e32 v35, v36, v35
	v_sub_f32_e32 v33, v33, v35
	v_add_f32_e32 v37, v34, v36
	s_delay_alu instid0(VALU_DEP_1) | instskip(NEXT) | instid1(VALU_DEP_1)
	v_sub_f32_e32 v39, v37, v34
	v_sub_f32_e32 v35, v36, v39
	s_delay_alu instid0(VALU_DEP_4) | instskip(SKIP_1) | instid1(VALU_DEP_1)
	v_add_f32_e32 v36, v32, v33
	v_sub_f32_e32 v40, v37, v39
	v_sub_f32_e32 v34, v34, v40
	s_delay_alu instid0(VALU_DEP_1) | instskip(NEXT) | instid1(VALU_DEP_1)
	v_dual_add_f32 v34, v35, v34 :: v_dual_sub_f32 v35, v36, v32
	v_dual_add_f32 v34, v36, v34 :: v_dual_sub_f32 v33, v33, v35
	v_sub_f32_e32 v36, v36, v35
	s_delay_alu instid0(VALU_DEP_2) | instskip(NEXT) | instid1(VALU_DEP_1)
	v_add_f32_e32 v38, v37, v34
	v_dual_sub_f32 v32, v32, v36 :: v_dual_sub_f32 v35, v38, v37
	s_delay_alu instid0(VALU_DEP_1) | instskip(NEXT) | instid1(VALU_DEP_1)
	v_dual_add_f32 v32, v33, v32 :: v_dual_sub_f32 v33, v34, v35
	v_add_f32_e32 v32, v32, v33
	s_delay_alu instid0(VALU_DEP_1) | instskip(SKIP_1) | instid1(VALU_DEP_1)
	v_add_f32_e32 v32, v38, v32
	s_wait_alu 0xf1ff
	v_cndmask_b32_e64 v32, 0x7f800000, v32, s15
	v_cmp_gt_f32_e64 s15, 0x33800000, |v9|
	s_wait_alu 0xf1ff
	s_delay_alu instid0(VALU_DEP_1) | instskip(NEXT) | instid1(VALU_DEP_1)
	v_cndmask_b32_e64 v9, v32, v9, s15
	v_add_f32_e32 v9, v10, v9
	s_delay_alu instid0(VALU_DEP_1) | instskip(NEXT) | instid1(VALU_DEP_1)
	v_cvt_f16_f32_e32 v32, v9
	v_cvt_f32_f16_e32 v9, v32
.LBB356_62:
	s_or_b32 exec_lo, exec_lo, s22
	ds_load_u16 v10, v7 offset:12
	v_max_num_f32_e32 v33, v9, v9
	v_cmp_u_f16_e64 s15, v32, v32
	s_wait_dscnt 0x0
	v_cvt_f32_f16_e32 v34, v10
	s_delay_alu instid0(VALU_DEP_1) | instskip(SKIP_2) | instid1(VALU_DEP_2)
	v_min_num_f32_e32 v35, v33, v34
	v_max_num_f32_e32 v33, v33, v34
	s_wait_alu 0xf1ff
	v_cndmask_b32_e64 v35, v35, v9, s15
	s_delay_alu instid0(VALU_DEP_2) | instskip(SKIP_2) | instid1(VALU_DEP_1)
	v_cndmask_b32_e64 v36, v33, v9, s15
	v_cmp_u_f16_e64 s15, v10, v10
	s_wait_alu 0xf1ff
	v_cndmask_b32_e64 v33, v35, v34, s15
	s_delay_alu instid0(VALU_DEP_3) | instskip(NEXT) | instid1(VALU_DEP_2)
	v_cndmask_b32_e64 v10, v36, v34, s15
	v_cmp_class_f32_e64 s22, v33, 0x1f8
	s_delay_alu instid0(VALU_DEP_2)
	v_cmp_neq_f32_e64 s15, v33, v10
	s_or_b32 s15, s15, s22
	s_wait_alu 0xfffe
	s_and_saveexec_b32 s22, s15
	s_cbranch_execz .LBB356_64
; %bb.63:
	v_sub_f32_e32 v9, v33, v10
	s_delay_alu instid0(VALU_DEP_1) | instskip(NEXT) | instid1(VALU_DEP_1)
	v_mul_f32_e32 v32, 0x3fb8aa3b, v9
	v_fma_f32 v33, 0x3fb8aa3b, v9, -v32
	v_rndne_f32_e32 v34, v32
	s_delay_alu instid0(VALU_DEP_1) | instskip(NEXT) | instid1(VALU_DEP_1)
	v_dual_fmamk_f32 v33, v9, 0x32a5705f, v33 :: v_dual_sub_f32 v32, v32, v34
	v_add_f32_e32 v32, v32, v33
	v_cvt_i32_f32_e32 v33, v34
	v_cmp_ngt_f32_e64 s15, 0xc2ce8ed0, v9
	s_delay_alu instid0(VALU_DEP_3) | instskip(NEXT) | instid1(TRANS32_DEP_1)
	v_exp_f32_e32 v32, v32
	v_ldexp_f32 v32, v32, v33
	s_wait_alu 0xf1ff
	s_delay_alu instid0(VALU_DEP_1) | instskip(SKIP_2) | instid1(VALU_DEP_1)
	v_cndmask_b32_e64 v32, 0, v32, s15
	v_cmp_nlt_f32_e64 s15, 0x42b17218, v9
	s_wait_alu 0xf1ff
	v_cndmask_b32_e64 v9, 0x7f800000, v32, s15
	s_delay_alu instid0(VALU_DEP_1) | instskip(NEXT) | instid1(VALU_DEP_1)
	v_add_f32_e32 v34, 1.0, v9
	v_cvt_f64_f32_e32 v[32:33], v34
	s_delay_alu instid0(VALU_DEP_1) | instskip(SKIP_1) | instid1(VALU_DEP_1)
	v_frexp_exp_i32_f64_e32 v32, v[32:33]
	v_frexp_mant_f32_e32 v33, v34
	v_cmp_gt_f32_e64 s15, 0x3f2aaaab, v33
	v_add_f32_e32 v33, -1.0, v34
	s_delay_alu instid0(VALU_DEP_1) | instskip(NEXT) | instid1(VALU_DEP_1)
	v_sub_f32_e32 v36, v33, v34
	v_dual_sub_f32 v33, v9, v33 :: v_dual_add_f32 v36, 1.0, v36
	s_delay_alu instid0(VALU_DEP_1)
	v_add_f32_e32 v33, v33, v36
	s_wait_alu 0xf1ff
	v_subrev_co_ci_u32_e64 v32, null, 0, v32, s15
	s_mov_b32 s15, 0x3e9b6dac
	v_sub_nc_u32_e32 v35, 0, v32
	v_cvt_f32_i32_e32 v32, v32
	s_delay_alu instid0(VALU_DEP_2) | instskip(SKIP_1) | instid1(VALU_DEP_2)
	v_ldexp_f32 v34, v34, v35
	v_ldexp_f32 v33, v33, v35
	v_add_f32_e32 v37, 1.0, v34
	s_delay_alu instid0(VALU_DEP_1) | instskip(NEXT) | instid1(VALU_DEP_1)
	v_dual_add_f32 v35, -1.0, v34 :: v_dual_add_f32 v36, -1.0, v37
	v_add_f32_e32 v38, 1.0, v35
	s_delay_alu instid0(VALU_DEP_2) | instskip(NEXT) | instid1(VALU_DEP_2)
	v_sub_f32_e32 v36, v34, v36
	v_sub_f32_e32 v34, v34, v38
	s_delay_alu instid0(VALU_DEP_2) | instskip(NEXT) | instid1(VALU_DEP_2)
	v_add_f32_e32 v36, v33, v36
	v_add_f32_e32 v33, v33, v34
	s_delay_alu instid0(VALU_DEP_1) | instskip(NEXT) | instid1(VALU_DEP_1)
	v_dual_add_f32 v39, v35, v33 :: v_dual_add_f32 v38, v37, v36
	v_sub_f32_e32 v35, v35, v39
	s_delay_alu instid0(VALU_DEP_2) | instskip(SKIP_1) | instid1(VALU_DEP_1)
	v_rcp_f32_e32 v34, v38
	v_sub_f32_e32 v37, v37, v38
	v_dual_add_f32 v33, v33, v35 :: v_dual_add_f32 v36, v36, v37
	s_delay_alu instid0(TRANS32_DEP_1) | instskip(NEXT) | instid1(VALU_DEP_1)
	v_mul_f32_e32 v40, v39, v34
	v_mul_f32_e32 v41, v38, v40
	s_delay_alu instid0(VALU_DEP_1) | instskip(NEXT) | instid1(VALU_DEP_1)
	v_fma_f32 v37, v40, v38, -v41
	v_fmac_f32_e32 v37, v40, v36
	s_delay_alu instid0(VALU_DEP_1) | instskip(NEXT) | instid1(VALU_DEP_1)
	v_add_f32_e32 v42, v41, v37
	v_sub_f32_e32 v43, v39, v42
	s_delay_alu instid0(VALU_DEP_1) | instskip(SKIP_1) | instid1(VALU_DEP_2)
	v_sub_f32_e32 v39, v39, v43
	v_sub_f32_e32 v35, v42, v41
	;; [unrolled: 1-line block ×3, first 2 shown]
	s_delay_alu instid0(VALU_DEP_2) | instskip(NEXT) | instid1(VALU_DEP_2)
	v_sub_f32_e32 v35, v35, v37
	v_add_f32_e32 v33, v33, v39
	s_delay_alu instid0(VALU_DEP_1) | instskip(NEXT) | instid1(VALU_DEP_1)
	v_add_f32_e32 v33, v35, v33
	v_add_f32_e32 v35, v43, v33
	s_delay_alu instid0(VALU_DEP_1) | instskip(NEXT) | instid1(VALU_DEP_1)
	v_mul_f32_e32 v37, v34, v35
	v_dual_sub_f32 v42, v43, v35 :: v_dual_mul_f32 v39, v38, v37
	s_delay_alu instid0(VALU_DEP_1) | instskip(NEXT) | instid1(VALU_DEP_2)
	v_add_f32_e32 v33, v33, v42
	v_fma_f32 v38, v37, v38, -v39
	s_delay_alu instid0(VALU_DEP_1) | instskip(NEXT) | instid1(VALU_DEP_1)
	v_fmac_f32_e32 v38, v37, v36
	v_add_f32_e32 v36, v39, v38
	s_delay_alu instid0(VALU_DEP_1) | instskip(SKIP_1) | instid1(VALU_DEP_2)
	v_sub_f32_e32 v41, v35, v36
	v_sub_f32_e32 v39, v36, v39
	;; [unrolled: 1-line block ×3, first 2 shown]
	s_delay_alu instid0(VALU_DEP_1) | instskip(NEXT) | instid1(VALU_DEP_1)
	v_sub_f32_e32 v35, v35, v36
	v_dual_sub_f32 v36, v39, v38 :: v_dual_add_f32 v33, v33, v35
	v_add_f32_e32 v35, v40, v37
	s_delay_alu instid0(VALU_DEP_1) | instskip(NEXT) | instid1(VALU_DEP_1)
	v_dual_add_f32 v33, v36, v33 :: v_dual_sub_f32 v36, v35, v40
	v_add_f32_e32 v33, v41, v33
	s_delay_alu instid0(VALU_DEP_1) | instskip(NEXT) | instid1(VALU_DEP_1)
	v_dual_sub_f32 v36, v37, v36 :: v_dual_mul_f32 v33, v34, v33
	v_add_f32_e32 v33, v36, v33
	s_delay_alu instid0(VALU_DEP_1) | instskip(NEXT) | instid1(VALU_DEP_1)
	v_add_f32_e32 v34, v35, v33
	v_mul_f32_e32 v36, v34, v34
	s_wait_alu 0xfffe
	s_delay_alu instid0(VALU_DEP_1) | instskip(SKIP_2) | instid1(VALU_DEP_3)
	v_fmaak_f32 v37, s15, v36, 0x3ecc95a3
	v_mul_f32_e32 v38, v34, v36
	v_cmp_neq_f32_e64 s15, 0x7f800000, v9
	v_fmaak_f32 v36, v36, v37, 0x3f2aaada
	v_ldexp_f32 v37, v34, 1
	v_sub_f32_e32 v34, v34, v35
	s_delay_alu instid0(VALU_DEP_3) | instskip(NEXT) | instid1(VALU_DEP_2)
	v_mul_f32_e32 v36, v38, v36
	v_dual_mul_f32 v38, 0x3f317218, v32 :: v_dual_sub_f32 v33, v33, v34
	s_delay_alu instid0(VALU_DEP_2) | instskip(NEXT) | instid1(VALU_DEP_2)
	v_add_f32_e32 v35, v37, v36
	v_ldexp_f32 v33, v33, 1
	s_delay_alu instid0(VALU_DEP_2) | instskip(NEXT) | instid1(VALU_DEP_4)
	v_sub_f32_e32 v34, v35, v37
	v_fma_f32 v37, 0x3f317218, v32, -v38
	s_delay_alu instid0(VALU_DEP_2) | instskip(NEXT) | instid1(VALU_DEP_1)
	v_sub_f32_e32 v34, v36, v34
	v_dual_fmamk_f32 v32, v32, 0xb102e308, v37 :: v_dual_add_f32 v33, v33, v34
	s_delay_alu instid0(VALU_DEP_1) | instskip(NEXT) | instid1(VALU_DEP_1)
	v_add_f32_e32 v34, v38, v32
	v_sub_f32_e32 v38, v34, v38
	s_delay_alu instid0(VALU_DEP_1) | instskip(NEXT) | instid1(VALU_DEP_4)
	v_sub_f32_e32 v32, v32, v38
	v_add_f32_e32 v36, v35, v33
	s_delay_alu instid0(VALU_DEP_1) | instskip(NEXT) | instid1(VALU_DEP_1)
	v_sub_f32_e32 v35, v36, v35
	v_sub_f32_e32 v33, v33, v35
	v_add_f32_e32 v37, v34, v36
	s_delay_alu instid0(VALU_DEP_1) | instskip(NEXT) | instid1(VALU_DEP_1)
	v_sub_f32_e32 v39, v37, v34
	v_sub_f32_e32 v35, v36, v39
	s_delay_alu instid0(VALU_DEP_4) | instskip(SKIP_1) | instid1(VALU_DEP_1)
	v_add_f32_e32 v36, v32, v33
	v_sub_f32_e32 v40, v37, v39
	v_sub_f32_e32 v34, v34, v40
	s_delay_alu instid0(VALU_DEP_1) | instskip(NEXT) | instid1(VALU_DEP_1)
	v_dual_add_f32 v34, v35, v34 :: v_dual_sub_f32 v35, v36, v32
	v_dual_add_f32 v34, v36, v34 :: v_dual_sub_f32 v33, v33, v35
	v_sub_f32_e32 v36, v36, v35
	s_delay_alu instid0(VALU_DEP_2) | instskip(NEXT) | instid1(VALU_DEP_1)
	v_add_f32_e32 v38, v37, v34
	v_dual_sub_f32 v32, v32, v36 :: v_dual_sub_f32 v35, v38, v37
	s_delay_alu instid0(VALU_DEP_1) | instskip(NEXT) | instid1(VALU_DEP_1)
	v_dual_add_f32 v32, v33, v32 :: v_dual_sub_f32 v33, v34, v35
	v_add_f32_e32 v32, v32, v33
	s_delay_alu instid0(VALU_DEP_1) | instskip(SKIP_1) | instid1(VALU_DEP_1)
	v_add_f32_e32 v32, v38, v32
	s_wait_alu 0xf1ff
	v_cndmask_b32_e64 v32, 0x7f800000, v32, s15
	v_cmp_gt_f32_e64 s15, 0x33800000, |v9|
	s_wait_alu 0xf1ff
	s_delay_alu instid0(VALU_DEP_1) | instskip(NEXT) | instid1(VALU_DEP_1)
	v_cndmask_b32_e64 v9, v32, v9, s15
	v_add_f32_e32 v9, v10, v9
	s_delay_alu instid0(VALU_DEP_1) | instskip(NEXT) | instid1(VALU_DEP_1)
	v_cvt_f16_f32_e32 v32, v9
	v_cvt_f32_f16_e32 v9, v32
.LBB356_64:
	s_or_b32 exec_lo, exec_lo, s22
	ds_load_u16 v10, v7 offset:14
	v_max_num_f32_e32 v33, v9, v9
	v_cmp_u_f16_e64 s15, v32, v32
	s_wait_dscnt 0x0
	v_cvt_f32_f16_e32 v34, v10
	s_delay_alu instid0(VALU_DEP_1) | instskip(SKIP_2) | instid1(VALU_DEP_2)
	v_min_num_f32_e32 v35, v33, v34
	v_max_num_f32_e32 v33, v33, v34
	s_wait_alu 0xf1ff
	v_cndmask_b32_e64 v35, v35, v9, s15
	s_delay_alu instid0(VALU_DEP_2) | instskip(SKIP_2) | instid1(VALU_DEP_1)
	v_cndmask_b32_e64 v9, v33, v9, s15
	v_cmp_u_f16_e64 s15, v10, v10
	s_wait_alu 0xf1ff
	v_cndmask_b32_e64 v10, v35, v34, s15
	s_delay_alu instid0(VALU_DEP_3) | instskip(NEXT) | instid1(VALU_DEP_2)
	v_cndmask_b32_e64 v9, v9, v34, s15
	v_cmp_class_f32_e64 s22, v10, 0x1f8
	s_delay_alu instid0(VALU_DEP_2)
	v_cmp_neq_f32_e64 s15, v10, v9
	s_or_b32 s15, s15, s22
	s_wait_alu 0xfffe
	s_and_saveexec_b32 s22, s15
	s_cbranch_execz .LBB356_66
; %bb.65:
	v_sub_f32_e32 v10, v10, v9
	s_delay_alu instid0(VALU_DEP_1) | instskip(SKIP_1) | instid1(VALU_DEP_2)
	v_mul_f32_e32 v32, 0x3fb8aa3b, v10
	v_cmp_ngt_f32_e64 s15, 0xc2ce8ed0, v10
	v_fma_f32 v33, 0x3fb8aa3b, v10, -v32
	v_rndne_f32_e32 v34, v32
	s_delay_alu instid0(VALU_DEP_1) | instskip(NEXT) | instid1(VALU_DEP_1)
	v_dual_fmamk_f32 v33, v10, 0x32a5705f, v33 :: v_dual_sub_f32 v32, v32, v34
	v_add_f32_e32 v32, v32, v33
	v_cvt_i32_f32_e32 v33, v34
	s_delay_alu instid0(VALU_DEP_2) | instskip(NEXT) | instid1(TRANS32_DEP_1)
	v_exp_f32_e32 v32, v32
	v_ldexp_f32 v32, v32, v33
	s_wait_alu 0xf1ff
	s_delay_alu instid0(VALU_DEP_1) | instskip(SKIP_2) | instid1(VALU_DEP_1)
	v_cndmask_b32_e64 v32, 0, v32, s15
	v_cmp_nlt_f32_e64 s15, 0x42b17218, v10
	s_wait_alu 0xf1ff
	v_cndmask_b32_e64 v10, 0x7f800000, v32, s15
	s_delay_alu instid0(VALU_DEP_1) | instskip(NEXT) | instid1(VALU_DEP_1)
	v_add_f32_e32 v34, 1.0, v10
	v_cvt_f64_f32_e32 v[32:33], v34
	s_delay_alu instid0(VALU_DEP_1) | instskip(SKIP_1) | instid1(VALU_DEP_1)
	v_frexp_exp_i32_f64_e32 v32, v[32:33]
	v_frexp_mant_f32_e32 v33, v34
	v_cmp_gt_f32_e64 s15, 0x3f2aaaab, v33
	v_add_f32_e32 v33, -1.0, v34
	s_delay_alu instid0(VALU_DEP_1) | instskip(NEXT) | instid1(VALU_DEP_1)
	v_dual_sub_f32 v36, v33, v34 :: v_dual_sub_f32 v33, v10, v33
	v_add_f32_e32 v36, 1.0, v36
	s_delay_alu instid0(VALU_DEP_1)
	v_add_f32_e32 v33, v33, v36
	s_wait_alu 0xf1ff
	v_subrev_co_ci_u32_e64 v32, null, 0, v32, s15
	s_mov_b32 s15, 0x3e9b6dac
	v_sub_nc_u32_e32 v35, 0, v32
	v_cvt_f32_i32_e32 v32, v32
	s_delay_alu instid0(VALU_DEP_2) | instskip(SKIP_1) | instid1(VALU_DEP_2)
	v_ldexp_f32 v34, v34, v35
	v_ldexp_f32 v33, v33, v35
	v_add_f32_e32 v37, 1.0, v34
	s_delay_alu instid0(VALU_DEP_1) | instskip(NEXT) | instid1(VALU_DEP_1)
	v_dual_add_f32 v35, -1.0, v34 :: v_dual_add_f32 v36, -1.0, v37
	v_add_f32_e32 v38, 1.0, v35
	s_delay_alu instid0(VALU_DEP_2) | instskip(NEXT) | instid1(VALU_DEP_2)
	v_sub_f32_e32 v36, v34, v36
	v_sub_f32_e32 v34, v34, v38
	s_delay_alu instid0(VALU_DEP_2) | instskip(NEXT) | instid1(VALU_DEP_2)
	v_add_f32_e32 v36, v33, v36
	v_add_f32_e32 v33, v33, v34
	s_delay_alu instid0(VALU_DEP_1) | instskip(NEXT) | instid1(VALU_DEP_1)
	v_dual_add_f32 v39, v35, v33 :: v_dual_add_f32 v38, v37, v36
	v_sub_f32_e32 v35, v35, v39
	s_delay_alu instid0(VALU_DEP_2) | instskip(SKIP_1) | instid1(VALU_DEP_1)
	v_rcp_f32_e32 v34, v38
	v_sub_f32_e32 v37, v37, v38
	v_dual_add_f32 v33, v33, v35 :: v_dual_add_f32 v36, v36, v37
	s_delay_alu instid0(TRANS32_DEP_1) | instskip(NEXT) | instid1(VALU_DEP_1)
	v_mul_f32_e32 v40, v39, v34
	v_mul_f32_e32 v41, v38, v40
	s_delay_alu instid0(VALU_DEP_1) | instskip(NEXT) | instid1(VALU_DEP_1)
	v_fma_f32 v37, v40, v38, -v41
	v_fmac_f32_e32 v37, v40, v36
	s_delay_alu instid0(VALU_DEP_1) | instskip(NEXT) | instid1(VALU_DEP_1)
	v_add_f32_e32 v42, v41, v37
	v_sub_f32_e32 v43, v39, v42
	v_sub_f32_e32 v35, v42, v41
	s_delay_alu instid0(VALU_DEP_2) | instskip(NEXT) | instid1(VALU_DEP_2)
	v_sub_f32_e32 v39, v39, v43
	v_sub_f32_e32 v35, v35, v37
	s_delay_alu instid0(VALU_DEP_2) | instskip(NEXT) | instid1(VALU_DEP_1)
	v_sub_f32_e32 v39, v39, v42
	v_add_f32_e32 v33, v33, v39
	s_delay_alu instid0(VALU_DEP_1) | instskip(NEXT) | instid1(VALU_DEP_1)
	v_add_f32_e32 v33, v35, v33
	v_add_f32_e32 v35, v43, v33
	s_delay_alu instid0(VALU_DEP_1) | instskip(NEXT) | instid1(VALU_DEP_1)
	v_mul_f32_e32 v37, v34, v35
	v_dual_sub_f32 v42, v43, v35 :: v_dual_mul_f32 v39, v38, v37
	s_delay_alu instid0(VALU_DEP_1) | instskip(NEXT) | instid1(VALU_DEP_2)
	v_add_f32_e32 v33, v33, v42
	v_fma_f32 v38, v37, v38, -v39
	s_delay_alu instid0(VALU_DEP_1) | instskip(NEXT) | instid1(VALU_DEP_1)
	v_fmac_f32_e32 v38, v37, v36
	v_add_f32_e32 v36, v39, v38
	s_delay_alu instid0(VALU_DEP_1) | instskip(NEXT) | instid1(VALU_DEP_1)
	v_sub_f32_e32 v41, v35, v36
	v_sub_f32_e32 v35, v35, v41
	s_delay_alu instid0(VALU_DEP_1) | instskip(NEXT) | instid1(VALU_DEP_1)
	v_sub_f32_e32 v35, v35, v36
	v_add_f32_e32 v33, v33, v35
	v_add_f32_e32 v35, v40, v37
	v_sub_f32_e32 v39, v36, v39
	s_delay_alu instid0(VALU_DEP_1) | instskip(NEXT) | instid1(VALU_DEP_1)
	v_sub_f32_e32 v36, v39, v38
	v_dual_add_f32 v33, v36, v33 :: v_dual_sub_f32 v36, v35, v40
	s_delay_alu instid0(VALU_DEP_1) | instskip(NEXT) | instid1(VALU_DEP_1)
	v_add_f32_e32 v33, v41, v33
	v_dual_sub_f32 v36, v37, v36 :: v_dual_mul_f32 v33, v34, v33
	s_delay_alu instid0(VALU_DEP_1) | instskip(NEXT) | instid1(VALU_DEP_1)
	v_add_f32_e32 v33, v36, v33
	v_add_f32_e32 v34, v35, v33
	s_delay_alu instid0(VALU_DEP_1) | instskip(SKIP_1) | instid1(VALU_DEP_1)
	v_mul_f32_e32 v36, v34, v34
	s_wait_alu 0xfffe
	v_fmaak_f32 v37, s15, v36, 0x3ecc95a3
	v_mul_f32_e32 v38, v34, v36
	v_cmp_neq_f32_e64 s15, 0x7f800000, v10
	s_delay_alu instid0(VALU_DEP_3) | instskip(SKIP_2) | instid1(VALU_DEP_3)
	v_fmaak_f32 v36, v36, v37, 0x3f2aaada
	v_ldexp_f32 v37, v34, 1
	v_sub_f32_e32 v34, v34, v35
	v_mul_f32_e32 v36, v38, v36
	s_delay_alu instid0(VALU_DEP_2) | instskip(NEXT) | instid1(VALU_DEP_2)
	v_dual_mul_f32 v38, 0x3f317218, v32 :: v_dual_sub_f32 v33, v33, v34
	v_add_f32_e32 v35, v37, v36
	s_delay_alu instid0(VALU_DEP_2) | instskip(NEXT) | instid1(VALU_DEP_2)
	v_ldexp_f32 v33, v33, 1
	v_sub_f32_e32 v34, v35, v37
	s_delay_alu instid0(VALU_DEP_4) | instskip(NEXT) | instid1(VALU_DEP_2)
	v_fma_f32 v37, 0x3f317218, v32, -v38
	v_sub_f32_e32 v34, v36, v34
	s_delay_alu instid0(VALU_DEP_1) | instskip(NEXT) | instid1(VALU_DEP_1)
	v_dual_fmamk_f32 v32, v32, 0xb102e308, v37 :: v_dual_add_f32 v33, v33, v34
	v_add_f32_e32 v34, v38, v32
	s_delay_alu instid0(VALU_DEP_1) | instskip(NEXT) | instid1(VALU_DEP_1)
	v_sub_f32_e32 v38, v34, v38
	v_sub_f32_e32 v32, v32, v38
	s_delay_alu instid0(VALU_DEP_4) | instskip(NEXT) | instid1(VALU_DEP_1)
	v_add_f32_e32 v36, v35, v33
	v_sub_f32_e32 v35, v36, v35
	s_delay_alu instid0(VALU_DEP_1) | instskip(SKIP_1) | instid1(VALU_DEP_1)
	v_sub_f32_e32 v33, v33, v35
	v_add_f32_e32 v37, v34, v36
	v_sub_f32_e32 v39, v37, v34
	s_delay_alu instid0(VALU_DEP_1) | instskip(NEXT) | instid1(VALU_DEP_4)
	v_sub_f32_e32 v35, v36, v39
	v_add_f32_e32 v36, v32, v33
	v_sub_f32_e32 v40, v37, v39
	s_delay_alu instid0(VALU_DEP_1) | instskip(NEXT) | instid1(VALU_DEP_1)
	v_sub_f32_e32 v34, v34, v40
	v_dual_add_f32 v34, v35, v34 :: v_dual_sub_f32 v35, v36, v32
	s_delay_alu instid0(VALU_DEP_1) | instskip(SKIP_1) | instid1(VALU_DEP_2)
	v_dual_add_f32 v34, v36, v34 :: v_dual_sub_f32 v33, v33, v35
	v_sub_f32_e32 v36, v36, v35
	v_add_f32_e32 v38, v37, v34
	s_delay_alu instid0(VALU_DEP_1) | instskip(NEXT) | instid1(VALU_DEP_1)
	v_dual_sub_f32 v32, v32, v36 :: v_dual_sub_f32 v35, v38, v37
	v_dual_add_f32 v32, v33, v32 :: v_dual_sub_f32 v33, v34, v35
	s_delay_alu instid0(VALU_DEP_1) | instskip(NEXT) | instid1(VALU_DEP_1)
	v_add_f32_e32 v32, v32, v33
	v_add_f32_e32 v32, v38, v32
	s_wait_alu 0xf1ff
	s_delay_alu instid0(VALU_DEP_1) | instskip(SKIP_2) | instid1(VALU_DEP_1)
	v_cndmask_b32_e64 v32, 0x7f800000, v32, s15
	v_cmp_gt_f32_e64 s15, 0x33800000, |v10|
	s_wait_alu 0xf1ff
	v_cndmask_b32_e64 v10, v32, v10, s15
	s_delay_alu instid0(VALU_DEP_1) | instskip(NEXT) | instid1(VALU_DEP_1)
	v_add_f32_e32 v9, v9, v10
	v_cvt_f16_f32_e32 v32, v9
.LBB356_66:
	s_or_b32 exec_lo, exec_lo, s22
	v_mbcnt_lo_u32_b32 v9, -1, 0
	s_delay_alu instid0(VALU_DEP_2) | instskip(SKIP_1) | instid1(VALU_DEP_2)
	v_and_b32_e32 v33, 0xffff, v32
	s_mov_b32 s22, exec_lo
	v_and_b32_e32 v10, 15, v9
	s_delay_alu instid0(VALU_DEP_2) | instskip(NEXT) | instid1(VALU_DEP_2)
	v_mov_b32_dpp v34, v33 row_shr:1 row_mask:0xf bank_mask:0xf
	v_cmpx_ne_u32_e32 0, v10
	s_xor_b32 s22, exec_lo, s22
	s_cbranch_execz .LBB356_70
; %bb.67:
	s_delay_alu instid0(VALU_DEP_2) | instskip(SKIP_2) | instid1(VALU_DEP_2)
	v_cvt_f32_f16_e32 v33, v34
	v_cvt_f32_f16_e32 v35, v32
	v_cmp_u_f16_e64 s15, v34, v34
	v_min_num_f32_e32 v36, v33, v35
	v_max_num_f32_e32 v37, v33, v35
	s_wait_alu 0xf1ff
	s_delay_alu instid0(VALU_DEP_2) | instskip(NEXT) | instid1(VALU_DEP_2)
	v_cndmask_b32_e64 v36, v36, v33, s15
	v_cndmask_b32_e64 v37, v37, v33, s15
	v_cmp_u_f16_e64 s15, v32, v32
	s_wait_alu 0xf1ff
	s_delay_alu instid0(VALU_DEP_1) | instskip(NEXT) | instid1(VALU_DEP_3)
	v_cndmask_b32_e64 v33, v36, v35, s15
	v_cndmask_b32_e64 v32, v37, v35, s15
	s_delay_alu instid0(VALU_DEP_2) | instskip(NEXT) | instid1(VALU_DEP_2)
	v_cmp_class_f32_e64 s23, v33, 0x1f8
	v_cmp_neq_f32_e64 s15, v33, v32
	s_or_b32 s15, s15, s23
	s_wait_alu 0xfffe
	s_and_saveexec_b32 s23, s15
	s_cbranch_execz .LBB356_69
; %bb.68:
	v_sub_f32_e32 v33, v33, v32
	s_delay_alu instid0(VALU_DEP_1) | instskip(NEXT) | instid1(VALU_DEP_1)
	v_mul_f32_e32 v34, 0x3fb8aa3b, v33
	v_fma_f32 v35, 0x3fb8aa3b, v33, -v34
	v_rndne_f32_e32 v36, v34
	s_delay_alu instid0(VALU_DEP_1) | instskip(NEXT) | instid1(VALU_DEP_1)
	v_dual_fmamk_f32 v35, v33, 0x32a5705f, v35 :: v_dual_sub_f32 v34, v34, v36
	v_add_f32_e32 v34, v34, v35
	v_cvt_i32_f32_e32 v35, v36
	v_cmp_ngt_f32_e64 s15, 0xc2ce8ed0, v33
	s_delay_alu instid0(VALU_DEP_3) | instskip(NEXT) | instid1(TRANS32_DEP_1)
	v_exp_f32_e32 v34, v34
	v_ldexp_f32 v34, v34, v35
	s_wait_alu 0xf1ff
	s_delay_alu instid0(VALU_DEP_1) | instskip(SKIP_2) | instid1(VALU_DEP_1)
	v_cndmask_b32_e64 v34, 0, v34, s15
	v_cmp_nlt_f32_e64 s15, 0x42b17218, v33
	s_wait_alu 0xf1ff
	v_cndmask_b32_e64 v35, 0x7f800000, v34, s15
	s_delay_alu instid0(VALU_DEP_1) | instskip(NEXT) | instid1(VALU_DEP_1)
	v_add_f32_e32 v36, 1.0, v35
	v_cvt_f64_f32_e32 v[33:34], v36
	s_delay_alu instid0(VALU_DEP_1) | instskip(SKIP_1) | instid1(VALU_DEP_1)
	v_frexp_exp_i32_f64_e32 v33, v[33:34]
	v_frexp_mant_f32_e32 v34, v36
	v_cmp_gt_f32_e64 s15, 0x3f2aaaab, v34
	v_add_f32_e32 v34, -1.0, v36
	s_delay_alu instid0(VALU_DEP_1) | instskip(SKIP_1) | instid1(VALU_DEP_3)
	v_sub_f32_e32 v38, v34, v36
	s_wait_alu 0xf1ff
	v_subrev_co_ci_u32_e64 v33, null, 0, v33, s15
	s_mov_b32 s15, 0x3e9b6dac
	v_sub_nc_u32_e32 v37, 0, v33
	v_cvt_f32_i32_e32 v33, v33
	s_delay_alu instid0(VALU_DEP_2) | instskip(NEXT) | instid1(VALU_DEP_1)
	v_ldexp_f32 v36, v36, v37
	v_dual_sub_f32 v34, v35, v34 :: v_dual_add_f32 v39, 1.0, v36
	v_add_f32_e32 v38, 1.0, v38
	s_delay_alu instid0(VALU_DEP_1) | instskip(NEXT) | instid1(VALU_DEP_3)
	v_add_f32_e32 v34, v34, v38
	v_add_f32_e32 v38, -1.0, v39
	s_delay_alu instid0(VALU_DEP_2) | instskip(NEXT) | instid1(VALU_DEP_2)
	v_ldexp_f32 v34, v34, v37
	v_dual_add_f32 v37, -1.0, v36 :: v_dual_sub_f32 v38, v36, v38
	s_delay_alu instid0(VALU_DEP_1) | instskip(NEXT) | instid1(VALU_DEP_2)
	v_add_f32_e32 v40, 1.0, v37
	v_add_f32_e32 v38, v34, v38
	s_delay_alu instid0(VALU_DEP_2) | instskip(NEXT) | instid1(VALU_DEP_2)
	v_sub_f32_e32 v36, v36, v40
	v_add_f32_e32 v40, v39, v38
	s_delay_alu instid0(VALU_DEP_2) | instskip(NEXT) | instid1(VALU_DEP_2)
	v_add_f32_e32 v34, v34, v36
	v_rcp_f32_e32 v36, v40
	v_sub_f32_e32 v39, v39, v40
	s_delay_alu instid0(VALU_DEP_1) | instskip(NEXT) | instid1(VALU_DEP_1)
	v_dual_add_f32 v41, v37, v34 :: v_dual_add_f32 v38, v38, v39
	v_sub_f32_e32 v37, v37, v41
	s_delay_alu instid0(TRANS32_DEP_1) | instskip(NEXT) | instid1(VALU_DEP_1)
	v_mul_f32_e32 v42, v41, v36
	v_dual_add_f32 v34, v34, v37 :: v_dual_mul_f32 v43, v40, v42
	s_delay_alu instid0(VALU_DEP_1) | instskip(NEXT) | instid1(VALU_DEP_1)
	v_fma_f32 v39, v42, v40, -v43
	v_fmac_f32_e32 v39, v42, v38
	s_delay_alu instid0(VALU_DEP_1) | instskip(NEXT) | instid1(VALU_DEP_1)
	v_add_f32_e32 v44, v43, v39
	v_sub_f32_e32 v45, v41, v44
	v_sub_f32_e32 v37, v44, v43
	s_delay_alu instid0(VALU_DEP_2) | instskip(NEXT) | instid1(VALU_DEP_2)
	v_sub_f32_e32 v41, v41, v45
	v_sub_f32_e32 v37, v37, v39
	s_delay_alu instid0(VALU_DEP_2) | instskip(NEXT) | instid1(VALU_DEP_1)
	v_sub_f32_e32 v41, v41, v44
	v_add_f32_e32 v34, v34, v41
	s_delay_alu instid0(VALU_DEP_1) | instskip(NEXT) | instid1(VALU_DEP_1)
	v_add_f32_e32 v34, v37, v34
	v_add_f32_e32 v37, v45, v34
	s_delay_alu instid0(VALU_DEP_1) | instskip(NEXT) | instid1(VALU_DEP_1)
	v_mul_f32_e32 v39, v36, v37
	v_dual_sub_f32 v44, v45, v37 :: v_dual_mul_f32 v41, v40, v39
	s_delay_alu instid0(VALU_DEP_1) | instskip(NEXT) | instid1(VALU_DEP_2)
	v_add_f32_e32 v34, v34, v44
	v_fma_f32 v40, v39, v40, -v41
	s_delay_alu instid0(VALU_DEP_1) | instskip(NEXT) | instid1(VALU_DEP_1)
	v_fmac_f32_e32 v40, v39, v38
	v_add_f32_e32 v38, v41, v40
	s_delay_alu instid0(VALU_DEP_1) | instskip(SKIP_1) | instid1(VALU_DEP_2)
	v_sub_f32_e32 v43, v37, v38
	v_sub_f32_e32 v41, v38, v41
	;; [unrolled: 1-line block ×3, first 2 shown]
	s_delay_alu instid0(VALU_DEP_1) | instskip(NEXT) | instid1(VALU_DEP_3)
	v_sub_f32_e32 v37, v37, v38
	v_sub_f32_e32 v38, v41, v40
	s_delay_alu instid0(VALU_DEP_2) | instskip(SKIP_1) | instid1(VALU_DEP_2)
	v_add_f32_e32 v34, v34, v37
	v_add_f32_e32 v37, v42, v39
	;; [unrolled: 1-line block ×3, first 2 shown]
	s_delay_alu instid0(VALU_DEP_2) | instskip(NEXT) | instid1(VALU_DEP_2)
	v_sub_f32_e32 v38, v37, v42
	v_add_f32_e32 v34, v43, v34
	s_delay_alu instid0(VALU_DEP_2) | instskip(NEXT) | instid1(VALU_DEP_2)
	v_sub_f32_e32 v38, v39, v38
	v_mul_f32_e32 v34, v36, v34
	s_delay_alu instid0(VALU_DEP_1) | instskip(NEXT) | instid1(VALU_DEP_1)
	v_add_f32_e32 v34, v38, v34
	v_add_f32_e32 v36, v37, v34
	s_delay_alu instid0(VALU_DEP_1) | instskip(SKIP_1) | instid1(VALU_DEP_1)
	v_mul_f32_e32 v38, v36, v36
	s_wait_alu 0xfffe
	v_fmaak_f32 v39, s15, v38, 0x3ecc95a3
	v_mul_f32_e32 v40, v36, v38
	v_cmp_neq_f32_e64 s15, 0x7f800000, v35
	s_delay_alu instid0(VALU_DEP_3) | instskip(SKIP_2) | instid1(VALU_DEP_3)
	v_fmaak_f32 v38, v38, v39, 0x3f2aaada
	v_ldexp_f32 v39, v36, 1
	v_sub_f32_e32 v36, v36, v37
	v_mul_f32_e32 v38, v40, v38
	v_mul_f32_e32 v40, 0x3f317218, v33
	s_delay_alu instid0(VALU_DEP_2) | instskip(NEXT) | instid1(VALU_DEP_1)
	v_dual_sub_f32 v34, v34, v36 :: v_dual_add_f32 v37, v39, v38
	v_ldexp_f32 v34, v34, 1
	s_delay_alu instid0(VALU_DEP_2) | instskip(NEXT) | instid1(VALU_DEP_4)
	v_sub_f32_e32 v36, v37, v39
	v_fma_f32 v39, 0x3f317218, v33, -v40
	s_delay_alu instid0(VALU_DEP_1) | instskip(NEXT) | instid1(VALU_DEP_1)
	v_dual_sub_f32 v36, v38, v36 :: v_dual_fmamk_f32 v33, v33, 0xb102e308, v39
	v_add_f32_e32 v34, v34, v36
	s_delay_alu instid0(VALU_DEP_2) | instskip(NEXT) | instid1(VALU_DEP_2)
	v_add_f32_e32 v36, v40, v33
	v_add_f32_e32 v38, v37, v34
	s_delay_alu instid0(VALU_DEP_2) | instskip(NEXT) | instid1(VALU_DEP_2)
	v_sub_f32_e32 v40, v36, v40
	v_add_f32_e32 v39, v36, v38
	v_sub_f32_e32 v37, v38, v37
	s_delay_alu instid0(VALU_DEP_3) | instskip(NEXT) | instid1(VALU_DEP_2)
	v_sub_f32_e32 v33, v33, v40
	v_dual_sub_f32 v41, v39, v36 :: v_dual_sub_f32 v34, v34, v37
	s_delay_alu instid0(VALU_DEP_1) | instskip(NEXT) | instid1(VALU_DEP_2)
	v_sub_f32_e32 v42, v39, v41
	v_dual_sub_f32 v37, v38, v41 :: v_dual_add_f32 v38, v33, v34
	s_delay_alu instid0(VALU_DEP_2) | instskip(NEXT) | instid1(VALU_DEP_1)
	v_sub_f32_e32 v36, v36, v42
	v_dual_add_f32 v36, v37, v36 :: v_dual_sub_f32 v37, v38, v33
	s_delay_alu instid0(VALU_DEP_1) | instskip(NEXT) | instid1(VALU_DEP_2)
	v_add_f32_e32 v36, v38, v36
	v_sub_f32_e32 v38, v38, v37
	v_sub_f32_e32 v34, v34, v37
	s_delay_alu instid0(VALU_DEP_2) | instskip(NEXT) | instid1(VALU_DEP_1)
	v_dual_add_f32 v40, v39, v36 :: v_dual_sub_f32 v33, v33, v38
	v_sub_f32_e32 v37, v40, v39
	s_delay_alu instid0(VALU_DEP_2) | instskip(NEXT) | instid1(VALU_DEP_2)
	v_add_f32_e32 v33, v34, v33
	v_sub_f32_e32 v34, v36, v37
	s_delay_alu instid0(VALU_DEP_1) | instskip(NEXT) | instid1(VALU_DEP_1)
	v_add_f32_e32 v33, v33, v34
	v_add_f32_e32 v33, v40, v33
	s_wait_alu 0xf1ff
	s_delay_alu instid0(VALU_DEP_1) | instskip(SKIP_2) | instid1(VALU_DEP_1)
	v_cndmask_b32_e64 v33, 0x7f800000, v33, s15
	v_cmp_gt_f32_e64 s15, 0x33800000, |v35|
	s_wait_alu 0xf1ff
	v_cndmask_b32_e64 v33, v33, v35, s15
	s_delay_alu instid0(VALU_DEP_1) | instskip(NEXT) | instid1(VALU_DEP_1)
	v_add_f32_e32 v32, v32, v33
	v_cvt_f16_f32_e32 v34, v32
.LBB356_69:
	s_or_b32 exec_lo, exec_lo, s23
	s_delay_alu instid0(VALU_DEP_1)
	v_dual_mov_b32 v32, v34 :: v_dual_and_b32 v33, 0xffff, v34
.LBB356_70:
	s_or_b32 exec_lo, exec_lo, s22
	s_delay_alu instid0(VALU_DEP_1)
	v_mov_b32_dpp v34, v33 row_shr:2 row_mask:0xf bank_mask:0xf
	s_mov_b32 s22, exec_lo
	v_cmpx_lt_u32_e32 1, v10
	s_cbranch_execz .LBB356_74
; %bb.71:
	s_delay_alu instid0(VALU_DEP_2) | instskip(SKIP_2) | instid1(VALU_DEP_2)
	v_cvt_f32_f16_e32 v33, v34
	v_cvt_f32_f16_e32 v35, v32
	v_cmp_u_f16_e64 s15, v34, v34
	v_min_num_f32_e32 v36, v33, v35
	v_max_num_f32_e32 v37, v33, v35
	s_wait_alu 0xf1ff
	s_delay_alu instid0(VALU_DEP_2) | instskip(NEXT) | instid1(VALU_DEP_2)
	v_cndmask_b32_e64 v36, v36, v33, s15
	v_cndmask_b32_e64 v37, v37, v33, s15
	v_cmp_u_f16_e64 s15, v32, v32
	s_wait_alu 0xf1ff
	s_delay_alu instid0(VALU_DEP_1) | instskip(NEXT) | instid1(VALU_DEP_3)
	v_cndmask_b32_e64 v33, v36, v35, s15
	v_cndmask_b32_e64 v32, v37, v35, s15
	s_delay_alu instid0(VALU_DEP_2) | instskip(NEXT) | instid1(VALU_DEP_2)
	v_cmp_class_f32_e64 s23, v33, 0x1f8
	v_cmp_neq_f32_e64 s15, v33, v32
	s_or_b32 s15, s15, s23
	s_wait_alu 0xfffe
	s_and_saveexec_b32 s23, s15
	s_cbranch_execz .LBB356_73
; %bb.72:
	v_sub_f32_e32 v33, v33, v32
	s_delay_alu instid0(VALU_DEP_1) | instskip(NEXT) | instid1(VALU_DEP_1)
	v_mul_f32_e32 v34, 0x3fb8aa3b, v33
	v_fma_f32 v35, 0x3fb8aa3b, v33, -v34
	v_rndne_f32_e32 v36, v34
	s_delay_alu instid0(VALU_DEP_1) | instskip(NEXT) | instid1(VALU_DEP_1)
	v_dual_fmamk_f32 v35, v33, 0x32a5705f, v35 :: v_dual_sub_f32 v34, v34, v36
	v_add_f32_e32 v34, v34, v35
	v_cvt_i32_f32_e32 v35, v36
	v_cmp_ngt_f32_e64 s15, 0xc2ce8ed0, v33
	s_delay_alu instid0(VALU_DEP_3) | instskip(NEXT) | instid1(TRANS32_DEP_1)
	v_exp_f32_e32 v34, v34
	v_ldexp_f32 v34, v34, v35
	s_wait_alu 0xf1ff
	s_delay_alu instid0(VALU_DEP_1) | instskip(SKIP_2) | instid1(VALU_DEP_1)
	v_cndmask_b32_e64 v34, 0, v34, s15
	v_cmp_nlt_f32_e64 s15, 0x42b17218, v33
	s_wait_alu 0xf1ff
	v_cndmask_b32_e64 v35, 0x7f800000, v34, s15
	s_delay_alu instid0(VALU_DEP_1) | instskip(NEXT) | instid1(VALU_DEP_1)
	v_add_f32_e32 v36, 1.0, v35
	v_cvt_f64_f32_e32 v[33:34], v36
	s_delay_alu instid0(VALU_DEP_1) | instskip(SKIP_1) | instid1(VALU_DEP_1)
	v_frexp_exp_i32_f64_e32 v33, v[33:34]
	v_frexp_mant_f32_e32 v34, v36
	v_cmp_gt_f32_e64 s15, 0x3f2aaaab, v34
	v_add_f32_e32 v34, -1.0, v36
	s_delay_alu instid0(VALU_DEP_1) | instskip(SKIP_1) | instid1(VALU_DEP_3)
	v_sub_f32_e32 v38, v34, v36
	s_wait_alu 0xf1ff
	v_subrev_co_ci_u32_e64 v33, null, 0, v33, s15
	s_mov_b32 s15, 0x3e9b6dac
	v_sub_nc_u32_e32 v37, 0, v33
	v_cvt_f32_i32_e32 v33, v33
	s_delay_alu instid0(VALU_DEP_2) | instskip(NEXT) | instid1(VALU_DEP_1)
	v_ldexp_f32 v36, v36, v37
	v_dual_sub_f32 v34, v35, v34 :: v_dual_add_f32 v39, 1.0, v36
	v_add_f32_e32 v38, 1.0, v38
	s_delay_alu instid0(VALU_DEP_1) | instskip(NEXT) | instid1(VALU_DEP_3)
	v_add_f32_e32 v34, v34, v38
	v_add_f32_e32 v38, -1.0, v39
	s_delay_alu instid0(VALU_DEP_2) | instskip(NEXT) | instid1(VALU_DEP_2)
	v_ldexp_f32 v34, v34, v37
	v_dual_add_f32 v37, -1.0, v36 :: v_dual_sub_f32 v38, v36, v38
	s_delay_alu instid0(VALU_DEP_1) | instskip(NEXT) | instid1(VALU_DEP_2)
	v_add_f32_e32 v40, 1.0, v37
	v_add_f32_e32 v38, v34, v38
	s_delay_alu instid0(VALU_DEP_2) | instskip(NEXT) | instid1(VALU_DEP_2)
	v_sub_f32_e32 v36, v36, v40
	v_add_f32_e32 v40, v39, v38
	s_delay_alu instid0(VALU_DEP_2) | instskip(NEXT) | instid1(VALU_DEP_2)
	v_add_f32_e32 v34, v34, v36
	v_rcp_f32_e32 v36, v40
	v_sub_f32_e32 v39, v39, v40
	s_delay_alu instid0(VALU_DEP_1) | instskip(NEXT) | instid1(VALU_DEP_1)
	v_dual_add_f32 v41, v37, v34 :: v_dual_add_f32 v38, v38, v39
	v_sub_f32_e32 v37, v37, v41
	s_delay_alu instid0(TRANS32_DEP_1) | instskip(NEXT) | instid1(VALU_DEP_1)
	v_mul_f32_e32 v42, v41, v36
	v_dual_add_f32 v34, v34, v37 :: v_dual_mul_f32 v43, v40, v42
	s_delay_alu instid0(VALU_DEP_1) | instskip(NEXT) | instid1(VALU_DEP_1)
	v_fma_f32 v39, v42, v40, -v43
	v_fmac_f32_e32 v39, v42, v38
	s_delay_alu instid0(VALU_DEP_1) | instskip(NEXT) | instid1(VALU_DEP_1)
	v_add_f32_e32 v44, v43, v39
	v_sub_f32_e32 v45, v41, v44
	v_sub_f32_e32 v37, v44, v43
	s_delay_alu instid0(VALU_DEP_2) | instskip(NEXT) | instid1(VALU_DEP_2)
	v_sub_f32_e32 v41, v41, v45
	v_sub_f32_e32 v37, v37, v39
	s_delay_alu instid0(VALU_DEP_2) | instskip(NEXT) | instid1(VALU_DEP_1)
	v_sub_f32_e32 v41, v41, v44
	v_add_f32_e32 v34, v34, v41
	s_delay_alu instid0(VALU_DEP_1) | instskip(NEXT) | instid1(VALU_DEP_1)
	v_add_f32_e32 v34, v37, v34
	v_add_f32_e32 v37, v45, v34
	s_delay_alu instid0(VALU_DEP_1) | instskip(NEXT) | instid1(VALU_DEP_1)
	v_mul_f32_e32 v39, v36, v37
	v_dual_sub_f32 v44, v45, v37 :: v_dual_mul_f32 v41, v40, v39
	s_delay_alu instid0(VALU_DEP_1) | instskip(NEXT) | instid1(VALU_DEP_2)
	v_add_f32_e32 v34, v34, v44
	v_fma_f32 v40, v39, v40, -v41
	s_delay_alu instid0(VALU_DEP_1) | instskip(NEXT) | instid1(VALU_DEP_1)
	v_fmac_f32_e32 v40, v39, v38
	v_add_f32_e32 v38, v41, v40
	s_delay_alu instid0(VALU_DEP_1) | instskip(SKIP_1) | instid1(VALU_DEP_2)
	v_sub_f32_e32 v43, v37, v38
	v_sub_f32_e32 v41, v38, v41
	;; [unrolled: 1-line block ×3, first 2 shown]
	s_delay_alu instid0(VALU_DEP_1) | instskip(NEXT) | instid1(VALU_DEP_3)
	v_sub_f32_e32 v37, v37, v38
	v_sub_f32_e32 v38, v41, v40
	s_delay_alu instid0(VALU_DEP_2) | instskip(SKIP_1) | instid1(VALU_DEP_2)
	v_add_f32_e32 v34, v34, v37
	v_add_f32_e32 v37, v42, v39
	;; [unrolled: 1-line block ×3, first 2 shown]
	s_delay_alu instid0(VALU_DEP_2) | instskip(NEXT) | instid1(VALU_DEP_2)
	v_sub_f32_e32 v38, v37, v42
	v_add_f32_e32 v34, v43, v34
	s_delay_alu instid0(VALU_DEP_2) | instskip(NEXT) | instid1(VALU_DEP_2)
	v_sub_f32_e32 v38, v39, v38
	v_mul_f32_e32 v34, v36, v34
	s_delay_alu instid0(VALU_DEP_1) | instskip(NEXT) | instid1(VALU_DEP_1)
	v_add_f32_e32 v34, v38, v34
	v_add_f32_e32 v36, v37, v34
	s_delay_alu instid0(VALU_DEP_1) | instskip(SKIP_1) | instid1(VALU_DEP_1)
	v_mul_f32_e32 v38, v36, v36
	s_wait_alu 0xfffe
	v_fmaak_f32 v39, s15, v38, 0x3ecc95a3
	v_mul_f32_e32 v40, v36, v38
	v_cmp_neq_f32_e64 s15, 0x7f800000, v35
	s_delay_alu instid0(VALU_DEP_3) | instskip(SKIP_2) | instid1(VALU_DEP_3)
	v_fmaak_f32 v38, v38, v39, 0x3f2aaada
	v_ldexp_f32 v39, v36, 1
	v_sub_f32_e32 v36, v36, v37
	v_mul_f32_e32 v38, v40, v38
	v_mul_f32_e32 v40, 0x3f317218, v33
	s_delay_alu instid0(VALU_DEP_2) | instskip(NEXT) | instid1(VALU_DEP_1)
	v_dual_sub_f32 v34, v34, v36 :: v_dual_add_f32 v37, v39, v38
	v_ldexp_f32 v34, v34, 1
	s_delay_alu instid0(VALU_DEP_2) | instskip(NEXT) | instid1(VALU_DEP_4)
	v_sub_f32_e32 v36, v37, v39
	v_fma_f32 v39, 0x3f317218, v33, -v40
	s_delay_alu instid0(VALU_DEP_1) | instskip(NEXT) | instid1(VALU_DEP_1)
	v_dual_sub_f32 v36, v38, v36 :: v_dual_fmamk_f32 v33, v33, 0xb102e308, v39
	v_add_f32_e32 v34, v34, v36
	s_delay_alu instid0(VALU_DEP_2) | instskip(NEXT) | instid1(VALU_DEP_2)
	v_add_f32_e32 v36, v40, v33
	v_add_f32_e32 v38, v37, v34
	s_delay_alu instid0(VALU_DEP_2) | instskip(NEXT) | instid1(VALU_DEP_2)
	v_sub_f32_e32 v40, v36, v40
	v_add_f32_e32 v39, v36, v38
	v_sub_f32_e32 v37, v38, v37
	s_delay_alu instid0(VALU_DEP_3) | instskip(NEXT) | instid1(VALU_DEP_2)
	v_sub_f32_e32 v33, v33, v40
	v_dual_sub_f32 v41, v39, v36 :: v_dual_sub_f32 v34, v34, v37
	s_delay_alu instid0(VALU_DEP_1) | instskip(NEXT) | instid1(VALU_DEP_2)
	v_sub_f32_e32 v42, v39, v41
	v_dual_sub_f32 v37, v38, v41 :: v_dual_add_f32 v38, v33, v34
	s_delay_alu instid0(VALU_DEP_2) | instskip(NEXT) | instid1(VALU_DEP_1)
	v_sub_f32_e32 v36, v36, v42
	v_dual_add_f32 v36, v37, v36 :: v_dual_sub_f32 v37, v38, v33
	s_delay_alu instid0(VALU_DEP_1) | instskip(NEXT) | instid1(VALU_DEP_2)
	v_add_f32_e32 v36, v38, v36
	v_sub_f32_e32 v38, v38, v37
	v_sub_f32_e32 v34, v34, v37
	s_delay_alu instid0(VALU_DEP_2) | instskip(NEXT) | instid1(VALU_DEP_1)
	v_dual_add_f32 v40, v39, v36 :: v_dual_sub_f32 v33, v33, v38
	v_sub_f32_e32 v37, v40, v39
	s_delay_alu instid0(VALU_DEP_2) | instskip(NEXT) | instid1(VALU_DEP_2)
	v_add_f32_e32 v33, v34, v33
	v_sub_f32_e32 v34, v36, v37
	s_delay_alu instid0(VALU_DEP_1) | instskip(NEXT) | instid1(VALU_DEP_1)
	v_add_f32_e32 v33, v33, v34
	v_add_f32_e32 v33, v40, v33
	s_wait_alu 0xf1ff
	s_delay_alu instid0(VALU_DEP_1) | instskip(SKIP_2) | instid1(VALU_DEP_1)
	v_cndmask_b32_e64 v33, 0x7f800000, v33, s15
	v_cmp_gt_f32_e64 s15, 0x33800000, |v35|
	s_wait_alu 0xf1ff
	v_cndmask_b32_e64 v33, v33, v35, s15
	s_delay_alu instid0(VALU_DEP_1) | instskip(NEXT) | instid1(VALU_DEP_1)
	v_add_f32_e32 v32, v32, v33
	v_cvt_f16_f32_e32 v34, v32
.LBB356_73:
	s_or_b32 exec_lo, exec_lo, s23
	s_delay_alu instid0(VALU_DEP_1)
	v_dual_mov_b32 v32, v34 :: v_dual_and_b32 v33, 0xffff, v34
.LBB356_74:
	s_or_b32 exec_lo, exec_lo, s22
	s_delay_alu instid0(VALU_DEP_1)
	v_mov_b32_dpp v34, v33 row_shr:4 row_mask:0xf bank_mask:0xf
	s_mov_b32 s22, exec_lo
	v_cmpx_lt_u32_e32 3, v10
	s_cbranch_execz .LBB356_78
; %bb.75:
	s_delay_alu instid0(VALU_DEP_2) | instskip(SKIP_2) | instid1(VALU_DEP_2)
	v_cvt_f32_f16_e32 v33, v34
	v_cvt_f32_f16_e32 v35, v32
	v_cmp_u_f16_e64 s15, v34, v34
	v_min_num_f32_e32 v36, v33, v35
	v_max_num_f32_e32 v37, v33, v35
	s_wait_alu 0xf1ff
	s_delay_alu instid0(VALU_DEP_2) | instskip(NEXT) | instid1(VALU_DEP_2)
	v_cndmask_b32_e64 v36, v36, v33, s15
	v_cndmask_b32_e64 v37, v37, v33, s15
	v_cmp_u_f16_e64 s15, v32, v32
	s_wait_alu 0xf1ff
	s_delay_alu instid0(VALU_DEP_1) | instskip(NEXT) | instid1(VALU_DEP_3)
	v_cndmask_b32_e64 v33, v36, v35, s15
	v_cndmask_b32_e64 v32, v37, v35, s15
	s_delay_alu instid0(VALU_DEP_2) | instskip(NEXT) | instid1(VALU_DEP_2)
	v_cmp_class_f32_e64 s23, v33, 0x1f8
	v_cmp_neq_f32_e64 s15, v33, v32
	s_or_b32 s15, s15, s23
	s_wait_alu 0xfffe
	s_and_saveexec_b32 s23, s15
	s_cbranch_execz .LBB356_77
; %bb.76:
	v_sub_f32_e32 v33, v33, v32
	s_delay_alu instid0(VALU_DEP_1) | instskip(NEXT) | instid1(VALU_DEP_1)
	v_mul_f32_e32 v34, 0x3fb8aa3b, v33
	v_fma_f32 v35, 0x3fb8aa3b, v33, -v34
	v_rndne_f32_e32 v36, v34
	s_delay_alu instid0(VALU_DEP_1) | instskip(NEXT) | instid1(VALU_DEP_1)
	v_dual_fmamk_f32 v35, v33, 0x32a5705f, v35 :: v_dual_sub_f32 v34, v34, v36
	v_add_f32_e32 v34, v34, v35
	v_cvt_i32_f32_e32 v35, v36
	v_cmp_ngt_f32_e64 s15, 0xc2ce8ed0, v33
	s_delay_alu instid0(VALU_DEP_3) | instskip(NEXT) | instid1(TRANS32_DEP_1)
	v_exp_f32_e32 v34, v34
	v_ldexp_f32 v34, v34, v35
	s_wait_alu 0xf1ff
	s_delay_alu instid0(VALU_DEP_1) | instskip(SKIP_2) | instid1(VALU_DEP_1)
	v_cndmask_b32_e64 v34, 0, v34, s15
	v_cmp_nlt_f32_e64 s15, 0x42b17218, v33
	s_wait_alu 0xf1ff
	v_cndmask_b32_e64 v35, 0x7f800000, v34, s15
	s_delay_alu instid0(VALU_DEP_1) | instskip(NEXT) | instid1(VALU_DEP_1)
	v_add_f32_e32 v36, 1.0, v35
	v_cvt_f64_f32_e32 v[33:34], v36
	s_delay_alu instid0(VALU_DEP_1) | instskip(SKIP_1) | instid1(VALU_DEP_1)
	v_frexp_exp_i32_f64_e32 v33, v[33:34]
	v_frexp_mant_f32_e32 v34, v36
	v_cmp_gt_f32_e64 s15, 0x3f2aaaab, v34
	v_add_f32_e32 v34, -1.0, v36
	s_delay_alu instid0(VALU_DEP_1) | instskip(SKIP_1) | instid1(VALU_DEP_3)
	v_sub_f32_e32 v38, v34, v36
	s_wait_alu 0xf1ff
	v_subrev_co_ci_u32_e64 v33, null, 0, v33, s15
	s_mov_b32 s15, 0x3e9b6dac
	v_sub_nc_u32_e32 v37, 0, v33
	v_cvt_f32_i32_e32 v33, v33
	s_delay_alu instid0(VALU_DEP_2) | instskip(NEXT) | instid1(VALU_DEP_1)
	v_ldexp_f32 v36, v36, v37
	v_dual_sub_f32 v34, v35, v34 :: v_dual_add_f32 v39, 1.0, v36
	v_add_f32_e32 v38, 1.0, v38
	s_delay_alu instid0(VALU_DEP_1) | instskip(NEXT) | instid1(VALU_DEP_3)
	v_add_f32_e32 v34, v34, v38
	v_add_f32_e32 v38, -1.0, v39
	s_delay_alu instid0(VALU_DEP_2) | instskip(NEXT) | instid1(VALU_DEP_2)
	v_ldexp_f32 v34, v34, v37
	v_dual_add_f32 v37, -1.0, v36 :: v_dual_sub_f32 v38, v36, v38
	s_delay_alu instid0(VALU_DEP_1) | instskip(NEXT) | instid1(VALU_DEP_2)
	v_add_f32_e32 v40, 1.0, v37
	v_add_f32_e32 v38, v34, v38
	s_delay_alu instid0(VALU_DEP_2) | instskip(NEXT) | instid1(VALU_DEP_2)
	v_sub_f32_e32 v36, v36, v40
	v_add_f32_e32 v40, v39, v38
	s_delay_alu instid0(VALU_DEP_2) | instskip(NEXT) | instid1(VALU_DEP_2)
	v_add_f32_e32 v34, v34, v36
	v_rcp_f32_e32 v36, v40
	v_sub_f32_e32 v39, v39, v40
	s_delay_alu instid0(VALU_DEP_1) | instskip(NEXT) | instid1(VALU_DEP_1)
	v_dual_add_f32 v41, v37, v34 :: v_dual_add_f32 v38, v38, v39
	v_sub_f32_e32 v37, v37, v41
	s_delay_alu instid0(TRANS32_DEP_1) | instskip(NEXT) | instid1(VALU_DEP_1)
	v_mul_f32_e32 v42, v41, v36
	v_dual_add_f32 v34, v34, v37 :: v_dual_mul_f32 v43, v40, v42
	s_delay_alu instid0(VALU_DEP_1) | instskip(NEXT) | instid1(VALU_DEP_1)
	v_fma_f32 v39, v42, v40, -v43
	v_fmac_f32_e32 v39, v42, v38
	s_delay_alu instid0(VALU_DEP_1) | instskip(NEXT) | instid1(VALU_DEP_1)
	v_add_f32_e32 v44, v43, v39
	v_sub_f32_e32 v45, v41, v44
	v_sub_f32_e32 v37, v44, v43
	s_delay_alu instid0(VALU_DEP_2) | instskip(NEXT) | instid1(VALU_DEP_2)
	v_sub_f32_e32 v41, v41, v45
	v_sub_f32_e32 v37, v37, v39
	s_delay_alu instid0(VALU_DEP_2) | instskip(NEXT) | instid1(VALU_DEP_1)
	v_sub_f32_e32 v41, v41, v44
	v_add_f32_e32 v34, v34, v41
	s_delay_alu instid0(VALU_DEP_1) | instskip(NEXT) | instid1(VALU_DEP_1)
	v_add_f32_e32 v34, v37, v34
	v_add_f32_e32 v37, v45, v34
	s_delay_alu instid0(VALU_DEP_1) | instskip(NEXT) | instid1(VALU_DEP_1)
	v_mul_f32_e32 v39, v36, v37
	v_dual_sub_f32 v44, v45, v37 :: v_dual_mul_f32 v41, v40, v39
	s_delay_alu instid0(VALU_DEP_1) | instskip(NEXT) | instid1(VALU_DEP_2)
	v_add_f32_e32 v34, v34, v44
	v_fma_f32 v40, v39, v40, -v41
	s_delay_alu instid0(VALU_DEP_1) | instskip(NEXT) | instid1(VALU_DEP_1)
	v_fmac_f32_e32 v40, v39, v38
	v_add_f32_e32 v38, v41, v40
	s_delay_alu instid0(VALU_DEP_1) | instskip(SKIP_1) | instid1(VALU_DEP_2)
	v_sub_f32_e32 v43, v37, v38
	v_sub_f32_e32 v41, v38, v41
	v_sub_f32_e32 v37, v37, v43
	s_delay_alu instid0(VALU_DEP_1) | instskip(NEXT) | instid1(VALU_DEP_3)
	v_sub_f32_e32 v37, v37, v38
	v_sub_f32_e32 v38, v41, v40
	s_delay_alu instid0(VALU_DEP_2) | instskip(SKIP_1) | instid1(VALU_DEP_2)
	v_add_f32_e32 v34, v34, v37
	v_add_f32_e32 v37, v42, v39
	;; [unrolled: 1-line block ×3, first 2 shown]
	s_delay_alu instid0(VALU_DEP_2) | instskip(NEXT) | instid1(VALU_DEP_2)
	v_sub_f32_e32 v38, v37, v42
	v_add_f32_e32 v34, v43, v34
	s_delay_alu instid0(VALU_DEP_2) | instskip(NEXT) | instid1(VALU_DEP_2)
	v_sub_f32_e32 v38, v39, v38
	v_mul_f32_e32 v34, v36, v34
	s_delay_alu instid0(VALU_DEP_1) | instskip(NEXT) | instid1(VALU_DEP_1)
	v_add_f32_e32 v34, v38, v34
	v_add_f32_e32 v36, v37, v34
	s_delay_alu instid0(VALU_DEP_1) | instskip(SKIP_1) | instid1(VALU_DEP_1)
	v_mul_f32_e32 v38, v36, v36
	s_wait_alu 0xfffe
	v_fmaak_f32 v39, s15, v38, 0x3ecc95a3
	v_mul_f32_e32 v40, v36, v38
	v_cmp_neq_f32_e64 s15, 0x7f800000, v35
	s_delay_alu instid0(VALU_DEP_3) | instskip(SKIP_2) | instid1(VALU_DEP_3)
	v_fmaak_f32 v38, v38, v39, 0x3f2aaada
	v_ldexp_f32 v39, v36, 1
	v_sub_f32_e32 v36, v36, v37
	v_mul_f32_e32 v38, v40, v38
	v_mul_f32_e32 v40, 0x3f317218, v33
	s_delay_alu instid0(VALU_DEP_2) | instskip(NEXT) | instid1(VALU_DEP_1)
	v_dual_sub_f32 v34, v34, v36 :: v_dual_add_f32 v37, v39, v38
	v_ldexp_f32 v34, v34, 1
	s_delay_alu instid0(VALU_DEP_2) | instskip(NEXT) | instid1(VALU_DEP_4)
	v_sub_f32_e32 v36, v37, v39
	v_fma_f32 v39, 0x3f317218, v33, -v40
	s_delay_alu instid0(VALU_DEP_1) | instskip(NEXT) | instid1(VALU_DEP_1)
	v_dual_sub_f32 v36, v38, v36 :: v_dual_fmamk_f32 v33, v33, 0xb102e308, v39
	v_add_f32_e32 v34, v34, v36
	s_delay_alu instid0(VALU_DEP_2) | instskip(NEXT) | instid1(VALU_DEP_2)
	v_add_f32_e32 v36, v40, v33
	v_add_f32_e32 v38, v37, v34
	s_delay_alu instid0(VALU_DEP_2) | instskip(NEXT) | instid1(VALU_DEP_2)
	v_sub_f32_e32 v40, v36, v40
	v_add_f32_e32 v39, v36, v38
	v_sub_f32_e32 v37, v38, v37
	s_delay_alu instid0(VALU_DEP_3) | instskip(NEXT) | instid1(VALU_DEP_2)
	v_sub_f32_e32 v33, v33, v40
	v_dual_sub_f32 v41, v39, v36 :: v_dual_sub_f32 v34, v34, v37
	s_delay_alu instid0(VALU_DEP_1) | instskip(NEXT) | instid1(VALU_DEP_2)
	v_sub_f32_e32 v42, v39, v41
	v_dual_sub_f32 v37, v38, v41 :: v_dual_add_f32 v38, v33, v34
	s_delay_alu instid0(VALU_DEP_2) | instskip(NEXT) | instid1(VALU_DEP_1)
	v_sub_f32_e32 v36, v36, v42
	v_dual_add_f32 v36, v37, v36 :: v_dual_sub_f32 v37, v38, v33
	s_delay_alu instid0(VALU_DEP_1) | instskip(NEXT) | instid1(VALU_DEP_2)
	v_add_f32_e32 v36, v38, v36
	v_sub_f32_e32 v38, v38, v37
	v_sub_f32_e32 v34, v34, v37
	s_delay_alu instid0(VALU_DEP_2) | instskip(NEXT) | instid1(VALU_DEP_1)
	v_dual_add_f32 v40, v39, v36 :: v_dual_sub_f32 v33, v33, v38
	v_sub_f32_e32 v37, v40, v39
	s_delay_alu instid0(VALU_DEP_2) | instskip(NEXT) | instid1(VALU_DEP_2)
	v_add_f32_e32 v33, v34, v33
	v_sub_f32_e32 v34, v36, v37
	s_delay_alu instid0(VALU_DEP_1) | instskip(NEXT) | instid1(VALU_DEP_1)
	v_add_f32_e32 v33, v33, v34
	v_add_f32_e32 v33, v40, v33
	s_wait_alu 0xf1ff
	s_delay_alu instid0(VALU_DEP_1) | instskip(SKIP_2) | instid1(VALU_DEP_1)
	v_cndmask_b32_e64 v33, 0x7f800000, v33, s15
	v_cmp_gt_f32_e64 s15, 0x33800000, |v35|
	s_wait_alu 0xf1ff
	v_cndmask_b32_e64 v33, v33, v35, s15
	s_delay_alu instid0(VALU_DEP_1) | instskip(NEXT) | instid1(VALU_DEP_1)
	v_add_f32_e32 v32, v32, v33
	v_cvt_f16_f32_e32 v34, v32
.LBB356_77:
	s_or_b32 exec_lo, exec_lo, s23
	s_delay_alu instid0(VALU_DEP_1)
	v_dual_mov_b32 v32, v34 :: v_dual_and_b32 v33, 0xffff, v34
.LBB356_78:
	s_or_b32 exec_lo, exec_lo, s22
	s_delay_alu instid0(VALU_DEP_1)
	v_mov_b32_dpp v34, v33 row_shr:8 row_mask:0xf bank_mask:0xf
	s_mov_b32 s22, exec_lo
	v_cmpx_lt_u32_e32 7, v10
	s_cbranch_execz .LBB356_82
; %bb.79:
	s_delay_alu instid0(VALU_DEP_2) | instskip(SKIP_2) | instid1(VALU_DEP_2)
	v_cvt_f32_f16_e32 v10, v34
	v_cvt_f32_f16_e32 v33, v32
	v_cmp_u_f16_e64 s15, v34, v34
	v_min_num_f32_e32 v35, v10, v33
	v_max_num_f32_e32 v36, v10, v33
	s_wait_alu 0xf1ff
	s_delay_alu instid0(VALU_DEP_2) | instskip(NEXT) | instid1(VALU_DEP_2)
	v_cndmask_b32_e64 v35, v35, v10, s15
	v_cndmask_b32_e64 v10, v36, v10, s15
	v_cmp_u_f16_e64 s15, v32, v32
	s_wait_alu 0xf1ff
	s_delay_alu instid0(VALU_DEP_1) | instskip(NEXT) | instid1(VALU_DEP_3)
	v_cndmask_b32_e64 v32, v35, v33, s15
	v_cndmask_b32_e64 v10, v10, v33, s15
	s_delay_alu instid0(VALU_DEP_2) | instskip(NEXT) | instid1(VALU_DEP_2)
	v_cmp_class_f32_e64 s23, v32, 0x1f8
	v_cmp_neq_f32_e64 s15, v32, v10
	s_or_b32 s15, s15, s23
	s_wait_alu 0xfffe
	s_and_saveexec_b32 s23, s15
	s_cbranch_execz .LBB356_81
; %bb.80:
	v_sub_f32_e32 v32, v32, v10
	s_delay_alu instid0(VALU_DEP_1) | instskip(NEXT) | instid1(VALU_DEP_1)
	v_mul_f32_e32 v33, 0x3fb8aa3b, v32
	v_fma_f32 v34, 0x3fb8aa3b, v32, -v33
	v_rndne_f32_e32 v35, v33
	s_delay_alu instid0(VALU_DEP_1) | instskip(SKIP_1) | instid1(VALU_DEP_2)
	v_dual_sub_f32 v33, v33, v35 :: v_dual_fmamk_f32 v34, v32, 0x32a5705f, v34
	v_cmp_ngt_f32_e64 s15, 0xc2ce8ed0, v32
	v_add_f32_e32 v33, v33, v34
	v_cvt_i32_f32_e32 v34, v35
	s_delay_alu instid0(VALU_DEP_2) | instskip(NEXT) | instid1(TRANS32_DEP_1)
	v_exp_f32_e32 v33, v33
	v_ldexp_f32 v33, v33, v34
	s_wait_alu 0xf1ff
	s_delay_alu instid0(VALU_DEP_1) | instskip(SKIP_2) | instid1(VALU_DEP_1)
	v_cndmask_b32_e64 v33, 0, v33, s15
	v_cmp_nlt_f32_e64 s15, 0x42b17218, v32
	s_wait_alu 0xf1ff
	v_cndmask_b32_e64 v34, 0x7f800000, v33, s15
	s_delay_alu instid0(VALU_DEP_1) | instskip(NEXT) | instid1(VALU_DEP_1)
	v_add_f32_e32 v35, 1.0, v34
	v_cvt_f64_f32_e32 v[32:33], v35
	s_delay_alu instid0(VALU_DEP_1) | instskip(SKIP_1) | instid1(VALU_DEP_1)
	v_frexp_exp_i32_f64_e32 v32, v[32:33]
	v_frexp_mant_f32_e32 v33, v35
	v_cmp_gt_f32_e64 s15, 0x3f2aaaab, v33
	v_add_f32_e32 v33, -1.0, v35
	s_delay_alu instid0(VALU_DEP_1)
	v_sub_f32_e32 v37, v33, v35
	v_sub_f32_e32 v33, v34, v33
	s_wait_alu 0xf1ff
	v_subrev_co_ci_u32_e64 v32, null, 0, v32, s15
	s_mov_b32 s15, 0x3e9b6dac
	v_sub_nc_u32_e32 v36, 0, v32
	v_cvt_f32_i32_e32 v32, v32
	s_delay_alu instid0(VALU_DEP_2) | instskip(NEXT) | instid1(VALU_DEP_1)
	v_ldexp_f32 v35, v35, v36
	v_dual_add_f32 v38, 1.0, v35 :: v_dual_add_f32 v37, 1.0, v37
	s_delay_alu instid0(VALU_DEP_1) | instskip(NEXT) | instid1(VALU_DEP_2)
	v_add_f32_e32 v33, v33, v37
	v_add_f32_e32 v37, -1.0, v38
	s_delay_alu instid0(VALU_DEP_2) | instskip(NEXT) | instid1(VALU_DEP_2)
	v_ldexp_f32 v33, v33, v36
	v_dual_add_f32 v36, -1.0, v35 :: v_dual_sub_f32 v37, v35, v37
	s_delay_alu instid0(VALU_DEP_1) | instskip(NEXT) | instid1(VALU_DEP_2)
	v_add_f32_e32 v39, 1.0, v36
	v_add_f32_e32 v37, v33, v37
	s_delay_alu instid0(VALU_DEP_2) | instskip(NEXT) | instid1(VALU_DEP_2)
	v_sub_f32_e32 v35, v35, v39
	v_add_f32_e32 v39, v38, v37
	s_delay_alu instid0(VALU_DEP_2) | instskip(NEXT) | instid1(VALU_DEP_2)
	v_add_f32_e32 v33, v33, v35
	v_rcp_f32_e32 v35, v39
	v_sub_f32_e32 v38, v38, v39
	s_delay_alu instid0(VALU_DEP_1) | instskip(NEXT) | instid1(VALU_DEP_1)
	v_dual_add_f32 v40, v36, v33 :: v_dual_add_f32 v37, v37, v38
	v_sub_f32_e32 v36, v36, v40
	s_delay_alu instid0(TRANS32_DEP_1) | instskip(NEXT) | instid1(VALU_DEP_1)
	v_mul_f32_e32 v41, v40, v35
	v_dual_add_f32 v33, v33, v36 :: v_dual_mul_f32 v42, v39, v41
	s_delay_alu instid0(VALU_DEP_1) | instskip(NEXT) | instid1(VALU_DEP_1)
	v_fma_f32 v38, v41, v39, -v42
	v_fmac_f32_e32 v38, v41, v37
	s_delay_alu instid0(VALU_DEP_1) | instskip(NEXT) | instid1(VALU_DEP_1)
	v_add_f32_e32 v43, v42, v38
	v_sub_f32_e32 v44, v40, v43
	v_sub_f32_e32 v36, v43, v42
	s_delay_alu instid0(VALU_DEP_2) | instskip(NEXT) | instid1(VALU_DEP_2)
	v_sub_f32_e32 v40, v40, v44
	v_sub_f32_e32 v36, v36, v38
	s_delay_alu instid0(VALU_DEP_2) | instskip(NEXT) | instid1(VALU_DEP_1)
	v_sub_f32_e32 v40, v40, v43
	v_add_f32_e32 v33, v33, v40
	s_delay_alu instid0(VALU_DEP_1) | instskip(NEXT) | instid1(VALU_DEP_1)
	v_add_f32_e32 v33, v36, v33
	v_add_f32_e32 v36, v44, v33
	s_delay_alu instid0(VALU_DEP_1) | instskip(NEXT) | instid1(VALU_DEP_1)
	v_mul_f32_e32 v38, v35, v36
	v_dual_sub_f32 v43, v44, v36 :: v_dual_mul_f32 v40, v39, v38
	s_delay_alu instid0(VALU_DEP_1) | instskip(NEXT) | instid1(VALU_DEP_2)
	v_add_f32_e32 v33, v33, v43
	v_fma_f32 v39, v38, v39, -v40
	s_delay_alu instid0(VALU_DEP_1) | instskip(NEXT) | instid1(VALU_DEP_1)
	v_fmac_f32_e32 v39, v38, v37
	v_add_f32_e32 v37, v40, v39
	s_delay_alu instid0(VALU_DEP_1) | instskip(SKIP_1) | instid1(VALU_DEP_2)
	v_sub_f32_e32 v42, v36, v37
	v_sub_f32_e32 v40, v37, v40
	;; [unrolled: 1-line block ×3, first 2 shown]
	s_delay_alu instid0(VALU_DEP_1) | instskip(NEXT) | instid1(VALU_DEP_3)
	v_sub_f32_e32 v36, v36, v37
	v_sub_f32_e32 v37, v40, v39
	s_delay_alu instid0(VALU_DEP_2) | instskip(SKIP_1) | instid1(VALU_DEP_2)
	v_add_f32_e32 v33, v33, v36
	v_add_f32_e32 v36, v41, v38
	;; [unrolled: 1-line block ×3, first 2 shown]
	s_delay_alu instid0(VALU_DEP_2) | instskip(NEXT) | instid1(VALU_DEP_2)
	v_sub_f32_e32 v37, v36, v41
	v_add_f32_e32 v33, v42, v33
	s_delay_alu instid0(VALU_DEP_2) | instskip(NEXT) | instid1(VALU_DEP_2)
	v_sub_f32_e32 v37, v38, v37
	v_mul_f32_e32 v33, v35, v33
	s_delay_alu instid0(VALU_DEP_1) | instskip(NEXT) | instid1(VALU_DEP_1)
	v_add_f32_e32 v33, v37, v33
	v_add_f32_e32 v35, v36, v33
	s_delay_alu instid0(VALU_DEP_1) | instskip(SKIP_1) | instid1(VALU_DEP_1)
	v_mul_f32_e32 v37, v35, v35
	s_wait_alu 0xfffe
	v_fmaak_f32 v38, s15, v37, 0x3ecc95a3
	v_mul_f32_e32 v39, v35, v37
	v_cmp_neq_f32_e64 s15, 0x7f800000, v34
	s_delay_alu instid0(VALU_DEP_3) | instskip(SKIP_2) | instid1(VALU_DEP_3)
	v_fmaak_f32 v37, v37, v38, 0x3f2aaada
	v_ldexp_f32 v38, v35, 1
	v_sub_f32_e32 v35, v35, v36
	v_mul_f32_e32 v37, v39, v37
	v_mul_f32_e32 v39, 0x3f317218, v32
	s_delay_alu instid0(VALU_DEP_2) | instskip(NEXT) | instid1(VALU_DEP_1)
	v_dual_sub_f32 v33, v33, v35 :: v_dual_add_f32 v36, v38, v37
	v_ldexp_f32 v33, v33, 1
	s_delay_alu instid0(VALU_DEP_2) | instskip(NEXT) | instid1(VALU_DEP_4)
	v_sub_f32_e32 v35, v36, v38
	v_fma_f32 v38, 0x3f317218, v32, -v39
	s_delay_alu instid0(VALU_DEP_1) | instskip(NEXT) | instid1(VALU_DEP_1)
	v_dual_sub_f32 v35, v37, v35 :: v_dual_fmamk_f32 v32, v32, 0xb102e308, v38
	v_add_f32_e32 v33, v33, v35
	s_delay_alu instid0(VALU_DEP_2) | instskip(NEXT) | instid1(VALU_DEP_2)
	v_add_f32_e32 v35, v39, v32
	v_add_f32_e32 v37, v36, v33
	s_delay_alu instid0(VALU_DEP_2) | instskip(NEXT) | instid1(VALU_DEP_2)
	v_sub_f32_e32 v39, v35, v39
	v_add_f32_e32 v38, v35, v37
	v_sub_f32_e32 v36, v37, v36
	s_delay_alu instid0(VALU_DEP_3) | instskip(NEXT) | instid1(VALU_DEP_2)
	v_sub_f32_e32 v32, v32, v39
	v_dual_sub_f32 v40, v38, v35 :: v_dual_sub_f32 v33, v33, v36
	s_delay_alu instid0(VALU_DEP_1) | instskip(NEXT) | instid1(VALU_DEP_2)
	v_sub_f32_e32 v41, v38, v40
	v_dual_sub_f32 v36, v37, v40 :: v_dual_add_f32 v37, v32, v33
	s_delay_alu instid0(VALU_DEP_2) | instskip(NEXT) | instid1(VALU_DEP_1)
	v_sub_f32_e32 v35, v35, v41
	v_dual_add_f32 v35, v36, v35 :: v_dual_sub_f32 v36, v37, v32
	s_delay_alu instid0(VALU_DEP_1) | instskip(NEXT) | instid1(VALU_DEP_2)
	v_add_f32_e32 v35, v37, v35
	v_sub_f32_e32 v37, v37, v36
	v_sub_f32_e32 v33, v33, v36
	s_delay_alu instid0(VALU_DEP_2) | instskip(NEXT) | instid1(VALU_DEP_1)
	v_dual_add_f32 v39, v38, v35 :: v_dual_sub_f32 v32, v32, v37
	v_sub_f32_e32 v36, v39, v38
	s_delay_alu instid0(VALU_DEP_2) | instskip(NEXT) | instid1(VALU_DEP_2)
	v_add_f32_e32 v32, v33, v32
	v_sub_f32_e32 v33, v35, v36
	s_delay_alu instid0(VALU_DEP_1) | instskip(NEXT) | instid1(VALU_DEP_1)
	v_add_f32_e32 v32, v32, v33
	v_add_f32_e32 v32, v39, v32
	s_wait_alu 0xf1ff
	s_delay_alu instid0(VALU_DEP_1) | instskip(SKIP_2) | instid1(VALU_DEP_1)
	v_cndmask_b32_e64 v32, 0x7f800000, v32, s15
	v_cmp_gt_f32_e64 s15, 0x33800000, |v34|
	s_wait_alu 0xf1ff
	v_cndmask_b32_e64 v32, v32, v34, s15
	s_delay_alu instid0(VALU_DEP_1) | instskip(NEXT) | instid1(VALU_DEP_1)
	v_add_f32_e32 v10, v10, v32
	v_cvt_f16_f32_e32 v34, v10
.LBB356_81:
	s_or_b32 exec_lo, exec_lo, s23
	s_delay_alu instid0(VALU_DEP_1)
	v_dual_mov_b32 v32, v34 :: v_dual_and_b32 v33, 0xffff, v34
.LBB356_82:
	s_or_b32 exec_lo, exec_lo, s22
	ds_swizzle_b32 v33, v33 offset:swizzle(BROADCAST,32,15)
	v_and_b32_e32 v10, 16, v9
	s_mov_b32 s22, exec_lo
	s_delay_alu instid0(VALU_DEP_1)
	v_cmpx_ne_u32_e32 0, v10
	s_cbranch_execz .LBB356_86
; %bb.83:
	s_wait_dscnt 0x0
	v_cvt_f32_f16_e32 v10, v33
	v_cvt_f32_f16_e32 v34, v32
	v_cmp_u_f16_e64 s15, v33, v33
	s_delay_alu instid0(VALU_DEP_2) | instskip(SKIP_2) | instid1(VALU_DEP_2)
	v_min_num_f32_e32 v35, v10, v34
	v_max_num_f32_e32 v36, v10, v34
	s_wait_alu 0xf1ff
	v_cndmask_b32_e64 v35, v35, v10, s15
	s_delay_alu instid0(VALU_DEP_2) | instskip(SKIP_2) | instid1(VALU_DEP_1)
	v_cndmask_b32_e64 v10, v36, v10, s15
	v_cmp_u_f16_e64 s15, v32, v32
	s_wait_alu 0xf1ff
	v_cndmask_b32_e64 v32, v35, v34, s15
	s_delay_alu instid0(VALU_DEP_3) | instskip(NEXT) | instid1(VALU_DEP_2)
	v_cndmask_b32_e64 v10, v10, v34, s15
	v_cmp_class_f32_e64 s23, v32, 0x1f8
	s_delay_alu instid0(VALU_DEP_2)
	v_cmp_neq_f32_e64 s15, v32, v10
	s_or_b32 s15, s15, s23
	s_wait_alu 0xfffe
	s_and_saveexec_b32 s23, s15
	s_cbranch_execz .LBB356_85
; %bb.84:
	v_sub_f32_e32 v32, v32, v10
	s_delay_alu instid0(VALU_DEP_1) | instskip(NEXT) | instid1(VALU_DEP_1)
	v_mul_f32_e32 v33, 0x3fb8aa3b, v32
	v_fma_f32 v34, 0x3fb8aa3b, v32, -v33
	v_rndne_f32_e32 v35, v33
	s_delay_alu instid0(VALU_DEP_1) | instskip(SKIP_1) | instid1(VALU_DEP_2)
	v_dual_sub_f32 v33, v33, v35 :: v_dual_fmamk_f32 v34, v32, 0x32a5705f, v34
	v_cmp_ngt_f32_e64 s15, 0xc2ce8ed0, v32
	v_add_f32_e32 v33, v33, v34
	v_cvt_i32_f32_e32 v34, v35
	s_delay_alu instid0(VALU_DEP_2) | instskip(NEXT) | instid1(TRANS32_DEP_1)
	v_exp_f32_e32 v33, v33
	v_ldexp_f32 v33, v33, v34
	s_wait_alu 0xf1ff
	s_delay_alu instid0(VALU_DEP_1) | instskip(SKIP_2) | instid1(VALU_DEP_1)
	v_cndmask_b32_e64 v33, 0, v33, s15
	v_cmp_nlt_f32_e64 s15, 0x42b17218, v32
	s_wait_alu 0xf1ff
	v_cndmask_b32_e64 v34, 0x7f800000, v33, s15
	s_delay_alu instid0(VALU_DEP_1) | instskip(NEXT) | instid1(VALU_DEP_1)
	v_add_f32_e32 v35, 1.0, v34
	v_cvt_f64_f32_e32 v[32:33], v35
	s_delay_alu instid0(VALU_DEP_1) | instskip(SKIP_1) | instid1(VALU_DEP_1)
	v_frexp_exp_i32_f64_e32 v32, v[32:33]
	v_frexp_mant_f32_e32 v33, v35
	v_cmp_gt_f32_e64 s15, 0x3f2aaaab, v33
	v_add_f32_e32 v33, -1.0, v35
	s_delay_alu instid0(VALU_DEP_1)
	v_sub_f32_e32 v37, v33, v35
	v_sub_f32_e32 v33, v34, v33
	s_wait_alu 0xf1ff
	v_subrev_co_ci_u32_e64 v32, null, 0, v32, s15
	s_mov_b32 s15, 0x3e9b6dac
	v_sub_nc_u32_e32 v36, 0, v32
	v_cvt_f32_i32_e32 v32, v32
	s_delay_alu instid0(VALU_DEP_2) | instskip(NEXT) | instid1(VALU_DEP_1)
	v_ldexp_f32 v35, v35, v36
	v_dual_add_f32 v38, 1.0, v35 :: v_dual_add_f32 v37, 1.0, v37
	s_delay_alu instid0(VALU_DEP_1) | instskip(NEXT) | instid1(VALU_DEP_2)
	v_add_f32_e32 v33, v33, v37
	v_add_f32_e32 v37, -1.0, v38
	s_delay_alu instid0(VALU_DEP_2) | instskip(NEXT) | instid1(VALU_DEP_2)
	v_ldexp_f32 v33, v33, v36
	v_dual_add_f32 v36, -1.0, v35 :: v_dual_sub_f32 v37, v35, v37
	s_delay_alu instid0(VALU_DEP_1) | instskip(NEXT) | instid1(VALU_DEP_2)
	v_add_f32_e32 v39, 1.0, v36
	v_add_f32_e32 v37, v33, v37
	s_delay_alu instid0(VALU_DEP_2) | instskip(NEXT) | instid1(VALU_DEP_2)
	v_sub_f32_e32 v35, v35, v39
	v_add_f32_e32 v39, v38, v37
	s_delay_alu instid0(VALU_DEP_2) | instskip(NEXT) | instid1(VALU_DEP_2)
	v_add_f32_e32 v33, v33, v35
	v_rcp_f32_e32 v35, v39
	v_sub_f32_e32 v38, v38, v39
	s_delay_alu instid0(VALU_DEP_1) | instskip(NEXT) | instid1(VALU_DEP_1)
	v_dual_add_f32 v40, v36, v33 :: v_dual_add_f32 v37, v37, v38
	v_sub_f32_e32 v36, v36, v40
	s_delay_alu instid0(TRANS32_DEP_1) | instskip(NEXT) | instid1(VALU_DEP_1)
	v_mul_f32_e32 v41, v40, v35
	v_dual_add_f32 v33, v33, v36 :: v_dual_mul_f32 v42, v39, v41
	s_delay_alu instid0(VALU_DEP_1) | instskip(NEXT) | instid1(VALU_DEP_1)
	v_fma_f32 v38, v41, v39, -v42
	v_fmac_f32_e32 v38, v41, v37
	s_delay_alu instid0(VALU_DEP_1) | instskip(NEXT) | instid1(VALU_DEP_1)
	v_add_f32_e32 v43, v42, v38
	v_sub_f32_e32 v44, v40, v43
	v_sub_f32_e32 v36, v43, v42
	s_delay_alu instid0(VALU_DEP_2) | instskip(NEXT) | instid1(VALU_DEP_2)
	v_sub_f32_e32 v40, v40, v44
	v_sub_f32_e32 v36, v36, v38
	s_delay_alu instid0(VALU_DEP_2) | instskip(NEXT) | instid1(VALU_DEP_1)
	v_sub_f32_e32 v40, v40, v43
	v_add_f32_e32 v33, v33, v40
	s_delay_alu instid0(VALU_DEP_1) | instskip(NEXT) | instid1(VALU_DEP_1)
	v_add_f32_e32 v33, v36, v33
	v_add_f32_e32 v36, v44, v33
	s_delay_alu instid0(VALU_DEP_1) | instskip(NEXT) | instid1(VALU_DEP_1)
	v_mul_f32_e32 v38, v35, v36
	v_dual_sub_f32 v43, v44, v36 :: v_dual_mul_f32 v40, v39, v38
	s_delay_alu instid0(VALU_DEP_1) | instskip(NEXT) | instid1(VALU_DEP_2)
	v_add_f32_e32 v33, v33, v43
	v_fma_f32 v39, v38, v39, -v40
	s_delay_alu instid0(VALU_DEP_1) | instskip(NEXT) | instid1(VALU_DEP_1)
	v_fmac_f32_e32 v39, v38, v37
	v_add_f32_e32 v37, v40, v39
	s_delay_alu instid0(VALU_DEP_1) | instskip(SKIP_1) | instid1(VALU_DEP_2)
	v_sub_f32_e32 v42, v36, v37
	v_sub_f32_e32 v40, v37, v40
	;; [unrolled: 1-line block ×3, first 2 shown]
	s_delay_alu instid0(VALU_DEP_1) | instskip(NEXT) | instid1(VALU_DEP_3)
	v_sub_f32_e32 v36, v36, v37
	v_sub_f32_e32 v37, v40, v39
	s_delay_alu instid0(VALU_DEP_2) | instskip(SKIP_1) | instid1(VALU_DEP_2)
	v_add_f32_e32 v33, v33, v36
	v_add_f32_e32 v36, v41, v38
	;; [unrolled: 1-line block ×3, first 2 shown]
	s_delay_alu instid0(VALU_DEP_2) | instskip(NEXT) | instid1(VALU_DEP_2)
	v_sub_f32_e32 v37, v36, v41
	v_add_f32_e32 v33, v42, v33
	s_delay_alu instid0(VALU_DEP_2) | instskip(NEXT) | instid1(VALU_DEP_2)
	v_sub_f32_e32 v37, v38, v37
	v_mul_f32_e32 v33, v35, v33
	s_delay_alu instid0(VALU_DEP_1) | instskip(NEXT) | instid1(VALU_DEP_1)
	v_add_f32_e32 v33, v37, v33
	v_add_f32_e32 v35, v36, v33
	s_delay_alu instid0(VALU_DEP_1) | instskip(SKIP_1) | instid1(VALU_DEP_1)
	v_mul_f32_e32 v37, v35, v35
	s_wait_alu 0xfffe
	v_fmaak_f32 v38, s15, v37, 0x3ecc95a3
	v_mul_f32_e32 v39, v35, v37
	v_cmp_neq_f32_e64 s15, 0x7f800000, v34
	s_delay_alu instid0(VALU_DEP_3) | instskip(SKIP_2) | instid1(VALU_DEP_3)
	v_fmaak_f32 v37, v37, v38, 0x3f2aaada
	v_ldexp_f32 v38, v35, 1
	v_sub_f32_e32 v35, v35, v36
	v_mul_f32_e32 v37, v39, v37
	v_mul_f32_e32 v39, 0x3f317218, v32
	s_delay_alu instid0(VALU_DEP_2) | instskip(NEXT) | instid1(VALU_DEP_1)
	v_dual_sub_f32 v33, v33, v35 :: v_dual_add_f32 v36, v38, v37
	v_ldexp_f32 v33, v33, 1
	s_delay_alu instid0(VALU_DEP_2) | instskip(NEXT) | instid1(VALU_DEP_4)
	v_sub_f32_e32 v35, v36, v38
	v_fma_f32 v38, 0x3f317218, v32, -v39
	s_delay_alu instid0(VALU_DEP_1) | instskip(NEXT) | instid1(VALU_DEP_1)
	v_dual_sub_f32 v35, v37, v35 :: v_dual_fmamk_f32 v32, v32, 0xb102e308, v38
	v_add_f32_e32 v33, v33, v35
	s_delay_alu instid0(VALU_DEP_2) | instskip(NEXT) | instid1(VALU_DEP_2)
	v_add_f32_e32 v35, v39, v32
	v_add_f32_e32 v37, v36, v33
	s_delay_alu instid0(VALU_DEP_2) | instskip(NEXT) | instid1(VALU_DEP_2)
	v_sub_f32_e32 v39, v35, v39
	v_add_f32_e32 v38, v35, v37
	v_sub_f32_e32 v36, v37, v36
	s_delay_alu instid0(VALU_DEP_3) | instskip(NEXT) | instid1(VALU_DEP_2)
	v_sub_f32_e32 v32, v32, v39
	v_dual_sub_f32 v40, v38, v35 :: v_dual_sub_f32 v33, v33, v36
	s_delay_alu instid0(VALU_DEP_1) | instskip(NEXT) | instid1(VALU_DEP_2)
	v_sub_f32_e32 v41, v38, v40
	v_dual_sub_f32 v36, v37, v40 :: v_dual_add_f32 v37, v32, v33
	s_delay_alu instid0(VALU_DEP_2) | instskip(NEXT) | instid1(VALU_DEP_1)
	v_sub_f32_e32 v35, v35, v41
	v_dual_add_f32 v35, v36, v35 :: v_dual_sub_f32 v36, v37, v32
	s_delay_alu instid0(VALU_DEP_1) | instskip(NEXT) | instid1(VALU_DEP_2)
	v_add_f32_e32 v35, v37, v35
	v_sub_f32_e32 v37, v37, v36
	v_sub_f32_e32 v33, v33, v36
	s_delay_alu instid0(VALU_DEP_2) | instskip(NEXT) | instid1(VALU_DEP_1)
	v_dual_add_f32 v39, v38, v35 :: v_dual_sub_f32 v32, v32, v37
	v_sub_f32_e32 v36, v39, v38
	s_delay_alu instid0(VALU_DEP_2) | instskip(NEXT) | instid1(VALU_DEP_2)
	v_add_f32_e32 v32, v33, v32
	v_sub_f32_e32 v33, v35, v36
	s_delay_alu instid0(VALU_DEP_1) | instskip(NEXT) | instid1(VALU_DEP_1)
	v_add_f32_e32 v32, v32, v33
	v_add_f32_e32 v32, v39, v32
	s_wait_alu 0xf1ff
	s_delay_alu instid0(VALU_DEP_1) | instskip(SKIP_2) | instid1(VALU_DEP_1)
	v_cndmask_b32_e64 v32, 0x7f800000, v32, s15
	v_cmp_gt_f32_e64 s15, 0x33800000, |v34|
	s_wait_alu 0xf1ff
	v_cndmask_b32_e64 v32, v32, v34, s15
	s_delay_alu instid0(VALU_DEP_1) | instskip(NEXT) | instid1(VALU_DEP_1)
	v_add_f32_e32 v10, v10, v32
	v_cvt_f16_f32_e32 v33, v10
.LBB356_85:
	s_or_b32 exec_lo, exec_lo, s23
	s_delay_alu instid0(VALU_DEP_1)
	v_mov_b32_e32 v32, v33
.LBB356_86:
	s_or_b32 exec_lo, exec_lo, s22
	v_add_nc_u32_e32 v10, -1, v9
	s_delay_alu instid0(VALU_DEP_1) | instskip(SKIP_1) | instid1(VALU_DEP_1)
	v_cmp_gt_i32_e64 s15, 0, v10
	s_wait_alu 0xf1ff
	v_cndmask_b32_e64 v9, v10, v9, s15
	v_and_b32_e32 v10, 0xffff, v32
	s_delay_alu instid0(VALU_DEP_2)
	v_lshlrev_b32_e32 v9, 2, v9
	ds_bpermute_b32 v9, v9, v10
	v_max_num_f32_e32 v10, v8, v8
	s_wait_dscnt 0x0
	v_cvt_f32_f16_e32 v32, v9
	v_cmp_u_f16_e64 s15, v9, v9
	s_delay_alu instid0(VALU_DEP_2) | instskip(SKIP_2) | instid1(VALU_DEP_2)
	v_min_num_f32_e32 v33, v32, v10
	v_max_num_f32_e32 v10, v32, v10
	s_wait_alu 0xf1ff
	v_cndmask_b32_e64 v33, v33, v32, s15
	s_delay_alu instid0(VALU_DEP_2) | instskip(NEXT) | instid1(VALU_DEP_2)
	v_cndmask_b32_e64 v32, v10, v32, s15
	v_cndmask_b32_e64 v10, v33, v8, s14
	s_delay_alu instid0(VALU_DEP_2) | instskip(NEXT) | instid1(VALU_DEP_2)
	v_cndmask_b32_e64 v8, v32, v8, s14
	v_cmp_class_f32_e64 s15, v10, 0x1f8
	s_delay_alu instid0(VALU_DEP_2)
	v_cmp_neq_f32_e64 s14, v10, v8
	s_or_b32 s14, s14, s15
	s_wait_alu 0xfffe
	s_and_saveexec_b32 s15, s14
	s_cbranch_execz .LBB356_88
; %bb.87:
	v_sub_f32_e32 v9, v10, v8
	s_delay_alu instid0(VALU_DEP_1) | instskip(SKIP_1) | instid1(VALU_DEP_2)
	v_mul_f32_e32 v10, 0x3fb8aa3b, v9
	v_cmp_ngt_f32_e64 s14, 0xc2ce8ed0, v9
	v_fma_f32 v32, 0x3fb8aa3b, v9, -v10
	v_rndne_f32_e32 v33, v10
	s_delay_alu instid0(VALU_DEP_2) | instskip(NEXT) | instid1(VALU_DEP_2)
	v_fmamk_f32 v32, v9, 0x32a5705f, v32
	v_sub_f32_e32 v10, v10, v33
	s_delay_alu instid0(VALU_DEP_1) | instskip(SKIP_1) | instid1(VALU_DEP_2)
	v_add_f32_e32 v10, v10, v32
	v_cvt_i32_f32_e32 v32, v33
	v_exp_f32_e32 v10, v10
	s_delay_alu instid0(TRANS32_DEP_1) | instskip(SKIP_1) | instid1(VALU_DEP_1)
	v_ldexp_f32 v10, v10, v32
	s_wait_alu 0xf1ff
	v_cndmask_b32_e64 v10, 0, v10, s14
	v_cmp_nlt_f32_e64 s14, 0x42b17218, v9
	s_wait_alu 0xf1ff
	s_delay_alu instid0(VALU_DEP_1) | instskip(NEXT) | instid1(VALU_DEP_1)
	v_cndmask_b32_e64 v32, 0x7f800000, v10, s14
	v_add_f32_e32 v33, 1.0, v32
	s_delay_alu instid0(VALU_DEP_1) | instskip(NEXT) | instid1(VALU_DEP_1)
	v_cvt_f64_f32_e32 v[9:10], v33
	v_frexp_exp_i32_f64_e32 v9, v[9:10]
	v_frexp_mant_f32_e32 v10, v33
	s_delay_alu instid0(VALU_DEP_1) | instskip(SKIP_1) | instid1(VALU_DEP_1)
	v_cmp_gt_f32_e64 s14, 0x3f2aaaab, v10
	v_add_f32_e32 v10, -1.0, v33
	v_sub_f32_e32 v35, v10, v33
	s_delay_alu instid0(VALU_DEP_1)
	v_add_f32_e32 v35, 1.0, v35
	s_wait_alu 0xf1ff
	v_subrev_co_ci_u32_e64 v9, null, 0, v9, s14
	s_mov_b32 s14, 0x3e9b6dac
	v_sub_nc_u32_e32 v34, 0, v9
	v_cvt_f32_i32_e32 v9, v9
	s_delay_alu instid0(VALU_DEP_2) | instskip(NEXT) | instid1(VALU_DEP_1)
	v_ldexp_f32 v33, v33, v34
	v_add_f32_e32 v36, 1.0, v33
	v_sub_f32_e32 v10, v32, v10
	s_delay_alu instid0(VALU_DEP_1) | instskip(NEXT) | instid1(VALU_DEP_1)
	v_add_f32_e32 v10, v10, v35
	v_ldexp_f32 v10, v10, v34
	v_add_f32_e32 v34, -1.0, v33
	s_delay_alu instid0(VALU_DEP_1) | instskip(SKIP_1) | instid1(VALU_DEP_1)
	v_add_f32_e32 v37, 1.0, v34
	v_add_f32_e32 v35, -1.0, v36
	v_sub_f32_e32 v35, v33, v35
	s_delay_alu instid0(VALU_DEP_3) | instskip(NEXT) | instid1(VALU_DEP_2)
	v_sub_f32_e32 v33, v33, v37
	v_add_f32_e32 v35, v10, v35
	s_delay_alu instid0(VALU_DEP_1) | instskip(NEXT) | instid1(VALU_DEP_1)
	v_dual_add_f32 v10, v10, v33 :: v_dual_add_f32 v37, v36, v35
	v_rcp_f32_e32 v33, v37
	v_sub_f32_e32 v36, v36, v37
	s_delay_alu instid0(VALU_DEP_1) | instskip(NEXT) | instid1(VALU_DEP_1)
	v_dual_add_f32 v38, v34, v10 :: v_dual_add_f32 v35, v35, v36
	v_sub_f32_e32 v34, v34, v38
	s_delay_alu instid0(TRANS32_DEP_1) | instskip(NEXT) | instid1(VALU_DEP_2)
	v_mul_f32_e32 v39, v38, v33
	v_add_f32_e32 v10, v10, v34
	s_delay_alu instid0(VALU_DEP_2) | instskip(NEXT) | instid1(VALU_DEP_1)
	v_mul_f32_e32 v40, v37, v39
	v_fma_f32 v36, v39, v37, -v40
	s_delay_alu instid0(VALU_DEP_1) | instskip(NEXT) | instid1(VALU_DEP_1)
	v_fmac_f32_e32 v36, v39, v35
	v_add_f32_e32 v41, v40, v36
	s_delay_alu instid0(VALU_DEP_1) | instskip(SKIP_1) | instid1(VALU_DEP_2)
	v_sub_f32_e32 v42, v38, v41
	v_sub_f32_e32 v34, v41, v40
	;; [unrolled: 1-line block ×3, first 2 shown]
	s_delay_alu instid0(VALU_DEP_2) | instskip(NEXT) | instid1(VALU_DEP_2)
	v_sub_f32_e32 v34, v34, v36
	v_sub_f32_e32 v38, v38, v41
	s_delay_alu instid0(VALU_DEP_1) | instskip(NEXT) | instid1(VALU_DEP_1)
	v_add_f32_e32 v10, v10, v38
	v_add_f32_e32 v10, v34, v10
	s_delay_alu instid0(VALU_DEP_1) | instskip(NEXT) | instid1(VALU_DEP_1)
	v_add_f32_e32 v34, v42, v10
	v_mul_f32_e32 v36, v33, v34
	s_delay_alu instid0(VALU_DEP_1) | instskip(NEXT) | instid1(VALU_DEP_1)
	v_mul_f32_e32 v38, v37, v36
	v_fma_f32 v37, v36, v37, -v38
	s_delay_alu instid0(VALU_DEP_1) | instskip(SKIP_1) | instid1(VALU_DEP_2)
	v_fmac_f32_e32 v37, v36, v35
	v_sub_f32_e32 v41, v42, v34
	v_add_f32_e32 v35, v38, v37
	s_delay_alu instid0(VALU_DEP_2) | instskip(NEXT) | instid1(VALU_DEP_2)
	v_add_f32_e32 v10, v10, v41
	v_sub_f32_e32 v40, v34, v35
	v_sub_f32_e32 v38, v35, v38
	s_delay_alu instid0(VALU_DEP_2) | instskip(NEXT) | instid1(VALU_DEP_1)
	v_sub_f32_e32 v34, v34, v40
	v_sub_f32_e32 v34, v34, v35
	s_delay_alu instid0(VALU_DEP_3) | instskip(NEXT) | instid1(VALU_DEP_2)
	v_sub_f32_e32 v35, v38, v37
	v_add_f32_e32 v10, v10, v34
	v_add_f32_e32 v34, v39, v36
	s_delay_alu instid0(VALU_DEP_1) | instskip(NEXT) | instid1(VALU_DEP_1)
	v_dual_add_f32 v10, v35, v10 :: v_dual_sub_f32 v35, v34, v39
	v_add_f32_e32 v10, v40, v10
	s_delay_alu instid0(VALU_DEP_1) | instskip(NEXT) | instid1(VALU_DEP_1)
	v_dual_sub_f32 v35, v36, v35 :: v_dual_mul_f32 v10, v33, v10
	v_add_f32_e32 v10, v35, v10
	s_delay_alu instid0(VALU_DEP_1) | instskip(NEXT) | instid1(VALU_DEP_1)
	v_add_f32_e32 v33, v34, v10
	v_mul_f32_e32 v35, v33, v33
	s_wait_alu 0xfffe
	s_delay_alu instid0(VALU_DEP_1) | instskip(SKIP_2) | instid1(VALU_DEP_3)
	v_fmaak_f32 v36, s14, v35, 0x3ecc95a3
	v_mul_f32_e32 v37, v33, v35
	v_cmp_neq_f32_e64 s14, 0x7f800000, v32
	v_fmaak_f32 v35, v35, v36, 0x3f2aaada
	v_ldexp_f32 v36, v33, 1
	v_sub_f32_e32 v33, v33, v34
	s_delay_alu instid0(VALU_DEP_3) | instskip(SKIP_1) | instid1(VALU_DEP_3)
	v_mul_f32_e32 v35, v37, v35
	v_mul_f32_e32 v37, 0x3f317218, v9
	v_sub_f32_e32 v10, v10, v33
	s_delay_alu instid0(VALU_DEP_3) | instskip(NEXT) | instid1(VALU_DEP_2)
	v_add_f32_e32 v34, v36, v35
	v_ldexp_f32 v10, v10, 1
	s_delay_alu instid0(VALU_DEP_2) | instskip(SKIP_1) | instid1(VALU_DEP_2)
	v_sub_f32_e32 v33, v34, v36
	v_fma_f32 v36, 0x3f317218, v9, -v37
	v_sub_f32_e32 v33, v35, v33
	s_delay_alu instid0(VALU_DEP_1) | instskip(NEXT) | instid1(VALU_DEP_1)
	v_dual_fmamk_f32 v9, v9, 0xb102e308, v36 :: v_dual_add_f32 v10, v10, v33
	v_add_f32_e32 v33, v37, v9
	s_delay_alu instid0(VALU_DEP_2) | instskip(NEXT) | instid1(VALU_DEP_2)
	v_add_f32_e32 v35, v34, v10
	v_sub_f32_e32 v37, v33, v37
	s_delay_alu instid0(VALU_DEP_2) | instskip(NEXT) | instid1(VALU_DEP_2)
	v_add_f32_e32 v36, v33, v35
	v_dual_sub_f32 v34, v35, v34 :: v_dual_sub_f32 v9, v9, v37
	s_delay_alu instid0(VALU_DEP_2) | instskip(NEXT) | instid1(VALU_DEP_2)
	v_sub_f32_e32 v38, v36, v33
	v_sub_f32_e32 v10, v10, v34
	s_delay_alu instid0(VALU_DEP_2) | instskip(SKIP_1) | instid1(VALU_DEP_3)
	v_sub_f32_e32 v39, v36, v38
	v_sub_f32_e32 v34, v35, v38
	v_add_f32_e32 v35, v9, v10
	s_delay_alu instid0(VALU_DEP_3) | instskip(NEXT) | instid1(VALU_DEP_1)
	v_sub_f32_e32 v33, v33, v39
	v_add_f32_e32 v33, v34, v33
	s_delay_alu instid0(VALU_DEP_3) | instskip(NEXT) | instid1(VALU_DEP_2)
	v_sub_f32_e32 v34, v35, v9
	v_add_f32_e32 v33, v35, v33
	s_delay_alu instid0(VALU_DEP_2) | instskip(NEXT) | instid1(VALU_DEP_1)
	v_sub_f32_e32 v35, v35, v34
	v_dual_sub_f32 v10, v10, v34 :: v_dual_sub_f32 v9, v9, v35
	s_delay_alu instid0(VALU_DEP_1) | instskip(NEXT) | instid1(VALU_DEP_4)
	v_add_f32_e32 v9, v10, v9
	v_add_f32_e32 v37, v36, v33
	s_delay_alu instid0(VALU_DEP_1) | instskip(NEXT) | instid1(VALU_DEP_1)
	v_sub_f32_e32 v34, v37, v36
	v_sub_f32_e32 v10, v33, v34
	s_delay_alu instid0(VALU_DEP_1) | instskip(NEXT) | instid1(VALU_DEP_1)
	v_add_f32_e32 v9, v9, v10
	v_add_f32_e32 v9, v37, v9
	s_wait_alu 0xf1ff
	s_delay_alu instid0(VALU_DEP_1) | instskip(SKIP_2) | instid1(VALU_DEP_1)
	v_cndmask_b32_e64 v9, 0x7f800000, v9, s14
	v_cmp_gt_f32_e64 s14, 0x33800000, |v32|
	s_wait_alu 0xf1ff
	v_cndmask_b32_e64 v9, v9, v32, s14
	s_delay_alu instid0(VALU_DEP_1) | instskip(NEXT) | instid1(VALU_DEP_1)
	v_add_f32_e32 v8, v8, v9
	v_cvt_f16_f32_e32 v9, v8
.LBB356_88:
	s_wait_alu 0xfffe
	s_or_b32 exec_lo, exec_lo, s15
	v_cmp_eq_u32_e64 s14, 0, v0
	; wave barrier
	s_wait_alu 0xf1ff
	s_delay_alu instid0(VALU_DEP_1)
	v_cndmask_b32_e64 v8, v9, v31, s14
	ds_store_b16 v7, v8
	; wave barrier
	ds_load_u16 v10, v7 offset:2
	v_cvt_f32_f16_e32 v9, v8
	v_cmp_u_f16_e64 s14, v8, v8
	s_wait_dscnt 0x0
	v_cvt_f32_f16_e32 v33, v10
	s_delay_alu instid0(VALU_DEP_1) | instskip(SKIP_2) | instid1(VALU_DEP_2)
	v_min_num_f32_e32 v32, v9, v33
	v_max_num_f32_e32 v34, v9, v33
	s_wait_alu 0xf1ff
	v_cndmask_b32_e64 v32, v32, v9, s14
	s_delay_alu instid0(VALU_DEP_2) | instskip(SKIP_2) | instid1(VALU_DEP_1)
	v_cndmask_b32_e64 v34, v34, v9, s14
	v_cmp_u_f16_e64 s14, v10, v10
	s_wait_alu 0xf1ff
	v_cndmask_b32_e64 v32, v32, v33, s14
	s_delay_alu instid0(VALU_DEP_3) | instskip(NEXT) | instid1(VALU_DEP_2)
	v_cndmask_b32_e64 v10, v34, v33, s14
	v_cmp_class_f32_e64 s15, v32, 0x1f8
	s_delay_alu instid0(VALU_DEP_2)
	v_cmp_neq_f32_e64 s14, v32, v10
	s_or_b32 s14, s14, s15
	s_wait_alu 0xfffe
	s_and_saveexec_b32 s15, s14
	s_cbranch_execz .LBB356_90
; %bb.89:
	v_sub_f32_e32 v8, v32, v10
	s_delay_alu instid0(VALU_DEP_1) | instskip(NEXT) | instid1(VALU_DEP_1)
	v_mul_f32_e32 v9, 0x3fb8aa3b, v8
	v_fma_f32 v32, 0x3fb8aa3b, v8, -v9
	v_rndne_f32_e32 v33, v9
	s_delay_alu instid0(VALU_DEP_1) | instskip(SKIP_1) | instid1(VALU_DEP_2)
	v_dual_sub_f32 v9, v9, v33 :: v_dual_fmamk_f32 v32, v8, 0x32a5705f, v32
	v_cmp_ngt_f32_e64 s14, 0xc2ce8ed0, v8
	v_add_f32_e32 v9, v9, v32
	v_cvt_i32_f32_e32 v32, v33
	s_delay_alu instid0(VALU_DEP_2) | instskip(NEXT) | instid1(TRANS32_DEP_1)
	v_exp_f32_e32 v9, v9
	v_ldexp_f32 v9, v9, v32
	s_wait_alu 0xf1ff
	s_delay_alu instid0(VALU_DEP_1) | instskip(SKIP_2) | instid1(VALU_DEP_1)
	v_cndmask_b32_e64 v9, 0, v9, s14
	v_cmp_nlt_f32_e64 s14, 0x42b17218, v8
	s_wait_alu 0xf1ff
	v_cndmask_b32_e64 v32, 0x7f800000, v9, s14
	s_delay_alu instid0(VALU_DEP_1) | instskip(NEXT) | instid1(VALU_DEP_1)
	v_add_f32_e32 v33, 1.0, v32
	v_cvt_f64_f32_e32 v[8:9], v33
	s_delay_alu instid0(VALU_DEP_1) | instskip(SKIP_1) | instid1(VALU_DEP_1)
	v_frexp_exp_i32_f64_e32 v8, v[8:9]
	v_frexp_mant_f32_e32 v9, v33
	v_cmp_gt_f32_e64 s14, 0x3f2aaaab, v9
	v_add_f32_e32 v9, -1.0, v33
	s_delay_alu instid0(VALU_DEP_1)
	v_sub_f32_e32 v35, v9, v33
	v_sub_f32_e32 v9, v32, v9
	s_wait_alu 0xf1ff
	v_subrev_co_ci_u32_e64 v8, null, 0, v8, s14
	s_mov_b32 s14, 0x3e9b6dac
	v_sub_nc_u32_e32 v34, 0, v8
	v_cvt_f32_i32_e32 v8, v8
	s_delay_alu instid0(VALU_DEP_2) | instskip(NEXT) | instid1(VALU_DEP_1)
	v_ldexp_f32 v33, v33, v34
	v_dual_add_f32 v36, 1.0, v33 :: v_dual_add_f32 v35, 1.0, v35
	s_delay_alu instid0(VALU_DEP_1) | instskip(NEXT) | instid1(VALU_DEP_2)
	v_add_f32_e32 v9, v9, v35
	v_add_f32_e32 v35, -1.0, v36
	s_delay_alu instid0(VALU_DEP_2) | instskip(NEXT) | instid1(VALU_DEP_2)
	v_ldexp_f32 v9, v9, v34
	v_dual_add_f32 v34, -1.0, v33 :: v_dual_sub_f32 v35, v33, v35
	s_delay_alu instid0(VALU_DEP_1) | instskip(NEXT) | instid1(VALU_DEP_2)
	v_add_f32_e32 v37, 1.0, v34
	v_add_f32_e32 v35, v9, v35
	s_delay_alu instid0(VALU_DEP_2) | instskip(NEXT) | instid1(VALU_DEP_2)
	v_sub_f32_e32 v33, v33, v37
	v_add_f32_e32 v37, v36, v35
	s_delay_alu instid0(VALU_DEP_2) | instskip(NEXT) | instid1(VALU_DEP_2)
	v_add_f32_e32 v9, v9, v33
	v_rcp_f32_e32 v33, v37
	v_sub_f32_e32 v36, v36, v37
	s_delay_alu instid0(VALU_DEP_1) | instskip(NEXT) | instid1(VALU_DEP_1)
	v_dual_add_f32 v38, v34, v9 :: v_dual_add_f32 v35, v35, v36
	v_sub_f32_e32 v34, v34, v38
	s_delay_alu instid0(TRANS32_DEP_1) | instskip(NEXT) | instid1(VALU_DEP_2)
	v_mul_f32_e32 v39, v38, v33
	v_add_f32_e32 v9, v9, v34
	s_delay_alu instid0(VALU_DEP_2) | instskip(NEXT) | instid1(VALU_DEP_1)
	v_mul_f32_e32 v40, v37, v39
	v_fma_f32 v36, v39, v37, -v40
	s_delay_alu instid0(VALU_DEP_1) | instskip(NEXT) | instid1(VALU_DEP_1)
	v_fmac_f32_e32 v36, v39, v35
	v_add_f32_e32 v41, v40, v36
	s_delay_alu instid0(VALU_DEP_1) | instskip(SKIP_1) | instid1(VALU_DEP_2)
	v_sub_f32_e32 v42, v38, v41
	v_sub_f32_e32 v34, v41, v40
	;; [unrolled: 1-line block ×3, first 2 shown]
	s_delay_alu instid0(VALU_DEP_2) | instskip(NEXT) | instid1(VALU_DEP_2)
	v_sub_f32_e32 v34, v34, v36
	v_sub_f32_e32 v38, v38, v41
	s_delay_alu instid0(VALU_DEP_1) | instskip(NEXT) | instid1(VALU_DEP_1)
	v_add_f32_e32 v9, v9, v38
	v_add_f32_e32 v9, v34, v9
	s_delay_alu instid0(VALU_DEP_1) | instskip(NEXT) | instid1(VALU_DEP_1)
	v_add_f32_e32 v34, v42, v9
	v_mul_f32_e32 v36, v33, v34
	s_delay_alu instid0(VALU_DEP_1) | instskip(NEXT) | instid1(VALU_DEP_1)
	v_dual_sub_f32 v41, v42, v34 :: v_dual_mul_f32 v38, v37, v36
	v_add_f32_e32 v9, v9, v41
	s_delay_alu instid0(VALU_DEP_2) | instskip(NEXT) | instid1(VALU_DEP_1)
	v_fma_f32 v37, v36, v37, -v38
	v_fmac_f32_e32 v37, v36, v35
	s_delay_alu instid0(VALU_DEP_1) | instskip(NEXT) | instid1(VALU_DEP_1)
	v_add_f32_e32 v35, v38, v37
	v_sub_f32_e32 v40, v34, v35
	v_sub_f32_e32 v38, v35, v38
	s_delay_alu instid0(VALU_DEP_2) | instskip(NEXT) | instid1(VALU_DEP_1)
	v_sub_f32_e32 v34, v34, v40
	v_sub_f32_e32 v34, v34, v35
	s_delay_alu instid0(VALU_DEP_3) | instskip(NEXT) | instid1(VALU_DEP_2)
	v_sub_f32_e32 v35, v38, v37
	v_dual_add_f32 v9, v9, v34 :: v_dual_add_f32 v34, v39, v36
	s_delay_alu instid0(VALU_DEP_1) | instskip(NEXT) | instid1(VALU_DEP_2)
	v_add_f32_e32 v9, v35, v9
	v_sub_f32_e32 v35, v34, v39
	s_delay_alu instid0(VALU_DEP_2) | instskip(NEXT) | instid1(VALU_DEP_2)
	v_add_f32_e32 v9, v40, v9
	v_sub_f32_e32 v35, v36, v35
	s_delay_alu instid0(VALU_DEP_2) | instskip(NEXT) | instid1(VALU_DEP_1)
	v_mul_f32_e32 v9, v33, v9
	v_add_f32_e32 v9, v35, v9
	s_delay_alu instid0(VALU_DEP_1) | instskip(NEXT) | instid1(VALU_DEP_1)
	v_add_f32_e32 v33, v34, v9
	v_mul_f32_e32 v35, v33, v33
	s_wait_alu 0xfffe
	s_delay_alu instid0(VALU_DEP_1) | instskip(SKIP_2) | instid1(VALU_DEP_3)
	v_fmaak_f32 v36, s14, v35, 0x3ecc95a3
	v_mul_f32_e32 v37, v33, v35
	v_cmp_neq_f32_e64 s14, 0x7f800000, v32
	v_fmaak_f32 v35, v35, v36, 0x3f2aaada
	v_ldexp_f32 v36, v33, 1
	v_sub_f32_e32 v33, v33, v34
	s_delay_alu instid0(VALU_DEP_3) | instskip(SKIP_1) | instid1(VALU_DEP_2)
	v_mul_f32_e32 v35, v37, v35
	v_mul_f32_e32 v37, 0x3f317218, v8
	v_dual_sub_f32 v9, v9, v33 :: v_dual_add_f32 v34, v36, v35
	s_delay_alu instid0(VALU_DEP_1) | instskip(NEXT) | instid1(VALU_DEP_2)
	v_ldexp_f32 v9, v9, 1
	v_sub_f32_e32 v33, v34, v36
	s_delay_alu instid0(VALU_DEP_4) | instskip(NEXT) | instid1(VALU_DEP_1)
	v_fma_f32 v36, 0x3f317218, v8, -v37
	v_dual_sub_f32 v33, v35, v33 :: v_dual_fmamk_f32 v8, v8, 0xb102e308, v36
	s_delay_alu instid0(VALU_DEP_1) | instskip(NEXT) | instid1(VALU_DEP_2)
	v_add_f32_e32 v9, v9, v33
	v_add_f32_e32 v33, v37, v8
	s_delay_alu instid0(VALU_DEP_2) | instskip(NEXT) | instid1(VALU_DEP_2)
	v_add_f32_e32 v35, v34, v9
	v_sub_f32_e32 v37, v33, v37
	s_delay_alu instid0(VALU_DEP_2) | instskip(SKIP_1) | instid1(VALU_DEP_3)
	v_add_f32_e32 v36, v33, v35
	v_sub_f32_e32 v34, v35, v34
	v_sub_f32_e32 v8, v8, v37
	s_delay_alu instid0(VALU_DEP_2) | instskip(NEXT) | instid1(VALU_DEP_1)
	v_dual_sub_f32 v38, v36, v33 :: v_dual_sub_f32 v9, v9, v34
	v_sub_f32_e32 v39, v36, v38
	s_delay_alu instid0(VALU_DEP_2) | instskip(NEXT) | instid1(VALU_DEP_2)
	v_dual_sub_f32 v34, v35, v38 :: v_dual_add_f32 v35, v8, v9
	v_sub_f32_e32 v33, v33, v39
	s_delay_alu instid0(VALU_DEP_1) | instskip(NEXT) | instid1(VALU_DEP_1)
	v_dual_add_f32 v33, v34, v33 :: v_dual_sub_f32 v34, v35, v8
	v_add_f32_e32 v33, v35, v33
	s_delay_alu instid0(VALU_DEP_2) | instskip(SKIP_1) | instid1(VALU_DEP_3)
	v_sub_f32_e32 v35, v35, v34
	v_sub_f32_e32 v9, v9, v34
	v_add_f32_e32 v37, v36, v33
	s_delay_alu instid0(VALU_DEP_3) | instskip(NEXT) | instid1(VALU_DEP_2)
	v_sub_f32_e32 v8, v8, v35
	v_sub_f32_e32 v34, v37, v36
	s_delay_alu instid0(VALU_DEP_2) | instskip(NEXT) | instid1(VALU_DEP_2)
	v_add_f32_e32 v8, v9, v8
	v_sub_f32_e32 v9, v33, v34
	s_delay_alu instid0(VALU_DEP_1) | instskip(NEXT) | instid1(VALU_DEP_1)
	v_add_f32_e32 v8, v8, v9
	v_add_f32_e32 v8, v37, v8
	s_wait_alu 0xf1ff
	s_delay_alu instid0(VALU_DEP_1) | instskip(SKIP_2) | instid1(VALU_DEP_1)
	v_cndmask_b32_e64 v8, 0x7f800000, v8, s14
	v_cmp_gt_f32_e64 s14, 0x33800000, |v32|
	s_wait_alu 0xf1ff
	v_cndmask_b32_e64 v8, v8, v32, s14
	s_delay_alu instid0(VALU_DEP_1) | instskip(NEXT) | instid1(VALU_DEP_1)
	v_add_f32_e32 v8, v10, v8
	v_cvt_f16_f32_e32 v8, v8
	s_delay_alu instid0(VALU_DEP_1)
	v_cvt_f32_f16_e32 v9, v8
.LBB356_90:
	s_wait_alu 0xfffe
	s_or_b32 exec_lo, exec_lo, s15
	ds_load_u16 v10, v7 offset:4
	v_max_num_f32_e32 v32, v9, v9
	v_cmp_u_f16_e64 s14, v8, v8
	ds_store_b16 v7, v8 offset:2
	s_wait_dscnt 0x1
	v_cvt_f32_f16_e32 v33, v10
	s_delay_alu instid0(VALU_DEP_1) | instskip(SKIP_2) | instid1(VALU_DEP_2)
	v_min_num_f32_e32 v34, v32, v33
	v_max_num_f32_e32 v32, v32, v33
	s_wait_alu 0xf1ff
	v_cndmask_b32_e64 v34, v34, v9, s14
	s_delay_alu instid0(VALU_DEP_2) | instskip(SKIP_2) | instid1(VALU_DEP_1)
	v_cndmask_b32_e64 v35, v32, v9, s14
	v_cmp_u_f16_e64 s14, v10, v10
	s_wait_alu 0xf1ff
	v_cndmask_b32_e64 v32, v34, v33, s14
	s_delay_alu instid0(VALU_DEP_3) | instskip(NEXT) | instid1(VALU_DEP_2)
	v_cndmask_b32_e64 v10, v35, v33, s14
	v_cmp_class_f32_e64 s15, v32, 0x1f8
	s_delay_alu instid0(VALU_DEP_2)
	v_cmp_neq_f32_e64 s14, v32, v10
	s_or_b32 s14, s14, s15
	s_wait_alu 0xfffe
	s_and_saveexec_b32 s15, s14
	s_cbranch_execz .LBB356_92
; %bb.91:
	v_sub_f32_e32 v8, v32, v10
	s_delay_alu instid0(VALU_DEP_1) | instskip(NEXT) | instid1(VALU_DEP_1)
	v_mul_f32_e32 v9, 0x3fb8aa3b, v8
	v_fma_f32 v32, 0x3fb8aa3b, v8, -v9
	v_rndne_f32_e32 v33, v9
	s_delay_alu instid0(VALU_DEP_1) | instskip(SKIP_1) | instid1(VALU_DEP_2)
	v_dual_sub_f32 v9, v9, v33 :: v_dual_fmamk_f32 v32, v8, 0x32a5705f, v32
	v_cmp_ngt_f32_e64 s14, 0xc2ce8ed0, v8
	v_add_f32_e32 v9, v9, v32
	v_cvt_i32_f32_e32 v32, v33
	s_delay_alu instid0(VALU_DEP_2) | instskip(NEXT) | instid1(TRANS32_DEP_1)
	v_exp_f32_e32 v9, v9
	v_ldexp_f32 v9, v9, v32
	s_wait_alu 0xf1ff
	s_delay_alu instid0(VALU_DEP_1) | instskip(SKIP_2) | instid1(VALU_DEP_1)
	v_cndmask_b32_e64 v9, 0, v9, s14
	v_cmp_nlt_f32_e64 s14, 0x42b17218, v8
	s_wait_alu 0xf1ff
	v_cndmask_b32_e64 v32, 0x7f800000, v9, s14
	s_delay_alu instid0(VALU_DEP_1) | instskip(NEXT) | instid1(VALU_DEP_1)
	v_add_f32_e32 v33, 1.0, v32
	v_cvt_f64_f32_e32 v[8:9], v33
	s_delay_alu instid0(VALU_DEP_1) | instskip(SKIP_1) | instid1(VALU_DEP_1)
	v_frexp_exp_i32_f64_e32 v8, v[8:9]
	v_frexp_mant_f32_e32 v9, v33
	v_cmp_gt_f32_e64 s14, 0x3f2aaaab, v9
	v_add_f32_e32 v9, -1.0, v33
	s_delay_alu instid0(VALU_DEP_1)
	v_sub_f32_e32 v35, v9, v33
	v_sub_f32_e32 v9, v32, v9
	s_wait_alu 0xf1ff
	v_subrev_co_ci_u32_e64 v8, null, 0, v8, s14
	s_mov_b32 s14, 0x3e9b6dac
	v_sub_nc_u32_e32 v34, 0, v8
	v_cvt_f32_i32_e32 v8, v8
	s_delay_alu instid0(VALU_DEP_2) | instskip(NEXT) | instid1(VALU_DEP_1)
	v_ldexp_f32 v33, v33, v34
	v_dual_add_f32 v36, 1.0, v33 :: v_dual_add_f32 v35, 1.0, v35
	s_delay_alu instid0(VALU_DEP_1) | instskip(NEXT) | instid1(VALU_DEP_2)
	v_add_f32_e32 v9, v9, v35
	v_add_f32_e32 v35, -1.0, v36
	s_delay_alu instid0(VALU_DEP_2) | instskip(NEXT) | instid1(VALU_DEP_2)
	v_ldexp_f32 v9, v9, v34
	v_dual_add_f32 v34, -1.0, v33 :: v_dual_sub_f32 v35, v33, v35
	s_delay_alu instid0(VALU_DEP_1) | instskip(NEXT) | instid1(VALU_DEP_2)
	v_add_f32_e32 v37, 1.0, v34
	v_add_f32_e32 v35, v9, v35
	s_delay_alu instid0(VALU_DEP_2) | instskip(NEXT) | instid1(VALU_DEP_2)
	v_sub_f32_e32 v33, v33, v37
	v_add_f32_e32 v37, v36, v35
	s_delay_alu instid0(VALU_DEP_2) | instskip(NEXT) | instid1(VALU_DEP_2)
	v_add_f32_e32 v9, v9, v33
	v_rcp_f32_e32 v33, v37
	v_sub_f32_e32 v36, v36, v37
	s_delay_alu instid0(VALU_DEP_1) | instskip(NEXT) | instid1(VALU_DEP_1)
	v_dual_add_f32 v38, v34, v9 :: v_dual_add_f32 v35, v35, v36
	v_sub_f32_e32 v34, v34, v38
	s_delay_alu instid0(TRANS32_DEP_1) | instskip(NEXT) | instid1(VALU_DEP_2)
	v_mul_f32_e32 v39, v38, v33
	v_add_f32_e32 v9, v9, v34
	s_delay_alu instid0(VALU_DEP_2) | instskip(NEXT) | instid1(VALU_DEP_1)
	v_mul_f32_e32 v40, v37, v39
	v_fma_f32 v36, v39, v37, -v40
	s_delay_alu instid0(VALU_DEP_1) | instskip(NEXT) | instid1(VALU_DEP_1)
	v_fmac_f32_e32 v36, v39, v35
	v_add_f32_e32 v41, v40, v36
	s_delay_alu instid0(VALU_DEP_1) | instskip(SKIP_1) | instid1(VALU_DEP_2)
	v_sub_f32_e32 v42, v38, v41
	v_sub_f32_e32 v34, v41, v40
	;; [unrolled: 1-line block ×3, first 2 shown]
	s_delay_alu instid0(VALU_DEP_2) | instskip(NEXT) | instid1(VALU_DEP_2)
	v_sub_f32_e32 v34, v34, v36
	v_sub_f32_e32 v38, v38, v41
	s_delay_alu instid0(VALU_DEP_1) | instskip(NEXT) | instid1(VALU_DEP_1)
	v_add_f32_e32 v9, v9, v38
	v_add_f32_e32 v9, v34, v9
	s_delay_alu instid0(VALU_DEP_1) | instskip(NEXT) | instid1(VALU_DEP_1)
	v_add_f32_e32 v34, v42, v9
	v_mul_f32_e32 v36, v33, v34
	s_delay_alu instid0(VALU_DEP_1) | instskip(NEXT) | instid1(VALU_DEP_1)
	v_dual_sub_f32 v41, v42, v34 :: v_dual_mul_f32 v38, v37, v36
	v_add_f32_e32 v9, v9, v41
	s_delay_alu instid0(VALU_DEP_2) | instskip(NEXT) | instid1(VALU_DEP_1)
	v_fma_f32 v37, v36, v37, -v38
	v_fmac_f32_e32 v37, v36, v35
	s_delay_alu instid0(VALU_DEP_1) | instskip(NEXT) | instid1(VALU_DEP_1)
	v_add_f32_e32 v35, v38, v37
	v_sub_f32_e32 v40, v34, v35
	v_sub_f32_e32 v38, v35, v38
	s_delay_alu instid0(VALU_DEP_2) | instskip(NEXT) | instid1(VALU_DEP_1)
	v_sub_f32_e32 v34, v34, v40
	v_sub_f32_e32 v34, v34, v35
	s_delay_alu instid0(VALU_DEP_3) | instskip(NEXT) | instid1(VALU_DEP_2)
	v_sub_f32_e32 v35, v38, v37
	v_dual_add_f32 v9, v9, v34 :: v_dual_add_f32 v34, v39, v36
	s_delay_alu instid0(VALU_DEP_1) | instskip(NEXT) | instid1(VALU_DEP_2)
	v_add_f32_e32 v9, v35, v9
	v_sub_f32_e32 v35, v34, v39
	s_delay_alu instid0(VALU_DEP_2) | instskip(NEXT) | instid1(VALU_DEP_2)
	v_add_f32_e32 v9, v40, v9
	v_sub_f32_e32 v35, v36, v35
	s_delay_alu instid0(VALU_DEP_2) | instskip(NEXT) | instid1(VALU_DEP_1)
	v_mul_f32_e32 v9, v33, v9
	v_add_f32_e32 v9, v35, v9
	s_delay_alu instid0(VALU_DEP_1) | instskip(NEXT) | instid1(VALU_DEP_1)
	v_add_f32_e32 v33, v34, v9
	v_mul_f32_e32 v35, v33, v33
	s_wait_alu 0xfffe
	s_delay_alu instid0(VALU_DEP_1) | instskip(SKIP_2) | instid1(VALU_DEP_3)
	v_fmaak_f32 v36, s14, v35, 0x3ecc95a3
	v_mul_f32_e32 v37, v33, v35
	v_cmp_neq_f32_e64 s14, 0x7f800000, v32
	v_fmaak_f32 v35, v35, v36, 0x3f2aaada
	v_ldexp_f32 v36, v33, 1
	v_sub_f32_e32 v33, v33, v34
	s_delay_alu instid0(VALU_DEP_3) | instskip(SKIP_1) | instid1(VALU_DEP_2)
	v_mul_f32_e32 v35, v37, v35
	v_mul_f32_e32 v37, 0x3f317218, v8
	v_dual_sub_f32 v9, v9, v33 :: v_dual_add_f32 v34, v36, v35
	s_delay_alu instid0(VALU_DEP_1) | instskip(NEXT) | instid1(VALU_DEP_2)
	v_ldexp_f32 v9, v9, 1
	v_sub_f32_e32 v33, v34, v36
	s_delay_alu instid0(VALU_DEP_4) | instskip(NEXT) | instid1(VALU_DEP_1)
	v_fma_f32 v36, 0x3f317218, v8, -v37
	v_dual_sub_f32 v33, v35, v33 :: v_dual_fmamk_f32 v8, v8, 0xb102e308, v36
	s_delay_alu instid0(VALU_DEP_1) | instskip(NEXT) | instid1(VALU_DEP_2)
	v_add_f32_e32 v9, v9, v33
	v_add_f32_e32 v33, v37, v8
	s_delay_alu instid0(VALU_DEP_2) | instskip(NEXT) | instid1(VALU_DEP_2)
	v_add_f32_e32 v35, v34, v9
	v_sub_f32_e32 v37, v33, v37
	s_delay_alu instid0(VALU_DEP_2) | instskip(SKIP_1) | instid1(VALU_DEP_3)
	v_add_f32_e32 v36, v33, v35
	v_sub_f32_e32 v34, v35, v34
	v_sub_f32_e32 v8, v8, v37
	s_delay_alu instid0(VALU_DEP_2) | instskip(NEXT) | instid1(VALU_DEP_1)
	v_dual_sub_f32 v38, v36, v33 :: v_dual_sub_f32 v9, v9, v34
	v_sub_f32_e32 v39, v36, v38
	s_delay_alu instid0(VALU_DEP_2) | instskip(NEXT) | instid1(VALU_DEP_2)
	v_dual_sub_f32 v34, v35, v38 :: v_dual_add_f32 v35, v8, v9
	v_sub_f32_e32 v33, v33, v39
	s_delay_alu instid0(VALU_DEP_1) | instskip(NEXT) | instid1(VALU_DEP_1)
	v_dual_add_f32 v33, v34, v33 :: v_dual_sub_f32 v34, v35, v8
	v_add_f32_e32 v33, v35, v33
	s_delay_alu instid0(VALU_DEP_2) | instskip(SKIP_1) | instid1(VALU_DEP_3)
	v_sub_f32_e32 v35, v35, v34
	v_sub_f32_e32 v9, v9, v34
	v_add_f32_e32 v37, v36, v33
	s_delay_alu instid0(VALU_DEP_3) | instskip(NEXT) | instid1(VALU_DEP_2)
	v_sub_f32_e32 v8, v8, v35
	v_sub_f32_e32 v34, v37, v36
	s_delay_alu instid0(VALU_DEP_2) | instskip(NEXT) | instid1(VALU_DEP_2)
	v_add_f32_e32 v8, v9, v8
	v_sub_f32_e32 v9, v33, v34
	s_delay_alu instid0(VALU_DEP_1) | instskip(NEXT) | instid1(VALU_DEP_1)
	v_add_f32_e32 v8, v8, v9
	v_add_f32_e32 v8, v37, v8
	s_wait_alu 0xf1ff
	s_delay_alu instid0(VALU_DEP_1) | instskip(SKIP_2) | instid1(VALU_DEP_1)
	v_cndmask_b32_e64 v8, 0x7f800000, v8, s14
	v_cmp_gt_f32_e64 s14, 0x33800000, |v32|
	s_wait_alu 0xf1ff
	v_cndmask_b32_e64 v8, v8, v32, s14
	s_delay_alu instid0(VALU_DEP_1) | instskip(NEXT) | instid1(VALU_DEP_1)
	v_add_f32_e32 v8, v10, v8
	v_cvt_f16_f32_e32 v8, v8
	s_delay_alu instid0(VALU_DEP_1)
	v_cvt_f32_f16_e32 v9, v8
.LBB356_92:
	s_wait_alu 0xfffe
	s_or_b32 exec_lo, exec_lo, s15
	ds_load_u16 v10, v7 offset:6
	v_max_num_f32_e32 v32, v9, v9
	v_cmp_u_f16_e64 s14, v8, v8
	ds_store_b16 v7, v8 offset:4
	s_wait_dscnt 0x1
	v_cvt_f32_f16_e32 v33, v10
	s_delay_alu instid0(VALU_DEP_1) | instskip(SKIP_2) | instid1(VALU_DEP_2)
	v_min_num_f32_e32 v34, v32, v33
	v_max_num_f32_e32 v32, v32, v33
	s_wait_alu 0xf1ff
	v_cndmask_b32_e64 v34, v34, v9, s14
	s_delay_alu instid0(VALU_DEP_2) | instskip(SKIP_2) | instid1(VALU_DEP_1)
	v_cndmask_b32_e64 v35, v32, v9, s14
	v_cmp_u_f16_e64 s14, v10, v10
	s_wait_alu 0xf1ff
	v_cndmask_b32_e64 v32, v34, v33, s14
	s_delay_alu instid0(VALU_DEP_3) | instskip(NEXT) | instid1(VALU_DEP_2)
	v_cndmask_b32_e64 v10, v35, v33, s14
	v_cmp_class_f32_e64 s15, v32, 0x1f8
	s_delay_alu instid0(VALU_DEP_2)
	v_cmp_neq_f32_e64 s14, v32, v10
	s_or_b32 s14, s14, s15
	s_wait_alu 0xfffe
	s_and_saveexec_b32 s15, s14
	s_cbranch_execz .LBB356_94
; %bb.93:
	v_sub_f32_e32 v8, v32, v10
	s_delay_alu instid0(VALU_DEP_1) | instskip(NEXT) | instid1(VALU_DEP_1)
	v_mul_f32_e32 v9, 0x3fb8aa3b, v8
	v_fma_f32 v32, 0x3fb8aa3b, v8, -v9
	v_rndne_f32_e32 v33, v9
	s_delay_alu instid0(VALU_DEP_1) | instskip(SKIP_1) | instid1(VALU_DEP_2)
	v_dual_sub_f32 v9, v9, v33 :: v_dual_fmamk_f32 v32, v8, 0x32a5705f, v32
	v_cmp_ngt_f32_e64 s14, 0xc2ce8ed0, v8
	v_add_f32_e32 v9, v9, v32
	v_cvt_i32_f32_e32 v32, v33
	s_delay_alu instid0(VALU_DEP_2) | instskip(NEXT) | instid1(TRANS32_DEP_1)
	v_exp_f32_e32 v9, v9
	v_ldexp_f32 v9, v9, v32
	s_wait_alu 0xf1ff
	s_delay_alu instid0(VALU_DEP_1) | instskip(SKIP_2) | instid1(VALU_DEP_1)
	v_cndmask_b32_e64 v9, 0, v9, s14
	v_cmp_nlt_f32_e64 s14, 0x42b17218, v8
	s_wait_alu 0xf1ff
	v_cndmask_b32_e64 v32, 0x7f800000, v9, s14
	s_delay_alu instid0(VALU_DEP_1) | instskip(NEXT) | instid1(VALU_DEP_1)
	v_add_f32_e32 v33, 1.0, v32
	v_cvt_f64_f32_e32 v[8:9], v33
	s_delay_alu instid0(VALU_DEP_1) | instskip(SKIP_1) | instid1(VALU_DEP_1)
	v_frexp_exp_i32_f64_e32 v8, v[8:9]
	v_frexp_mant_f32_e32 v9, v33
	v_cmp_gt_f32_e64 s14, 0x3f2aaaab, v9
	v_add_f32_e32 v9, -1.0, v33
	s_delay_alu instid0(VALU_DEP_1)
	v_sub_f32_e32 v35, v9, v33
	v_sub_f32_e32 v9, v32, v9
	s_wait_alu 0xf1ff
	v_subrev_co_ci_u32_e64 v8, null, 0, v8, s14
	s_mov_b32 s14, 0x3e9b6dac
	v_sub_nc_u32_e32 v34, 0, v8
	v_cvt_f32_i32_e32 v8, v8
	s_delay_alu instid0(VALU_DEP_2) | instskip(NEXT) | instid1(VALU_DEP_1)
	v_ldexp_f32 v33, v33, v34
	v_dual_add_f32 v36, 1.0, v33 :: v_dual_add_f32 v35, 1.0, v35
	s_delay_alu instid0(VALU_DEP_1) | instskip(NEXT) | instid1(VALU_DEP_2)
	v_add_f32_e32 v9, v9, v35
	v_add_f32_e32 v35, -1.0, v36
	s_delay_alu instid0(VALU_DEP_2) | instskip(NEXT) | instid1(VALU_DEP_2)
	v_ldexp_f32 v9, v9, v34
	v_dual_add_f32 v34, -1.0, v33 :: v_dual_sub_f32 v35, v33, v35
	s_delay_alu instid0(VALU_DEP_1) | instskip(NEXT) | instid1(VALU_DEP_2)
	v_add_f32_e32 v37, 1.0, v34
	v_add_f32_e32 v35, v9, v35
	s_delay_alu instid0(VALU_DEP_2) | instskip(NEXT) | instid1(VALU_DEP_2)
	v_sub_f32_e32 v33, v33, v37
	v_add_f32_e32 v37, v36, v35
	s_delay_alu instid0(VALU_DEP_2) | instskip(NEXT) | instid1(VALU_DEP_2)
	v_add_f32_e32 v9, v9, v33
	v_rcp_f32_e32 v33, v37
	v_sub_f32_e32 v36, v36, v37
	s_delay_alu instid0(VALU_DEP_1) | instskip(NEXT) | instid1(VALU_DEP_1)
	v_dual_add_f32 v38, v34, v9 :: v_dual_add_f32 v35, v35, v36
	v_sub_f32_e32 v34, v34, v38
	s_delay_alu instid0(TRANS32_DEP_1) | instskip(NEXT) | instid1(VALU_DEP_2)
	v_mul_f32_e32 v39, v38, v33
	v_add_f32_e32 v9, v9, v34
	s_delay_alu instid0(VALU_DEP_2) | instskip(NEXT) | instid1(VALU_DEP_1)
	v_mul_f32_e32 v40, v37, v39
	v_fma_f32 v36, v39, v37, -v40
	s_delay_alu instid0(VALU_DEP_1) | instskip(NEXT) | instid1(VALU_DEP_1)
	v_fmac_f32_e32 v36, v39, v35
	v_add_f32_e32 v41, v40, v36
	s_delay_alu instid0(VALU_DEP_1) | instskip(SKIP_1) | instid1(VALU_DEP_2)
	v_sub_f32_e32 v42, v38, v41
	v_sub_f32_e32 v34, v41, v40
	;; [unrolled: 1-line block ×3, first 2 shown]
	s_delay_alu instid0(VALU_DEP_2) | instskip(NEXT) | instid1(VALU_DEP_2)
	v_sub_f32_e32 v34, v34, v36
	v_sub_f32_e32 v38, v38, v41
	s_delay_alu instid0(VALU_DEP_1) | instskip(NEXT) | instid1(VALU_DEP_1)
	v_add_f32_e32 v9, v9, v38
	v_add_f32_e32 v9, v34, v9
	s_delay_alu instid0(VALU_DEP_1) | instskip(NEXT) | instid1(VALU_DEP_1)
	v_add_f32_e32 v34, v42, v9
	v_mul_f32_e32 v36, v33, v34
	s_delay_alu instid0(VALU_DEP_1) | instskip(NEXT) | instid1(VALU_DEP_1)
	v_dual_sub_f32 v41, v42, v34 :: v_dual_mul_f32 v38, v37, v36
	v_add_f32_e32 v9, v9, v41
	s_delay_alu instid0(VALU_DEP_2) | instskip(NEXT) | instid1(VALU_DEP_1)
	v_fma_f32 v37, v36, v37, -v38
	v_fmac_f32_e32 v37, v36, v35
	s_delay_alu instid0(VALU_DEP_1) | instskip(NEXT) | instid1(VALU_DEP_1)
	v_add_f32_e32 v35, v38, v37
	v_sub_f32_e32 v40, v34, v35
	v_sub_f32_e32 v38, v35, v38
	s_delay_alu instid0(VALU_DEP_2) | instskip(NEXT) | instid1(VALU_DEP_1)
	v_sub_f32_e32 v34, v34, v40
	v_sub_f32_e32 v34, v34, v35
	s_delay_alu instid0(VALU_DEP_3) | instskip(NEXT) | instid1(VALU_DEP_2)
	v_sub_f32_e32 v35, v38, v37
	v_dual_add_f32 v9, v9, v34 :: v_dual_add_f32 v34, v39, v36
	s_delay_alu instid0(VALU_DEP_1) | instskip(NEXT) | instid1(VALU_DEP_2)
	v_add_f32_e32 v9, v35, v9
	v_sub_f32_e32 v35, v34, v39
	s_delay_alu instid0(VALU_DEP_2) | instskip(NEXT) | instid1(VALU_DEP_2)
	v_add_f32_e32 v9, v40, v9
	v_sub_f32_e32 v35, v36, v35
	s_delay_alu instid0(VALU_DEP_2) | instskip(NEXT) | instid1(VALU_DEP_1)
	v_mul_f32_e32 v9, v33, v9
	v_add_f32_e32 v9, v35, v9
	s_delay_alu instid0(VALU_DEP_1) | instskip(NEXT) | instid1(VALU_DEP_1)
	v_add_f32_e32 v33, v34, v9
	v_mul_f32_e32 v35, v33, v33
	s_wait_alu 0xfffe
	s_delay_alu instid0(VALU_DEP_1) | instskip(SKIP_2) | instid1(VALU_DEP_3)
	v_fmaak_f32 v36, s14, v35, 0x3ecc95a3
	v_mul_f32_e32 v37, v33, v35
	v_cmp_neq_f32_e64 s14, 0x7f800000, v32
	v_fmaak_f32 v35, v35, v36, 0x3f2aaada
	v_ldexp_f32 v36, v33, 1
	v_sub_f32_e32 v33, v33, v34
	s_delay_alu instid0(VALU_DEP_3) | instskip(SKIP_1) | instid1(VALU_DEP_2)
	v_mul_f32_e32 v35, v37, v35
	v_mul_f32_e32 v37, 0x3f317218, v8
	v_dual_sub_f32 v9, v9, v33 :: v_dual_add_f32 v34, v36, v35
	s_delay_alu instid0(VALU_DEP_1) | instskip(NEXT) | instid1(VALU_DEP_2)
	v_ldexp_f32 v9, v9, 1
	v_sub_f32_e32 v33, v34, v36
	s_delay_alu instid0(VALU_DEP_4) | instskip(NEXT) | instid1(VALU_DEP_1)
	v_fma_f32 v36, 0x3f317218, v8, -v37
	v_dual_sub_f32 v33, v35, v33 :: v_dual_fmamk_f32 v8, v8, 0xb102e308, v36
	s_delay_alu instid0(VALU_DEP_1) | instskip(NEXT) | instid1(VALU_DEP_2)
	v_add_f32_e32 v9, v9, v33
	v_add_f32_e32 v33, v37, v8
	s_delay_alu instid0(VALU_DEP_2) | instskip(NEXT) | instid1(VALU_DEP_2)
	v_add_f32_e32 v35, v34, v9
	v_sub_f32_e32 v37, v33, v37
	s_delay_alu instid0(VALU_DEP_2) | instskip(SKIP_1) | instid1(VALU_DEP_3)
	v_add_f32_e32 v36, v33, v35
	v_sub_f32_e32 v34, v35, v34
	v_sub_f32_e32 v8, v8, v37
	s_delay_alu instid0(VALU_DEP_2) | instskip(NEXT) | instid1(VALU_DEP_1)
	v_dual_sub_f32 v38, v36, v33 :: v_dual_sub_f32 v9, v9, v34
	v_sub_f32_e32 v39, v36, v38
	s_delay_alu instid0(VALU_DEP_2) | instskip(NEXT) | instid1(VALU_DEP_2)
	v_dual_sub_f32 v34, v35, v38 :: v_dual_add_f32 v35, v8, v9
	v_sub_f32_e32 v33, v33, v39
	s_delay_alu instid0(VALU_DEP_1) | instskip(NEXT) | instid1(VALU_DEP_1)
	v_dual_add_f32 v33, v34, v33 :: v_dual_sub_f32 v34, v35, v8
	v_add_f32_e32 v33, v35, v33
	s_delay_alu instid0(VALU_DEP_2) | instskip(SKIP_1) | instid1(VALU_DEP_3)
	v_sub_f32_e32 v35, v35, v34
	v_sub_f32_e32 v9, v9, v34
	v_add_f32_e32 v37, v36, v33
	s_delay_alu instid0(VALU_DEP_3) | instskip(NEXT) | instid1(VALU_DEP_2)
	v_sub_f32_e32 v8, v8, v35
	v_sub_f32_e32 v34, v37, v36
	s_delay_alu instid0(VALU_DEP_2) | instskip(NEXT) | instid1(VALU_DEP_2)
	v_add_f32_e32 v8, v9, v8
	v_sub_f32_e32 v9, v33, v34
	s_delay_alu instid0(VALU_DEP_1) | instskip(NEXT) | instid1(VALU_DEP_1)
	v_add_f32_e32 v8, v8, v9
	v_add_f32_e32 v8, v37, v8
	s_wait_alu 0xf1ff
	s_delay_alu instid0(VALU_DEP_1) | instskip(SKIP_2) | instid1(VALU_DEP_1)
	v_cndmask_b32_e64 v8, 0x7f800000, v8, s14
	v_cmp_gt_f32_e64 s14, 0x33800000, |v32|
	s_wait_alu 0xf1ff
	v_cndmask_b32_e64 v8, v8, v32, s14
	s_delay_alu instid0(VALU_DEP_1) | instskip(NEXT) | instid1(VALU_DEP_1)
	v_add_f32_e32 v8, v10, v8
	v_cvt_f16_f32_e32 v8, v8
	s_delay_alu instid0(VALU_DEP_1)
	v_cvt_f32_f16_e32 v9, v8
.LBB356_94:
	s_wait_alu 0xfffe
	s_or_b32 exec_lo, exec_lo, s15
	ds_load_u16 v10, v7 offset:8
	v_max_num_f32_e32 v32, v9, v9
	v_cmp_u_f16_e64 s14, v8, v8
	ds_store_b16 v7, v8 offset:6
	s_wait_dscnt 0x1
	v_cvt_f32_f16_e32 v33, v10
	s_delay_alu instid0(VALU_DEP_1) | instskip(SKIP_2) | instid1(VALU_DEP_2)
	v_min_num_f32_e32 v34, v32, v33
	v_max_num_f32_e32 v32, v32, v33
	s_wait_alu 0xf1ff
	v_cndmask_b32_e64 v34, v34, v9, s14
	s_delay_alu instid0(VALU_DEP_2) | instskip(SKIP_2) | instid1(VALU_DEP_1)
	v_cndmask_b32_e64 v35, v32, v9, s14
	v_cmp_u_f16_e64 s14, v10, v10
	s_wait_alu 0xf1ff
	v_cndmask_b32_e64 v32, v34, v33, s14
	s_delay_alu instid0(VALU_DEP_3) | instskip(NEXT) | instid1(VALU_DEP_2)
	v_cndmask_b32_e64 v10, v35, v33, s14
	v_cmp_class_f32_e64 s15, v32, 0x1f8
	s_delay_alu instid0(VALU_DEP_2)
	v_cmp_neq_f32_e64 s14, v32, v10
	s_or_b32 s14, s14, s15
	s_wait_alu 0xfffe
	s_and_saveexec_b32 s15, s14
	s_cbranch_execz .LBB356_96
; %bb.95:
	v_sub_f32_e32 v8, v32, v10
	s_delay_alu instid0(VALU_DEP_1) | instskip(NEXT) | instid1(VALU_DEP_1)
	v_mul_f32_e32 v9, 0x3fb8aa3b, v8
	v_fma_f32 v32, 0x3fb8aa3b, v8, -v9
	v_rndne_f32_e32 v33, v9
	s_delay_alu instid0(VALU_DEP_1) | instskip(SKIP_1) | instid1(VALU_DEP_2)
	v_dual_sub_f32 v9, v9, v33 :: v_dual_fmamk_f32 v32, v8, 0x32a5705f, v32
	v_cmp_ngt_f32_e64 s14, 0xc2ce8ed0, v8
	v_add_f32_e32 v9, v9, v32
	v_cvt_i32_f32_e32 v32, v33
	s_delay_alu instid0(VALU_DEP_2) | instskip(NEXT) | instid1(TRANS32_DEP_1)
	v_exp_f32_e32 v9, v9
	v_ldexp_f32 v9, v9, v32
	s_wait_alu 0xf1ff
	s_delay_alu instid0(VALU_DEP_1) | instskip(SKIP_2) | instid1(VALU_DEP_1)
	v_cndmask_b32_e64 v9, 0, v9, s14
	v_cmp_nlt_f32_e64 s14, 0x42b17218, v8
	s_wait_alu 0xf1ff
	v_cndmask_b32_e64 v32, 0x7f800000, v9, s14
	s_delay_alu instid0(VALU_DEP_1) | instskip(NEXT) | instid1(VALU_DEP_1)
	v_add_f32_e32 v33, 1.0, v32
	v_cvt_f64_f32_e32 v[8:9], v33
	s_delay_alu instid0(VALU_DEP_1) | instskip(SKIP_1) | instid1(VALU_DEP_1)
	v_frexp_exp_i32_f64_e32 v8, v[8:9]
	v_frexp_mant_f32_e32 v9, v33
	v_cmp_gt_f32_e64 s14, 0x3f2aaaab, v9
	v_add_f32_e32 v9, -1.0, v33
	s_delay_alu instid0(VALU_DEP_1)
	v_sub_f32_e32 v35, v9, v33
	v_sub_f32_e32 v9, v32, v9
	s_wait_alu 0xf1ff
	v_subrev_co_ci_u32_e64 v8, null, 0, v8, s14
	s_mov_b32 s14, 0x3e9b6dac
	v_sub_nc_u32_e32 v34, 0, v8
	v_cvt_f32_i32_e32 v8, v8
	s_delay_alu instid0(VALU_DEP_2) | instskip(NEXT) | instid1(VALU_DEP_1)
	v_ldexp_f32 v33, v33, v34
	v_dual_add_f32 v36, 1.0, v33 :: v_dual_add_f32 v35, 1.0, v35
	s_delay_alu instid0(VALU_DEP_1) | instskip(NEXT) | instid1(VALU_DEP_2)
	v_add_f32_e32 v9, v9, v35
	v_add_f32_e32 v35, -1.0, v36
	s_delay_alu instid0(VALU_DEP_2) | instskip(NEXT) | instid1(VALU_DEP_2)
	v_ldexp_f32 v9, v9, v34
	v_dual_add_f32 v34, -1.0, v33 :: v_dual_sub_f32 v35, v33, v35
	s_delay_alu instid0(VALU_DEP_1) | instskip(NEXT) | instid1(VALU_DEP_2)
	v_add_f32_e32 v37, 1.0, v34
	v_add_f32_e32 v35, v9, v35
	s_delay_alu instid0(VALU_DEP_2) | instskip(NEXT) | instid1(VALU_DEP_2)
	v_sub_f32_e32 v33, v33, v37
	v_add_f32_e32 v37, v36, v35
	s_delay_alu instid0(VALU_DEP_2) | instskip(NEXT) | instid1(VALU_DEP_2)
	v_add_f32_e32 v9, v9, v33
	v_rcp_f32_e32 v33, v37
	v_sub_f32_e32 v36, v36, v37
	s_delay_alu instid0(VALU_DEP_1) | instskip(NEXT) | instid1(VALU_DEP_1)
	v_dual_add_f32 v38, v34, v9 :: v_dual_add_f32 v35, v35, v36
	v_sub_f32_e32 v34, v34, v38
	s_delay_alu instid0(TRANS32_DEP_1) | instskip(NEXT) | instid1(VALU_DEP_2)
	v_mul_f32_e32 v39, v38, v33
	v_add_f32_e32 v9, v9, v34
	s_delay_alu instid0(VALU_DEP_2) | instskip(NEXT) | instid1(VALU_DEP_1)
	v_mul_f32_e32 v40, v37, v39
	v_fma_f32 v36, v39, v37, -v40
	s_delay_alu instid0(VALU_DEP_1) | instskip(NEXT) | instid1(VALU_DEP_1)
	v_fmac_f32_e32 v36, v39, v35
	v_add_f32_e32 v41, v40, v36
	s_delay_alu instid0(VALU_DEP_1) | instskip(SKIP_1) | instid1(VALU_DEP_2)
	v_sub_f32_e32 v42, v38, v41
	v_sub_f32_e32 v34, v41, v40
	v_sub_f32_e32 v38, v38, v42
	s_delay_alu instid0(VALU_DEP_2) | instskip(NEXT) | instid1(VALU_DEP_2)
	v_sub_f32_e32 v34, v34, v36
	v_sub_f32_e32 v38, v38, v41
	s_delay_alu instid0(VALU_DEP_1) | instskip(NEXT) | instid1(VALU_DEP_1)
	v_add_f32_e32 v9, v9, v38
	v_add_f32_e32 v9, v34, v9
	s_delay_alu instid0(VALU_DEP_1) | instskip(NEXT) | instid1(VALU_DEP_1)
	v_add_f32_e32 v34, v42, v9
	v_mul_f32_e32 v36, v33, v34
	s_delay_alu instid0(VALU_DEP_1) | instskip(NEXT) | instid1(VALU_DEP_1)
	v_dual_sub_f32 v41, v42, v34 :: v_dual_mul_f32 v38, v37, v36
	v_add_f32_e32 v9, v9, v41
	s_delay_alu instid0(VALU_DEP_2) | instskip(NEXT) | instid1(VALU_DEP_1)
	v_fma_f32 v37, v36, v37, -v38
	v_fmac_f32_e32 v37, v36, v35
	s_delay_alu instid0(VALU_DEP_1) | instskip(NEXT) | instid1(VALU_DEP_1)
	v_add_f32_e32 v35, v38, v37
	v_sub_f32_e32 v40, v34, v35
	v_sub_f32_e32 v38, v35, v38
	s_delay_alu instid0(VALU_DEP_2) | instskip(NEXT) | instid1(VALU_DEP_1)
	v_sub_f32_e32 v34, v34, v40
	v_sub_f32_e32 v34, v34, v35
	s_delay_alu instid0(VALU_DEP_3) | instskip(NEXT) | instid1(VALU_DEP_2)
	v_sub_f32_e32 v35, v38, v37
	v_dual_add_f32 v9, v9, v34 :: v_dual_add_f32 v34, v39, v36
	s_delay_alu instid0(VALU_DEP_1) | instskip(NEXT) | instid1(VALU_DEP_2)
	v_add_f32_e32 v9, v35, v9
	v_sub_f32_e32 v35, v34, v39
	s_delay_alu instid0(VALU_DEP_2) | instskip(NEXT) | instid1(VALU_DEP_2)
	v_add_f32_e32 v9, v40, v9
	v_sub_f32_e32 v35, v36, v35
	s_delay_alu instid0(VALU_DEP_2) | instskip(NEXT) | instid1(VALU_DEP_1)
	v_mul_f32_e32 v9, v33, v9
	v_add_f32_e32 v9, v35, v9
	s_delay_alu instid0(VALU_DEP_1) | instskip(NEXT) | instid1(VALU_DEP_1)
	v_add_f32_e32 v33, v34, v9
	v_mul_f32_e32 v35, v33, v33
	s_wait_alu 0xfffe
	s_delay_alu instid0(VALU_DEP_1) | instskip(SKIP_2) | instid1(VALU_DEP_3)
	v_fmaak_f32 v36, s14, v35, 0x3ecc95a3
	v_mul_f32_e32 v37, v33, v35
	v_cmp_neq_f32_e64 s14, 0x7f800000, v32
	v_fmaak_f32 v35, v35, v36, 0x3f2aaada
	v_ldexp_f32 v36, v33, 1
	v_sub_f32_e32 v33, v33, v34
	s_delay_alu instid0(VALU_DEP_3) | instskip(SKIP_1) | instid1(VALU_DEP_2)
	v_mul_f32_e32 v35, v37, v35
	v_mul_f32_e32 v37, 0x3f317218, v8
	v_dual_sub_f32 v9, v9, v33 :: v_dual_add_f32 v34, v36, v35
	s_delay_alu instid0(VALU_DEP_1) | instskip(NEXT) | instid1(VALU_DEP_2)
	v_ldexp_f32 v9, v9, 1
	v_sub_f32_e32 v33, v34, v36
	s_delay_alu instid0(VALU_DEP_4) | instskip(NEXT) | instid1(VALU_DEP_1)
	v_fma_f32 v36, 0x3f317218, v8, -v37
	v_dual_sub_f32 v33, v35, v33 :: v_dual_fmamk_f32 v8, v8, 0xb102e308, v36
	s_delay_alu instid0(VALU_DEP_1) | instskip(NEXT) | instid1(VALU_DEP_2)
	v_add_f32_e32 v9, v9, v33
	v_add_f32_e32 v33, v37, v8
	s_delay_alu instid0(VALU_DEP_2) | instskip(NEXT) | instid1(VALU_DEP_2)
	v_add_f32_e32 v35, v34, v9
	v_sub_f32_e32 v37, v33, v37
	s_delay_alu instid0(VALU_DEP_2) | instskip(SKIP_1) | instid1(VALU_DEP_3)
	v_add_f32_e32 v36, v33, v35
	v_sub_f32_e32 v34, v35, v34
	v_sub_f32_e32 v8, v8, v37
	s_delay_alu instid0(VALU_DEP_2) | instskip(NEXT) | instid1(VALU_DEP_1)
	v_dual_sub_f32 v38, v36, v33 :: v_dual_sub_f32 v9, v9, v34
	v_sub_f32_e32 v39, v36, v38
	s_delay_alu instid0(VALU_DEP_2) | instskip(NEXT) | instid1(VALU_DEP_2)
	v_dual_sub_f32 v34, v35, v38 :: v_dual_add_f32 v35, v8, v9
	v_sub_f32_e32 v33, v33, v39
	s_delay_alu instid0(VALU_DEP_1) | instskip(NEXT) | instid1(VALU_DEP_1)
	v_dual_add_f32 v33, v34, v33 :: v_dual_sub_f32 v34, v35, v8
	v_add_f32_e32 v33, v35, v33
	s_delay_alu instid0(VALU_DEP_2) | instskip(SKIP_1) | instid1(VALU_DEP_3)
	v_sub_f32_e32 v35, v35, v34
	v_sub_f32_e32 v9, v9, v34
	v_add_f32_e32 v37, v36, v33
	s_delay_alu instid0(VALU_DEP_3) | instskip(NEXT) | instid1(VALU_DEP_2)
	v_sub_f32_e32 v8, v8, v35
	v_sub_f32_e32 v34, v37, v36
	s_delay_alu instid0(VALU_DEP_2) | instskip(NEXT) | instid1(VALU_DEP_2)
	v_add_f32_e32 v8, v9, v8
	v_sub_f32_e32 v9, v33, v34
	s_delay_alu instid0(VALU_DEP_1) | instskip(NEXT) | instid1(VALU_DEP_1)
	v_add_f32_e32 v8, v8, v9
	v_add_f32_e32 v8, v37, v8
	s_wait_alu 0xf1ff
	s_delay_alu instid0(VALU_DEP_1) | instskip(SKIP_2) | instid1(VALU_DEP_1)
	v_cndmask_b32_e64 v8, 0x7f800000, v8, s14
	v_cmp_gt_f32_e64 s14, 0x33800000, |v32|
	s_wait_alu 0xf1ff
	v_cndmask_b32_e64 v8, v8, v32, s14
	s_delay_alu instid0(VALU_DEP_1) | instskip(NEXT) | instid1(VALU_DEP_1)
	v_add_f32_e32 v8, v10, v8
	v_cvt_f16_f32_e32 v8, v8
	s_delay_alu instid0(VALU_DEP_1)
	v_cvt_f32_f16_e32 v9, v8
.LBB356_96:
	s_wait_alu 0xfffe
	s_or_b32 exec_lo, exec_lo, s15
	ds_load_u16 v10, v7 offset:10
	v_max_num_f32_e32 v32, v9, v9
	v_cmp_u_f16_e64 s14, v8, v8
	ds_store_b16 v7, v8 offset:8
	s_wait_dscnt 0x1
	v_cvt_f32_f16_e32 v33, v10
	s_delay_alu instid0(VALU_DEP_1) | instskip(SKIP_2) | instid1(VALU_DEP_2)
	v_min_num_f32_e32 v34, v32, v33
	v_max_num_f32_e32 v32, v32, v33
	s_wait_alu 0xf1ff
	v_cndmask_b32_e64 v34, v34, v9, s14
	s_delay_alu instid0(VALU_DEP_2) | instskip(SKIP_2) | instid1(VALU_DEP_1)
	v_cndmask_b32_e64 v35, v32, v9, s14
	v_cmp_u_f16_e64 s14, v10, v10
	s_wait_alu 0xf1ff
	v_cndmask_b32_e64 v32, v34, v33, s14
	s_delay_alu instid0(VALU_DEP_3) | instskip(NEXT) | instid1(VALU_DEP_2)
	v_cndmask_b32_e64 v10, v35, v33, s14
	v_cmp_class_f32_e64 s15, v32, 0x1f8
	s_delay_alu instid0(VALU_DEP_2)
	v_cmp_neq_f32_e64 s14, v32, v10
	s_or_b32 s14, s14, s15
	s_wait_alu 0xfffe
	s_and_saveexec_b32 s15, s14
	s_cbranch_execz .LBB356_98
; %bb.97:
	v_sub_f32_e32 v8, v32, v10
	s_delay_alu instid0(VALU_DEP_1) | instskip(NEXT) | instid1(VALU_DEP_1)
	v_mul_f32_e32 v9, 0x3fb8aa3b, v8
	v_fma_f32 v32, 0x3fb8aa3b, v8, -v9
	v_rndne_f32_e32 v33, v9
	s_delay_alu instid0(VALU_DEP_1) | instskip(SKIP_1) | instid1(VALU_DEP_2)
	v_dual_sub_f32 v9, v9, v33 :: v_dual_fmamk_f32 v32, v8, 0x32a5705f, v32
	v_cmp_ngt_f32_e64 s14, 0xc2ce8ed0, v8
	v_add_f32_e32 v9, v9, v32
	v_cvt_i32_f32_e32 v32, v33
	s_delay_alu instid0(VALU_DEP_2) | instskip(NEXT) | instid1(TRANS32_DEP_1)
	v_exp_f32_e32 v9, v9
	v_ldexp_f32 v9, v9, v32
	s_wait_alu 0xf1ff
	s_delay_alu instid0(VALU_DEP_1) | instskip(SKIP_2) | instid1(VALU_DEP_1)
	v_cndmask_b32_e64 v9, 0, v9, s14
	v_cmp_nlt_f32_e64 s14, 0x42b17218, v8
	s_wait_alu 0xf1ff
	v_cndmask_b32_e64 v32, 0x7f800000, v9, s14
	s_delay_alu instid0(VALU_DEP_1) | instskip(NEXT) | instid1(VALU_DEP_1)
	v_add_f32_e32 v33, 1.0, v32
	v_cvt_f64_f32_e32 v[8:9], v33
	s_delay_alu instid0(VALU_DEP_1) | instskip(SKIP_1) | instid1(VALU_DEP_1)
	v_frexp_exp_i32_f64_e32 v8, v[8:9]
	v_frexp_mant_f32_e32 v9, v33
	v_cmp_gt_f32_e64 s14, 0x3f2aaaab, v9
	v_add_f32_e32 v9, -1.0, v33
	s_delay_alu instid0(VALU_DEP_1)
	v_sub_f32_e32 v35, v9, v33
	v_sub_f32_e32 v9, v32, v9
	s_wait_alu 0xf1ff
	v_subrev_co_ci_u32_e64 v8, null, 0, v8, s14
	s_mov_b32 s14, 0x3e9b6dac
	v_sub_nc_u32_e32 v34, 0, v8
	v_cvt_f32_i32_e32 v8, v8
	s_delay_alu instid0(VALU_DEP_2) | instskip(NEXT) | instid1(VALU_DEP_1)
	v_ldexp_f32 v33, v33, v34
	v_dual_add_f32 v36, 1.0, v33 :: v_dual_add_f32 v35, 1.0, v35
	s_delay_alu instid0(VALU_DEP_1) | instskip(NEXT) | instid1(VALU_DEP_2)
	v_add_f32_e32 v9, v9, v35
	v_add_f32_e32 v35, -1.0, v36
	s_delay_alu instid0(VALU_DEP_2) | instskip(NEXT) | instid1(VALU_DEP_2)
	v_ldexp_f32 v9, v9, v34
	v_dual_add_f32 v34, -1.0, v33 :: v_dual_sub_f32 v35, v33, v35
	s_delay_alu instid0(VALU_DEP_1) | instskip(NEXT) | instid1(VALU_DEP_2)
	v_add_f32_e32 v37, 1.0, v34
	v_add_f32_e32 v35, v9, v35
	s_delay_alu instid0(VALU_DEP_2) | instskip(NEXT) | instid1(VALU_DEP_2)
	v_sub_f32_e32 v33, v33, v37
	v_add_f32_e32 v37, v36, v35
	s_delay_alu instid0(VALU_DEP_2) | instskip(NEXT) | instid1(VALU_DEP_2)
	v_add_f32_e32 v9, v9, v33
	v_rcp_f32_e32 v33, v37
	v_sub_f32_e32 v36, v36, v37
	s_delay_alu instid0(VALU_DEP_1) | instskip(NEXT) | instid1(VALU_DEP_1)
	v_dual_add_f32 v38, v34, v9 :: v_dual_add_f32 v35, v35, v36
	v_sub_f32_e32 v34, v34, v38
	s_delay_alu instid0(TRANS32_DEP_1) | instskip(NEXT) | instid1(VALU_DEP_2)
	v_mul_f32_e32 v39, v38, v33
	v_add_f32_e32 v9, v9, v34
	s_delay_alu instid0(VALU_DEP_2) | instskip(NEXT) | instid1(VALU_DEP_1)
	v_mul_f32_e32 v40, v37, v39
	v_fma_f32 v36, v39, v37, -v40
	s_delay_alu instid0(VALU_DEP_1) | instskip(NEXT) | instid1(VALU_DEP_1)
	v_fmac_f32_e32 v36, v39, v35
	v_add_f32_e32 v41, v40, v36
	s_delay_alu instid0(VALU_DEP_1) | instskip(SKIP_1) | instid1(VALU_DEP_2)
	v_sub_f32_e32 v42, v38, v41
	v_sub_f32_e32 v34, v41, v40
	;; [unrolled: 1-line block ×3, first 2 shown]
	s_delay_alu instid0(VALU_DEP_2) | instskip(NEXT) | instid1(VALU_DEP_2)
	v_sub_f32_e32 v34, v34, v36
	v_sub_f32_e32 v38, v38, v41
	s_delay_alu instid0(VALU_DEP_1) | instskip(NEXT) | instid1(VALU_DEP_1)
	v_add_f32_e32 v9, v9, v38
	v_add_f32_e32 v9, v34, v9
	s_delay_alu instid0(VALU_DEP_1) | instskip(NEXT) | instid1(VALU_DEP_1)
	v_add_f32_e32 v34, v42, v9
	v_mul_f32_e32 v36, v33, v34
	s_delay_alu instid0(VALU_DEP_1) | instskip(NEXT) | instid1(VALU_DEP_1)
	v_dual_sub_f32 v41, v42, v34 :: v_dual_mul_f32 v38, v37, v36
	v_add_f32_e32 v9, v9, v41
	s_delay_alu instid0(VALU_DEP_2) | instskip(NEXT) | instid1(VALU_DEP_1)
	v_fma_f32 v37, v36, v37, -v38
	v_fmac_f32_e32 v37, v36, v35
	s_delay_alu instid0(VALU_DEP_1) | instskip(NEXT) | instid1(VALU_DEP_1)
	v_add_f32_e32 v35, v38, v37
	v_sub_f32_e32 v40, v34, v35
	v_sub_f32_e32 v38, v35, v38
	s_delay_alu instid0(VALU_DEP_2) | instskip(NEXT) | instid1(VALU_DEP_1)
	v_sub_f32_e32 v34, v34, v40
	v_sub_f32_e32 v34, v34, v35
	s_delay_alu instid0(VALU_DEP_3) | instskip(NEXT) | instid1(VALU_DEP_2)
	v_sub_f32_e32 v35, v38, v37
	v_dual_add_f32 v9, v9, v34 :: v_dual_add_f32 v34, v39, v36
	s_delay_alu instid0(VALU_DEP_1) | instskip(NEXT) | instid1(VALU_DEP_2)
	v_add_f32_e32 v9, v35, v9
	v_sub_f32_e32 v35, v34, v39
	s_delay_alu instid0(VALU_DEP_2) | instskip(NEXT) | instid1(VALU_DEP_2)
	v_add_f32_e32 v9, v40, v9
	v_sub_f32_e32 v35, v36, v35
	s_delay_alu instid0(VALU_DEP_2) | instskip(NEXT) | instid1(VALU_DEP_1)
	v_mul_f32_e32 v9, v33, v9
	v_add_f32_e32 v9, v35, v9
	s_delay_alu instid0(VALU_DEP_1) | instskip(NEXT) | instid1(VALU_DEP_1)
	v_add_f32_e32 v33, v34, v9
	v_mul_f32_e32 v35, v33, v33
	s_wait_alu 0xfffe
	s_delay_alu instid0(VALU_DEP_1) | instskip(SKIP_2) | instid1(VALU_DEP_3)
	v_fmaak_f32 v36, s14, v35, 0x3ecc95a3
	v_mul_f32_e32 v37, v33, v35
	v_cmp_neq_f32_e64 s14, 0x7f800000, v32
	v_fmaak_f32 v35, v35, v36, 0x3f2aaada
	v_ldexp_f32 v36, v33, 1
	v_sub_f32_e32 v33, v33, v34
	s_delay_alu instid0(VALU_DEP_3) | instskip(SKIP_1) | instid1(VALU_DEP_2)
	v_mul_f32_e32 v35, v37, v35
	v_mul_f32_e32 v37, 0x3f317218, v8
	v_dual_sub_f32 v9, v9, v33 :: v_dual_add_f32 v34, v36, v35
	s_delay_alu instid0(VALU_DEP_1) | instskip(NEXT) | instid1(VALU_DEP_2)
	v_ldexp_f32 v9, v9, 1
	v_sub_f32_e32 v33, v34, v36
	s_delay_alu instid0(VALU_DEP_4) | instskip(NEXT) | instid1(VALU_DEP_1)
	v_fma_f32 v36, 0x3f317218, v8, -v37
	v_dual_sub_f32 v33, v35, v33 :: v_dual_fmamk_f32 v8, v8, 0xb102e308, v36
	s_delay_alu instid0(VALU_DEP_1) | instskip(NEXT) | instid1(VALU_DEP_2)
	v_add_f32_e32 v9, v9, v33
	v_add_f32_e32 v33, v37, v8
	s_delay_alu instid0(VALU_DEP_2) | instskip(NEXT) | instid1(VALU_DEP_2)
	v_add_f32_e32 v35, v34, v9
	v_sub_f32_e32 v37, v33, v37
	s_delay_alu instid0(VALU_DEP_2) | instskip(SKIP_1) | instid1(VALU_DEP_3)
	v_add_f32_e32 v36, v33, v35
	v_sub_f32_e32 v34, v35, v34
	v_sub_f32_e32 v8, v8, v37
	s_delay_alu instid0(VALU_DEP_2) | instskip(NEXT) | instid1(VALU_DEP_1)
	v_dual_sub_f32 v38, v36, v33 :: v_dual_sub_f32 v9, v9, v34
	v_sub_f32_e32 v39, v36, v38
	s_delay_alu instid0(VALU_DEP_2) | instskip(NEXT) | instid1(VALU_DEP_2)
	v_dual_sub_f32 v34, v35, v38 :: v_dual_add_f32 v35, v8, v9
	v_sub_f32_e32 v33, v33, v39
	s_delay_alu instid0(VALU_DEP_1) | instskip(NEXT) | instid1(VALU_DEP_1)
	v_dual_add_f32 v33, v34, v33 :: v_dual_sub_f32 v34, v35, v8
	v_add_f32_e32 v33, v35, v33
	s_delay_alu instid0(VALU_DEP_2) | instskip(SKIP_1) | instid1(VALU_DEP_3)
	v_sub_f32_e32 v35, v35, v34
	v_sub_f32_e32 v9, v9, v34
	v_add_f32_e32 v37, v36, v33
	s_delay_alu instid0(VALU_DEP_3) | instskip(NEXT) | instid1(VALU_DEP_2)
	v_sub_f32_e32 v8, v8, v35
	v_sub_f32_e32 v34, v37, v36
	s_delay_alu instid0(VALU_DEP_2) | instskip(NEXT) | instid1(VALU_DEP_2)
	v_add_f32_e32 v8, v9, v8
	v_sub_f32_e32 v9, v33, v34
	s_delay_alu instid0(VALU_DEP_1) | instskip(NEXT) | instid1(VALU_DEP_1)
	v_add_f32_e32 v8, v8, v9
	v_add_f32_e32 v8, v37, v8
	s_wait_alu 0xf1ff
	s_delay_alu instid0(VALU_DEP_1) | instskip(SKIP_2) | instid1(VALU_DEP_1)
	v_cndmask_b32_e64 v8, 0x7f800000, v8, s14
	v_cmp_gt_f32_e64 s14, 0x33800000, |v32|
	s_wait_alu 0xf1ff
	v_cndmask_b32_e64 v8, v8, v32, s14
	s_delay_alu instid0(VALU_DEP_1) | instskip(NEXT) | instid1(VALU_DEP_1)
	v_add_f32_e32 v8, v10, v8
	v_cvt_f16_f32_e32 v8, v8
	s_delay_alu instid0(VALU_DEP_1)
	v_cvt_f32_f16_e32 v9, v8
.LBB356_98:
	s_wait_alu 0xfffe
	s_or_b32 exec_lo, exec_lo, s15
	ds_load_u16 v10, v7 offset:12
	v_max_num_f32_e32 v32, v9, v9
	v_cmp_u_f16_e64 s14, v8, v8
	ds_store_b16 v7, v8 offset:10
	s_wait_dscnt 0x1
	v_cvt_f32_f16_e32 v33, v10
	s_delay_alu instid0(VALU_DEP_1) | instskip(SKIP_2) | instid1(VALU_DEP_2)
	v_min_num_f32_e32 v34, v32, v33
	v_max_num_f32_e32 v32, v32, v33
	s_wait_alu 0xf1ff
	v_cndmask_b32_e64 v34, v34, v9, s14
	s_delay_alu instid0(VALU_DEP_2) | instskip(SKIP_2) | instid1(VALU_DEP_1)
	v_cndmask_b32_e64 v35, v32, v9, s14
	v_cmp_u_f16_e64 s14, v10, v10
	s_wait_alu 0xf1ff
	v_cndmask_b32_e64 v32, v34, v33, s14
	s_delay_alu instid0(VALU_DEP_3) | instskip(NEXT) | instid1(VALU_DEP_2)
	v_cndmask_b32_e64 v10, v35, v33, s14
	v_cmp_class_f32_e64 s15, v32, 0x1f8
	s_delay_alu instid0(VALU_DEP_2)
	v_cmp_neq_f32_e64 s14, v32, v10
	s_or_b32 s14, s14, s15
	s_wait_alu 0xfffe
	s_and_saveexec_b32 s15, s14
	s_cbranch_execz .LBB356_100
; %bb.99:
	v_sub_f32_e32 v8, v32, v10
	s_delay_alu instid0(VALU_DEP_1) | instskip(NEXT) | instid1(VALU_DEP_1)
	v_mul_f32_e32 v9, 0x3fb8aa3b, v8
	v_fma_f32 v32, 0x3fb8aa3b, v8, -v9
	v_rndne_f32_e32 v33, v9
	s_delay_alu instid0(VALU_DEP_1) | instskip(SKIP_1) | instid1(VALU_DEP_2)
	v_dual_sub_f32 v9, v9, v33 :: v_dual_fmamk_f32 v32, v8, 0x32a5705f, v32
	v_cmp_ngt_f32_e64 s14, 0xc2ce8ed0, v8
	v_add_f32_e32 v9, v9, v32
	v_cvt_i32_f32_e32 v32, v33
	s_delay_alu instid0(VALU_DEP_2) | instskip(NEXT) | instid1(TRANS32_DEP_1)
	v_exp_f32_e32 v9, v9
	v_ldexp_f32 v9, v9, v32
	s_wait_alu 0xf1ff
	s_delay_alu instid0(VALU_DEP_1) | instskip(SKIP_2) | instid1(VALU_DEP_1)
	v_cndmask_b32_e64 v9, 0, v9, s14
	v_cmp_nlt_f32_e64 s14, 0x42b17218, v8
	s_wait_alu 0xf1ff
	v_cndmask_b32_e64 v32, 0x7f800000, v9, s14
	s_delay_alu instid0(VALU_DEP_1) | instskip(NEXT) | instid1(VALU_DEP_1)
	v_add_f32_e32 v33, 1.0, v32
	v_cvt_f64_f32_e32 v[8:9], v33
	s_delay_alu instid0(VALU_DEP_1) | instskip(SKIP_1) | instid1(VALU_DEP_1)
	v_frexp_exp_i32_f64_e32 v8, v[8:9]
	v_frexp_mant_f32_e32 v9, v33
	v_cmp_gt_f32_e64 s14, 0x3f2aaaab, v9
	v_add_f32_e32 v9, -1.0, v33
	s_delay_alu instid0(VALU_DEP_1)
	v_sub_f32_e32 v35, v9, v33
	v_sub_f32_e32 v9, v32, v9
	s_wait_alu 0xf1ff
	v_subrev_co_ci_u32_e64 v8, null, 0, v8, s14
	s_mov_b32 s14, 0x3e9b6dac
	v_sub_nc_u32_e32 v34, 0, v8
	v_cvt_f32_i32_e32 v8, v8
	s_delay_alu instid0(VALU_DEP_2) | instskip(NEXT) | instid1(VALU_DEP_1)
	v_ldexp_f32 v33, v33, v34
	v_dual_add_f32 v36, 1.0, v33 :: v_dual_add_f32 v35, 1.0, v35
	s_delay_alu instid0(VALU_DEP_1) | instskip(NEXT) | instid1(VALU_DEP_2)
	v_add_f32_e32 v9, v9, v35
	v_add_f32_e32 v35, -1.0, v36
	s_delay_alu instid0(VALU_DEP_2) | instskip(NEXT) | instid1(VALU_DEP_2)
	v_ldexp_f32 v9, v9, v34
	v_dual_add_f32 v34, -1.0, v33 :: v_dual_sub_f32 v35, v33, v35
	s_delay_alu instid0(VALU_DEP_1) | instskip(NEXT) | instid1(VALU_DEP_2)
	v_add_f32_e32 v37, 1.0, v34
	v_add_f32_e32 v35, v9, v35
	s_delay_alu instid0(VALU_DEP_2) | instskip(NEXT) | instid1(VALU_DEP_2)
	v_sub_f32_e32 v33, v33, v37
	v_add_f32_e32 v37, v36, v35
	s_delay_alu instid0(VALU_DEP_2) | instskip(NEXT) | instid1(VALU_DEP_2)
	v_add_f32_e32 v9, v9, v33
	v_rcp_f32_e32 v33, v37
	v_sub_f32_e32 v36, v36, v37
	s_delay_alu instid0(VALU_DEP_1) | instskip(NEXT) | instid1(VALU_DEP_1)
	v_dual_add_f32 v38, v34, v9 :: v_dual_add_f32 v35, v35, v36
	v_sub_f32_e32 v34, v34, v38
	s_delay_alu instid0(TRANS32_DEP_1) | instskip(NEXT) | instid1(VALU_DEP_2)
	v_mul_f32_e32 v39, v38, v33
	v_add_f32_e32 v9, v9, v34
	s_delay_alu instid0(VALU_DEP_2) | instskip(NEXT) | instid1(VALU_DEP_1)
	v_mul_f32_e32 v40, v37, v39
	v_fma_f32 v36, v39, v37, -v40
	s_delay_alu instid0(VALU_DEP_1) | instskip(NEXT) | instid1(VALU_DEP_1)
	v_fmac_f32_e32 v36, v39, v35
	v_add_f32_e32 v41, v40, v36
	s_delay_alu instid0(VALU_DEP_1) | instskip(SKIP_1) | instid1(VALU_DEP_2)
	v_sub_f32_e32 v42, v38, v41
	v_sub_f32_e32 v34, v41, v40
	;; [unrolled: 1-line block ×3, first 2 shown]
	s_delay_alu instid0(VALU_DEP_2) | instskip(NEXT) | instid1(VALU_DEP_2)
	v_sub_f32_e32 v34, v34, v36
	v_sub_f32_e32 v38, v38, v41
	s_delay_alu instid0(VALU_DEP_1) | instskip(NEXT) | instid1(VALU_DEP_1)
	v_add_f32_e32 v9, v9, v38
	v_add_f32_e32 v9, v34, v9
	s_delay_alu instid0(VALU_DEP_1) | instskip(NEXT) | instid1(VALU_DEP_1)
	v_add_f32_e32 v34, v42, v9
	v_mul_f32_e32 v36, v33, v34
	s_delay_alu instid0(VALU_DEP_1) | instskip(NEXT) | instid1(VALU_DEP_1)
	v_dual_sub_f32 v41, v42, v34 :: v_dual_mul_f32 v38, v37, v36
	v_add_f32_e32 v9, v9, v41
	s_delay_alu instid0(VALU_DEP_2) | instskip(NEXT) | instid1(VALU_DEP_1)
	v_fma_f32 v37, v36, v37, -v38
	v_fmac_f32_e32 v37, v36, v35
	s_delay_alu instid0(VALU_DEP_1) | instskip(NEXT) | instid1(VALU_DEP_1)
	v_add_f32_e32 v35, v38, v37
	v_sub_f32_e32 v40, v34, v35
	v_sub_f32_e32 v38, v35, v38
	s_delay_alu instid0(VALU_DEP_2) | instskip(NEXT) | instid1(VALU_DEP_1)
	v_sub_f32_e32 v34, v34, v40
	v_sub_f32_e32 v34, v34, v35
	s_delay_alu instid0(VALU_DEP_3) | instskip(NEXT) | instid1(VALU_DEP_2)
	v_sub_f32_e32 v35, v38, v37
	v_dual_add_f32 v9, v9, v34 :: v_dual_add_f32 v34, v39, v36
	s_delay_alu instid0(VALU_DEP_1) | instskip(NEXT) | instid1(VALU_DEP_2)
	v_add_f32_e32 v9, v35, v9
	v_sub_f32_e32 v35, v34, v39
	s_delay_alu instid0(VALU_DEP_2) | instskip(NEXT) | instid1(VALU_DEP_2)
	v_add_f32_e32 v9, v40, v9
	v_sub_f32_e32 v35, v36, v35
	s_delay_alu instid0(VALU_DEP_2) | instskip(NEXT) | instid1(VALU_DEP_1)
	v_mul_f32_e32 v9, v33, v9
	v_add_f32_e32 v9, v35, v9
	s_delay_alu instid0(VALU_DEP_1) | instskip(NEXT) | instid1(VALU_DEP_1)
	v_add_f32_e32 v33, v34, v9
	v_mul_f32_e32 v35, v33, v33
	s_wait_alu 0xfffe
	s_delay_alu instid0(VALU_DEP_1) | instskip(SKIP_2) | instid1(VALU_DEP_3)
	v_fmaak_f32 v36, s14, v35, 0x3ecc95a3
	v_mul_f32_e32 v37, v33, v35
	v_cmp_neq_f32_e64 s14, 0x7f800000, v32
	v_fmaak_f32 v35, v35, v36, 0x3f2aaada
	v_ldexp_f32 v36, v33, 1
	v_sub_f32_e32 v33, v33, v34
	s_delay_alu instid0(VALU_DEP_3) | instskip(SKIP_1) | instid1(VALU_DEP_2)
	v_mul_f32_e32 v35, v37, v35
	v_mul_f32_e32 v37, 0x3f317218, v8
	v_dual_sub_f32 v9, v9, v33 :: v_dual_add_f32 v34, v36, v35
	s_delay_alu instid0(VALU_DEP_1) | instskip(NEXT) | instid1(VALU_DEP_2)
	v_ldexp_f32 v9, v9, 1
	v_sub_f32_e32 v33, v34, v36
	s_delay_alu instid0(VALU_DEP_4) | instskip(NEXT) | instid1(VALU_DEP_1)
	v_fma_f32 v36, 0x3f317218, v8, -v37
	v_dual_sub_f32 v33, v35, v33 :: v_dual_fmamk_f32 v8, v8, 0xb102e308, v36
	s_delay_alu instid0(VALU_DEP_1) | instskip(NEXT) | instid1(VALU_DEP_2)
	v_add_f32_e32 v9, v9, v33
	v_add_f32_e32 v33, v37, v8
	s_delay_alu instid0(VALU_DEP_2) | instskip(NEXT) | instid1(VALU_DEP_2)
	v_add_f32_e32 v35, v34, v9
	v_sub_f32_e32 v37, v33, v37
	s_delay_alu instid0(VALU_DEP_2) | instskip(SKIP_1) | instid1(VALU_DEP_3)
	v_add_f32_e32 v36, v33, v35
	v_sub_f32_e32 v34, v35, v34
	v_sub_f32_e32 v8, v8, v37
	s_delay_alu instid0(VALU_DEP_2) | instskip(NEXT) | instid1(VALU_DEP_1)
	v_dual_sub_f32 v38, v36, v33 :: v_dual_sub_f32 v9, v9, v34
	v_sub_f32_e32 v39, v36, v38
	s_delay_alu instid0(VALU_DEP_2) | instskip(NEXT) | instid1(VALU_DEP_2)
	v_dual_sub_f32 v34, v35, v38 :: v_dual_add_f32 v35, v8, v9
	v_sub_f32_e32 v33, v33, v39
	s_delay_alu instid0(VALU_DEP_1) | instskip(NEXT) | instid1(VALU_DEP_1)
	v_dual_add_f32 v33, v34, v33 :: v_dual_sub_f32 v34, v35, v8
	v_add_f32_e32 v33, v35, v33
	s_delay_alu instid0(VALU_DEP_2) | instskip(SKIP_1) | instid1(VALU_DEP_3)
	v_sub_f32_e32 v35, v35, v34
	v_sub_f32_e32 v9, v9, v34
	v_add_f32_e32 v37, v36, v33
	s_delay_alu instid0(VALU_DEP_3) | instskip(NEXT) | instid1(VALU_DEP_2)
	v_sub_f32_e32 v8, v8, v35
	v_sub_f32_e32 v34, v37, v36
	s_delay_alu instid0(VALU_DEP_2) | instskip(NEXT) | instid1(VALU_DEP_2)
	v_add_f32_e32 v8, v9, v8
	v_sub_f32_e32 v9, v33, v34
	s_delay_alu instid0(VALU_DEP_1) | instskip(NEXT) | instid1(VALU_DEP_1)
	v_add_f32_e32 v8, v8, v9
	v_add_f32_e32 v8, v37, v8
	s_wait_alu 0xf1ff
	s_delay_alu instid0(VALU_DEP_1) | instskip(SKIP_2) | instid1(VALU_DEP_1)
	v_cndmask_b32_e64 v8, 0x7f800000, v8, s14
	v_cmp_gt_f32_e64 s14, 0x33800000, |v32|
	s_wait_alu 0xf1ff
	v_cndmask_b32_e64 v8, v8, v32, s14
	s_delay_alu instid0(VALU_DEP_1) | instskip(NEXT) | instid1(VALU_DEP_1)
	v_add_f32_e32 v8, v10, v8
	v_cvt_f16_f32_e32 v8, v8
	s_delay_alu instid0(VALU_DEP_1)
	v_cvt_f32_f16_e32 v9, v8
.LBB356_100:
	s_wait_alu 0xfffe
	s_or_b32 exec_lo, exec_lo, s15
	ds_load_u16 v10, v7 offset:14
	v_max_num_f32_e32 v32, v9, v9
	v_cmp_u_f16_e64 s14, v8, v8
	ds_store_b16 v7, v8 offset:12
	s_wait_dscnt 0x1
	v_cvt_f32_f16_e32 v33, v10
	s_delay_alu instid0(VALU_DEP_1) | instskip(SKIP_2) | instid1(VALU_DEP_2)
	v_min_num_f32_e32 v34, v32, v33
	v_max_num_f32_e32 v32, v32, v33
	s_wait_alu 0xf1ff
	v_cndmask_b32_e64 v34, v34, v9, s14
	s_delay_alu instid0(VALU_DEP_2) | instskip(SKIP_2) | instid1(VALU_DEP_1)
	v_cndmask_b32_e64 v9, v32, v9, s14
	v_cmp_u_f16_e64 s14, v10, v10
	s_wait_alu 0xf1ff
	v_cndmask_b32_e64 v10, v34, v33, s14
	s_delay_alu instid0(VALU_DEP_3) | instskip(NEXT) | instid1(VALU_DEP_2)
	v_cndmask_b32_e64 v9, v9, v33, s14
	v_cmp_class_f32_e64 s15, v10, 0x1f8
	s_delay_alu instid0(VALU_DEP_2)
	v_cmp_neq_f32_e64 s14, v10, v9
	s_or_b32 s14, s14, s15
	s_wait_alu 0xfffe
	s_and_saveexec_b32 s15, s14
	s_cbranch_execz .LBB356_102
; %bb.101:
	v_sub_f32_e32 v8, v10, v9
	s_delay_alu instid0(VALU_DEP_1) | instskip(SKIP_1) | instid1(VALU_DEP_2)
	v_mul_f32_e32 v10, 0x3fb8aa3b, v8
	v_cmp_ngt_f32_e64 s14, 0xc2ce8ed0, v8
	v_fma_f32 v32, 0x3fb8aa3b, v8, -v10
	v_rndne_f32_e32 v33, v10
	s_delay_alu instid0(VALU_DEP_2) | instskip(NEXT) | instid1(VALU_DEP_2)
	v_fmamk_f32 v32, v8, 0x32a5705f, v32
	v_sub_f32_e32 v10, v10, v33
	s_delay_alu instid0(VALU_DEP_1) | instskip(SKIP_1) | instid1(VALU_DEP_2)
	v_add_f32_e32 v10, v10, v32
	v_cvt_i32_f32_e32 v32, v33
	v_exp_f32_e32 v10, v10
	s_delay_alu instid0(TRANS32_DEP_1) | instskip(SKIP_1) | instid1(VALU_DEP_1)
	v_ldexp_f32 v10, v10, v32
	s_wait_alu 0xf1ff
	v_cndmask_b32_e64 v10, 0, v10, s14
	v_cmp_nlt_f32_e64 s14, 0x42b17218, v8
	s_wait_alu 0xf1ff
	s_delay_alu instid0(VALU_DEP_1) | instskip(NEXT) | instid1(VALU_DEP_1)
	v_cndmask_b32_e64 v8, 0x7f800000, v10, s14
	v_add_f32_e32 v10, 1.0, v8
	s_delay_alu instid0(VALU_DEP_1) | instskip(NEXT) | instid1(VALU_DEP_1)
	v_cvt_f64_f32_e32 v[32:33], v10
	v_frexp_exp_i32_f64_e32 v32, v[32:33]
	v_frexp_mant_f32_e32 v33, v10
	s_delay_alu instid0(VALU_DEP_1) | instskip(SKIP_1) | instid1(VALU_DEP_1)
	v_cmp_gt_f32_e64 s14, 0x3f2aaaab, v33
	v_add_f32_e32 v33, -1.0, v10
	v_sub_f32_e32 v35, v33, v10
	v_sub_f32_e32 v33, v8, v33
	s_delay_alu instid0(VALU_DEP_2) | instskip(NEXT) | instid1(VALU_DEP_1)
	v_add_f32_e32 v35, 1.0, v35
	v_add_f32_e32 v33, v33, v35
	s_wait_alu 0xf1ff
	v_subrev_co_ci_u32_e64 v32, null, 0, v32, s14
	s_mov_b32 s14, 0x3e9b6dac
	v_sub_nc_u32_e32 v34, 0, v32
	v_cvt_f32_i32_e32 v32, v32
	s_delay_alu instid0(VALU_DEP_2) | instskip(SKIP_1) | instid1(VALU_DEP_2)
	v_ldexp_f32 v10, v10, v34
	v_ldexp_f32 v33, v33, v34
	v_add_f32_e32 v36, 1.0, v10
	s_delay_alu instid0(VALU_DEP_1) | instskip(NEXT) | instid1(VALU_DEP_1)
	v_dual_add_f32 v34, -1.0, v10 :: v_dual_add_f32 v35, -1.0, v36
	v_add_f32_e32 v37, 1.0, v34
	s_delay_alu instid0(VALU_DEP_2) | instskip(NEXT) | instid1(VALU_DEP_1)
	v_sub_f32_e32 v35, v10, v35
	v_dual_sub_f32 v10, v10, v37 :: v_dual_add_f32 v35, v33, v35
	s_delay_alu instid0(VALU_DEP_1) | instskip(NEXT) | instid1(VALU_DEP_1)
	v_dual_add_f32 v10, v33, v10 :: v_dual_add_f32 v37, v36, v35
	v_rcp_f32_e32 v33, v37
	v_sub_f32_e32 v36, v36, v37
	s_delay_alu instid0(VALU_DEP_1) | instskip(NEXT) | instid1(VALU_DEP_1)
	v_dual_add_f32 v38, v34, v10 :: v_dual_add_f32 v35, v35, v36
	v_sub_f32_e32 v34, v34, v38
	s_delay_alu instid0(TRANS32_DEP_1) | instskip(NEXT) | instid1(VALU_DEP_2)
	v_mul_f32_e32 v39, v38, v33
	v_add_f32_e32 v10, v10, v34
	s_delay_alu instid0(VALU_DEP_2) | instskip(NEXT) | instid1(VALU_DEP_1)
	v_mul_f32_e32 v40, v37, v39
	v_fma_f32 v36, v39, v37, -v40
	s_delay_alu instid0(VALU_DEP_1) | instskip(NEXT) | instid1(VALU_DEP_1)
	v_fmac_f32_e32 v36, v39, v35
	v_add_f32_e32 v41, v40, v36
	s_delay_alu instid0(VALU_DEP_1) | instskip(SKIP_1) | instid1(VALU_DEP_2)
	v_sub_f32_e32 v42, v38, v41
	v_sub_f32_e32 v34, v41, v40
	;; [unrolled: 1-line block ×3, first 2 shown]
	s_delay_alu instid0(VALU_DEP_2) | instskip(NEXT) | instid1(VALU_DEP_2)
	v_sub_f32_e32 v34, v34, v36
	v_sub_f32_e32 v38, v38, v41
	s_delay_alu instid0(VALU_DEP_1) | instskip(NEXT) | instid1(VALU_DEP_1)
	v_add_f32_e32 v10, v10, v38
	v_add_f32_e32 v10, v34, v10
	s_delay_alu instid0(VALU_DEP_1) | instskip(NEXT) | instid1(VALU_DEP_1)
	v_add_f32_e32 v34, v42, v10
	v_mul_f32_e32 v36, v33, v34
	s_delay_alu instid0(VALU_DEP_1) | instskip(NEXT) | instid1(VALU_DEP_1)
	v_mul_f32_e32 v38, v37, v36
	v_fma_f32 v37, v36, v37, -v38
	s_delay_alu instid0(VALU_DEP_1) | instskip(SKIP_1) | instid1(VALU_DEP_2)
	v_fmac_f32_e32 v37, v36, v35
	v_sub_f32_e32 v41, v42, v34
	v_add_f32_e32 v35, v38, v37
	s_delay_alu instid0(VALU_DEP_2) | instskip(NEXT) | instid1(VALU_DEP_2)
	v_add_f32_e32 v10, v10, v41
	v_sub_f32_e32 v40, v34, v35
	v_sub_f32_e32 v38, v35, v38
	s_delay_alu instid0(VALU_DEP_2) | instskip(NEXT) | instid1(VALU_DEP_1)
	v_sub_f32_e32 v34, v34, v40
	v_sub_f32_e32 v34, v34, v35
	s_delay_alu instid0(VALU_DEP_3) | instskip(NEXT) | instid1(VALU_DEP_2)
	v_sub_f32_e32 v35, v38, v37
	v_add_f32_e32 v10, v10, v34
	v_add_f32_e32 v34, v39, v36
	s_delay_alu instid0(VALU_DEP_1) | instskip(NEXT) | instid1(VALU_DEP_1)
	v_dual_add_f32 v10, v35, v10 :: v_dual_sub_f32 v35, v34, v39
	v_add_f32_e32 v10, v40, v10
	s_delay_alu instid0(VALU_DEP_1) | instskip(NEXT) | instid1(VALU_DEP_1)
	v_dual_sub_f32 v35, v36, v35 :: v_dual_mul_f32 v10, v33, v10
	v_add_f32_e32 v10, v35, v10
	s_delay_alu instid0(VALU_DEP_1) | instskip(NEXT) | instid1(VALU_DEP_1)
	v_add_f32_e32 v33, v34, v10
	v_mul_f32_e32 v35, v33, v33
	s_wait_alu 0xfffe
	s_delay_alu instid0(VALU_DEP_1) | instskip(SKIP_2) | instid1(VALU_DEP_3)
	v_fmaak_f32 v36, s14, v35, 0x3ecc95a3
	v_mul_f32_e32 v37, v33, v35
	v_cmp_neq_f32_e64 s14, 0x7f800000, v8
	v_fmaak_f32 v35, v35, v36, 0x3f2aaada
	v_ldexp_f32 v36, v33, 1
	v_sub_f32_e32 v33, v33, v34
	s_delay_alu instid0(VALU_DEP_3) | instskip(NEXT) | instid1(VALU_DEP_2)
	v_mul_f32_e32 v35, v37, v35
	v_dual_mul_f32 v37, 0x3f317218, v32 :: v_dual_sub_f32 v10, v10, v33
	s_delay_alu instid0(VALU_DEP_2) | instskip(NEXT) | instid1(VALU_DEP_2)
	v_add_f32_e32 v34, v36, v35
	v_ldexp_f32 v10, v10, 1
	s_delay_alu instid0(VALU_DEP_2) | instskip(NEXT) | instid1(VALU_DEP_4)
	v_sub_f32_e32 v33, v34, v36
	v_fma_f32 v36, 0x3f317218, v32, -v37
	s_delay_alu instid0(VALU_DEP_1) | instskip(NEXT) | instid1(VALU_DEP_1)
	v_dual_sub_f32 v33, v35, v33 :: v_dual_fmamk_f32 v32, v32, 0xb102e308, v36
	v_dual_add_f32 v10, v10, v33 :: v_dual_add_f32 v33, v37, v32
	s_delay_alu instid0(VALU_DEP_1) | instskip(NEXT) | instid1(VALU_DEP_2)
	v_add_f32_e32 v35, v34, v10
	v_sub_f32_e32 v37, v33, v37
	s_delay_alu instid0(VALU_DEP_2) | instskip(SKIP_1) | instid1(VALU_DEP_3)
	v_add_f32_e32 v36, v33, v35
	v_sub_f32_e32 v34, v35, v34
	v_sub_f32_e32 v32, v32, v37
	s_delay_alu instid0(VALU_DEP_3) | instskip(NEXT) | instid1(VALU_DEP_3)
	v_sub_f32_e32 v38, v36, v33
	v_sub_f32_e32 v10, v10, v34
	s_delay_alu instid0(VALU_DEP_2) | instskip(SKIP_1) | instid1(VALU_DEP_3)
	v_sub_f32_e32 v39, v36, v38
	v_sub_f32_e32 v34, v35, v38
	v_add_f32_e32 v35, v32, v10
	s_delay_alu instid0(VALU_DEP_3) | instskip(NEXT) | instid1(VALU_DEP_1)
	v_sub_f32_e32 v33, v33, v39
	v_dual_add_f32 v33, v34, v33 :: v_dual_sub_f32 v34, v35, v32
	s_delay_alu instid0(VALU_DEP_1) | instskip(NEXT) | instid1(VALU_DEP_2)
	v_add_f32_e32 v33, v35, v33
	v_sub_f32_e32 v35, v35, v34
	s_delay_alu instid0(VALU_DEP_2) | instskip(NEXT) | instid1(VALU_DEP_2)
	v_dual_sub_f32 v10, v10, v34 :: v_dual_add_f32 v37, v36, v33
	v_sub_f32_e32 v32, v32, v35
	s_delay_alu instid0(VALU_DEP_2) | instskip(NEXT) | instid1(VALU_DEP_2)
	v_sub_f32_e32 v34, v37, v36
	v_add_f32_e32 v10, v10, v32
	s_delay_alu instid0(VALU_DEP_2) | instskip(NEXT) | instid1(VALU_DEP_1)
	v_sub_f32_e32 v32, v33, v34
	v_add_f32_e32 v10, v10, v32
	s_delay_alu instid0(VALU_DEP_1) | instskip(SKIP_1) | instid1(VALU_DEP_1)
	v_add_f32_e32 v10, v37, v10
	s_wait_alu 0xf1ff
	v_cndmask_b32_e64 v10, 0x7f800000, v10, s14
	v_cmp_gt_f32_e64 s14, 0x33800000, |v8|
	s_wait_alu 0xf1ff
	s_delay_alu instid0(VALU_DEP_1) | instskip(NEXT) | instid1(VALU_DEP_1)
	v_cndmask_b32_e64 v8, v10, v8, s14
	v_add_f32_e32 v8, v9, v8
	s_delay_alu instid0(VALU_DEP_1)
	v_cvt_f16_f32_e32 v8, v8
.LBB356_102:
	s_wait_alu 0xfffe
	s_or_b32 exec_lo, exec_lo, s15
	ds_store_b16 v7, v8 offset:14
.LBB356_103:
	s_or_b32 exec_lo, exec_lo, s16
	v_cmp_eq_u32_e64 s15, 0, v0
	v_cmp_ne_u32_e64 s14, 0, v0
	s_wait_loadcnt_dscnt 0x0
	s_barrier_signal -1
	s_barrier_wait -1
	global_inv scope:SCOPE_SE
	s_and_saveexec_b32 s16, s14
	s_cbranch_execz .LBB356_105
; %bb.104:
	v_add_nc_u32_e32 v7, -1, v0
	s_delay_alu instid0(VALU_DEP_1) | instskip(NEXT) | instid1(VALU_DEP_1)
	v_lshrrev_b32_e32 v8, 4, v7
	v_and_b32_e32 v8, 0xffffffe, v8
	s_delay_alu instid0(VALU_DEP_1)
	v_lshl_add_u32 v7, v7, 1, v8
	ds_load_u16 v31, v7
.LBB356_105:
	s_or_b32 exec_lo, exec_lo, s16
	s_and_saveexec_b32 s24, vcc_lo
	s_cbranch_execz .LBB356_169
; %bb.106:
	v_mov_b32_e32 v9, 0
	v_mbcnt_lo_u32_b32 v33, -1, 0
	s_mov_b32 s23, 0
	ds_load_u16 v32, v9 offset:524
	v_cmp_eq_u32_e64 s16, 0, v33
	s_and_saveexec_b32 s25, s16
	s_cbranch_execz .LBB356_108
; %bb.107:
	s_add_co_i32 s22, ttmp9, 32
	s_wait_dscnt 0x0
	v_or_b32_e32 v7, 0x10000, v32
	s_lshl_b64 s[22:23], s[22:23], 2
	s_wait_kmcnt 0x0
	s_add_nc_u64 s[22:23], s[38:39], s[22:23]
	global_store_b32 v9, v7, s[22:23] scope:SCOPE_DEV
.LBB356_108:
	s_or_b32 exec_lo, exec_lo, s25
	v_xad_u32 v7, v33, -1, ttmp9
	s_mov_b32 s22, exec_lo
	s_delay_alu instid0(VALU_DEP_1) | instskip(NEXT) | instid1(VALU_DEP_1)
	v_add_nc_u32_e32 v8, 32, v7
	v_lshlrev_b64_e32 v[8:9], 2, v[8:9]
	s_wait_kmcnt 0x0
	s_delay_alu instid0(VALU_DEP_1) | instskip(SKIP_1) | instid1(VALU_DEP_2)
	v_add_co_u32 v8, vcc_lo, s38, v8
	s_wait_alu 0xfffd
	v_add_co_ci_u32_e64 v9, null, s39, v9, vcc_lo
	global_load_b32 v46, v[8:9], off scope:SCOPE_DEV
	s_wait_loadcnt 0x0
	v_lshrrev_b32_e32 v34, 16, v46
	s_delay_alu instid0(VALU_DEP_1) | instskip(NEXT) | instid1(VALU_DEP_1)
	v_and_b32_e32 v10, 0xff, v34
	v_cmpx_eq_u16_e32 0, v10
	s_cbranch_execz .LBB356_112
; %bb.109:
	s_mov_b32 s23, 0
.LBB356_110:                            ; =>This Inner Loop Header: Depth=1
	global_load_b32 v46, v[8:9], off scope:SCOPE_DEV
	s_wait_loadcnt 0x0
	v_lshrrev_b32_e32 v34, 16, v46
	s_delay_alu instid0(VALU_DEP_1) | instskip(NEXT) | instid1(VALU_DEP_1)
	v_and_b32_e32 v10, 0xff, v34
	v_cmp_ne_u16_e32 vcc_lo, 0, v10
	s_or_b32 s23, vcc_lo, s23
	s_delay_alu instid0(SALU_CYCLE_1)
	s_and_not1_b32 exec_lo, exec_lo, s23
	s_cbranch_execnz .LBB356_110
; %bb.111:
	s_or_b32 exec_lo, exec_lo, s23
.LBB356_112:
	s_delay_alu instid0(SALU_CYCLE_1)
	s_or_b32 exec_lo, exec_lo, s22
	v_cmp_ne_u32_e32 vcc_lo, 31, v33
	v_and_b32_e32 v10, 0xff, v34
	v_and_b32_e32 v9, 0xffff, v46
	v_lshlrev_b32_e64 v36, v33, -1
	s_mov_b32 s22, exec_lo
	s_wait_alu 0xfffd
	v_add_co_ci_u32_e64 v8, null, 0, v33, vcc_lo
	v_cmp_eq_u16_e32 vcc_lo, 2, v10
	s_delay_alu instid0(VALU_DEP_2) | instskip(SKIP_4) | instid1(VALU_DEP_1)
	v_lshlrev_b32_e32 v35, 2, v8
	s_wait_alu 0xfffd
	v_and_or_b32 v8, vcc_lo, v36, 0x80000000
	ds_bpermute_b32 v10, v35, v9
	v_ctz_i32_b32_e32 v8, v8
	v_cmpx_lt_u32_e64 v33, v8
	s_cbranch_execz .LBB356_116
; %bb.113:
	s_wait_dscnt 0x0
	v_cvt_f32_f16_e32 v9, v10
	v_cvt_f32_f16_e32 v38, v46
	v_cmp_u_f16_e32 vcc_lo, v10, v10
	s_delay_alu instid0(VALU_DEP_2) | instskip(SKIP_2) | instid1(VALU_DEP_2)
	v_min_num_f32_e32 v37, v9, v38
	v_max_num_f32_e32 v39, v9, v38
	s_wait_alu 0xfffd
	v_cndmask_b32_e32 v37, v37, v9, vcc_lo
	s_delay_alu instid0(VALU_DEP_2) | instskip(SKIP_2) | instid1(VALU_DEP_3)
	v_cndmask_b32_e32 v9, v39, v9, vcc_lo
	v_cmp_u_f16_e32 vcc_lo, v46, v46
	s_wait_alu 0xfffd
	v_cndmask_b32_e32 v37, v37, v38, vcc_lo
	s_delay_alu instid0(VALU_DEP_3) | instskip(NEXT) | instid1(VALU_DEP_2)
	v_cndmask_b32_e32 v9, v9, v38, vcc_lo
	v_cmp_class_f32_e64 s23, v37, 0x1f8
	s_delay_alu instid0(VALU_DEP_2) | instskip(SKIP_1) | instid1(SALU_CYCLE_1)
	v_cmp_neq_f32_e32 vcc_lo, v37, v9
	s_or_b32 s25, vcc_lo, s23
	s_and_saveexec_b32 s23, s25
	s_cbranch_execz .LBB356_115
; %bb.114:
	v_sub_f32_e32 v10, v37, v9
	s_mov_b32 s25, 0x3e9b6dac
	s_delay_alu instid0(VALU_DEP_1) | instskip(SKIP_1) | instid1(VALU_DEP_2)
	v_mul_f32_e32 v37, 0x3fb8aa3b, v10
	v_cmp_ngt_f32_e32 vcc_lo, 0xc2ce8ed0, v10
	v_fma_f32 v38, 0x3fb8aa3b, v10, -v37
	v_rndne_f32_e32 v39, v37
	s_delay_alu instid0(VALU_DEP_1) | instskip(NEXT) | instid1(VALU_DEP_1)
	v_dual_fmamk_f32 v38, v10, 0x32a5705f, v38 :: v_dual_sub_f32 v37, v37, v39
	v_add_f32_e32 v37, v37, v38
	v_cvt_i32_f32_e32 v38, v39
	s_delay_alu instid0(VALU_DEP_2) | instskip(NEXT) | instid1(TRANS32_DEP_1)
	v_exp_f32_e32 v37, v37
	v_ldexp_f32 v37, v37, v38
	s_wait_alu 0xfffd
	s_delay_alu instid0(VALU_DEP_1) | instskip(SKIP_2) | instid1(VALU_DEP_2)
	v_cndmask_b32_e32 v37, 0, v37, vcc_lo
	v_cmp_nlt_f32_e32 vcc_lo, 0x42b17218, v10
	s_wait_alu 0xfffd
	v_cndmask_b32_e32 v10, 0x7f800000, v37, vcc_lo
	s_delay_alu instid0(VALU_DEP_1) | instskip(NEXT) | instid1(VALU_DEP_1)
	v_add_f32_e32 v39, 1.0, v10
	v_cvt_f64_f32_e32 v[37:38], v39
	s_delay_alu instid0(VALU_DEP_1) | instskip(SKIP_1) | instid1(VALU_DEP_1)
	v_frexp_exp_i32_f64_e32 v37, v[37:38]
	v_frexp_mant_f32_e32 v38, v39
	v_cmp_gt_f32_e32 vcc_lo, 0x3f2aaaab, v38
	v_add_f32_e32 v38, -1.0, v39
	s_delay_alu instid0(VALU_DEP_1) | instskip(NEXT) | instid1(VALU_DEP_1)
	v_sub_f32_e32 v41, v38, v39
	v_dual_sub_f32 v38, v10, v38 :: v_dual_add_f32 v41, 1.0, v41
	s_delay_alu instid0(VALU_DEP_1) | instskip(SKIP_2) | instid1(VALU_DEP_1)
	v_add_f32_e32 v38, v38, v41
	s_wait_alu 0xfffd
	v_subrev_co_ci_u32_e64 v37, null, 0, v37, vcc_lo
	v_sub_nc_u32_e32 v40, 0, v37
	v_cvt_f32_i32_e32 v37, v37
	s_delay_alu instid0(VALU_DEP_2) | instskip(SKIP_1) | instid1(VALU_DEP_2)
	v_ldexp_f32 v39, v39, v40
	v_ldexp_f32 v38, v38, v40
	v_add_f32_e32 v42, 1.0, v39
	s_delay_alu instid0(VALU_DEP_1) | instskip(NEXT) | instid1(VALU_DEP_1)
	v_dual_add_f32 v40, -1.0, v39 :: v_dual_add_f32 v41, -1.0, v42
	v_add_f32_e32 v43, 1.0, v40
	v_cmp_neq_f32_e32 vcc_lo, 0x7f800000, v10
	s_delay_alu instid0(VALU_DEP_3) | instskip(NEXT) | instid1(VALU_DEP_3)
	v_sub_f32_e32 v41, v39, v41
	v_sub_f32_e32 v39, v39, v43
	s_delay_alu instid0(VALU_DEP_2) | instskip(NEXT) | instid1(VALU_DEP_2)
	v_add_f32_e32 v41, v38, v41
	v_add_f32_e32 v38, v38, v39
	s_delay_alu instid0(VALU_DEP_1) | instskip(NEXT) | instid1(VALU_DEP_1)
	v_dual_add_f32 v44, v40, v38 :: v_dual_add_f32 v43, v42, v41
	v_sub_f32_e32 v40, v40, v44
	s_delay_alu instid0(VALU_DEP_2) | instskip(SKIP_1) | instid1(VALU_DEP_1)
	v_rcp_f32_e32 v39, v43
	v_sub_f32_e32 v42, v42, v43
	v_dual_add_f32 v38, v38, v40 :: v_dual_add_f32 v41, v41, v42
	s_delay_alu instid0(TRANS32_DEP_1) | instskip(NEXT) | instid1(VALU_DEP_1)
	v_mul_f32_e32 v45, v44, v39
	v_mul_f32_e32 v46, v43, v45
	s_delay_alu instid0(VALU_DEP_1) | instskip(NEXT) | instid1(VALU_DEP_1)
	v_fma_f32 v42, v45, v43, -v46
	v_fmac_f32_e32 v42, v45, v41
	s_delay_alu instid0(VALU_DEP_1) | instskip(NEXT) | instid1(VALU_DEP_1)
	v_add_f32_e32 v47, v46, v42
	v_sub_f32_e32 v48, v44, v47
	s_delay_alu instid0(VALU_DEP_1) | instskip(SKIP_1) | instid1(VALU_DEP_2)
	v_sub_f32_e32 v44, v44, v48
	v_sub_f32_e32 v40, v47, v46
	;; [unrolled: 1-line block ×3, first 2 shown]
	s_delay_alu instid0(VALU_DEP_2) | instskip(NEXT) | instid1(VALU_DEP_2)
	v_sub_f32_e32 v40, v40, v42
	v_add_f32_e32 v38, v38, v44
	s_delay_alu instid0(VALU_DEP_1) | instskip(NEXT) | instid1(VALU_DEP_1)
	v_add_f32_e32 v38, v40, v38
	v_add_f32_e32 v40, v48, v38
	s_delay_alu instid0(VALU_DEP_1) | instskip(NEXT) | instid1(VALU_DEP_1)
	v_mul_f32_e32 v42, v39, v40
	v_dual_sub_f32 v47, v48, v40 :: v_dual_mul_f32 v44, v43, v42
	s_delay_alu instid0(VALU_DEP_1) | instskip(NEXT) | instid1(VALU_DEP_2)
	v_add_f32_e32 v38, v38, v47
	v_fma_f32 v43, v42, v43, -v44
	s_delay_alu instid0(VALU_DEP_1) | instskip(NEXT) | instid1(VALU_DEP_1)
	v_fmac_f32_e32 v43, v42, v41
	v_add_f32_e32 v41, v44, v43
	s_delay_alu instid0(VALU_DEP_1) | instskip(SKIP_1) | instid1(VALU_DEP_2)
	v_sub_f32_e32 v46, v40, v41
	v_sub_f32_e32 v44, v41, v44
	;; [unrolled: 1-line block ×3, first 2 shown]
	s_delay_alu instid0(VALU_DEP_1) | instskip(NEXT) | instid1(VALU_DEP_1)
	v_sub_f32_e32 v40, v40, v41
	v_dual_sub_f32 v41, v44, v43 :: v_dual_add_f32 v38, v38, v40
	v_add_f32_e32 v40, v45, v42
	s_delay_alu instid0(VALU_DEP_1) | instskip(NEXT) | instid1(VALU_DEP_1)
	v_dual_add_f32 v38, v41, v38 :: v_dual_sub_f32 v41, v40, v45
	v_add_f32_e32 v38, v46, v38
	s_delay_alu instid0(VALU_DEP_1) | instskip(NEXT) | instid1(VALU_DEP_1)
	v_dual_sub_f32 v41, v42, v41 :: v_dual_mul_f32 v38, v39, v38
	v_add_f32_e32 v38, v41, v38
	s_delay_alu instid0(VALU_DEP_1) | instskip(NEXT) | instid1(VALU_DEP_1)
	v_add_f32_e32 v39, v40, v38
	v_mul_f32_e32 v41, v39, v39
	s_delay_alu instid0(VALU_DEP_1) | instskip(SKIP_1) | instid1(VALU_DEP_2)
	v_fmaak_f32 v42, s25, v41, 0x3ecc95a3
	v_mul_f32_e32 v43, v39, v41
	v_fmaak_f32 v41, v41, v42, 0x3f2aaada
	v_ldexp_f32 v42, v39, 1
	v_sub_f32_e32 v39, v39, v40
	s_delay_alu instid0(VALU_DEP_3) | instskip(NEXT) | instid1(VALU_DEP_2)
	v_mul_f32_e32 v41, v43, v41
	v_dual_mul_f32 v43, 0x3f317218, v37 :: v_dual_sub_f32 v38, v38, v39
	s_delay_alu instid0(VALU_DEP_2) | instskip(NEXT) | instid1(VALU_DEP_2)
	v_add_f32_e32 v40, v42, v41
	v_ldexp_f32 v38, v38, 1
	s_delay_alu instid0(VALU_DEP_2) | instskip(NEXT) | instid1(VALU_DEP_4)
	v_sub_f32_e32 v39, v40, v42
	v_fma_f32 v42, 0x3f317218, v37, -v43
	s_delay_alu instid0(VALU_DEP_2) | instskip(NEXT) | instid1(VALU_DEP_1)
	v_sub_f32_e32 v39, v41, v39
	v_dual_fmamk_f32 v37, v37, 0xb102e308, v42 :: v_dual_add_f32 v38, v38, v39
	s_delay_alu instid0(VALU_DEP_1) | instskip(NEXT) | instid1(VALU_DEP_1)
	v_add_f32_e32 v39, v43, v37
	v_sub_f32_e32 v43, v39, v43
	s_delay_alu instid0(VALU_DEP_1) | instskip(NEXT) | instid1(VALU_DEP_4)
	v_sub_f32_e32 v37, v37, v43
	v_add_f32_e32 v41, v40, v38
	s_delay_alu instid0(VALU_DEP_1) | instskip(NEXT) | instid1(VALU_DEP_1)
	v_sub_f32_e32 v40, v41, v40
	v_sub_f32_e32 v38, v38, v40
	v_add_f32_e32 v42, v39, v41
	s_delay_alu instid0(VALU_DEP_1) | instskip(NEXT) | instid1(VALU_DEP_1)
	v_sub_f32_e32 v44, v42, v39
	v_sub_f32_e32 v40, v41, v44
	s_delay_alu instid0(VALU_DEP_4) | instskip(SKIP_1) | instid1(VALU_DEP_1)
	v_add_f32_e32 v41, v37, v38
	v_sub_f32_e32 v45, v42, v44
	v_sub_f32_e32 v39, v39, v45
	s_delay_alu instid0(VALU_DEP_1) | instskip(NEXT) | instid1(VALU_DEP_1)
	v_dual_add_f32 v39, v40, v39 :: v_dual_sub_f32 v40, v41, v37
	v_dual_add_f32 v39, v41, v39 :: v_dual_sub_f32 v38, v38, v40
	v_sub_f32_e32 v41, v41, v40
	s_delay_alu instid0(VALU_DEP_2) | instskip(NEXT) | instid1(VALU_DEP_1)
	v_add_f32_e32 v43, v42, v39
	v_dual_sub_f32 v37, v37, v41 :: v_dual_sub_f32 v40, v43, v42
	s_delay_alu instid0(VALU_DEP_1) | instskip(NEXT) | instid1(VALU_DEP_1)
	v_dual_add_f32 v37, v38, v37 :: v_dual_sub_f32 v38, v39, v40
	v_add_f32_e32 v37, v37, v38
	s_delay_alu instid0(VALU_DEP_1) | instskip(SKIP_1) | instid1(VALU_DEP_1)
	v_add_f32_e32 v37, v43, v37
	s_wait_alu 0xfffd
	v_cndmask_b32_e32 v37, 0x7f800000, v37, vcc_lo
	v_cmp_gt_f32_e64 vcc_lo, 0x33800000, |v10|
	s_wait_alu 0xfffd
	s_delay_alu instid0(VALU_DEP_2) | instskip(NEXT) | instid1(VALU_DEP_1)
	v_cndmask_b32_e32 v10, v37, v10, vcc_lo
	v_add_f32_e32 v9, v9, v10
	s_delay_alu instid0(VALU_DEP_1)
	v_cvt_f16_f32_e32 v10, v9
.LBB356_115:
	s_or_b32 exec_lo, exec_lo, s23
	s_delay_alu instid0(VALU_DEP_1)
	v_dual_mov_b32 v46, v10 :: v_dual_and_b32 v9, 0xffff, v10
.LBB356_116:
	s_or_b32 exec_lo, exec_lo, s22
	v_cmp_gt_u32_e32 vcc_lo, 30, v33
	v_add_nc_u32_e32 v38, 2, v33
	s_mov_b32 s22, exec_lo
	s_wait_dscnt 0x0
	s_wait_alu 0xfffd
	v_cndmask_b32_e64 v10, 0, 2, vcc_lo
	s_delay_alu instid0(VALU_DEP_1)
	v_add_lshl_u32 v37, v10, v33, 2
	ds_bpermute_b32 v10, v37, v9
	v_cmpx_le_u32_e64 v38, v8
	s_cbranch_execz .LBB356_120
; %bb.117:
	s_wait_dscnt 0x0
	v_cvt_f32_f16_e32 v9, v10
	v_cvt_f32_f16_e32 v40, v46
	v_cmp_u_f16_e32 vcc_lo, v10, v10
	s_delay_alu instid0(VALU_DEP_2) | instskip(SKIP_2) | instid1(VALU_DEP_2)
	v_min_num_f32_e32 v39, v9, v40
	v_max_num_f32_e32 v41, v9, v40
	s_wait_alu 0xfffd
	v_cndmask_b32_e32 v39, v39, v9, vcc_lo
	s_delay_alu instid0(VALU_DEP_2) | instskip(SKIP_2) | instid1(VALU_DEP_3)
	v_cndmask_b32_e32 v9, v41, v9, vcc_lo
	v_cmp_u_f16_e32 vcc_lo, v46, v46
	s_wait_alu 0xfffd
	v_cndmask_b32_e32 v39, v39, v40, vcc_lo
	s_delay_alu instid0(VALU_DEP_3) | instskip(NEXT) | instid1(VALU_DEP_2)
	v_cndmask_b32_e32 v9, v9, v40, vcc_lo
	v_cmp_class_f32_e64 s23, v39, 0x1f8
	s_delay_alu instid0(VALU_DEP_2)
	v_cmp_neq_f32_e32 vcc_lo, v39, v9
	s_or_b32 s25, vcc_lo, s23
	s_wait_alu 0xfffe
	s_and_saveexec_b32 s23, s25
	s_cbranch_execz .LBB356_119
; %bb.118:
	v_sub_f32_e32 v10, v39, v9
	s_mov_b32 s25, 0x3e9b6dac
	s_delay_alu instid0(VALU_DEP_1) | instskip(SKIP_1) | instid1(VALU_DEP_2)
	v_mul_f32_e32 v39, 0x3fb8aa3b, v10
	v_cmp_ngt_f32_e32 vcc_lo, 0xc2ce8ed0, v10
	v_fma_f32 v40, 0x3fb8aa3b, v10, -v39
	v_rndne_f32_e32 v41, v39
	s_delay_alu instid0(VALU_DEP_1) | instskip(NEXT) | instid1(VALU_DEP_1)
	v_dual_fmamk_f32 v40, v10, 0x32a5705f, v40 :: v_dual_sub_f32 v39, v39, v41
	v_add_f32_e32 v39, v39, v40
	v_cvt_i32_f32_e32 v40, v41
	s_delay_alu instid0(VALU_DEP_2) | instskip(NEXT) | instid1(TRANS32_DEP_1)
	v_exp_f32_e32 v39, v39
	v_ldexp_f32 v39, v39, v40
	s_wait_alu 0xfffd
	s_delay_alu instid0(VALU_DEP_1) | instskip(SKIP_2) | instid1(VALU_DEP_2)
	v_cndmask_b32_e32 v39, 0, v39, vcc_lo
	v_cmp_nlt_f32_e32 vcc_lo, 0x42b17218, v10
	s_wait_alu 0xfffd
	v_cndmask_b32_e32 v10, 0x7f800000, v39, vcc_lo
	s_delay_alu instid0(VALU_DEP_1) | instskip(NEXT) | instid1(VALU_DEP_1)
	v_add_f32_e32 v41, 1.0, v10
	v_cvt_f64_f32_e32 v[39:40], v41
	s_delay_alu instid0(VALU_DEP_1) | instskip(SKIP_1) | instid1(VALU_DEP_1)
	v_frexp_exp_i32_f64_e32 v39, v[39:40]
	v_frexp_mant_f32_e32 v40, v41
	v_cmp_gt_f32_e32 vcc_lo, 0x3f2aaaab, v40
	v_add_f32_e32 v40, -1.0, v41
	s_delay_alu instid0(VALU_DEP_1) | instskip(SKIP_3) | instid1(VALU_DEP_2)
	v_dual_sub_f32 v43, v40, v41 :: v_dual_sub_f32 v40, v10, v40
	s_wait_alu 0xfffd
	v_subrev_co_ci_u32_e64 v39, null, 0, v39, vcc_lo
	v_cmp_neq_f32_e32 vcc_lo, 0x7f800000, v10
	v_sub_nc_u32_e32 v42, 0, v39
	v_cvt_f32_i32_e32 v39, v39
	s_delay_alu instid0(VALU_DEP_2) | instskip(NEXT) | instid1(VALU_DEP_1)
	v_ldexp_f32 v41, v41, v42
	v_dual_add_f32 v43, 1.0, v43 :: v_dual_add_f32 v44, 1.0, v41
	s_delay_alu instid0(VALU_DEP_1) | instskip(NEXT) | instid1(VALU_DEP_1)
	v_dual_add_f32 v40, v40, v43 :: v_dual_add_f32 v43, -1.0, v44
	v_ldexp_f32 v40, v40, v42
	s_delay_alu instid0(VALU_DEP_2) | instskip(NEXT) | instid1(VALU_DEP_1)
	v_dual_add_f32 v42, -1.0, v41 :: v_dual_sub_f32 v43, v41, v43
	v_add_f32_e32 v45, 1.0, v42
	s_delay_alu instid0(VALU_DEP_2) | instskip(NEXT) | instid1(VALU_DEP_2)
	v_add_f32_e32 v43, v40, v43
	v_sub_f32_e32 v41, v41, v45
	s_delay_alu instid0(VALU_DEP_1) | instskip(NEXT) | instid1(VALU_DEP_1)
	v_add_f32_e32 v40, v40, v41
	v_dual_add_f32 v46, v42, v40 :: v_dual_add_f32 v45, v44, v43
	s_delay_alu instid0(VALU_DEP_1) | instskip(NEXT) | instid1(VALU_DEP_2)
	v_sub_f32_e32 v42, v42, v46
	v_rcp_f32_e32 v41, v45
	v_sub_f32_e32 v44, v44, v45
	s_delay_alu instid0(VALU_DEP_1) | instskip(NEXT) | instid1(TRANS32_DEP_1)
	v_dual_add_f32 v40, v40, v42 :: v_dual_add_f32 v43, v43, v44
	v_mul_f32_e32 v47, v46, v41
	s_delay_alu instid0(VALU_DEP_1) | instskip(NEXT) | instid1(VALU_DEP_1)
	v_mul_f32_e32 v48, v45, v47
	v_fma_f32 v44, v47, v45, -v48
	s_delay_alu instid0(VALU_DEP_1) | instskip(NEXT) | instid1(VALU_DEP_1)
	v_fmac_f32_e32 v44, v47, v43
	v_add_f32_e32 v49, v48, v44
	s_delay_alu instid0(VALU_DEP_1) | instskip(NEXT) | instid1(VALU_DEP_1)
	v_sub_f32_e32 v50, v46, v49
	v_sub_f32_e32 v46, v46, v50
	;; [unrolled: 1-line block ×3, first 2 shown]
	s_delay_alu instid0(VALU_DEP_2) | instskip(NEXT) | instid1(VALU_DEP_2)
	v_sub_f32_e32 v46, v46, v49
	v_sub_f32_e32 v42, v42, v44
	s_delay_alu instid0(VALU_DEP_2) | instskip(NEXT) | instid1(VALU_DEP_1)
	v_add_f32_e32 v40, v40, v46
	v_add_f32_e32 v40, v42, v40
	s_delay_alu instid0(VALU_DEP_1) | instskip(NEXT) | instid1(VALU_DEP_1)
	v_add_f32_e32 v42, v50, v40
	v_mul_f32_e32 v44, v41, v42
	s_delay_alu instid0(VALU_DEP_1) | instskip(NEXT) | instid1(VALU_DEP_1)
	v_dual_sub_f32 v49, v50, v42 :: v_dual_mul_f32 v46, v45, v44
	v_add_f32_e32 v40, v40, v49
	s_delay_alu instid0(VALU_DEP_2) | instskip(NEXT) | instid1(VALU_DEP_1)
	v_fma_f32 v45, v44, v45, -v46
	v_fmac_f32_e32 v45, v44, v43
	s_delay_alu instid0(VALU_DEP_1) | instskip(NEXT) | instid1(VALU_DEP_1)
	v_add_f32_e32 v43, v46, v45
	v_sub_f32_e32 v48, v42, v43
	v_sub_f32_e32 v46, v43, v46
	s_delay_alu instid0(VALU_DEP_2) | instskip(NEXT) | instid1(VALU_DEP_1)
	v_sub_f32_e32 v42, v42, v48
	v_sub_f32_e32 v42, v42, v43
	s_delay_alu instid0(VALU_DEP_1) | instskip(SKIP_1) | instid1(VALU_DEP_1)
	v_dual_sub_f32 v43, v46, v45 :: v_dual_add_f32 v40, v40, v42
	v_add_f32_e32 v42, v47, v44
	v_dual_add_f32 v40, v43, v40 :: v_dual_sub_f32 v43, v42, v47
	s_delay_alu instid0(VALU_DEP_1) | instskip(NEXT) | instid1(VALU_DEP_1)
	v_add_f32_e32 v40, v48, v40
	v_dual_sub_f32 v43, v44, v43 :: v_dual_mul_f32 v40, v41, v40
	s_delay_alu instid0(VALU_DEP_1) | instskip(NEXT) | instid1(VALU_DEP_1)
	v_add_f32_e32 v40, v43, v40
	v_add_f32_e32 v41, v42, v40
	s_delay_alu instid0(VALU_DEP_1) | instskip(SKIP_1) | instid1(VALU_DEP_1)
	v_mul_f32_e32 v43, v41, v41
	s_wait_alu 0xfffe
	v_fmaak_f32 v44, s25, v43, 0x3ecc95a3
	v_mul_f32_e32 v45, v41, v43
	s_delay_alu instid0(VALU_DEP_2) | instskip(SKIP_2) | instid1(VALU_DEP_3)
	v_fmaak_f32 v43, v43, v44, 0x3f2aaada
	v_ldexp_f32 v44, v41, 1
	v_sub_f32_e32 v41, v41, v42
	v_mul_f32_e32 v43, v45, v43
	s_delay_alu instid0(VALU_DEP_2) | instskip(NEXT) | instid1(VALU_DEP_2)
	v_dual_mul_f32 v45, 0x3f317218, v39 :: v_dual_sub_f32 v40, v40, v41
	v_add_f32_e32 v42, v44, v43
	s_delay_alu instid0(VALU_DEP_2) | instskip(NEXT) | instid1(VALU_DEP_2)
	v_ldexp_f32 v40, v40, 1
	v_sub_f32_e32 v41, v42, v44
	s_delay_alu instid0(VALU_DEP_4) | instskip(NEXT) | instid1(VALU_DEP_2)
	v_fma_f32 v44, 0x3f317218, v39, -v45
	v_sub_f32_e32 v41, v43, v41
	s_delay_alu instid0(VALU_DEP_1) | instskip(NEXT) | instid1(VALU_DEP_1)
	v_dual_fmamk_f32 v39, v39, 0xb102e308, v44 :: v_dual_add_f32 v40, v40, v41
	v_add_f32_e32 v41, v45, v39
	s_delay_alu instid0(VALU_DEP_1) | instskip(NEXT) | instid1(VALU_DEP_1)
	v_sub_f32_e32 v45, v41, v45
	v_sub_f32_e32 v39, v39, v45
	s_delay_alu instid0(VALU_DEP_4) | instskip(NEXT) | instid1(VALU_DEP_1)
	v_add_f32_e32 v43, v42, v40
	v_sub_f32_e32 v42, v43, v42
	s_delay_alu instid0(VALU_DEP_1) | instskip(SKIP_1) | instid1(VALU_DEP_1)
	v_sub_f32_e32 v40, v40, v42
	v_add_f32_e32 v44, v41, v43
	v_sub_f32_e32 v46, v44, v41
	s_delay_alu instid0(VALU_DEP_1) | instskip(NEXT) | instid1(VALU_DEP_4)
	v_sub_f32_e32 v42, v43, v46
	v_add_f32_e32 v43, v39, v40
	v_sub_f32_e32 v47, v44, v46
	s_delay_alu instid0(VALU_DEP_1) | instskip(NEXT) | instid1(VALU_DEP_1)
	v_sub_f32_e32 v41, v41, v47
	v_dual_add_f32 v41, v42, v41 :: v_dual_sub_f32 v42, v43, v39
	s_delay_alu instid0(VALU_DEP_1) | instskip(SKIP_1) | instid1(VALU_DEP_2)
	v_dual_add_f32 v41, v43, v41 :: v_dual_sub_f32 v40, v40, v42
	v_sub_f32_e32 v43, v43, v42
	v_add_f32_e32 v45, v44, v41
	s_delay_alu instid0(VALU_DEP_1) | instskip(NEXT) | instid1(VALU_DEP_1)
	v_dual_sub_f32 v39, v39, v43 :: v_dual_sub_f32 v42, v45, v44
	v_dual_add_f32 v39, v40, v39 :: v_dual_sub_f32 v40, v41, v42
	s_delay_alu instid0(VALU_DEP_1) | instskip(NEXT) | instid1(VALU_DEP_1)
	v_add_f32_e32 v39, v39, v40
	v_add_f32_e32 v39, v45, v39
	s_wait_alu 0xfffd
	s_delay_alu instid0(VALU_DEP_1) | instskip(SKIP_2) | instid1(VALU_DEP_2)
	v_cndmask_b32_e32 v39, 0x7f800000, v39, vcc_lo
	v_cmp_gt_f32_e64 vcc_lo, 0x33800000, |v10|
	s_wait_alu 0xfffd
	v_cndmask_b32_e32 v10, v39, v10, vcc_lo
	s_delay_alu instid0(VALU_DEP_1) | instskip(NEXT) | instid1(VALU_DEP_1)
	v_add_f32_e32 v9, v9, v10
	v_cvt_f16_f32_e32 v10, v9
.LBB356_119:
	s_or_b32 exec_lo, exec_lo, s23
	s_delay_alu instid0(VALU_DEP_1)
	v_dual_mov_b32 v46, v10 :: v_dual_and_b32 v9, 0xffff, v10
.LBB356_120:
	s_or_b32 exec_lo, exec_lo, s22
	v_cmp_gt_u32_e32 vcc_lo, 28, v33
	v_add_nc_u32_e32 v40, 4, v33
	s_mov_b32 s22, exec_lo
	s_wait_dscnt 0x0
	s_wait_alu 0xfffd
	v_cndmask_b32_e64 v10, 0, 4, vcc_lo
	s_delay_alu instid0(VALU_DEP_1)
	v_add_lshl_u32 v39, v10, v33, 2
	ds_bpermute_b32 v10, v39, v9
	v_cmpx_le_u32_e64 v40, v8
	s_cbranch_execz .LBB356_124
; %bb.121:
	s_wait_dscnt 0x0
	v_cvt_f32_f16_e32 v9, v10
	v_cvt_f32_f16_e32 v42, v46
	v_cmp_u_f16_e32 vcc_lo, v10, v10
	s_delay_alu instid0(VALU_DEP_2) | instskip(SKIP_2) | instid1(VALU_DEP_2)
	v_min_num_f32_e32 v41, v9, v42
	v_max_num_f32_e32 v43, v9, v42
	s_wait_alu 0xfffd
	v_cndmask_b32_e32 v41, v41, v9, vcc_lo
	s_delay_alu instid0(VALU_DEP_2) | instskip(SKIP_2) | instid1(VALU_DEP_3)
	v_cndmask_b32_e32 v9, v43, v9, vcc_lo
	v_cmp_u_f16_e32 vcc_lo, v46, v46
	s_wait_alu 0xfffd
	v_cndmask_b32_e32 v41, v41, v42, vcc_lo
	s_delay_alu instid0(VALU_DEP_3) | instskip(NEXT) | instid1(VALU_DEP_2)
	v_cndmask_b32_e32 v9, v9, v42, vcc_lo
	v_cmp_class_f32_e64 s23, v41, 0x1f8
	s_delay_alu instid0(VALU_DEP_2)
	v_cmp_neq_f32_e32 vcc_lo, v41, v9
	s_or_b32 s25, vcc_lo, s23
	s_wait_alu 0xfffe
	s_and_saveexec_b32 s23, s25
	s_cbranch_execz .LBB356_123
; %bb.122:
	v_sub_f32_e32 v10, v41, v9
	s_mov_b32 s25, 0x3e9b6dac
	s_delay_alu instid0(VALU_DEP_1) | instskip(SKIP_1) | instid1(VALU_DEP_2)
	v_mul_f32_e32 v41, 0x3fb8aa3b, v10
	v_cmp_ngt_f32_e32 vcc_lo, 0xc2ce8ed0, v10
	v_fma_f32 v42, 0x3fb8aa3b, v10, -v41
	v_rndne_f32_e32 v43, v41
	s_delay_alu instid0(VALU_DEP_1) | instskip(NEXT) | instid1(VALU_DEP_1)
	v_dual_fmamk_f32 v42, v10, 0x32a5705f, v42 :: v_dual_sub_f32 v41, v41, v43
	v_add_f32_e32 v41, v41, v42
	v_cvt_i32_f32_e32 v42, v43
	s_delay_alu instid0(VALU_DEP_2) | instskip(NEXT) | instid1(TRANS32_DEP_1)
	v_exp_f32_e32 v41, v41
	v_ldexp_f32 v41, v41, v42
	s_wait_alu 0xfffd
	s_delay_alu instid0(VALU_DEP_1) | instskip(SKIP_2) | instid1(VALU_DEP_2)
	v_cndmask_b32_e32 v41, 0, v41, vcc_lo
	v_cmp_nlt_f32_e32 vcc_lo, 0x42b17218, v10
	s_wait_alu 0xfffd
	v_cndmask_b32_e32 v10, 0x7f800000, v41, vcc_lo
	s_delay_alu instid0(VALU_DEP_1) | instskip(NEXT) | instid1(VALU_DEP_1)
	v_add_f32_e32 v43, 1.0, v10
	v_cvt_f64_f32_e32 v[41:42], v43
	s_delay_alu instid0(VALU_DEP_1) | instskip(SKIP_1) | instid1(VALU_DEP_1)
	v_frexp_exp_i32_f64_e32 v41, v[41:42]
	v_frexp_mant_f32_e32 v42, v43
	v_cmp_gt_f32_e32 vcc_lo, 0x3f2aaaab, v42
	v_add_f32_e32 v42, -1.0, v43
	s_delay_alu instid0(VALU_DEP_1) | instskip(NEXT) | instid1(VALU_DEP_1)
	v_sub_f32_e32 v45, v42, v43
	v_dual_sub_f32 v42, v10, v42 :: v_dual_add_f32 v45, 1.0, v45
	s_delay_alu instid0(VALU_DEP_1) | instskip(SKIP_2) | instid1(VALU_DEP_1)
	v_add_f32_e32 v42, v42, v45
	s_wait_alu 0xfffd
	v_subrev_co_ci_u32_e64 v41, null, 0, v41, vcc_lo
	v_sub_nc_u32_e32 v44, 0, v41
	v_cvt_f32_i32_e32 v41, v41
	s_delay_alu instid0(VALU_DEP_2) | instskip(SKIP_1) | instid1(VALU_DEP_2)
	v_ldexp_f32 v43, v43, v44
	v_ldexp_f32 v42, v42, v44
	v_add_f32_e32 v46, 1.0, v43
	s_delay_alu instid0(VALU_DEP_1) | instskip(NEXT) | instid1(VALU_DEP_1)
	v_dual_add_f32 v44, -1.0, v43 :: v_dual_add_f32 v45, -1.0, v46
	v_add_f32_e32 v47, 1.0, v44
	v_cmp_neq_f32_e32 vcc_lo, 0x7f800000, v10
	s_delay_alu instid0(VALU_DEP_3) | instskip(NEXT) | instid1(VALU_DEP_3)
	v_sub_f32_e32 v45, v43, v45
	v_sub_f32_e32 v43, v43, v47
	s_delay_alu instid0(VALU_DEP_2) | instskip(NEXT) | instid1(VALU_DEP_2)
	v_add_f32_e32 v45, v42, v45
	v_add_f32_e32 v42, v42, v43
	s_delay_alu instid0(VALU_DEP_1) | instskip(NEXT) | instid1(VALU_DEP_1)
	v_dual_add_f32 v48, v44, v42 :: v_dual_add_f32 v47, v46, v45
	v_sub_f32_e32 v44, v44, v48
	s_delay_alu instid0(VALU_DEP_2) | instskip(SKIP_1) | instid1(VALU_DEP_1)
	v_rcp_f32_e32 v43, v47
	v_sub_f32_e32 v46, v46, v47
	v_dual_add_f32 v42, v42, v44 :: v_dual_add_f32 v45, v45, v46
	s_delay_alu instid0(TRANS32_DEP_1) | instskip(NEXT) | instid1(VALU_DEP_1)
	v_mul_f32_e32 v49, v48, v43
	v_mul_f32_e32 v50, v47, v49
	s_delay_alu instid0(VALU_DEP_1) | instskip(NEXT) | instid1(VALU_DEP_1)
	v_fma_f32 v46, v49, v47, -v50
	v_fmac_f32_e32 v46, v49, v45
	s_delay_alu instid0(VALU_DEP_1) | instskip(NEXT) | instid1(VALU_DEP_1)
	v_add_f32_e32 v51, v50, v46
	v_sub_f32_e32 v52, v48, v51
	s_delay_alu instid0(VALU_DEP_1) | instskip(SKIP_1) | instid1(VALU_DEP_2)
	v_sub_f32_e32 v48, v48, v52
	v_sub_f32_e32 v44, v51, v50
	;; [unrolled: 1-line block ×3, first 2 shown]
	s_delay_alu instid0(VALU_DEP_2) | instskip(NEXT) | instid1(VALU_DEP_2)
	v_sub_f32_e32 v44, v44, v46
	v_add_f32_e32 v42, v42, v48
	s_delay_alu instid0(VALU_DEP_1) | instskip(NEXT) | instid1(VALU_DEP_1)
	v_add_f32_e32 v42, v44, v42
	v_add_f32_e32 v44, v52, v42
	s_delay_alu instid0(VALU_DEP_1) | instskip(NEXT) | instid1(VALU_DEP_1)
	v_mul_f32_e32 v46, v43, v44
	v_dual_sub_f32 v51, v52, v44 :: v_dual_mul_f32 v48, v47, v46
	s_delay_alu instid0(VALU_DEP_1) | instskip(NEXT) | instid1(VALU_DEP_2)
	v_add_f32_e32 v42, v42, v51
	v_fma_f32 v47, v46, v47, -v48
	s_delay_alu instid0(VALU_DEP_1) | instskip(NEXT) | instid1(VALU_DEP_1)
	v_fmac_f32_e32 v47, v46, v45
	v_add_f32_e32 v45, v48, v47
	s_delay_alu instid0(VALU_DEP_1) | instskip(SKIP_1) | instid1(VALU_DEP_2)
	v_sub_f32_e32 v50, v44, v45
	v_sub_f32_e32 v48, v45, v48
	;; [unrolled: 1-line block ×3, first 2 shown]
	s_delay_alu instid0(VALU_DEP_1) | instskip(NEXT) | instid1(VALU_DEP_1)
	v_sub_f32_e32 v44, v44, v45
	v_dual_sub_f32 v45, v48, v47 :: v_dual_add_f32 v42, v42, v44
	v_add_f32_e32 v44, v49, v46
	s_delay_alu instid0(VALU_DEP_1) | instskip(NEXT) | instid1(VALU_DEP_1)
	v_dual_add_f32 v42, v45, v42 :: v_dual_sub_f32 v45, v44, v49
	v_add_f32_e32 v42, v50, v42
	s_delay_alu instid0(VALU_DEP_1) | instskip(NEXT) | instid1(VALU_DEP_1)
	v_dual_sub_f32 v45, v46, v45 :: v_dual_mul_f32 v42, v43, v42
	v_add_f32_e32 v42, v45, v42
	s_delay_alu instid0(VALU_DEP_1) | instskip(NEXT) | instid1(VALU_DEP_1)
	v_add_f32_e32 v43, v44, v42
	v_mul_f32_e32 v45, v43, v43
	s_wait_alu 0xfffe
	s_delay_alu instid0(VALU_DEP_1) | instskip(SKIP_1) | instid1(VALU_DEP_2)
	v_fmaak_f32 v46, s25, v45, 0x3ecc95a3
	v_mul_f32_e32 v47, v43, v45
	v_fmaak_f32 v45, v45, v46, 0x3f2aaada
	v_ldexp_f32 v46, v43, 1
	v_sub_f32_e32 v43, v43, v44
	s_delay_alu instid0(VALU_DEP_3) | instskip(NEXT) | instid1(VALU_DEP_2)
	v_mul_f32_e32 v45, v47, v45
	v_dual_mul_f32 v47, 0x3f317218, v41 :: v_dual_sub_f32 v42, v42, v43
	s_delay_alu instid0(VALU_DEP_2) | instskip(NEXT) | instid1(VALU_DEP_2)
	v_add_f32_e32 v44, v46, v45
	v_ldexp_f32 v42, v42, 1
	s_delay_alu instid0(VALU_DEP_2) | instskip(NEXT) | instid1(VALU_DEP_4)
	v_sub_f32_e32 v43, v44, v46
	v_fma_f32 v46, 0x3f317218, v41, -v47
	s_delay_alu instid0(VALU_DEP_2) | instskip(NEXT) | instid1(VALU_DEP_1)
	v_sub_f32_e32 v43, v45, v43
	v_dual_fmamk_f32 v41, v41, 0xb102e308, v46 :: v_dual_add_f32 v42, v42, v43
	s_delay_alu instid0(VALU_DEP_1) | instskip(NEXT) | instid1(VALU_DEP_1)
	v_add_f32_e32 v43, v47, v41
	v_sub_f32_e32 v47, v43, v47
	s_delay_alu instid0(VALU_DEP_1) | instskip(NEXT) | instid1(VALU_DEP_4)
	v_sub_f32_e32 v41, v41, v47
	v_add_f32_e32 v45, v44, v42
	s_delay_alu instid0(VALU_DEP_1) | instskip(NEXT) | instid1(VALU_DEP_1)
	v_sub_f32_e32 v44, v45, v44
	v_sub_f32_e32 v42, v42, v44
	v_add_f32_e32 v46, v43, v45
	s_delay_alu instid0(VALU_DEP_1) | instskip(NEXT) | instid1(VALU_DEP_1)
	v_sub_f32_e32 v48, v46, v43
	v_sub_f32_e32 v44, v45, v48
	s_delay_alu instid0(VALU_DEP_4) | instskip(SKIP_1) | instid1(VALU_DEP_1)
	v_add_f32_e32 v45, v41, v42
	v_sub_f32_e32 v49, v46, v48
	v_sub_f32_e32 v43, v43, v49
	s_delay_alu instid0(VALU_DEP_1) | instskip(NEXT) | instid1(VALU_DEP_1)
	v_dual_add_f32 v43, v44, v43 :: v_dual_sub_f32 v44, v45, v41
	v_dual_add_f32 v43, v45, v43 :: v_dual_sub_f32 v42, v42, v44
	v_sub_f32_e32 v45, v45, v44
	s_delay_alu instid0(VALU_DEP_2) | instskip(NEXT) | instid1(VALU_DEP_1)
	v_add_f32_e32 v47, v46, v43
	v_dual_sub_f32 v41, v41, v45 :: v_dual_sub_f32 v44, v47, v46
	s_delay_alu instid0(VALU_DEP_1) | instskip(NEXT) | instid1(VALU_DEP_1)
	v_dual_add_f32 v41, v42, v41 :: v_dual_sub_f32 v42, v43, v44
	v_add_f32_e32 v41, v41, v42
	s_delay_alu instid0(VALU_DEP_1) | instskip(SKIP_1) | instid1(VALU_DEP_1)
	v_add_f32_e32 v41, v47, v41
	s_wait_alu 0xfffd
	v_cndmask_b32_e32 v41, 0x7f800000, v41, vcc_lo
	v_cmp_gt_f32_e64 vcc_lo, 0x33800000, |v10|
	s_wait_alu 0xfffd
	s_delay_alu instid0(VALU_DEP_2) | instskip(NEXT) | instid1(VALU_DEP_1)
	v_cndmask_b32_e32 v10, v41, v10, vcc_lo
	v_add_f32_e32 v9, v9, v10
	s_delay_alu instid0(VALU_DEP_1)
	v_cvt_f16_f32_e32 v10, v9
.LBB356_123:
	s_or_b32 exec_lo, exec_lo, s23
	s_delay_alu instid0(VALU_DEP_1)
	v_dual_mov_b32 v46, v10 :: v_dual_and_b32 v9, 0xffff, v10
.LBB356_124:
	s_or_b32 exec_lo, exec_lo, s22
	v_cmp_gt_u32_e32 vcc_lo, 24, v33
	v_add_nc_u32_e32 v42, 8, v33
	s_mov_b32 s22, exec_lo
	s_wait_dscnt 0x0
	s_wait_alu 0xfffd
	v_cndmask_b32_e64 v10, 0, 8, vcc_lo
	s_delay_alu instid0(VALU_DEP_1)
	v_add_lshl_u32 v41, v10, v33, 2
	ds_bpermute_b32 v10, v41, v9
	v_cmpx_le_u32_e64 v42, v8
	s_cbranch_execz .LBB356_128
; %bb.125:
	s_wait_dscnt 0x0
	v_cvt_f32_f16_e32 v9, v10
	v_cvt_f32_f16_e32 v44, v46
	v_cmp_u_f16_e32 vcc_lo, v10, v10
	s_delay_alu instid0(VALU_DEP_2) | instskip(SKIP_2) | instid1(VALU_DEP_2)
	v_min_num_f32_e32 v43, v9, v44
	v_max_num_f32_e32 v45, v9, v44
	s_wait_alu 0xfffd
	v_cndmask_b32_e32 v43, v43, v9, vcc_lo
	s_delay_alu instid0(VALU_DEP_2) | instskip(SKIP_2) | instid1(VALU_DEP_3)
	v_cndmask_b32_e32 v9, v45, v9, vcc_lo
	v_cmp_u_f16_e32 vcc_lo, v46, v46
	s_wait_alu 0xfffd
	v_cndmask_b32_e32 v43, v43, v44, vcc_lo
	s_delay_alu instid0(VALU_DEP_3) | instskip(NEXT) | instid1(VALU_DEP_2)
	v_cndmask_b32_e32 v9, v9, v44, vcc_lo
	v_cmp_class_f32_e64 s23, v43, 0x1f8
	s_delay_alu instid0(VALU_DEP_2)
	v_cmp_neq_f32_e32 vcc_lo, v43, v9
	s_or_b32 s25, vcc_lo, s23
	s_wait_alu 0xfffe
	s_and_saveexec_b32 s23, s25
	s_cbranch_execz .LBB356_127
; %bb.126:
	v_sub_f32_e32 v10, v43, v9
	s_mov_b32 s25, 0x3e9b6dac
	s_delay_alu instid0(VALU_DEP_1) | instskip(SKIP_1) | instid1(VALU_DEP_2)
	v_mul_f32_e32 v43, 0x3fb8aa3b, v10
	v_cmp_ngt_f32_e32 vcc_lo, 0xc2ce8ed0, v10
	v_fma_f32 v44, 0x3fb8aa3b, v10, -v43
	v_rndne_f32_e32 v45, v43
	s_delay_alu instid0(VALU_DEP_1) | instskip(NEXT) | instid1(VALU_DEP_1)
	v_dual_fmamk_f32 v44, v10, 0x32a5705f, v44 :: v_dual_sub_f32 v43, v43, v45
	v_add_f32_e32 v43, v43, v44
	v_cvt_i32_f32_e32 v44, v45
	s_delay_alu instid0(VALU_DEP_2) | instskip(NEXT) | instid1(TRANS32_DEP_1)
	v_exp_f32_e32 v43, v43
	v_ldexp_f32 v43, v43, v44
	s_wait_alu 0xfffd
	s_delay_alu instid0(VALU_DEP_1) | instskip(SKIP_2) | instid1(VALU_DEP_2)
	v_cndmask_b32_e32 v43, 0, v43, vcc_lo
	v_cmp_nlt_f32_e32 vcc_lo, 0x42b17218, v10
	s_wait_alu 0xfffd
	v_cndmask_b32_e32 v10, 0x7f800000, v43, vcc_lo
	s_delay_alu instid0(VALU_DEP_1) | instskip(NEXT) | instid1(VALU_DEP_1)
	v_add_f32_e32 v45, 1.0, v10
	v_cvt_f64_f32_e32 v[43:44], v45
	s_delay_alu instid0(VALU_DEP_1) | instskip(SKIP_1) | instid1(VALU_DEP_1)
	v_frexp_exp_i32_f64_e32 v43, v[43:44]
	v_frexp_mant_f32_e32 v44, v45
	v_cmp_gt_f32_e32 vcc_lo, 0x3f2aaaab, v44
	v_add_f32_e32 v44, -1.0, v45
	s_delay_alu instid0(VALU_DEP_1) | instskip(SKIP_3) | instid1(VALU_DEP_2)
	v_dual_sub_f32 v47, v44, v45 :: v_dual_sub_f32 v44, v10, v44
	s_wait_alu 0xfffd
	v_subrev_co_ci_u32_e64 v43, null, 0, v43, vcc_lo
	v_cmp_neq_f32_e32 vcc_lo, 0x7f800000, v10
	v_sub_nc_u32_e32 v46, 0, v43
	v_cvt_f32_i32_e32 v43, v43
	s_delay_alu instid0(VALU_DEP_2) | instskip(NEXT) | instid1(VALU_DEP_1)
	v_ldexp_f32 v45, v45, v46
	v_dual_add_f32 v47, 1.0, v47 :: v_dual_add_f32 v48, 1.0, v45
	s_delay_alu instid0(VALU_DEP_1) | instskip(NEXT) | instid1(VALU_DEP_1)
	v_dual_add_f32 v44, v44, v47 :: v_dual_add_f32 v47, -1.0, v48
	v_ldexp_f32 v44, v44, v46
	s_delay_alu instid0(VALU_DEP_2) | instskip(NEXT) | instid1(VALU_DEP_1)
	v_dual_add_f32 v46, -1.0, v45 :: v_dual_sub_f32 v47, v45, v47
	v_add_f32_e32 v49, 1.0, v46
	s_delay_alu instid0(VALU_DEP_2) | instskip(NEXT) | instid1(VALU_DEP_2)
	v_add_f32_e32 v47, v44, v47
	v_sub_f32_e32 v45, v45, v49
	s_delay_alu instid0(VALU_DEP_1) | instskip(NEXT) | instid1(VALU_DEP_1)
	v_add_f32_e32 v44, v44, v45
	v_dual_add_f32 v50, v46, v44 :: v_dual_add_f32 v49, v48, v47
	s_delay_alu instid0(VALU_DEP_1) | instskip(NEXT) | instid1(VALU_DEP_2)
	v_sub_f32_e32 v46, v46, v50
	v_rcp_f32_e32 v45, v49
	v_sub_f32_e32 v48, v48, v49
	s_delay_alu instid0(VALU_DEP_1) | instskip(NEXT) | instid1(TRANS32_DEP_1)
	v_dual_add_f32 v44, v44, v46 :: v_dual_add_f32 v47, v47, v48
	v_mul_f32_e32 v51, v50, v45
	s_delay_alu instid0(VALU_DEP_1) | instskip(NEXT) | instid1(VALU_DEP_1)
	v_mul_f32_e32 v52, v49, v51
	v_fma_f32 v48, v51, v49, -v52
	s_delay_alu instid0(VALU_DEP_1) | instskip(NEXT) | instid1(VALU_DEP_1)
	v_fmac_f32_e32 v48, v51, v47
	v_add_f32_e32 v53, v52, v48
	s_delay_alu instid0(VALU_DEP_1) | instskip(NEXT) | instid1(VALU_DEP_1)
	v_sub_f32_e32 v54, v50, v53
	v_sub_f32_e32 v50, v50, v54
	;; [unrolled: 1-line block ×3, first 2 shown]
	s_delay_alu instid0(VALU_DEP_2) | instskip(NEXT) | instid1(VALU_DEP_2)
	v_sub_f32_e32 v50, v50, v53
	v_sub_f32_e32 v46, v46, v48
	s_delay_alu instid0(VALU_DEP_2) | instskip(NEXT) | instid1(VALU_DEP_1)
	v_add_f32_e32 v44, v44, v50
	v_add_f32_e32 v44, v46, v44
	s_delay_alu instid0(VALU_DEP_1) | instskip(NEXT) | instid1(VALU_DEP_1)
	v_add_f32_e32 v46, v54, v44
	v_mul_f32_e32 v48, v45, v46
	s_delay_alu instid0(VALU_DEP_1) | instskip(NEXT) | instid1(VALU_DEP_1)
	v_dual_sub_f32 v53, v54, v46 :: v_dual_mul_f32 v50, v49, v48
	v_add_f32_e32 v44, v44, v53
	s_delay_alu instid0(VALU_DEP_2) | instskip(NEXT) | instid1(VALU_DEP_1)
	v_fma_f32 v49, v48, v49, -v50
	v_fmac_f32_e32 v49, v48, v47
	s_delay_alu instid0(VALU_DEP_1) | instskip(NEXT) | instid1(VALU_DEP_1)
	v_add_f32_e32 v47, v50, v49
	v_sub_f32_e32 v52, v46, v47
	v_sub_f32_e32 v50, v47, v50
	s_delay_alu instid0(VALU_DEP_2) | instskip(NEXT) | instid1(VALU_DEP_1)
	v_sub_f32_e32 v46, v46, v52
	v_sub_f32_e32 v46, v46, v47
	s_delay_alu instid0(VALU_DEP_1) | instskip(SKIP_1) | instid1(VALU_DEP_1)
	v_dual_sub_f32 v47, v50, v49 :: v_dual_add_f32 v44, v44, v46
	v_add_f32_e32 v46, v51, v48
	v_dual_add_f32 v44, v47, v44 :: v_dual_sub_f32 v47, v46, v51
	s_delay_alu instid0(VALU_DEP_1) | instskip(NEXT) | instid1(VALU_DEP_1)
	v_add_f32_e32 v44, v52, v44
	v_dual_sub_f32 v47, v48, v47 :: v_dual_mul_f32 v44, v45, v44
	s_delay_alu instid0(VALU_DEP_1) | instskip(NEXT) | instid1(VALU_DEP_1)
	v_add_f32_e32 v44, v47, v44
	v_add_f32_e32 v45, v46, v44
	s_delay_alu instid0(VALU_DEP_1) | instskip(SKIP_1) | instid1(VALU_DEP_1)
	v_mul_f32_e32 v47, v45, v45
	s_wait_alu 0xfffe
	v_fmaak_f32 v48, s25, v47, 0x3ecc95a3
	v_mul_f32_e32 v49, v45, v47
	s_delay_alu instid0(VALU_DEP_2) | instskip(SKIP_2) | instid1(VALU_DEP_3)
	v_fmaak_f32 v47, v47, v48, 0x3f2aaada
	v_ldexp_f32 v48, v45, 1
	v_sub_f32_e32 v45, v45, v46
	v_mul_f32_e32 v47, v49, v47
	s_delay_alu instid0(VALU_DEP_2) | instskip(NEXT) | instid1(VALU_DEP_2)
	v_dual_mul_f32 v49, 0x3f317218, v43 :: v_dual_sub_f32 v44, v44, v45
	v_add_f32_e32 v46, v48, v47
	s_delay_alu instid0(VALU_DEP_2) | instskip(NEXT) | instid1(VALU_DEP_2)
	v_ldexp_f32 v44, v44, 1
	v_sub_f32_e32 v45, v46, v48
	s_delay_alu instid0(VALU_DEP_4) | instskip(NEXT) | instid1(VALU_DEP_2)
	v_fma_f32 v48, 0x3f317218, v43, -v49
	v_sub_f32_e32 v45, v47, v45
	s_delay_alu instid0(VALU_DEP_1) | instskip(NEXT) | instid1(VALU_DEP_1)
	v_dual_fmamk_f32 v43, v43, 0xb102e308, v48 :: v_dual_add_f32 v44, v44, v45
	v_add_f32_e32 v45, v49, v43
	s_delay_alu instid0(VALU_DEP_1) | instskip(NEXT) | instid1(VALU_DEP_1)
	v_sub_f32_e32 v49, v45, v49
	v_sub_f32_e32 v43, v43, v49
	s_delay_alu instid0(VALU_DEP_4) | instskip(NEXT) | instid1(VALU_DEP_1)
	v_add_f32_e32 v47, v46, v44
	v_sub_f32_e32 v46, v47, v46
	s_delay_alu instid0(VALU_DEP_1) | instskip(SKIP_1) | instid1(VALU_DEP_1)
	v_sub_f32_e32 v44, v44, v46
	v_add_f32_e32 v48, v45, v47
	v_sub_f32_e32 v50, v48, v45
	s_delay_alu instid0(VALU_DEP_1) | instskip(NEXT) | instid1(VALU_DEP_4)
	v_sub_f32_e32 v46, v47, v50
	v_add_f32_e32 v47, v43, v44
	v_sub_f32_e32 v51, v48, v50
	s_delay_alu instid0(VALU_DEP_1) | instskip(NEXT) | instid1(VALU_DEP_1)
	v_sub_f32_e32 v45, v45, v51
	v_dual_add_f32 v45, v46, v45 :: v_dual_sub_f32 v46, v47, v43
	s_delay_alu instid0(VALU_DEP_1) | instskip(SKIP_1) | instid1(VALU_DEP_2)
	v_dual_add_f32 v45, v47, v45 :: v_dual_sub_f32 v44, v44, v46
	v_sub_f32_e32 v47, v47, v46
	v_add_f32_e32 v49, v48, v45
	s_delay_alu instid0(VALU_DEP_1) | instskip(NEXT) | instid1(VALU_DEP_1)
	v_dual_sub_f32 v43, v43, v47 :: v_dual_sub_f32 v46, v49, v48
	v_dual_add_f32 v43, v44, v43 :: v_dual_sub_f32 v44, v45, v46
	s_delay_alu instid0(VALU_DEP_1) | instskip(NEXT) | instid1(VALU_DEP_1)
	v_add_f32_e32 v43, v43, v44
	v_add_f32_e32 v43, v49, v43
	s_wait_alu 0xfffd
	s_delay_alu instid0(VALU_DEP_1) | instskip(SKIP_2) | instid1(VALU_DEP_2)
	v_cndmask_b32_e32 v43, 0x7f800000, v43, vcc_lo
	v_cmp_gt_f32_e64 vcc_lo, 0x33800000, |v10|
	s_wait_alu 0xfffd
	v_cndmask_b32_e32 v10, v43, v10, vcc_lo
	s_delay_alu instid0(VALU_DEP_1) | instskip(NEXT) | instid1(VALU_DEP_1)
	v_add_f32_e32 v9, v9, v10
	v_cvt_f16_f32_e32 v10, v9
.LBB356_127:
	s_or_b32 exec_lo, exec_lo, s23
	s_delay_alu instid0(VALU_DEP_1)
	v_dual_mov_b32 v46, v10 :: v_dual_and_b32 v9, 0xffff, v10
.LBB356_128:
	s_or_b32 exec_lo, exec_lo, s22
	v_lshl_or_b32 v44, v33, 2, 64
	v_add_nc_u32_e32 v45, 16, v33
	s_mov_b32 s22, exec_lo
	ds_bpermute_b32 v9, v44, v9
	v_cmpx_le_u32_e64 v45, v8
	s_cbranch_execz .LBB356_132
; %bb.129:
	s_wait_dscnt 0x0
	v_cvt_f32_f16_e32 v8, v9
	v_cvt_f32_f16_e32 v43, v46
	v_cmp_u_f16_e32 vcc_lo, v9, v9
	s_delay_alu instid0(VALU_DEP_2) | instskip(SKIP_1) | instid1(VALU_DEP_1)
	v_min_num_f32_e32 v10, v8, v43
	s_wait_alu 0xfffd
	v_dual_max_num_f32 v47, v8, v43 :: v_dual_cndmask_b32 v10, v10, v8
	s_delay_alu instid0(VALU_DEP_1) | instskip(SKIP_2) | instid1(VALU_DEP_3)
	v_cndmask_b32_e32 v8, v47, v8, vcc_lo
	v_cmp_u_f16_e32 vcc_lo, v46, v46
	s_wait_alu 0xfffd
	v_cndmask_b32_e32 v10, v10, v43, vcc_lo
	s_delay_alu instid0(VALU_DEP_3) | instskip(NEXT) | instid1(VALU_DEP_2)
	v_cndmask_b32_e32 v8, v8, v43, vcc_lo
	v_cmp_class_f32_e64 s23, v10, 0x1f8
	s_delay_alu instid0(VALU_DEP_2)
	v_cmp_neq_f32_e32 vcc_lo, v10, v8
	s_or_b32 s25, vcc_lo, s23
	s_wait_alu 0xfffe
	s_and_saveexec_b32 s23, s25
	s_cbranch_execz .LBB356_131
; %bb.130:
	v_sub_f32_e32 v9, v10, v8
	s_mov_b32 s25, 0x3e9b6dac
	s_delay_alu instid0(VALU_DEP_1) | instskip(SKIP_1) | instid1(VALU_DEP_2)
	v_mul_f32_e32 v10, 0x3fb8aa3b, v9
	v_cmp_ngt_f32_e32 vcc_lo, 0xc2ce8ed0, v9
	v_fma_f32 v43, 0x3fb8aa3b, v9, -v10
	v_rndne_f32_e32 v46, v10
	s_delay_alu instid0(VALU_DEP_1) | instskip(NEXT) | instid1(VALU_DEP_1)
	v_dual_fmamk_f32 v43, v9, 0x32a5705f, v43 :: v_dual_sub_f32 v10, v10, v46
	v_add_f32_e32 v10, v10, v43
	v_cvt_i32_f32_e32 v43, v46
	s_delay_alu instid0(VALU_DEP_2) | instskip(NEXT) | instid1(TRANS32_DEP_1)
	v_exp_f32_e32 v10, v10
	v_ldexp_f32 v10, v10, v43
	s_wait_alu 0xfffd
	s_delay_alu instid0(VALU_DEP_1) | instskip(SKIP_2) | instid1(VALU_DEP_2)
	v_cndmask_b32_e32 v10, 0, v10, vcc_lo
	v_cmp_nlt_f32_e32 vcc_lo, 0x42b17218, v9
	s_wait_alu 0xfffd
	v_cndmask_b32_e32 v43, 0x7f800000, v10, vcc_lo
	s_delay_alu instid0(VALU_DEP_1) | instskip(NEXT) | instid1(VALU_DEP_1)
	v_add_f32_e32 v46, 1.0, v43
	v_cvt_f64_f32_e32 v[9:10], v46
	s_delay_alu instid0(VALU_DEP_1) | instskip(SKIP_1) | instid1(VALU_DEP_1)
	v_frexp_exp_i32_f64_e32 v9, v[9:10]
	v_frexp_mant_f32_e32 v10, v46
	v_cmp_gt_f32_e32 vcc_lo, 0x3f2aaaab, v10
	v_add_f32_e32 v10, -1.0, v46
	s_delay_alu instid0(VALU_DEP_1) | instskip(NEXT) | instid1(VALU_DEP_1)
	v_sub_f32_e32 v48, v10, v46
	v_add_f32_e32 v48, 1.0, v48
	v_sub_f32_e32 v10, v43, v10
	s_wait_alu 0xfffd
	v_subrev_co_ci_u32_e64 v9, null, 0, v9, vcc_lo
	v_cmp_neq_f32_e32 vcc_lo, 0x7f800000, v43
	s_delay_alu instid0(VALU_DEP_2) | instskip(SKIP_1) | instid1(VALU_DEP_2)
	v_sub_nc_u32_e32 v47, 0, v9
	v_cvt_f32_i32_e32 v9, v9
	v_ldexp_f32 v46, v46, v47
	s_delay_alu instid0(VALU_DEP_1) | instskip(NEXT) | instid1(VALU_DEP_1)
	v_dual_add_f32 v49, 1.0, v46 :: v_dual_add_f32 v10, v10, v48
	v_add_f32_e32 v48, -1.0, v49
	s_delay_alu instid0(VALU_DEP_2) | instskip(NEXT) | instid1(VALU_DEP_2)
	v_ldexp_f32 v10, v10, v47
	v_dual_add_f32 v47, -1.0, v46 :: v_dual_sub_f32 v48, v46, v48
	s_delay_alu instid0(VALU_DEP_1) | instskip(NEXT) | instid1(VALU_DEP_2)
	v_add_f32_e32 v50, 1.0, v47
	v_add_f32_e32 v48, v10, v48
	s_delay_alu instid0(VALU_DEP_2) | instskip(NEXT) | instid1(VALU_DEP_2)
	v_sub_f32_e32 v46, v46, v50
	v_add_f32_e32 v50, v49, v48
	s_delay_alu instid0(VALU_DEP_2) | instskip(NEXT) | instid1(VALU_DEP_2)
	v_add_f32_e32 v10, v10, v46
	v_rcp_f32_e32 v46, v50
	v_sub_f32_e32 v49, v49, v50
	s_delay_alu instid0(VALU_DEP_1) | instskip(NEXT) | instid1(VALU_DEP_1)
	v_dual_add_f32 v51, v47, v10 :: v_dual_add_f32 v48, v48, v49
	v_sub_f32_e32 v47, v47, v51
	s_delay_alu instid0(TRANS32_DEP_1) | instskip(NEXT) | instid1(VALU_DEP_2)
	v_mul_f32_e32 v52, v51, v46
	v_add_f32_e32 v10, v10, v47
	s_delay_alu instid0(VALU_DEP_2) | instskip(NEXT) | instid1(VALU_DEP_1)
	v_mul_f32_e32 v53, v50, v52
	v_fma_f32 v49, v52, v50, -v53
	s_delay_alu instid0(VALU_DEP_1) | instskip(NEXT) | instid1(VALU_DEP_1)
	v_fmac_f32_e32 v49, v52, v48
	v_add_f32_e32 v54, v53, v49
	s_delay_alu instid0(VALU_DEP_1) | instskip(SKIP_1) | instid1(VALU_DEP_2)
	v_sub_f32_e32 v55, v51, v54
	v_sub_f32_e32 v47, v54, v53
	;; [unrolled: 1-line block ×3, first 2 shown]
	s_delay_alu instid0(VALU_DEP_2) | instskip(NEXT) | instid1(VALU_DEP_2)
	v_sub_f32_e32 v47, v47, v49
	v_sub_f32_e32 v51, v51, v54
	s_delay_alu instid0(VALU_DEP_1) | instskip(NEXT) | instid1(VALU_DEP_1)
	v_add_f32_e32 v10, v10, v51
	v_add_f32_e32 v10, v47, v10
	s_delay_alu instid0(VALU_DEP_1) | instskip(NEXT) | instid1(VALU_DEP_1)
	v_add_f32_e32 v47, v55, v10
	v_mul_f32_e32 v49, v46, v47
	s_delay_alu instid0(VALU_DEP_1) | instskip(NEXT) | instid1(VALU_DEP_1)
	v_dual_sub_f32 v54, v55, v47 :: v_dual_mul_f32 v51, v50, v49
	v_add_f32_e32 v10, v10, v54
	s_delay_alu instid0(VALU_DEP_2) | instskip(NEXT) | instid1(VALU_DEP_1)
	v_fma_f32 v50, v49, v50, -v51
	v_fmac_f32_e32 v50, v49, v48
	s_delay_alu instid0(VALU_DEP_1) | instskip(NEXT) | instid1(VALU_DEP_1)
	v_add_f32_e32 v48, v51, v50
	v_sub_f32_e32 v53, v47, v48
	v_sub_f32_e32 v51, v48, v51
	s_delay_alu instid0(VALU_DEP_2) | instskip(NEXT) | instid1(VALU_DEP_1)
	v_sub_f32_e32 v47, v47, v53
	v_sub_f32_e32 v47, v47, v48
	s_delay_alu instid0(VALU_DEP_1) | instskip(NEXT) | instid1(VALU_DEP_4)
	v_dual_add_f32 v10, v10, v47 :: v_dual_add_f32 v47, v52, v49
	v_sub_f32_e32 v48, v51, v50
	s_delay_alu instid0(VALU_DEP_1) | instskip(NEXT) | instid1(VALU_DEP_3)
	v_add_f32_e32 v10, v48, v10
	v_sub_f32_e32 v48, v47, v52
	s_delay_alu instid0(VALU_DEP_2) | instskip(NEXT) | instid1(VALU_DEP_2)
	v_add_f32_e32 v10, v53, v10
	v_sub_f32_e32 v48, v49, v48
	s_delay_alu instid0(VALU_DEP_2) | instskip(NEXT) | instid1(VALU_DEP_1)
	v_mul_f32_e32 v10, v46, v10
	v_add_f32_e32 v10, v48, v10
	s_delay_alu instid0(VALU_DEP_1) | instskip(NEXT) | instid1(VALU_DEP_1)
	v_add_f32_e32 v46, v47, v10
	v_mul_f32_e32 v48, v46, v46
	s_wait_alu 0xfffe
	s_delay_alu instid0(VALU_DEP_1) | instskip(SKIP_1) | instid1(VALU_DEP_2)
	v_fmaak_f32 v49, s25, v48, 0x3ecc95a3
	v_mul_f32_e32 v50, v46, v48
	v_fmaak_f32 v48, v48, v49, 0x3f2aaada
	v_ldexp_f32 v49, v46, 1
	v_sub_f32_e32 v46, v46, v47
	s_delay_alu instid0(VALU_DEP_3) | instskip(SKIP_1) | instid1(VALU_DEP_2)
	v_mul_f32_e32 v48, v50, v48
	v_mul_f32_e32 v50, 0x3f317218, v9
	v_dual_sub_f32 v10, v10, v46 :: v_dual_add_f32 v47, v49, v48
	s_delay_alu instid0(VALU_DEP_1) | instskip(NEXT) | instid1(VALU_DEP_2)
	v_ldexp_f32 v10, v10, 1
	v_sub_f32_e32 v46, v47, v49
	s_delay_alu instid0(VALU_DEP_4) | instskip(NEXT) | instid1(VALU_DEP_1)
	v_fma_f32 v49, 0x3f317218, v9, -v50
	v_dual_sub_f32 v46, v48, v46 :: v_dual_fmamk_f32 v9, v9, 0xb102e308, v49
	s_delay_alu instid0(VALU_DEP_1) | instskip(NEXT) | instid1(VALU_DEP_2)
	v_add_f32_e32 v10, v10, v46
	v_add_f32_e32 v46, v50, v9
	s_delay_alu instid0(VALU_DEP_2) | instskip(NEXT) | instid1(VALU_DEP_2)
	v_add_f32_e32 v48, v47, v10
	v_sub_f32_e32 v50, v46, v50
	s_delay_alu instid0(VALU_DEP_2) | instskip(SKIP_1) | instid1(VALU_DEP_3)
	v_add_f32_e32 v49, v46, v48
	v_sub_f32_e32 v47, v48, v47
	v_sub_f32_e32 v9, v9, v50
	s_delay_alu instid0(VALU_DEP_2) | instskip(NEXT) | instid1(VALU_DEP_1)
	v_dual_sub_f32 v51, v49, v46 :: v_dual_sub_f32 v10, v10, v47
	v_sub_f32_e32 v52, v49, v51
	s_delay_alu instid0(VALU_DEP_2) | instskip(NEXT) | instid1(VALU_DEP_2)
	v_dual_sub_f32 v47, v48, v51 :: v_dual_add_f32 v48, v9, v10
	v_sub_f32_e32 v46, v46, v52
	s_delay_alu instid0(VALU_DEP_1) | instskip(NEXT) | instid1(VALU_DEP_1)
	v_dual_add_f32 v46, v47, v46 :: v_dual_sub_f32 v47, v48, v9
	v_add_f32_e32 v46, v48, v46
	s_delay_alu instid0(VALU_DEP_2) | instskip(SKIP_1) | instid1(VALU_DEP_3)
	v_sub_f32_e32 v48, v48, v47
	v_sub_f32_e32 v10, v10, v47
	v_add_f32_e32 v50, v49, v46
	s_delay_alu instid0(VALU_DEP_3) | instskip(NEXT) | instid1(VALU_DEP_2)
	v_sub_f32_e32 v9, v9, v48
	v_sub_f32_e32 v47, v50, v49
	s_delay_alu instid0(VALU_DEP_2) | instskip(NEXT) | instid1(VALU_DEP_2)
	v_add_f32_e32 v9, v10, v9
	v_sub_f32_e32 v10, v46, v47
	s_delay_alu instid0(VALU_DEP_1) | instskip(NEXT) | instid1(VALU_DEP_1)
	v_add_f32_e32 v9, v9, v10
	v_add_f32_e32 v9, v50, v9
	s_wait_alu 0xfffd
	s_delay_alu instid0(VALU_DEP_1) | instskip(SKIP_2) | instid1(VALU_DEP_2)
	v_cndmask_b32_e32 v9, 0x7f800000, v9, vcc_lo
	v_cmp_gt_f32_e64 vcc_lo, 0x33800000, |v43|
	s_wait_alu 0xfffd
	v_cndmask_b32_e32 v9, v9, v43, vcc_lo
	s_delay_alu instid0(VALU_DEP_1) | instskip(NEXT) | instid1(VALU_DEP_1)
	v_add_f32_e32 v8, v8, v9
	v_cvt_f16_f32_e32 v9, v8
.LBB356_131:
	s_or_b32 exec_lo, exec_lo, s23
	s_delay_alu instid0(VALU_DEP_1)
	v_mov_b32_e32 v46, v9
.LBB356_132:
	s_or_b32 exec_lo, exec_lo, s22
	v_mov_b32_e32 v8, 0
	s_mov_b32 s22, 0x3e9b6dac
	s_branch .LBB356_135
.LBB356_133:                            ;   in Loop: Header=BB356_135 Depth=1
	s_wait_alu 0xfffe
	s_or_b32 exec_lo, exec_lo, s23
	v_subrev_nc_u32_e32 v7, 32, v7
	s_mov_b32 s23, 0
.LBB356_134:                            ;   in Loop: Header=BB356_135 Depth=1
	s_wait_alu 0xfffe
	s_and_b32 vcc_lo, exec_lo, s23
	s_wait_alu 0xfffe
	s_cbranch_vccnz .LBB356_163
.LBB356_135:                            ; =>This Loop Header: Depth=1
                                        ;     Child Loop BB356_138 Depth 2
	s_wait_dscnt 0x0
	v_and_b32_e32 v9, 0xff, v34
	v_mov_b32_e32 v43, v46
	s_mov_b32 s23, -1
                                        ; implicit-def: $vgpr46
                                        ; implicit-def: $vgpr34
	s_delay_alu instid0(VALU_DEP_2)
	v_cmp_ne_u16_e32 vcc_lo, 2, v9
	s_cmp_lg_u32 vcc_lo, exec_lo
	s_cbranch_scc1 .LBB356_134
; %bb.136:                              ;   in Loop: Header=BB356_135 Depth=1
	v_lshlrev_b64_e32 v[9:10], 2, v[7:8]
	s_mov_b32 s23, exec_lo
	s_delay_alu instid0(VALU_DEP_1) | instskip(SKIP_1) | instid1(VALU_DEP_2)
	v_add_co_u32 v9, vcc_lo, s38, v9
	s_wait_alu 0xfffd
	v_add_co_ci_u32_e64 v10, null, s39, v10, vcc_lo
	global_load_b32 v46, v[9:10], off scope:SCOPE_DEV
	s_wait_loadcnt 0x0
	v_lshrrev_b32_e32 v34, 16, v46
	s_delay_alu instid0(VALU_DEP_1) | instskip(NEXT) | instid1(VALU_DEP_1)
	v_and_b32_e32 v47, 0xff, v34
	v_cmpx_eq_u16_e32 0, v47
	s_cbranch_execz .LBB356_140
; %bb.137:                              ;   in Loop: Header=BB356_135 Depth=1
	s_mov_b32 s25, 0
.LBB356_138:                            ;   Parent Loop BB356_135 Depth=1
                                        ; =>  This Inner Loop Header: Depth=2
	global_load_b32 v46, v[9:10], off scope:SCOPE_DEV
	s_wait_loadcnt 0x0
	v_lshrrev_b32_e32 v34, 16, v46
	s_delay_alu instid0(VALU_DEP_1) | instskip(NEXT) | instid1(VALU_DEP_1)
	v_and_b32_e32 v47, 0xff, v34
	v_cmp_ne_u16_e32 vcc_lo, 0, v47
	s_wait_alu 0xfffe
	s_or_b32 s25, vcc_lo, s25
	s_wait_alu 0xfffe
	s_and_not1_b32 exec_lo, exec_lo, s25
	s_cbranch_execnz .LBB356_138
; %bb.139:                              ;   in Loop: Header=BB356_135 Depth=1
	s_or_b32 exec_lo, exec_lo, s25
.LBB356_140:                            ;   in Loop: Header=BB356_135 Depth=1
	s_wait_alu 0xfffe
	s_or_b32 exec_lo, exec_lo, s23
	v_and_b32_e32 v10, 0xffff, v46
	v_and_b32_e32 v9, 0xff, v34
	s_mov_b32 s23, exec_lo
	ds_bpermute_b32 v47, v35, v10
	v_cmp_eq_u16_e32 vcc_lo, 2, v9
	s_wait_alu 0xfffd
	v_and_or_b32 v9, vcc_lo, v36, 0x80000000
	s_delay_alu instid0(VALU_DEP_1) | instskip(NEXT) | instid1(VALU_DEP_1)
	v_ctz_i32_b32_e32 v9, v9
	v_cmpx_lt_u32_e64 v33, v9
	s_cbranch_execz .LBB356_144
; %bb.141:                              ;   in Loop: Header=BB356_135 Depth=1
	s_wait_dscnt 0x0
	v_cvt_f32_f16_e32 v10, v47
	v_cvt_f32_f16_e32 v48, v46
	v_cmp_u_f16_e32 vcc_lo, v47, v47
	s_delay_alu instid0(VALU_DEP_2) | instskip(SKIP_1) | instid1(VALU_DEP_1)
	v_min_num_f32_e32 v49, v10, v48
	s_wait_alu 0xfffd
	v_dual_max_num_f32 v50, v10, v48 :: v_dual_cndmask_b32 v49, v49, v10
	s_delay_alu instid0(VALU_DEP_1) | instskip(SKIP_2) | instid1(VALU_DEP_3)
	v_cndmask_b32_e32 v10, v50, v10, vcc_lo
	v_cmp_u_f16_e32 vcc_lo, v46, v46
	s_wait_alu 0xfffd
	v_cndmask_b32_e32 v46, v49, v48, vcc_lo
	s_delay_alu instid0(VALU_DEP_3) | instskip(NEXT) | instid1(VALU_DEP_2)
	v_cndmask_b32_e32 v10, v10, v48, vcc_lo
	v_cmp_class_f32_e64 s25, v46, 0x1f8
	s_delay_alu instid0(VALU_DEP_2) | instskip(SKIP_1) | instid1(SALU_CYCLE_1)
	v_cmp_neq_f32_e32 vcc_lo, v46, v10
	s_or_b32 s26, vcc_lo, s25
	s_and_saveexec_b32 s25, s26
	s_cbranch_execz .LBB356_143
; %bb.142:                              ;   in Loop: Header=BB356_135 Depth=1
	v_sub_f32_e32 v46, v46, v10
	s_delay_alu instid0(VALU_DEP_1) | instskip(NEXT) | instid1(VALU_DEP_1)
	v_mul_f32_e32 v47, 0x3fb8aa3b, v46
	v_fma_f32 v48, 0x3fb8aa3b, v46, -v47
	v_rndne_f32_e32 v49, v47
	s_delay_alu instid0(VALU_DEP_1) | instskip(SKIP_1) | instid1(VALU_DEP_4)
	v_sub_f32_e32 v47, v47, v49
	v_cmp_ngt_f32_e32 vcc_lo, 0xc2ce8ed0, v46
	v_fmac_f32_e32 v48, 0x32a5705f, v46
	s_delay_alu instid0(VALU_DEP_1) | instskip(SKIP_1) | instid1(VALU_DEP_2)
	v_add_f32_e32 v47, v47, v48
	v_cvt_i32_f32_e32 v48, v49
	v_exp_f32_e32 v47, v47
	s_delay_alu instid0(TRANS32_DEP_1) | instskip(SKIP_1) | instid1(VALU_DEP_1)
	v_ldexp_f32 v47, v47, v48
	s_wait_alu 0xfffd
	v_cndmask_b32_e32 v47, 0, v47, vcc_lo
	v_cmp_nlt_f32_e32 vcc_lo, 0x42b17218, v46
	s_wait_alu 0xfffd
	s_delay_alu instid0(VALU_DEP_2) | instskip(NEXT) | instid1(VALU_DEP_1)
	v_cndmask_b32_e32 v48, 0x7f800000, v47, vcc_lo
	v_add_f32_e32 v49, 1.0, v48
	s_delay_alu instid0(VALU_DEP_1) | instskip(NEXT) | instid1(VALU_DEP_1)
	v_cvt_f64_f32_e32 v[46:47], v49
	v_frexp_exp_i32_f64_e32 v46, v[46:47]
	v_frexp_mant_f32_e32 v47, v49
	s_delay_alu instid0(VALU_DEP_1) | instskip(SKIP_1) | instid1(VALU_DEP_1)
	v_cmp_gt_f32_e32 vcc_lo, 0x3f2aaaab, v47
	v_add_f32_e32 v47, -1.0, v49
	v_sub_f32_e32 v51, v47, v49
	v_sub_f32_e32 v47, v48, v47
	s_wait_alu 0xfffd
	v_subrev_co_ci_u32_e64 v46, null, 0, v46, vcc_lo
	v_cmp_neq_f32_e32 vcc_lo, 0x7f800000, v48
	s_delay_alu instid0(VALU_DEP_2) | instskip(SKIP_1) | instid1(VALU_DEP_2)
	v_sub_nc_u32_e32 v50, 0, v46
	v_cvt_f32_i32_e32 v46, v46
	v_ldexp_f32 v49, v49, v50
	s_delay_alu instid0(VALU_DEP_1) | instskip(NEXT) | instid1(VALU_DEP_1)
	v_dual_add_f32 v52, 1.0, v49 :: v_dual_add_f32 v51, 1.0, v51
	v_add_f32_e32 v47, v47, v51
	s_delay_alu instid0(VALU_DEP_2) | instskip(NEXT) | instid1(VALU_DEP_2)
	v_add_f32_e32 v51, -1.0, v52
	v_ldexp_f32 v47, v47, v50
	s_delay_alu instid0(VALU_DEP_2) | instskip(NEXT) | instid1(VALU_DEP_1)
	v_dual_add_f32 v50, -1.0, v49 :: v_dual_sub_f32 v51, v49, v51
	v_add_f32_e32 v53, 1.0, v50
	s_delay_alu instid0(VALU_DEP_2) | instskip(NEXT) | instid1(VALU_DEP_2)
	v_add_f32_e32 v51, v47, v51
	v_sub_f32_e32 v49, v49, v53
	s_delay_alu instid0(VALU_DEP_2) | instskip(NEXT) | instid1(VALU_DEP_2)
	v_add_f32_e32 v53, v52, v51
	v_add_f32_e32 v47, v47, v49
	s_delay_alu instid0(VALU_DEP_2) | instskip(SKIP_1) | instid1(VALU_DEP_1)
	v_rcp_f32_e32 v49, v53
	v_sub_f32_e32 v52, v52, v53
	v_dual_add_f32 v54, v50, v47 :: v_dual_add_f32 v51, v51, v52
	s_delay_alu instid0(VALU_DEP_1) | instskip(NEXT) | instid1(TRANS32_DEP_1)
	v_sub_f32_e32 v50, v50, v54
	v_mul_f32_e32 v55, v54, v49
	s_delay_alu instid0(VALU_DEP_1) | instskip(NEXT) | instid1(VALU_DEP_1)
	v_dual_add_f32 v47, v47, v50 :: v_dual_mul_f32 v56, v53, v55
	v_fma_f32 v52, v55, v53, -v56
	s_delay_alu instid0(VALU_DEP_1) | instskip(NEXT) | instid1(VALU_DEP_1)
	v_fmac_f32_e32 v52, v55, v51
	v_add_f32_e32 v57, v56, v52
	s_delay_alu instid0(VALU_DEP_1) | instskip(SKIP_1) | instid1(VALU_DEP_2)
	v_sub_f32_e32 v58, v54, v57
	v_sub_f32_e32 v50, v57, v56
	;; [unrolled: 1-line block ×3, first 2 shown]
	s_delay_alu instid0(VALU_DEP_2) | instskip(NEXT) | instid1(VALU_DEP_2)
	v_sub_f32_e32 v50, v50, v52
	v_sub_f32_e32 v54, v54, v57
	s_delay_alu instid0(VALU_DEP_1) | instskip(NEXT) | instid1(VALU_DEP_1)
	v_add_f32_e32 v47, v47, v54
	v_add_f32_e32 v47, v50, v47
	s_delay_alu instid0(VALU_DEP_1) | instskip(NEXT) | instid1(VALU_DEP_1)
	v_add_f32_e32 v50, v58, v47
	v_mul_f32_e32 v52, v49, v50
	s_delay_alu instid0(VALU_DEP_1) | instskip(NEXT) | instid1(VALU_DEP_1)
	v_dual_sub_f32 v57, v58, v50 :: v_dual_mul_f32 v54, v53, v52
	v_add_f32_e32 v47, v47, v57
	s_delay_alu instid0(VALU_DEP_2) | instskip(NEXT) | instid1(VALU_DEP_1)
	v_fma_f32 v53, v52, v53, -v54
	v_fmac_f32_e32 v53, v52, v51
	s_delay_alu instid0(VALU_DEP_1) | instskip(NEXT) | instid1(VALU_DEP_1)
	v_add_f32_e32 v51, v54, v53
	v_sub_f32_e32 v56, v50, v51
	v_sub_f32_e32 v54, v51, v54
	s_delay_alu instid0(VALU_DEP_2) | instskip(NEXT) | instid1(VALU_DEP_1)
	v_sub_f32_e32 v50, v50, v56
	v_sub_f32_e32 v50, v50, v51
	s_delay_alu instid0(VALU_DEP_3) | instskip(NEXT) | instid1(VALU_DEP_2)
	v_sub_f32_e32 v51, v54, v53
	v_add_f32_e32 v47, v47, v50
	v_add_f32_e32 v50, v55, v52
	s_delay_alu instid0(VALU_DEP_2) | instskip(NEXT) | instid1(VALU_DEP_2)
	v_add_f32_e32 v47, v51, v47
	v_sub_f32_e32 v51, v50, v55
	s_delay_alu instid0(VALU_DEP_2) | instskip(NEXT) | instid1(VALU_DEP_2)
	v_add_f32_e32 v47, v56, v47
	v_sub_f32_e32 v51, v52, v51
	s_delay_alu instid0(VALU_DEP_2) | instskip(NEXT) | instid1(VALU_DEP_1)
	v_mul_f32_e32 v47, v49, v47
	v_add_f32_e32 v47, v51, v47
	s_delay_alu instid0(VALU_DEP_1) | instskip(NEXT) | instid1(VALU_DEP_1)
	v_add_f32_e32 v49, v50, v47
	v_mul_f32_e32 v51, v49, v49
	s_delay_alu instid0(VALU_DEP_1) | instskip(SKIP_1) | instid1(VALU_DEP_2)
	v_fmaak_f32 v52, s22, v51, 0x3ecc95a3
	v_mul_f32_e32 v53, v49, v51
	v_fmaak_f32 v51, v51, v52, 0x3f2aaada
	v_ldexp_f32 v52, v49, 1
	v_sub_f32_e32 v49, v49, v50
	s_delay_alu instid0(VALU_DEP_3) | instskip(SKIP_1) | instid1(VALU_DEP_2)
	v_mul_f32_e32 v51, v53, v51
	v_mul_f32_e32 v53, 0x3f317218, v46
	v_dual_sub_f32 v47, v47, v49 :: v_dual_add_f32 v50, v52, v51
	s_delay_alu instid0(VALU_DEP_1) | instskip(NEXT) | instid1(VALU_DEP_2)
	v_ldexp_f32 v47, v47, 1
	v_sub_f32_e32 v49, v50, v52
	s_delay_alu instid0(VALU_DEP_4) | instskip(NEXT) | instid1(VALU_DEP_1)
	v_fma_f32 v52, 0x3f317218, v46, -v53
	v_dual_sub_f32 v49, v51, v49 :: v_dual_fmac_f32 v52, 0xb102e308, v46
	s_delay_alu instid0(VALU_DEP_1) | instskip(NEXT) | instid1(VALU_DEP_1)
	v_dual_add_f32 v46, v47, v49 :: v_dual_add_f32 v47, v53, v52
	v_add_f32_e32 v49, v50, v46
	s_delay_alu instid0(VALU_DEP_2) | instskip(NEXT) | instid1(VALU_DEP_2)
	v_sub_f32_e32 v53, v47, v53
	v_dual_add_f32 v51, v47, v49 :: v_dual_sub_f32 v50, v49, v50
	s_delay_alu instid0(VALU_DEP_2) | instskip(NEXT) | instid1(VALU_DEP_2)
	v_sub_f32_e32 v52, v52, v53
	v_sub_f32_e32 v54, v51, v47
	s_delay_alu instid0(VALU_DEP_3) | instskip(NEXT) | instid1(VALU_DEP_2)
	v_sub_f32_e32 v46, v46, v50
	v_sub_f32_e32 v55, v51, v54
	;; [unrolled: 1-line block ×3, first 2 shown]
	s_delay_alu instid0(VALU_DEP_2) | instskip(NEXT) | instid1(VALU_DEP_1)
	v_dual_add_f32 v50, v52, v46 :: v_dual_sub_f32 v47, v47, v55
	v_add_f32_e32 v47, v49, v47
	s_delay_alu instid0(VALU_DEP_2) | instskip(NEXT) | instid1(VALU_DEP_2)
	v_sub_f32_e32 v49, v50, v52
	v_add_f32_e32 v47, v50, v47
	s_delay_alu instid0(VALU_DEP_2) | instskip(NEXT) | instid1(VALU_DEP_2)
	v_sub_f32_e32 v50, v50, v49
	v_dual_sub_f32 v46, v46, v49 :: v_dual_add_f32 v53, v51, v47
	s_delay_alu instid0(VALU_DEP_1) | instskip(NEXT) | instid1(VALU_DEP_1)
	v_dual_sub_f32 v50, v52, v50 :: v_dual_sub_f32 v49, v53, v51
	v_dual_add_f32 v46, v46, v50 :: v_dual_sub_f32 v47, v47, v49
	s_delay_alu instid0(VALU_DEP_1) | instskip(NEXT) | instid1(VALU_DEP_1)
	v_add_f32_e32 v46, v46, v47
	v_add_f32_e32 v46, v53, v46
	s_wait_alu 0xfffd
	s_delay_alu instid0(VALU_DEP_1) | instskip(SKIP_2) | instid1(VALU_DEP_2)
	v_cndmask_b32_e32 v46, 0x7f800000, v46, vcc_lo
	v_cmp_gt_f32_e64 vcc_lo, 0x33800000, |v48|
	s_wait_alu 0xfffd
	v_cndmask_b32_e32 v46, v46, v48, vcc_lo
	s_delay_alu instid0(VALU_DEP_1) | instskip(NEXT) | instid1(VALU_DEP_1)
	v_add_f32_e32 v10, v10, v46
	v_cvt_f16_f32_e32 v47, v10
.LBB356_143:                            ;   in Loop: Header=BB356_135 Depth=1
	s_wait_alu 0xfffe
	s_or_b32 exec_lo, exec_lo, s25
	s_delay_alu instid0(VALU_DEP_1)
	v_and_b32_e32 v10, 0xffff, v47
	v_mov_b32_e32 v46, v47
.LBB356_144:                            ;   in Loop: Header=BB356_135 Depth=1
	s_wait_alu 0xfffe
	s_or_b32 exec_lo, exec_lo, s23
	s_wait_dscnt 0x0
	ds_bpermute_b32 v47, v37, v10
	s_mov_b32 s23, exec_lo
	v_cmpx_le_u32_e64 v38, v9
	s_cbranch_execz .LBB356_148
; %bb.145:                              ;   in Loop: Header=BB356_135 Depth=1
	s_wait_dscnt 0x0
	v_cvt_f32_f16_e32 v10, v47
	v_cvt_f32_f16_e32 v48, v46
	v_cmp_u_f16_e32 vcc_lo, v47, v47
	s_delay_alu instid0(VALU_DEP_2) | instskip(SKIP_1) | instid1(VALU_DEP_1)
	v_min_num_f32_e32 v49, v10, v48
	s_wait_alu 0xfffd
	v_dual_max_num_f32 v50, v10, v48 :: v_dual_cndmask_b32 v49, v49, v10
	s_delay_alu instid0(VALU_DEP_1) | instskip(SKIP_2) | instid1(VALU_DEP_3)
	v_cndmask_b32_e32 v10, v50, v10, vcc_lo
	v_cmp_u_f16_e32 vcc_lo, v46, v46
	s_wait_alu 0xfffd
	v_cndmask_b32_e32 v46, v49, v48, vcc_lo
	s_delay_alu instid0(VALU_DEP_3) | instskip(NEXT) | instid1(VALU_DEP_2)
	v_cndmask_b32_e32 v10, v10, v48, vcc_lo
	v_cmp_class_f32_e64 s25, v46, 0x1f8
	s_delay_alu instid0(VALU_DEP_2) | instskip(SKIP_1) | instid1(SALU_CYCLE_1)
	v_cmp_neq_f32_e32 vcc_lo, v46, v10
	s_or_b32 s26, vcc_lo, s25
	s_and_saveexec_b32 s25, s26
	s_cbranch_execz .LBB356_147
; %bb.146:                              ;   in Loop: Header=BB356_135 Depth=1
	v_sub_f32_e32 v46, v46, v10
	s_delay_alu instid0(VALU_DEP_1) | instskip(NEXT) | instid1(VALU_DEP_1)
	v_mul_f32_e32 v47, 0x3fb8aa3b, v46
	v_fma_f32 v48, 0x3fb8aa3b, v46, -v47
	v_rndne_f32_e32 v49, v47
	s_delay_alu instid0(VALU_DEP_1) | instskip(SKIP_1) | instid1(VALU_DEP_4)
	v_sub_f32_e32 v47, v47, v49
	v_cmp_ngt_f32_e32 vcc_lo, 0xc2ce8ed0, v46
	v_fmac_f32_e32 v48, 0x32a5705f, v46
	s_delay_alu instid0(VALU_DEP_1) | instskip(SKIP_1) | instid1(VALU_DEP_2)
	v_add_f32_e32 v47, v47, v48
	v_cvt_i32_f32_e32 v48, v49
	v_exp_f32_e32 v47, v47
	s_delay_alu instid0(TRANS32_DEP_1) | instskip(SKIP_1) | instid1(VALU_DEP_1)
	v_ldexp_f32 v47, v47, v48
	s_wait_alu 0xfffd
	v_cndmask_b32_e32 v47, 0, v47, vcc_lo
	v_cmp_nlt_f32_e32 vcc_lo, 0x42b17218, v46
	s_wait_alu 0xfffd
	s_delay_alu instid0(VALU_DEP_2) | instskip(NEXT) | instid1(VALU_DEP_1)
	v_cndmask_b32_e32 v48, 0x7f800000, v47, vcc_lo
	v_add_f32_e32 v49, 1.0, v48
	s_delay_alu instid0(VALU_DEP_1) | instskip(NEXT) | instid1(VALU_DEP_1)
	v_cvt_f64_f32_e32 v[46:47], v49
	v_frexp_exp_i32_f64_e32 v46, v[46:47]
	v_frexp_mant_f32_e32 v47, v49
	s_delay_alu instid0(VALU_DEP_1) | instskip(SKIP_1) | instid1(VALU_DEP_1)
	v_cmp_gt_f32_e32 vcc_lo, 0x3f2aaaab, v47
	v_add_f32_e32 v47, -1.0, v49
	v_sub_f32_e32 v51, v47, v49
	v_sub_f32_e32 v47, v48, v47
	s_wait_alu 0xfffd
	v_subrev_co_ci_u32_e64 v46, null, 0, v46, vcc_lo
	v_cmp_neq_f32_e32 vcc_lo, 0x7f800000, v48
	s_delay_alu instid0(VALU_DEP_2) | instskip(SKIP_1) | instid1(VALU_DEP_2)
	v_sub_nc_u32_e32 v50, 0, v46
	v_cvt_f32_i32_e32 v46, v46
	v_ldexp_f32 v49, v49, v50
	s_delay_alu instid0(VALU_DEP_1) | instskip(NEXT) | instid1(VALU_DEP_1)
	v_dual_add_f32 v52, 1.0, v49 :: v_dual_add_f32 v51, 1.0, v51
	v_add_f32_e32 v47, v47, v51
	s_delay_alu instid0(VALU_DEP_2) | instskip(NEXT) | instid1(VALU_DEP_2)
	v_add_f32_e32 v51, -1.0, v52
	v_ldexp_f32 v47, v47, v50
	s_delay_alu instid0(VALU_DEP_2) | instskip(NEXT) | instid1(VALU_DEP_1)
	v_dual_add_f32 v50, -1.0, v49 :: v_dual_sub_f32 v51, v49, v51
	v_add_f32_e32 v53, 1.0, v50
	s_delay_alu instid0(VALU_DEP_2) | instskip(NEXT) | instid1(VALU_DEP_2)
	v_add_f32_e32 v51, v47, v51
	v_sub_f32_e32 v49, v49, v53
	s_delay_alu instid0(VALU_DEP_2) | instskip(NEXT) | instid1(VALU_DEP_2)
	v_add_f32_e32 v53, v52, v51
	v_add_f32_e32 v47, v47, v49
	s_delay_alu instid0(VALU_DEP_2) | instskip(SKIP_1) | instid1(VALU_DEP_1)
	v_rcp_f32_e32 v49, v53
	v_sub_f32_e32 v52, v52, v53
	v_dual_add_f32 v54, v50, v47 :: v_dual_add_f32 v51, v51, v52
	s_delay_alu instid0(VALU_DEP_1) | instskip(NEXT) | instid1(TRANS32_DEP_1)
	v_sub_f32_e32 v50, v50, v54
	v_mul_f32_e32 v55, v54, v49
	s_delay_alu instid0(VALU_DEP_1) | instskip(NEXT) | instid1(VALU_DEP_1)
	v_dual_add_f32 v47, v47, v50 :: v_dual_mul_f32 v56, v53, v55
	v_fma_f32 v52, v55, v53, -v56
	s_delay_alu instid0(VALU_DEP_1) | instskip(NEXT) | instid1(VALU_DEP_1)
	v_fmac_f32_e32 v52, v55, v51
	v_add_f32_e32 v57, v56, v52
	s_delay_alu instid0(VALU_DEP_1) | instskip(SKIP_1) | instid1(VALU_DEP_2)
	v_sub_f32_e32 v58, v54, v57
	v_sub_f32_e32 v50, v57, v56
	;; [unrolled: 1-line block ×3, first 2 shown]
	s_delay_alu instid0(VALU_DEP_2) | instskip(NEXT) | instid1(VALU_DEP_2)
	v_sub_f32_e32 v50, v50, v52
	v_sub_f32_e32 v54, v54, v57
	s_delay_alu instid0(VALU_DEP_1) | instskip(NEXT) | instid1(VALU_DEP_1)
	v_add_f32_e32 v47, v47, v54
	v_add_f32_e32 v47, v50, v47
	s_delay_alu instid0(VALU_DEP_1) | instskip(NEXT) | instid1(VALU_DEP_1)
	v_add_f32_e32 v50, v58, v47
	v_mul_f32_e32 v52, v49, v50
	s_delay_alu instid0(VALU_DEP_1) | instskip(NEXT) | instid1(VALU_DEP_1)
	v_dual_sub_f32 v57, v58, v50 :: v_dual_mul_f32 v54, v53, v52
	v_add_f32_e32 v47, v47, v57
	s_delay_alu instid0(VALU_DEP_2) | instskip(NEXT) | instid1(VALU_DEP_1)
	v_fma_f32 v53, v52, v53, -v54
	v_fmac_f32_e32 v53, v52, v51
	s_delay_alu instid0(VALU_DEP_1) | instskip(NEXT) | instid1(VALU_DEP_1)
	v_add_f32_e32 v51, v54, v53
	v_sub_f32_e32 v56, v50, v51
	v_sub_f32_e32 v54, v51, v54
	s_delay_alu instid0(VALU_DEP_2) | instskip(NEXT) | instid1(VALU_DEP_1)
	v_sub_f32_e32 v50, v50, v56
	v_sub_f32_e32 v50, v50, v51
	s_delay_alu instid0(VALU_DEP_3) | instskip(NEXT) | instid1(VALU_DEP_2)
	v_sub_f32_e32 v51, v54, v53
	v_add_f32_e32 v47, v47, v50
	v_add_f32_e32 v50, v55, v52
	s_delay_alu instid0(VALU_DEP_2) | instskip(NEXT) | instid1(VALU_DEP_2)
	v_add_f32_e32 v47, v51, v47
	v_sub_f32_e32 v51, v50, v55
	s_delay_alu instid0(VALU_DEP_2) | instskip(NEXT) | instid1(VALU_DEP_2)
	v_add_f32_e32 v47, v56, v47
	v_sub_f32_e32 v51, v52, v51
	s_delay_alu instid0(VALU_DEP_2) | instskip(NEXT) | instid1(VALU_DEP_1)
	v_mul_f32_e32 v47, v49, v47
	v_add_f32_e32 v47, v51, v47
	s_delay_alu instid0(VALU_DEP_1) | instskip(NEXT) | instid1(VALU_DEP_1)
	v_add_f32_e32 v49, v50, v47
	v_mul_f32_e32 v51, v49, v49
	s_delay_alu instid0(VALU_DEP_1) | instskip(SKIP_1) | instid1(VALU_DEP_2)
	v_fmaak_f32 v52, s22, v51, 0x3ecc95a3
	v_mul_f32_e32 v53, v49, v51
	v_fmaak_f32 v51, v51, v52, 0x3f2aaada
	v_ldexp_f32 v52, v49, 1
	v_sub_f32_e32 v49, v49, v50
	s_delay_alu instid0(VALU_DEP_3) | instskip(SKIP_1) | instid1(VALU_DEP_2)
	v_mul_f32_e32 v51, v53, v51
	v_mul_f32_e32 v53, 0x3f317218, v46
	v_dual_sub_f32 v47, v47, v49 :: v_dual_add_f32 v50, v52, v51
	s_delay_alu instid0(VALU_DEP_1) | instskip(NEXT) | instid1(VALU_DEP_2)
	v_ldexp_f32 v47, v47, 1
	v_sub_f32_e32 v49, v50, v52
	s_delay_alu instid0(VALU_DEP_4) | instskip(NEXT) | instid1(VALU_DEP_1)
	v_fma_f32 v52, 0x3f317218, v46, -v53
	v_dual_sub_f32 v49, v51, v49 :: v_dual_fmac_f32 v52, 0xb102e308, v46
	s_delay_alu instid0(VALU_DEP_1) | instskip(NEXT) | instid1(VALU_DEP_1)
	v_dual_add_f32 v46, v47, v49 :: v_dual_add_f32 v47, v53, v52
	v_add_f32_e32 v49, v50, v46
	s_delay_alu instid0(VALU_DEP_2) | instskip(NEXT) | instid1(VALU_DEP_2)
	v_sub_f32_e32 v53, v47, v53
	v_dual_add_f32 v51, v47, v49 :: v_dual_sub_f32 v50, v49, v50
	s_delay_alu instid0(VALU_DEP_2) | instskip(NEXT) | instid1(VALU_DEP_2)
	v_sub_f32_e32 v52, v52, v53
	v_sub_f32_e32 v54, v51, v47
	s_delay_alu instid0(VALU_DEP_3) | instskip(NEXT) | instid1(VALU_DEP_2)
	v_sub_f32_e32 v46, v46, v50
	v_sub_f32_e32 v55, v51, v54
	;; [unrolled: 1-line block ×3, first 2 shown]
	s_delay_alu instid0(VALU_DEP_2) | instskip(NEXT) | instid1(VALU_DEP_1)
	v_dual_add_f32 v50, v52, v46 :: v_dual_sub_f32 v47, v47, v55
	v_add_f32_e32 v47, v49, v47
	s_delay_alu instid0(VALU_DEP_2) | instskip(NEXT) | instid1(VALU_DEP_2)
	v_sub_f32_e32 v49, v50, v52
	v_add_f32_e32 v47, v50, v47
	s_delay_alu instid0(VALU_DEP_2) | instskip(NEXT) | instid1(VALU_DEP_2)
	v_sub_f32_e32 v50, v50, v49
	v_dual_sub_f32 v46, v46, v49 :: v_dual_add_f32 v53, v51, v47
	s_delay_alu instid0(VALU_DEP_1) | instskip(NEXT) | instid1(VALU_DEP_1)
	v_dual_sub_f32 v50, v52, v50 :: v_dual_sub_f32 v49, v53, v51
	v_dual_add_f32 v46, v46, v50 :: v_dual_sub_f32 v47, v47, v49
	s_delay_alu instid0(VALU_DEP_1) | instskip(NEXT) | instid1(VALU_DEP_1)
	v_add_f32_e32 v46, v46, v47
	v_add_f32_e32 v46, v53, v46
	s_wait_alu 0xfffd
	s_delay_alu instid0(VALU_DEP_1) | instskip(SKIP_2) | instid1(VALU_DEP_2)
	v_cndmask_b32_e32 v46, 0x7f800000, v46, vcc_lo
	v_cmp_gt_f32_e64 vcc_lo, 0x33800000, |v48|
	s_wait_alu 0xfffd
	v_cndmask_b32_e32 v46, v46, v48, vcc_lo
	s_delay_alu instid0(VALU_DEP_1) | instskip(NEXT) | instid1(VALU_DEP_1)
	v_add_f32_e32 v10, v10, v46
	v_cvt_f16_f32_e32 v47, v10
.LBB356_147:                            ;   in Loop: Header=BB356_135 Depth=1
	s_wait_alu 0xfffe
	s_or_b32 exec_lo, exec_lo, s25
	s_delay_alu instid0(VALU_DEP_1)
	v_and_b32_e32 v10, 0xffff, v47
	v_mov_b32_e32 v46, v47
.LBB356_148:                            ;   in Loop: Header=BB356_135 Depth=1
	s_wait_alu 0xfffe
	s_or_b32 exec_lo, exec_lo, s23
	s_wait_dscnt 0x0
	ds_bpermute_b32 v47, v39, v10
	s_mov_b32 s23, exec_lo
	v_cmpx_le_u32_e64 v40, v9
	s_cbranch_execz .LBB356_152
; %bb.149:                              ;   in Loop: Header=BB356_135 Depth=1
	s_wait_dscnt 0x0
	v_cvt_f32_f16_e32 v10, v47
	v_cvt_f32_f16_e32 v48, v46
	v_cmp_u_f16_e32 vcc_lo, v47, v47
	s_delay_alu instid0(VALU_DEP_2) | instskip(SKIP_1) | instid1(VALU_DEP_1)
	v_min_num_f32_e32 v49, v10, v48
	s_wait_alu 0xfffd
	v_dual_max_num_f32 v50, v10, v48 :: v_dual_cndmask_b32 v49, v49, v10
	s_delay_alu instid0(VALU_DEP_1) | instskip(SKIP_2) | instid1(VALU_DEP_3)
	v_cndmask_b32_e32 v10, v50, v10, vcc_lo
	v_cmp_u_f16_e32 vcc_lo, v46, v46
	s_wait_alu 0xfffd
	v_cndmask_b32_e32 v46, v49, v48, vcc_lo
	s_delay_alu instid0(VALU_DEP_3) | instskip(NEXT) | instid1(VALU_DEP_2)
	v_cndmask_b32_e32 v10, v10, v48, vcc_lo
	v_cmp_class_f32_e64 s25, v46, 0x1f8
	s_delay_alu instid0(VALU_DEP_2) | instskip(SKIP_1) | instid1(SALU_CYCLE_1)
	v_cmp_neq_f32_e32 vcc_lo, v46, v10
	s_or_b32 s26, vcc_lo, s25
	s_and_saveexec_b32 s25, s26
	s_cbranch_execz .LBB356_151
; %bb.150:                              ;   in Loop: Header=BB356_135 Depth=1
	v_sub_f32_e32 v46, v46, v10
	s_delay_alu instid0(VALU_DEP_1) | instskip(NEXT) | instid1(VALU_DEP_1)
	v_mul_f32_e32 v47, 0x3fb8aa3b, v46
	v_fma_f32 v48, 0x3fb8aa3b, v46, -v47
	v_rndne_f32_e32 v49, v47
	s_delay_alu instid0(VALU_DEP_1) | instskip(SKIP_1) | instid1(VALU_DEP_4)
	v_sub_f32_e32 v47, v47, v49
	v_cmp_ngt_f32_e32 vcc_lo, 0xc2ce8ed0, v46
	v_fmac_f32_e32 v48, 0x32a5705f, v46
	s_delay_alu instid0(VALU_DEP_1) | instskip(SKIP_1) | instid1(VALU_DEP_2)
	v_add_f32_e32 v47, v47, v48
	v_cvt_i32_f32_e32 v48, v49
	v_exp_f32_e32 v47, v47
	s_delay_alu instid0(TRANS32_DEP_1) | instskip(SKIP_1) | instid1(VALU_DEP_1)
	v_ldexp_f32 v47, v47, v48
	s_wait_alu 0xfffd
	v_cndmask_b32_e32 v47, 0, v47, vcc_lo
	v_cmp_nlt_f32_e32 vcc_lo, 0x42b17218, v46
	s_wait_alu 0xfffd
	s_delay_alu instid0(VALU_DEP_2) | instskip(NEXT) | instid1(VALU_DEP_1)
	v_cndmask_b32_e32 v48, 0x7f800000, v47, vcc_lo
	v_add_f32_e32 v49, 1.0, v48
	s_delay_alu instid0(VALU_DEP_1) | instskip(NEXT) | instid1(VALU_DEP_1)
	v_cvt_f64_f32_e32 v[46:47], v49
	v_frexp_exp_i32_f64_e32 v46, v[46:47]
	v_frexp_mant_f32_e32 v47, v49
	s_delay_alu instid0(VALU_DEP_1) | instskip(SKIP_1) | instid1(VALU_DEP_1)
	v_cmp_gt_f32_e32 vcc_lo, 0x3f2aaaab, v47
	v_add_f32_e32 v47, -1.0, v49
	v_sub_f32_e32 v51, v47, v49
	v_sub_f32_e32 v47, v48, v47
	s_wait_alu 0xfffd
	v_subrev_co_ci_u32_e64 v46, null, 0, v46, vcc_lo
	v_cmp_neq_f32_e32 vcc_lo, 0x7f800000, v48
	s_delay_alu instid0(VALU_DEP_2) | instskip(SKIP_1) | instid1(VALU_DEP_2)
	v_sub_nc_u32_e32 v50, 0, v46
	v_cvt_f32_i32_e32 v46, v46
	v_ldexp_f32 v49, v49, v50
	s_delay_alu instid0(VALU_DEP_1) | instskip(NEXT) | instid1(VALU_DEP_1)
	v_dual_add_f32 v52, 1.0, v49 :: v_dual_add_f32 v51, 1.0, v51
	v_add_f32_e32 v47, v47, v51
	s_delay_alu instid0(VALU_DEP_2) | instskip(NEXT) | instid1(VALU_DEP_2)
	v_add_f32_e32 v51, -1.0, v52
	v_ldexp_f32 v47, v47, v50
	s_delay_alu instid0(VALU_DEP_2) | instskip(NEXT) | instid1(VALU_DEP_1)
	v_dual_add_f32 v50, -1.0, v49 :: v_dual_sub_f32 v51, v49, v51
	v_add_f32_e32 v53, 1.0, v50
	s_delay_alu instid0(VALU_DEP_2) | instskip(NEXT) | instid1(VALU_DEP_2)
	v_add_f32_e32 v51, v47, v51
	v_sub_f32_e32 v49, v49, v53
	s_delay_alu instid0(VALU_DEP_2) | instskip(NEXT) | instid1(VALU_DEP_2)
	v_add_f32_e32 v53, v52, v51
	v_add_f32_e32 v47, v47, v49
	s_delay_alu instid0(VALU_DEP_2) | instskip(SKIP_1) | instid1(VALU_DEP_1)
	v_rcp_f32_e32 v49, v53
	v_sub_f32_e32 v52, v52, v53
	v_dual_add_f32 v54, v50, v47 :: v_dual_add_f32 v51, v51, v52
	s_delay_alu instid0(VALU_DEP_1) | instskip(NEXT) | instid1(TRANS32_DEP_1)
	v_sub_f32_e32 v50, v50, v54
	v_mul_f32_e32 v55, v54, v49
	s_delay_alu instid0(VALU_DEP_1) | instskip(NEXT) | instid1(VALU_DEP_1)
	v_dual_add_f32 v47, v47, v50 :: v_dual_mul_f32 v56, v53, v55
	v_fma_f32 v52, v55, v53, -v56
	s_delay_alu instid0(VALU_DEP_1) | instskip(NEXT) | instid1(VALU_DEP_1)
	v_fmac_f32_e32 v52, v55, v51
	v_add_f32_e32 v57, v56, v52
	s_delay_alu instid0(VALU_DEP_1) | instskip(SKIP_1) | instid1(VALU_DEP_2)
	v_sub_f32_e32 v58, v54, v57
	v_sub_f32_e32 v50, v57, v56
	;; [unrolled: 1-line block ×3, first 2 shown]
	s_delay_alu instid0(VALU_DEP_2) | instskip(NEXT) | instid1(VALU_DEP_2)
	v_sub_f32_e32 v50, v50, v52
	v_sub_f32_e32 v54, v54, v57
	s_delay_alu instid0(VALU_DEP_1) | instskip(NEXT) | instid1(VALU_DEP_1)
	v_add_f32_e32 v47, v47, v54
	v_add_f32_e32 v47, v50, v47
	s_delay_alu instid0(VALU_DEP_1) | instskip(NEXT) | instid1(VALU_DEP_1)
	v_add_f32_e32 v50, v58, v47
	v_mul_f32_e32 v52, v49, v50
	s_delay_alu instid0(VALU_DEP_1) | instskip(NEXT) | instid1(VALU_DEP_1)
	v_dual_sub_f32 v57, v58, v50 :: v_dual_mul_f32 v54, v53, v52
	v_add_f32_e32 v47, v47, v57
	s_delay_alu instid0(VALU_DEP_2) | instskip(NEXT) | instid1(VALU_DEP_1)
	v_fma_f32 v53, v52, v53, -v54
	v_fmac_f32_e32 v53, v52, v51
	s_delay_alu instid0(VALU_DEP_1) | instskip(NEXT) | instid1(VALU_DEP_1)
	v_add_f32_e32 v51, v54, v53
	v_sub_f32_e32 v56, v50, v51
	v_sub_f32_e32 v54, v51, v54
	s_delay_alu instid0(VALU_DEP_2) | instskip(NEXT) | instid1(VALU_DEP_1)
	v_sub_f32_e32 v50, v50, v56
	v_sub_f32_e32 v50, v50, v51
	s_delay_alu instid0(VALU_DEP_3) | instskip(NEXT) | instid1(VALU_DEP_2)
	v_sub_f32_e32 v51, v54, v53
	v_add_f32_e32 v47, v47, v50
	v_add_f32_e32 v50, v55, v52
	s_delay_alu instid0(VALU_DEP_2) | instskip(NEXT) | instid1(VALU_DEP_2)
	v_add_f32_e32 v47, v51, v47
	v_sub_f32_e32 v51, v50, v55
	s_delay_alu instid0(VALU_DEP_2) | instskip(NEXT) | instid1(VALU_DEP_2)
	v_add_f32_e32 v47, v56, v47
	v_sub_f32_e32 v51, v52, v51
	s_delay_alu instid0(VALU_DEP_2) | instskip(NEXT) | instid1(VALU_DEP_1)
	v_mul_f32_e32 v47, v49, v47
	v_add_f32_e32 v47, v51, v47
	s_delay_alu instid0(VALU_DEP_1) | instskip(NEXT) | instid1(VALU_DEP_1)
	v_add_f32_e32 v49, v50, v47
	v_mul_f32_e32 v51, v49, v49
	s_delay_alu instid0(VALU_DEP_1) | instskip(SKIP_1) | instid1(VALU_DEP_2)
	v_fmaak_f32 v52, s22, v51, 0x3ecc95a3
	v_mul_f32_e32 v53, v49, v51
	v_fmaak_f32 v51, v51, v52, 0x3f2aaada
	v_ldexp_f32 v52, v49, 1
	v_sub_f32_e32 v49, v49, v50
	s_delay_alu instid0(VALU_DEP_3) | instskip(SKIP_1) | instid1(VALU_DEP_2)
	v_mul_f32_e32 v51, v53, v51
	v_mul_f32_e32 v53, 0x3f317218, v46
	v_dual_sub_f32 v47, v47, v49 :: v_dual_add_f32 v50, v52, v51
	s_delay_alu instid0(VALU_DEP_1) | instskip(NEXT) | instid1(VALU_DEP_2)
	v_ldexp_f32 v47, v47, 1
	v_sub_f32_e32 v49, v50, v52
	s_delay_alu instid0(VALU_DEP_4) | instskip(NEXT) | instid1(VALU_DEP_1)
	v_fma_f32 v52, 0x3f317218, v46, -v53
	v_dual_sub_f32 v49, v51, v49 :: v_dual_fmac_f32 v52, 0xb102e308, v46
	s_delay_alu instid0(VALU_DEP_1) | instskip(NEXT) | instid1(VALU_DEP_1)
	v_dual_add_f32 v46, v47, v49 :: v_dual_add_f32 v47, v53, v52
	v_add_f32_e32 v49, v50, v46
	s_delay_alu instid0(VALU_DEP_2) | instskip(NEXT) | instid1(VALU_DEP_2)
	v_sub_f32_e32 v53, v47, v53
	v_dual_add_f32 v51, v47, v49 :: v_dual_sub_f32 v50, v49, v50
	s_delay_alu instid0(VALU_DEP_2) | instskip(NEXT) | instid1(VALU_DEP_2)
	v_sub_f32_e32 v52, v52, v53
	v_sub_f32_e32 v54, v51, v47
	s_delay_alu instid0(VALU_DEP_3) | instskip(NEXT) | instid1(VALU_DEP_2)
	v_sub_f32_e32 v46, v46, v50
	v_sub_f32_e32 v55, v51, v54
	;; [unrolled: 1-line block ×3, first 2 shown]
	s_delay_alu instid0(VALU_DEP_2) | instskip(NEXT) | instid1(VALU_DEP_1)
	v_dual_add_f32 v50, v52, v46 :: v_dual_sub_f32 v47, v47, v55
	v_add_f32_e32 v47, v49, v47
	s_delay_alu instid0(VALU_DEP_2) | instskip(NEXT) | instid1(VALU_DEP_2)
	v_sub_f32_e32 v49, v50, v52
	v_add_f32_e32 v47, v50, v47
	s_delay_alu instid0(VALU_DEP_2) | instskip(NEXT) | instid1(VALU_DEP_2)
	v_sub_f32_e32 v50, v50, v49
	v_dual_sub_f32 v46, v46, v49 :: v_dual_add_f32 v53, v51, v47
	s_delay_alu instid0(VALU_DEP_1) | instskip(NEXT) | instid1(VALU_DEP_1)
	v_dual_sub_f32 v50, v52, v50 :: v_dual_sub_f32 v49, v53, v51
	v_dual_add_f32 v46, v46, v50 :: v_dual_sub_f32 v47, v47, v49
	s_delay_alu instid0(VALU_DEP_1) | instskip(NEXT) | instid1(VALU_DEP_1)
	v_add_f32_e32 v46, v46, v47
	v_add_f32_e32 v46, v53, v46
	s_wait_alu 0xfffd
	s_delay_alu instid0(VALU_DEP_1) | instskip(SKIP_2) | instid1(VALU_DEP_2)
	v_cndmask_b32_e32 v46, 0x7f800000, v46, vcc_lo
	v_cmp_gt_f32_e64 vcc_lo, 0x33800000, |v48|
	s_wait_alu 0xfffd
	v_cndmask_b32_e32 v46, v46, v48, vcc_lo
	s_delay_alu instid0(VALU_DEP_1) | instskip(NEXT) | instid1(VALU_DEP_1)
	v_add_f32_e32 v10, v10, v46
	v_cvt_f16_f32_e32 v47, v10
.LBB356_151:                            ;   in Loop: Header=BB356_135 Depth=1
	s_wait_alu 0xfffe
	s_or_b32 exec_lo, exec_lo, s25
	s_delay_alu instid0(VALU_DEP_1)
	v_and_b32_e32 v10, 0xffff, v47
	v_mov_b32_e32 v46, v47
.LBB356_152:                            ;   in Loop: Header=BB356_135 Depth=1
	s_wait_alu 0xfffe
	s_or_b32 exec_lo, exec_lo, s23
	s_wait_dscnt 0x0
	ds_bpermute_b32 v47, v41, v10
	s_mov_b32 s23, exec_lo
	v_cmpx_le_u32_e64 v42, v9
	s_cbranch_execz .LBB356_156
; %bb.153:                              ;   in Loop: Header=BB356_135 Depth=1
	s_wait_dscnt 0x0
	v_cvt_f32_f16_e32 v10, v47
	v_cvt_f32_f16_e32 v48, v46
	v_cmp_u_f16_e32 vcc_lo, v47, v47
	s_delay_alu instid0(VALU_DEP_2) | instskip(SKIP_1) | instid1(VALU_DEP_1)
	v_min_num_f32_e32 v49, v10, v48
	s_wait_alu 0xfffd
	v_dual_max_num_f32 v50, v10, v48 :: v_dual_cndmask_b32 v49, v49, v10
	s_delay_alu instid0(VALU_DEP_1) | instskip(SKIP_2) | instid1(VALU_DEP_3)
	v_cndmask_b32_e32 v10, v50, v10, vcc_lo
	v_cmp_u_f16_e32 vcc_lo, v46, v46
	s_wait_alu 0xfffd
	v_cndmask_b32_e32 v46, v49, v48, vcc_lo
	s_delay_alu instid0(VALU_DEP_3) | instskip(NEXT) | instid1(VALU_DEP_2)
	v_cndmask_b32_e32 v10, v10, v48, vcc_lo
	v_cmp_class_f32_e64 s25, v46, 0x1f8
	s_delay_alu instid0(VALU_DEP_2) | instskip(SKIP_1) | instid1(SALU_CYCLE_1)
	v_cmp_neq_f32_e32 vcc_lo, v46, v10
	s_or_b32 s26, vcc_lo, s25
	s_and_saveexec_b32 s25, s26
	s_cbranch_execz .LBB356_155
; %bb.154:                              ;   in Loop: Header=BB356_135 Depth=1
	v_sub_f32_e32 v46, v46, v10
	s_delay_alu instid0(VALU_DEP_1) | instskip(NEXT) | instid1(VALU_DEP_1)
	v_mul_f32_e32 v47, 0x3fb8aa3b, v46
	v_fma_f32 v48, 0x3fb8aa3b, v46, -v47
	v_rndne_f32_e32 v49, v47
	s_delay_alu instid0(VALU_DEP_1) | instskip(SKIP_1) | instid1(VALU_DEP_4)
	v_sub_f32_e32 v47, v47, v49
	v_cmp_ngt_f32_e32 vcc_lo, 0xc2ce8ed0, v46
	v_fmac_f32_e32 v48, 0x32a5705f, v46
	s_delay_alu instid0(VALU_DEP_1) | instskip(SKIP_1) | instid1(VALU_DEP_2)
	v_add_f32_e32 v47, v47, v48
	v_cvt_i32_f32_e32 v48, v49
	v_exp_f32_e32 v47, v47
	s_delay_alu instid0(TRANS32_DEP_1) | instskip(SKIP_1) | instid1(VALU_DEP_1)
	v_ldexp_f32 v47, v47, v48
	s_wait_alu 0xfffd
	v_cndmask_b32_e32 v47, 0, v47, vcc_lo
	v_cmp_nlt_f32_e32 vcc_lo, 0x42b17218, v46
	s_wait_alu 0xfffd
	s_delay_alu instid0(VALU_DEP_2) | instskip(NEXT) | instid1(VALU_DEP_1)
	v_cndmask_b32_e32 v48, 0x7f800000, v47, vcc_lo
	v_add_f32_e32 v49, 1.0, v48
	s_delay_alu instid0(VALU_DEP_1) | instskip(NEXT) | instid1(VALU_DEP_1)
	v_cvt_f64_f32_e32 v[46:47], v49
	v_frexp_exp_i32_f64_e32 v46, v[46:47]
	v_frexp_mant_f32_e32 v47, v49
	s_delay_alu instid0(VALU_DEP_1) | instskip(SKIP_1) | instid1(VALU_DEP_1)
	v_cmp_gt_f32_e32 vcc_lo, 0x3f2aaaab, v47
	v_add_f32_e32 v47, -1.0, v49
	v_sub_f32_e32 v51, v47, v49
	v_sub_f32_e32 v47, v48, v47
	s_wait_alu 0xfffd
	v_subrev_co_ci_u32_e64 v46, null, 0, v46, vcc_lo
	v_cmp_neq_f32_e32 vcc_lo, 0x7f800000, v48
	s_delay_alu instid0(VALU_DEP_2) | instskip(SKIP_1) | instid1(VALU_DEP_2)
	v_sub_nc_u32_e32 v50, 0, v46
	v_cvt_f32_i32_e32 v46, v46
	v_ldexp_f32 v49, v49, v50
	s_delay_alu instid0(VALU_DEP_1) | instskip(NEXT) | instid1(VALU_DEP_1)
	v_dual_add_f32 v52, 1.0, v49 :: v_dual_add_f32 v51, 1.0, v51
	v_add_f32_e32 v47, v47, v51
	s_delay_alu instid0(VALU_DEP_2) | instskip(NEXT) | instid1(VALU_DEP_2)
	v_add_f32_e32 v51, -1.0, v52
	v_ldexp_f32 v47, v47, v50
	s_delay_alu instid0(VALU_DEP_2) | instskip(NEXT) | instid1(VALU_DEP_1)
	v_dual_add_f32 v50, -1.0, v49 :: v_dual_sub_f32 v51, v49, v51
	v_add_f32_e32 v53, 1.0, v50
	s_delay_alu instid0(VALU_DEP_2) | instskip(NEXT) | instid1(VALU_DEP_2)
	v_add_f32_e32 v51, v47, v51
	v_sub_f32_e32 v49, v49, v53
	s_delay_alu instid0(VALU_DEP_2) | instskip(NEXT) | instid1(VALU_DEP_2)
	v_add_f32_e32 v53, v52, v51
	v_add_f32_e32 v47, v47, v49
	s_delay_alu instid0(VALU_DEP_2) | instskip(SKIP_1) | instid1(VALU_DEP_1)
	v_rcp_f32_e32 v49, v53
	v_sub_f32_e32 v52, v52, v53
	v_dual_add_f32 v54, v50, v47 :: v_dual_add_f32 v51, v51, v52
	s_delay_alu instid0(VALU_DEP_1) | instskip(NEXT) | instid1(TRANS32_DEP_1)
	v_sub_f32_e32 v50, v50, v54
	v_mul_f32_e32 v55, v54, v49
	s_delay_alu instid0(VALU_DEP_1) | instskip(NEXT) | instid1(VALU_DEP_1)
	v_dual_add_f32 v47, v47, v50 :: v_dual_mul_f32 v56, v53, v55
	v_fma_f32 v52, v55, v53, -v56
	s_delay_alu instid0(VALU_DEP_1) | instskip(NEXT) | instid1(VALU_DEP_1)
	v_fmac_f32_e32 v52, v55, v51
	v_add_f32_e32 v57, v56, v52
	s_delay_alu instid0(VALU_DEP_1) | instskip(SKIP_1) | instid1(VALU_DEP_2)
	v_sub_f32_e32 v58, v54, v57
	v_sub_f32_e32 v50, v57, v56
	;; [unrolled: 1-line block ×3, first 2 shown]
	s_delay_alu instid0(VALU_DEP_2) | instskip(NEXT) | instid1(VALU_DEP_2)
	v_sub_f32_e32 v50, v50, v52
	v_sub_f32_e32 v54, v54, v57
	s_delay_alu instid0(VALU_DEP_1) | instskip(NEXT) | instid1(VALU_DEP_1)
	v_add_f32_e32 v47, v47, v54
	v_add_f32_e32 v47, v50, v47
	s_delay_alu instid0(VALU_DEP_1) | instskip(NEXT) | instid1(VALU_DEP_1)
	v_add_f32_e32 v50, v58, v47
	v_mul_f32_e32 v52, v49, v50
	s_delay_alu instid0(VALU_DEP_1) | instskip(NEXT) | instid1(VALU_DEP_1)
	v_dual_sub_f32 v57, v58, v50 :: v_dual_mul_f32 v54, v53, v52
	v_add_f32_e32 v47, v47, v57
	s_delay_alu instid0(VALU_DEP_2) | instskip(NEXT) | instid1(VALU_DEP_1)
	v_fma_f32 v53, v52, v53, -v54
	v_fmac_f32_e32 v53, v52, v51
	s_delay_alu instid0(VALU_DEP_1) | instskip(NEXT) | instid1(VALU_DEP_1)
	v_add_f32_e32 v51, v54, v53
	v_sub_f32_e32 v56, v50, v51
	v_sub_f32_e32 v54, v51, v54
	s_delay_alu instid0(VALU_DEP_2) | instskip(NEXT) | instid1(VALU_DEP_1)
	v_sub_f32_e32 v50, v50, v56
	v_sub_f32_e32 v50, v50, v51
	s_delay_alu instid0(VALU_DEP_3) | instskip(NEXT) | instid1(VALU_DEP_2)
	v_sub_f32_e32 v51, v54, v53
	v_add_f32_e32 v47, v47, v50
	v_add_f32_e32 v50, v55, v52
	s_delay_alu instid0(VALU_DEP_2) | instskip(NEXT) | instid1(VALU_DEP_2)
	v_add_f32_e32 v47, v51, v47
	v_sub_f32_e32 v51, v50, v55
	s_delay_alu instid0(VALU_DEP_2) | instskip(NEXT) | instid1(VALU_DEP_2)
	v_add_f32_e32 v47, v56, v47
	v_sub_f32_e32 v51, v52, v51
	s_delay_alu instid0(VALU_DEP_2) | instskip(NEXT) | instid1(VALU_DEP_1)
	v_mul_f32_e32 v47, v49, v47
	v_add_f32_e32 v47, v51, v47
	s_delay_alu instid0(VALU_DEP_1) | instskip(NEXT) | instid1(VALU_DEP_1)
	v_add_f32_e32 v49, v50, v47
	v_mul_f32_e32 v51, v49, v49
	s_delay_alu instid0(VALU_DEP_1) | instskip(SKIP_1) | instid1(VALU_DEP_2)
	v_fmaak_f32 v52, s22, v51, 0x3ecc95a3
	v_mul_f32_e32 v53, v49, v51
	v_fmaak_f32 v51, v51, v52, 0x3f2aaada
	v_ldexp_f32 v52, v49, 1
	v_sub_f32_e32 v49, v49, v50
	s_delay_alu instid0(VALU_DEP_3) | instskip(SKIP_1) | instid1(VALU_DEP_2)
	v_mul_f32_e32 v51, v53, v51
	v_mul_f32_e32 v53, 0x3f317218, v46
	v_dual_sub_f32 v47, v47, v49 :: v_dual_add_f32 v50, v52, v51
	s_delay_alu instid0(VALU_DEP_1) | instskip(NEXT) | instid1(VALU_DEP_2)
	v_ldexp_f32 v47, v47, 1
	v_sub_f32_e32 v49, v50, v52
	s_delay_alu instid0(VALU_DEP_4) | instskip(NEXT) | instid1(VALU_DEP_1)
	v_fma_f32 v52, 0x3f317218, v46, -v53
	v_dual_sub_f32 v49, v51, v49 :: v_dual_fmac_f32 v52, 0xb102e308, v46
	s_delay_alu instid0(VALU_DEP_1) | instskip(NEXT) | instid1(VALU_DEP_1)
	v_dual_add_f32 v46, v47, v49 :: v_dual_add_f32 v47, v53, v52
	v_add_f32_e32 v49, v50, v46
	s_delay_alu instid0(VALU_DEP_2) | instskip(NEXT) | instid1(VALU_DEP_2)
	v_sub_f32_e32 v53, v47, v53
	v_dual_add_f32 v51, v47, v49 :: v_dual_sub_f32 v50, v49, v50
	s_delay_alu instid0(VALU_DEP_2) | instskip(NEXT) | instid1(VALU_DEP_2)
	v_sub_f32_e32 v52, v52, v53
	v_sub_f32_e32 v54, v51, v47
	s_delay_alu instid0(VALU_DEP_3) | instskip(NEXT) | instid1(VALU_DEP_2)
	v_sub_f32_e32 v46, v46, v50
	v_sub_f32_e32 v55, v51, v54
	v_sub_f32_e32 v49, v49, v54
	s_delay_alu instid0(VALU_DEP_2) | instskip(NEXT) | instid1(VALU_DEP_1)
	v_dual_add_f32 v50, v52, v46 :: v_dual_sub_f32 v47, v47, v55
	v_add_f32_e32 v47, v49, v47
	s_delay_alu instid0(VALU_DEP_2) | instskip(NEXT) | instid1(VALU_DEP_2)
	v_sub_f32_e32 v49, v50, v52
	v_add_f32_e32 v47, v50, v47
	s_delay_alu instid0(VALU_DEP_2) | instskip(NEXT) | instid1(VALU_DEP_2)
	v_sub_f32_e32 v50, v50, v49
	v_dual_sub_f32 v46, v46, v49 :: v_dual_add_f32 v53, v51, v47
	s_delay_alu instid0(VALU_DEP_1) | instskip(NEXT) | instid1(VALU_DEP_1)
	v_dual_sub_f32 v50, v52, v50 :: v_dual_sub_f32 v49, v53, v51
	v_dual_add_f32 v46, v46, v50 :: v_dual_sub_f32 v47, v47, v49
	s_delay_alu instid0(VALU_DEP_1) | instskip(NEXT) | instid1(VALU_DEP_1)
	v_add_f32_e32 v46, v46, v47
	v_add_f32_e32 v46, v53, v46
	s_wait_alu 0xfffd
	s_delay_alu instid0(VALU_DEP_1) | instskip(SKIP_2) | instid1(VALU_DEP_2)
	v_cndmask_b32_e32 v46, 0x7f800000, v46, vcc_lo
	v_cmp_gt_f32_e64 vcc_lo, 0x33800000, |v48|
	s_wait_alu 0xfffd
	v_cndmask_b32_e32 v46, v46, v48, vcc_lo
	s_delay_alu instid0(VALU_DEP_1) | instskip(NEXT) | instid1(VALU_DEP_1)
	v_add_f32_e32 v10, v10, v46
	v_cvt_f16_f32_e32 v47, v10
.LBB356_155:                            ;   in Loop: Header=BB356_135 Depth=1
	s_wait_alu 0xfffe
	s_or_b32 exec_lo, exec_lo, s25
	s_delay_alu instid0(VALU_DEP_1)
	v_and_b32_e32 v10, 0xffff, v47
	v_mov_b32_e32 v46, v47
.LBB356_156:                            ;   in Loop: Header=BB356_135 Depth=1
	s_wait_alu 0xfffe
	s_or_b32 exec_lo, exec_lo, s23
	ds_bpermute_b32 v10, v44, v10
	s_mov_b32 s23, exec_lo
	v_cmpx_le_u32_e64 v45, v9
	s_cbranch_execz .LBB356_160
; %bb.157:                              ;   in Loop: Header=BB356_135 Depth=1
	s_wait_dscnt 0x0
	v_cvt_f32_f16_e32 v9, v10
	v_cvt_f32_f16_e32 v47, v46
	v_cmp_u_f16_e32 vcc_lo, v10, v10
	s_delay_alu instid0(VALU_DEP_2) | instskip(SKIP_1) | instid1(VALU_DEP_1)
	v_min_num_f32_e32 v48, v9, v47
	s_wait_alu 0xfffd
	v_dual_max_num_f32 v49, v9, v47 :: v_dual_cndmask_b32 v48, v48, v9
	s_delay_alu instid0(VALU_DEP_1) | instskip(SKIP_2) | instid1(VALU_DEP_3)
	v_cndmask_b32_e32 v9, v49, v9, vcc_lo
	v_cmp_u_f16_e32 vcc_lo, v46, v46
	s_wait_alu 0xfffd
	v_cndmask_b32_e32 v46, v48, v47, vcc_lo
	s_delay_alu instid0(VALU_DEP_3) | instskip(NEXT) | instid1(VALU_DEP_2)
	v_cndmask_b32_e32 v9, v9, v47, vcc_lo
	v_cmp_class_f32_e64 s25, v46, 0x1f8
	s_delay_alu instid0(VALU_DEP_2) | instskip(SKIP_1) | instid1(SALU_CYCLE_1)
	v_cmp_neq_f32_e32 vcc_lo, v46, v9
	s_or_b32 s26, vcc_lo, s25
	s_and_saveexec_b32 s25, s26
	s_cbranch_execz .LBB356_159
; %bb.158:                              ;   in Loop: Header=BB356_135 Depth=1
	v_sub_f32_e32 v10, v46, v9
	s_delay_alu instid0(VALU_DEP_1) | instskip(SKIP_1) | instid1(VALU_DEP_2)
	v_mul_f32_e32 v46, 0x3fb8aa3b, v10
	v_cmp_ngt_f32_e32 vcc_lo, 0xc2ce8ed0, v10
	v_fma_f32 v47, 0x3fb8aa3b, v10, -v46
	v_rndne_f32_e32 v48, v46
	s_delay_alu instid0(VALU_DEP_1) | instskip(NEXT) | instid1(VALU_DEP_1)
	v_dual_fmac_f32 v47, 0x32a5705f, v10 :: v_dual_sub_f32 v46, v46, v48
	v_add_f32_e32 v46, v46, v47
	v_cvt_i32_f32_e32 v47, v48
	s_delay_alu instid0(VALU_DEP_2) | instskip(NEXT) | instid1(TRANS32_DEP_1)
	v_exp_f32_e32 v46, v46
	v_ldexp_f32 v46, v46, v47
	s_wait_alu 0xfffd
	s_delay_alu instid0(VALU_DEP_1) | instskip(SKIP_2) | instid1(VALU_DEP_2)
	v_cndmask_b32_e32 v46, 0, v46, vcc_lo
	v_cmp_nlt_f32_e32 vcc_lo, 0x42b17218, v10
	s_wait_alu 0xfffd
	v_cndmask_b32_e32 v10, 0x7f800000, v46, vcc_lo
	s_delay_alu instid0(VALU_DEP_1) | instskip(NEXT) | instid1(VALU_DEP_1)
	v_add_f32_e32 v48, 1.0, v10
	v_cvt_f64_f32_e32 v[46:47], v48
	s_delay_alu instid0(VALU_DEP_1) | instskip(SKIP_1) | instid1(VALU_DEP_1)
	v_frexp_exp_i32_f64_e32 v46, v[46:47]
	v_frexp_mant_f32_e32 v47, v48
	v_cmp_gt_f32_e32 vcc_lo, 0x3f2aaaab, v47
	v_add_f32_e32 v47, -1.0, v48
	s_delay_alu instid0(VALU_DEP_1) | instskip(SKIP_2) | instid1(VALU_DEP_1)
	v_dual_sub_f32 v50, v47, v48 :: v_dual_sub_f32 v47, v10, v47
	s_wait_alu 0xfffd
	v_subrev_co_ci_u32_e64 v46, null, 0, v46, vcc_lo
	v_sub_nc_u32_e32 v49, 0, v46
	v_cvt_f32_i32_e32 v46, v46
	s_delay_alu instid0(VALU_DEP_2) | instskip(NEXT) | instid1(VALU_DEP_1)
	v_ldexp_f32 v48, v48, v49
	v_dual_add_f32 v51, 1.0, v48 :: v_dual_add_f32 v50, 1.0, v50
	s_delay_alu instid0(VALU_DEP_1) | instskip(NEXT) | instid1(VALU_DEP_1)
	v_dual_add_f32 v47, v47, v50 :: v_dual_add_f32 v50, -1.0, v51
	v_ldexp_f32 v47, v47, v49
	s_delay_alu instid0(VALU_DEP_2) | instskip(NEXT) | instid1(VALU_DEP_1)
	v_dual_add_f32 v49, -1.0, v48 :: v_dual_sub_f32 v50, v48, v50
	v_add_f32_e32 v52, 1.0, v49
	s_delay_alu instid0(VALU_DEP_2) | instskip(NEXT) | instid1(VALU_DEP_2)
	v_add_f32_e32 v50, v47, v50
	v_sub_f32_e32 v48, v48, v52
	s_delay_alu instid0(VALU_DEP_1) | instskip(SKIP_1) | instid1(VALU_DEP_2)
	v_add_f32_e32 v47, v47, v48
	v_cmp_neq_f32_e32 vcc_lo, 0x7f800000, v10
	v_add_f32_e32 v53, v49, v47
	s_delay_alu instid0(VALU_DEP_1) | instskip(NEXT) | instid1(VALU_DEP_1)
	v_dual_sub_f32 v49, v49, v53 :: v_dual_add_f32 v52, v51, v50
	v_add_f32_e32 v47, v47, v49
	s_delay_alu instid0(VALU_DEP_2) | instskip(SKIP_1) | instid1(VALU_DEP_1)
	v_rcp_f32_e32 v48, v52
	v_sub_f32_e32 v51, v51, v52
	v_add_f32_e32 v50, v50, v51
	s_delay_alu instid0(TRANS32_DEP_1) | instskip(NEXT) | instid1(VALU_DEP_1)
	v_mul_f32_e32 v54, v53, v48
	v_mul_f32_e32 v55, v52, v54
	s_delay_alu instid0(VALU_DEP_1) | instskip(NEXT) | instid1(VALU_DEP_1)
	v_fma_f32 v51, v54, v52, -v55
	v_fmac_f32_e32 v51, v54, v50
	s_delay_alu instid0(VALU_DEP_1) | instskip(NEXT) | instid1(VALU_DEP_1)
	v_add_f32_e32 v56, v55, v51
	v_sub_f32_e32 v57, v53, v56
	v_sub_f32_e32 v49, v56, v55
	s_delay_alu instid0(VALU_DEP_2) | instskip(NEXT) | instid1(VALU_DEP_1)
	v_sub_f32_e32 v53, v53, v57
	v_sub_f32_e32 v53, v53, v56
	s_delay_alu instid0(VALU_DEP_3) | instskip(NEXT) | instid1(VALU_DEP_2)
	v_sub_f32_e32 v49, v49, v51
	v_add_f32_e32 v47, v47, v53
	s_delay_alu instid0(VALU_DEP_1) | instskip(NEXT) | instid1(VALU_DEP_1)
	v_add_f32_e32 v47, v49, v47
	v_add_f32_e32 v49, v57, v47
	s_delay_alu instid0(VALU_DEP_1) | instskip(NEXT) | instid1(VALU_DEP_1)
	v_mul_f32_e32 v51, v48, v49
	v_dual_sub_f32 v56, v57, v49 :: v_dual_mul_f32 v53, v52, v51
	s_delay_alu instid0(VALU_DEP_1) | instskip(NEXT) | instid1(VALU_DEP_2)
	v_add_f32_e32 v47, v47, v56
	v_fma_f32 v52, v51, v52, -v53
	s_delay_alu instid0(VALU_DEP_1) | instskip(NEXT) | instid1(VALU_DEP_1)
	v_fmac_f32_e32 v52, v51, v50
	v_add_f32_e32 v50, v53, v52
	s_delay_alu instid0(VALU_DEP_1) | instskip(NEXT) | instid1(VALU_DEP_1)
	v_sub_f32_e32 v55, v49, v50
	v_sub_f32_e32 v49, v49, v55
	s_delay_alu instid0(VALU_DEP_1) | instskip(NEXT) | instid1(VALU_DEP_1)
	v_sub_f32_e32 v49, v49, v50
	v_add_f32_e32 v47, v47, v49
	v_add_f32_e32 v49, v54, v51
	v_sub_f32_e32 v53, v50, v53
	s_delay_alu instid0(VALU_DEP_1) | instskip(NEXT) | instid1(VALU_DEP_1)
	v_sub_f32_e32 v50, v53, v52
	v_dual_add_f32 v47, v50, v47 :: v_dual_sub_f32 v50, v49, v54
	s_delay_alu instid0(VALU_DEP_1) | instskip(NEXT) | instid1(VALU_DEP_1)
	v_add_f32_e32 v47, v55, v47
	v_dual_sub_f32 v50, v51, v50 :: v_dual_mul_f32 v47, v48, v47
	s_delay_alu instid0(VALU_DEP_1) | instskip(NEXT) | instid1(VALU_DEP_1)
	v_add_f32_e32 v47, v50, v47
	v_add_f32_e32 v48, v49, v47
	s_delay_alu instid0(VALU_DEP_1) | instskip(NEXT) | instid1(VALU_DEP_1)
	v_mul_f32_e32 v50, v48, v48
	v_fmaak_f32 v51, s22, v50, 0x3ecc95a3
	v_mul_f32_e32 v52, v48, v50
	s_delay_alu instid0(VALU_DEP_2) | instskip(SKIP_1) | instid1(VALU_DEP_2)
	v_fmaak_f32 v50, v50, v51, 0x3f2aaada
	v_ldexp_f32 v51, v48, 1
	v_mul_f32_e32 v50, v52, v50
	v_mul_f32_e32 v52, 0x3f317218, v46
	s_delay_alu instid0(VALU_DEP_2) | instskip(NEXT) | instid1(VALU_DEP_1)
	v_dual_sub_f32 v48, v48, v49 :: v_dual_add_f32 v49, v51, v50
	v_dual_sub_f32 v47, v47, v48 :: v_dual_sub_f32 v48, v49, v51
	s_delay_alu instid0(VALU_DEP_3) | instskip(NEXT) | instid1(VALU_DEP_2)
	v_fma_f32 v51, 0x3f317218, v46, -v52
	v_ldexp_f32 v47, v47, 1
	s_delay_alu instid0(VALU_DEP_2) | instskip(NEXT) | instid1(VALU_DEP_1)
	v_dual_sub_f32 v48, v50, v48 :: v_dual_fmac_f32 v51, 0xb102e308, v46
	v_dual_add_f32 v46, v47, v48 :: v_dual_add_f32 v47, v52, v51
	s_delay_alu instid0(VALU_DEP_1) | instskip(NEXT) | instid1(VALU_DEP_1)
	v_add_f32_e32 v48, v49, v46
	v_add_f32_e32 v50, v47, v48
	s_delay_alu instid0(VALU_DEP_1) | instskip(NEXT) | instid1(VALU_DEP_1)
	v_sub_f32_e32 v53, v50, v47
	v_sub_f32_e32 v54, v50, v53
	;; [unrolled: 1-line block ×3, first 2 shown]
	s_delay_alu instid0(VALU_DEP_1) | instskip(SKIP_1) | instid1(VALU_DEP_1)
	v_sub_f32_e32 v46, v46, v49
	v_sub_f32_e32 v52, v47, v52
	v_dual_sub_f32 v48, v48, v53 :: v_dual_sub_f32 v51, v51, v52
	s_delay_alu instid0(VALU_DEP_1) | instskip(SKIP_1) | instid1(VALU_DEP_1)
	v_add_f32_e32 v49, v51, v46
	v_sub_f32_e32 v47, v47, v54
	v_add_f32_e32 v47, v48, v47
	s_delay_alu instid0(VALU_DEP_3) | instskip(NEXT) | instid1(VALU_DEP_1)
	v_sub_f32_e32 v48, v49, v51
	v_dual_sub_f32 v46, v46, v48 :: v_dual_add_f32 v47, v49, v47
	s_delay_alu instid0(VALU_DEP_1) | instskip(NEXT) | instid1(VALU_DEP_1)
	v_dual_sub_f32 v49, v49, v48 :: v_dual_add_f32 v52, v50, v47
	v_dual_sub_f32 v48, v52, v50 :: v_dual_sub_f32 v49, v51, v49
	s_delay_alu instid0(VALU_DEP_1) | instskip(NEXT) | instid1(VALU_DEP_1)
	v_dual_sub_f32 v47, v47, v48 :: v_dual_add_f32 v46, v46, v49
	v_add_f32_e32 v46, v46, v47
	s_delay_alu instid0(VALU_DEP_1) | instskip(SKIP_1) | instid1(VALU_DEP_1)
	v_add_f32_e32 v46, v52, v46
	s_wait_alu 0xfffd
	v_cndmask_b32_e32 v46, 0x7f800000, v46, vcc_lo
	v_cmp_gt_f32_e64 vcc_lo, 0x33800000, |v10|
	s_wait_alu 0xfffd
	s_delay_alu instid0(VALU_DEP_2) | instskip(NEXT) | instid1(VALU_DEP_1)
	v_cndmask_b32_e32 v10, v46, v10, vcc_lo
	v_add_f32_e32 v9, v9, v10
	s_delay_alu instid0(VALU_DEP_1)
	v_cvt_f16_f32_e32 v10, v9
.LBB356_159:                            ;   in Loop: Header=BB356_135 Depth=1
	s_wait_alu 0xfffe
	s_or_b32 exec_lo, exec_lo, s25
	s_delay_alu instid0(VALU_DEP_1)
	v_mov_b32_e32 v46, v10
.LBB356_160:                            ;   in Loop: Header=BB356_135 Depth=1
	s_wait_alu 0xfffe
	s_or_b32 exec_lo, exec_lo, s23
	s_delay_alu instid0(VALU_DEP_1) | instskip(SKIP_3) | instid1(VALU_DEP_2)
	v_cvt_f32_f16_e32 v9, v46
	s_wait_dscnt 0x1
	v_cvt_f32_f16_e32 v47, v43
	v_cmp_u_f16_e32 vcc_lo, v46, v46
	v_max_num_f32_e32 v48, v9, v47
	s_wait_dscnt 0x0
	v_min_num_f32_e32 v10, v9, v47
	s_wait_alu 0xfffd
	s_delay_alu instid0(VALU_DEP_1) | instskip(SKIP_3) | instid1(VALU_DEP_2)
	v_cndmask_b32_e32 v10, v10, v9, vcc_lo
	v_cndmask_b32_e32 v9, v48, v9, vcc_lo
	v_cmp_u_f16_e32 vcc_lo, v43, v43
	s_wait_alu 0xfffd
	v_cndmask_b32_e32 v9, v9, v47, vcc_lo
	v_cndmask_b32_e32 v10, v10, v47, vcc_lo
	s_delay_alu instid0(VALU_DEP_1)
	v_cmp_neq_f32_e32 vcc_lo, v10, v9
	v_cmp_class_f32_e64 s23, v10, 0x1f8
	s_or_b32 s23, vcc_lo, s23
	s_wait_alu 0xfffe
	s_and_saveexec_b32 s25, s23
	s_wait_alu 0xfffe
	s_xor_b32 s23, exec_lo, s25
	s_cbranch_execz .LBB356_133
; %bb.161:                              ;   in Loop: Header=BB356_135 Depth=1
	v_sub_f32_e32 v10, v10, v9
	s_delay_alu instid0(VALU_DEP_1) | instskip(SKIP_1) | instid1(VALU_DEP_2)
	v_mul_f32_e32 v46, 0x3fb8aa3b, v10
	v_cmp_ngt_f32_e32 vcc_lo, 0xc2ce8ed0, v10
	v_fma_f32 v47, 0x3fb8aa3b, v10, -v46
	v_rndne_f32_e32 v48, v46
	s_delay_alu instid0(VALU_DEP_1) | instskip(NEXT) | instid1(VALU_DEP_1)
	v_dual_fmac_f32 v47, 0x32a5705f, v10 :: v_dual_sub_f32 v46, v46, v48
	v_add_f32_e32 v46, v46, v47
	v_cvt_i32_f32_e32 v47, v48
	s_delay_alu instid0(VALU_DEP_2) | instskip(NEXT) | instid1(TRANS32_DEP_1)
	v_exp_f32_e32 v46, v46
	v_ldexp_f32 v46, v46, v47
	s_wait_alu 0xfffd
	s_delay_alu instid0(VALU_DEP_1) | instskip(SKIP_2) | instid1(VALU_DEP_2)
	v_cndmask_b32_e32 v46, 0, v46, vcc_lo
	v_cmp_nlt_f32_e32 vcc_lo, 0x42b17218, v10
	s_wait_alu 0xfffd
	v_cndmask_b32_e32 v10, 0x7f800000, v46, vcc_lo
	s_delay_alu instid0(VALU_DEP_1) | instskip(NEXT) | instid1(VALU_DEP_1)
	v_add_f32_e32 v48, 1.0, v10
	v_cvt_f64_f32_e32 v[46:47], v48
	s_delay_alu instid0(VALU_DEP_1) | instskip(SKIP_1) | instid1(VALU_DEP_1)
	v_frexp_exp_i32_f64_e32 v46, v[46:47]
	v_frexp_mant_f32_e32 v47, v48
	v_cmp_gt_f32_e32 vcc_lo, 0x3f2aaaab, v47
	v_add_f32_e32 v47, -1.0, v48
	s_delay_alu instid0(VALU_DEP_1) | instskip(SKIP_2) | instid1(VALU_DEP_1)
	v_dual_sub_f32 v50, v47, v48 :: v_dual_sub_f32 v47, v10, v47
	s_wait_alu 0xfffd
	v_subrev_co_ci_u32_e64 v46, null, 0, v46, vcc_lo
	v_sub_nc_u32_e32 v49, 0, v46
	v_cvt_f32_i32_e32 v46, v46
	s_delay_alu instid0(VALU_DEP_2) | instskip(NEXT) | instid1(VALU_DEP_1)
	v_ldexp_f32 v48, v48, v49
	v_dual_add_f32 v51, 1.0, v48 :: v_dual_add_f32 v50, 1.0, v50
	s_delay_alu instid0(VALU_DEP_1) | instskip(NEXT) | instid1(VALU_DEP_1)
	v_dual_add_f32 v47, v47, v50 :: v_dual_add_f32 v50, -1.0, v51
	v_ldexp_f32 v47, v47, v49
	s_delay_alu instid0(VALU_DEP_2) | instskip(NEXT) | instid1(VALU_DEP_1)
	v_dual_add_f32 v49, -1.0, v48 :: v_dual_sub_f32 v50, v48, v50
	v_add_f32_e32 v52, 1.0, v49
	s_delay_alu instid0(VALU_DEP_2) | instskip(NEXT) | instid1(VALU_DEP_2)
	v_add_f32_e32 v50, v47, v50
	v_sub_f32_e32 v48, v48, v52
	s_delay_alu instid0(VALU_DEP_1) | instskip(SKIP_1) | instid1(VALU_DEP_2)
	v_add_f32_e32 v47, v47, v48
	v_cmp_neq_f32_e32 vcc_lo, 0x7f800000, v10
	v_add_f32_e32 v53, v49, v47
	s_delay_alu instid0(VALU_DEP_1) | instskip(NEXT) | instid1(VALU_DEP_1)
	v_dual_sub_f32 v49, v49, v53 :: v_dual_add_f32 v52, v51, v50
	v_add_f32_e32 v47, v47, v49
	s_delay_alu instid0(VALU_DEP_2) | instskip(SKIP_1) | instid1(VALU_DEP_1)
	v_rcp_f32_e32 v48, v52
	v_sub_f32_e32 v51, v51, v52
	v_add_f32_e32 v50, v50, v51
	s_delay_alu instid0(TRANS32_DEP_1) | instskip(NEXT) | instid1(VALU_DEP_1)
	v_mul_f32_e32 v54, v53, v48
	v_mul_f32_e32 v55, v52, v54
	s_delay_alu instid0(VALU_DEP_1) | instskip(NEXT) | instid1(VALU_DEP_1)
	v_fma_f32 v51, v54, v52, -v55
	v_fmac_f32_e32 v51, v54, v50
	s_delay_alu instid0(VALU_DEP_1) | instskip(NEXT) | instid1(VALU_DEP_1)
	v_add_f32_e32 v56, v55, v51
	v_sub_f32_e32 v57, v53, v56
	v_sub_f32_e32 v49, v56, v55
	s_delay_alu instid0(VALU_DEP_2) | instskip(NEXT) | instid1(VALU_DEP_1)
	v_sub_f32_e32 v53, v53, v57
	v_sub_f32_e32 v53, v53, v56
	s_delay_alu instid0(VALU_DEP_3) | instskip(NEXT) | instid1(VALU_DEP_2)
	v_sub_f32_e32 v49, v49, v51
	v_add_f32_e32 v47, v47, v53
	s_delay_alu instid0(VALU_DEP_1) | instskip(NEXT) | instid1(VALU_DEP_1)
	v_add_f32_e32 v47, v49, v47
	v_add_f32_e32 v49, v57, v47
	s_delay_alu instid0(VALU_DEP_1) | instskip(NEXT) | instid1(VALU_DEP_1)
	v_mul_f32_e32 v51, v48, v49
	v_dual_sub_f32 v56, v57, v49 :: v_dual_mul_f32 v53, v52, v51
	s_delay_alu instid0(VALU_DEP_1) | instskip(NEXT) | instid1(VALU_DEP_2)
	v_add_f32_e32 v47, v47, v56
	v_fma_f32 v52, v51, v52, -v53
	s_delay_alu instid0(VALU_DEP_1) | instskip(NEXT) | instid1(VALU_DEP_1)
	v_fmac_f32_e32 v52, v51, v50
	v_add_f32_e32 v50, v53, v52
	s_delay_alu instid0(VALU_DEP_1) | instskip(NEXT) | instid1(VALU_DEP_1)
	v_sub_f32_e32 v55, v49, v50
	v_sub_f32_e32 v49, v49, v55
	s_delay_alu instid0(VALU_DEP_1) | instskip(NEXT) | instid1(VALU_DEP_1)
	v_sub_f32_e32 v49, v49, v50
	v_add_f32_e32 v47, v47, v49
	v_add_f32_e32 v49, v54, v51
	v_sub_f32_e32 v53, v50, v53
	s_delay_alu instid0(VALU_DEP_1) | instskip(NEXT) | instid1(VALU_DEP_1)
	v_sub_f32_e32 v50, v53, v52
	v_dual_add_f32 v47, v50, v47 :: v_dual_sub_f32 v50, v49, v54
	s_delay_alu instid0(VALU_DEP_1) | instskip(NEXT) | instid1(VALU_DEP_1)
	v_add_f32_e32 v47, v55, v47
	v_dual_sub_f32 v50, v51, v50 :: v_dual_mul_f32 v47, v48, v47
	s_delay_alu instid0(VALU_DEP_1) | instskip(NEXT) | instid1(VALU_DEP_1)
	v_add_f32_e32 v47, v50, v47
	v_add_f32_e32 v48, v49, v47
	s_delay_alu instid0(VALU_DEP_1) | instskip(NEXT) | instid1(VALU_DEP_1)
	v_mul_f32_e32 v50, v48, v48
	v_fmaak_f32 v51, s22, v50, 0x3ecc95a3
	v_mul_f32_e32 v52, v48, v50
	s_delay_alu instid0(VALU_DEP_2) | instskip(SKIP_1) | instid1(VALU_DEP_2)
	v_fmaak_f32 v50, v50, v51, 0x3f2aaada
	v_ldexp_f32 v51, v48, 1
	v_mul_f32_e32 v50, v52, v50
	v_mul_f32_e32 v52, 0x3f317218, v46
	s_delay_alu instid0(VALU_DEP_2) | instskip(NEXT) | instid1(VALU_DEP_1)
	v_dual_sub_f32 v48, v48, v49 :: v_dual_add_f32 v49, v51, v50
	v_dual_sub_f32 v47, v47, v48 :: v_dual_sub_f32 v48, v49, v51
	s_delay_alu instid0(VALU_DEP_3) | instskip(NEXT) | instid1(VALU_DEP_2)
	v_fma_f32 v51, 0x3f317218, v46, -v52
	v_ldexp_f32 v47, v47, 1
	s_delay_alu instid0(VALU_DEP_2) | instskip(NEXT) | instid1(VALU_DEP_1)
	v_dual_sub_f32 v48, v50, v48 :: v_dual_fmac_f32 v51, 0xb102e308, v46
	v_dual_add_f32 v46, v47, v48 :: v_dual_add_f32 v47, v52, v51
	s_delay_alu instid0(VALU_DEP_1) | instskip(NEXT) | instid1(VALU_DEP_1)
	v_add_f32_e32 v48, v49, v46
	v_add_f32_e32 v50, v47, v48
	s_delay_alu instid0(VALU_DEP_1) | instskip(NEXT) | instid1(VALU_DEP_1)
	v_sub_f32_e32 v53, v50, v47
	v_sub_f32_e32 v54, v50, v53
	;; [unrolled: 1-line block ×3, first 2 shown]
	s_delay_alu instid0(VALU_DEP_1) | instskip(SKIP_1) | instid1(VALU_DEP_1)
	v_sub_f32_e32 v46, v46, v49
	v_sub_f32_e32 v52, v47, v52
	v_dual_sub_f32 v48, v48, v53 :: v_dual_sub_f32 v51, v51, v52
	s_delay_alu instid0(VALU_DEP_1) | instskip(SKIP_1) | instid1(VALU_DEP_1)
	v_add_f32_e32 v49, v51, v46
	v_sub_f32_e32 v47, v47, v54
	v_add_f32_e32 v47, v48, v47
	s_delay_alu instid0(VALU_DEP_3) | instskip(NEXT) | instid1(VALU_DEP_1)
	v_sub_f32_e32 v48, v49, v51
	v_dual_sub_f32 v46, v46, v48 :: v_dual_add_f32 v47, v49, v47
	s_delay_alu instid0(VALU_DEP_1) | instskip(NEXT) | instid1(VALU_DEP_1)
	v_dual_sub_f32 v49, v49, v48 :: v_dual_add_f32 v52, v50, v47
	v_dual_sub_f32 v48, v52, v50 :: v_dual_sub_f32 v49, v51, v49
	s_delay_alu instid0(VALU_DEP_1) | instskip(NEXT) | instid1(VALU_DEP_1)
	v_dual_sub_f32 v47, v47, v48 :: v_dual_add_f32 v46, v46, v49
	v_add_f32_e32 v46, v46, v47
	s_delay_alu instid0(VALU_DEP_1) | instskip(SKIP_1) | instid1(VALU_DEP_1)
	v_add_f32_e32 v46, v52, v46
	s_wait_alu 0xfffd
	v_cndmask_b32_e32 v46, 0x7f800000, v46, vcc_lo
	v_cmp_gt_f32_e64 vcc_lo, 0x33800000, |v10|
	s_wait_alu 0xfffd
	s_delay_alu instid0(VALU_DEP_2) | instskip(NEXT) | instid1(VALU_DEP_1)
	v_cndmask_b32_e32 v10, v46, v10, vcc_lo
	v_add_f32_e32 v9, v9, v10
	s_delay_alu instid0(VALU_DEP_1)
	v_cvt_f16_f32_e32 v46, v9
	s_branch .LBB356_133
.LBB356_162:
                                        ; implicit-def: $vgpr7
                                        ; implicit-def: $vgpr30
                                        ; implicit-def: $vgpr8
                                        ; implicit-def: $vgpr20
                                        ; implicit-def: $vgpr9
                                        ; implicit-def: $vgpr21
                                        ; implicit-def: $vgpr10
                                        ; implicit-def: $vgpr22
                                        ; implicit-def: $vgpr23
                                        ; implicit-def: $vgpr24
                                        ; implicit-def: $vgpr25
                                        ; implicit-def: $vgpr27
	s_load_b256 s[24:31], s[0:1], 0x38
	s_cbranch_execnz .LBB356_198
	s_branch .LBB356_305
.LBB356_163:
	s_and_saveexec_b32 s22, s16
	s_cbranch_execz .LBB356_167
; %bb.164:
	v_cvt_f32_f16_e32 v7, v43
	v_cvt_f32_f16_e32 v8, v32
	v_cmp_u_f16_e32 vcc_lo, v43, v43
	s_delay_alu instid0(VALU_DEP_2) | instskip(SKIP_1) | instid1(VALU_DEP_1)
	v_min_num_f32_e32 v9, v7, v8
	s_wait_alu 0xfffd
	v_dual_max_num_f32 v10, v7, v8 :: v_dual_cndmask_b32 v9, v9, v7
	s_delay_alu instid0(VALU_DEP_1) | instskip(SKIP_2) | instid1(VALU_DEP_3)
	v_cndmask_b32_e32 v7, v10, v7, vcc_lo
	v_cmp_u_f16_e32 vcc_lo, v32, v32
	s_wait_alu 0xfffd
	v_cndmask_b32_e32 v9, v9, v8, vcc_lo
	s_delay_alu instid0(VALU_DEP_3) | instskip(SKIP_1) | instid1(VALU_DEP_3)
	v_cndmask_b32_e32 v7, v7, v8, vcc_lo
	v_mov_b32_e32 v8, v43
	v_cmp_class_f32_e64 s16, v9, 0x1f8
	s_delay_alu instid0(VALU_DEP_3)
	v_cmp_neq_f32_e32 vcc_lo, v9, v7
	s_or_b32 s23, vcc_lo, s16
	s_wait_alu 0xfffe
	s_and_saveexec_b32 s16, s23
	s_cbranch_execz .LBB356_166
; %bb.165:
	v_sub_f32_e32 v8, v9, v7
	s_mov_b32 s23, 0x3e9b6dac
	s_delay_alu instid0(VALU_DEP_1) | instskip(SKIP_1) | instid1(VALU_DEP_2)
	v_mul_f32_e32 v9, 0x3fb8aa3b, v8
	v_cmp_ngt_f32_e32 vcc_lo, 0xc2ce8ed0, v8
	v_fma_f32 v10, 0x3fb8aa3b, v8, -v9
	v_rndne_f32_e32 v32, v9
	s_delay_alu instid0(VALU_DEP_1) | instskip(NEXT) | instid1(VALU_DEP_1)
	v_dual_fmamk_f32 v10, v8, 0x32a5705f, v10 :: v_dual_sub_f32 v9, v9, v32
	v_add_f32_e32 v9, v9, v10
	v_cvt_i32_f32_e32 v10, v32
	s_delay_alu instid0(VALU_DEP_2) | instskip(NEXT) | instid1(TRANS32_DEP_1)
	v_exp_f32_e32 v9, v9
	v_ldexp_f32 v9, v9, v10
	s_wait_alu 0xfffd
	s_delay_alu instid0(VALU_DEP_1) | instskip(SKIP_2) | instid1(VALU_DEP_2)
	v_cndmask_b32_e32 v9, 0, v9, vcc_lo
	v_cmp_nlt_f32_e32 vcc_lo, 0x42b17218, v8
	s_wait_alu 0xfffd
	v_cndmask_b32_e32 v10, 0x7f800000, v9, vcc_lo
	s_delay_alu instid0(VALU_DEP_1) | instskip(NEXT) | instid1(VALU_DEP_1)
	v_add_f32_e32 v32, 1.0, v10
	v_cvt_f64_f32_e32 v[8:9], v32
	s_delay_alu instid0(VALU_DEP_1) | instskip(SKIP_1) | instid1(VALU_DEP_1)
	v_frexp_exp_i32_f64_e32 v8, v[8:9]
	v_frexp_mant_f32_e32 v9, v32
	v_cmp_gt_f32_e32 vcc_lo, 0x3f2aaaab, v9
	v_add_f32_e32 v9, -1.0, v32
	s_delay_alu instid0(VALU_DEP_1) | instskip(SKIP_3) | instid1(VALU_DEP_2)
	v_dual_sub_f32 v34, v9, v32 :: v_dual_sub_f32 v9, v10, v9
	s_wait_alu 0xfffd
	v_subrev_co_ci_u32_e64 v8, null, 0, v8, vcc_lo
	v_cmp_neq_f32_e32 vcc_lo, 0x7f800000, v10
	v_sub_nc_u32_e32 v33, 0, v8
	v_cvt_f32_i32_e32 v8, v8
	s_delay_alu instid0(VALU_DEP_2) | instskip(NEXT) | instid1(VALU_DEP_1)
	v_ldexp_f32 v32, v32, v33
	v_dual_add_f32 v34, 1.0, v34 :: v_dual_add_f32 v35, 1.0, v32
	s_delay_alu instid0(VALU_DEP_1) | instskip(NEXT) | instid1(VALU_DEP_1)
	v_dual_add_f32 v9, v9, v34 :: v_dual_add_f32 v34, -1.0, v35
	v_ldexp_f32 v9, v9, v33
	s_delay_alu instid0(VALU_DEP_2) | instskip(NEXT) | instid1(VALU_DEP_1)
	v_dual_add_f32 v33, -1.0, v32 :: v_dual_sub_f32 v34, v32, v34
	v_add_f32_e32 v36, 1.0, v33
	s_delay_alu instid0(VALU_DEP_2) | instskip(NEXT) | instid1(VALU_DEP_2)
	v_add_f32_e32 v34, v9, v34
	v_sub_f32_e32 v32, v32, v36
	s_delay_alu instid0(VALU_DEP_1) | instskip(NEXT) | instid1(VALU_DEP_1)
	v_dual_add_f32 v36, v35, v34 :: v_dual_add_f32 v9, v9, v32
	v_rcp_f32_e32 v32, v36
	v_sub_f32_e32 v35, v35, v36
	s_delay_alu instid0(VALU_DEP_1) | instskip(NEXT) | instid1(VALU_DEP_1)
	v_dual_add_f32 v37, v33, v9 :: v_dual_add_f32 v34, v34, v35
	v_sub_f32_e32 v33, v33, v37
	s_delay_alu instid0(TRANS32_DEP_1) | instskip(NEXT) | instid1(VALU_DEP_2)
	v_mul_f32_e32 v38, v37, v32
	v_add_f32_e32 v9, v9, v33
	s_delay_alu instid0(VALU_DEP_2) | instskip(NEXT) | instid1(VALU_DEP_1)
	v_mul_f32_e32 v39, v36, v38
	v_fma_f32 v35, v38, v36, -v39
	s_delay_alu instid0(VALU_DEP_1) | instskip(NEXT) | instid1(VALU_DEP_1)
	v_fmac_f32_e32 v35, v38, v34
	v_add_f32_e32 v40, v39, v35
	s_delay_alu instid0(VALU_DEP_1) | instskip(SKIP_1) | instid1(VALU_DEP_2)
	v_sub_f32_e32 v41, v37, v40
	v_sub_f32_e32 v33, v40, v39
	;; [unrolled: 1-line block ×3, first 2 shown]
	s_delay_alu instid0(VALU_DEP_2) | instskip(NEXT) | instid1(VALU_DEP_2)
	v_sub_f32_e32 v33, v33, v35
	v_sub_f32_e32 v37, v37, v40
	s_delay_alu instid0(VALU_DEP_1) | instskip(NEXT) | instid1(VALU_DEP_1)
	v_add_f32_e32 v9, v9, v37
	v_add_f32_e32 v9, v33, v9
	s_delay_alu instid0(VALU_DEP_1) | instskip(NEXT) | instid1(VALU_DEP_1)
	v_add_f32_e32 v33, v41, v9
	v_mul_f32_e32 v35, v32, v33
	s_delay_alu instid0(VALU_DEP_1) | instskip(NEXT) | instid1(VALU_DEP_1)
	v_mul_f32_e32 v37, v36, v35
	v_fma_f32 v36, v35, v36, -v37
	s_delay_alu instid0(VALU_DEP_1) | instskip(SKIP_1) | instid1(VALU_DEP_2)
	v_fmac_f32_e32 v36, v35, v34
	v_sub_f32_e32 v40, v41, v33
	v_add_f32_e32 v34, v37, v36
	s_delay_alu instid0(VALU_DEP_2) | instskip(NEXT) | instid1(VALU_DEP_2)
	v_add_f32_e32 v9, v9, v40
	v_sub_f32_e32 v39, v33, v34
	v_sub_f32_e32 v37, v34, v37
	s_delay_alu instid0(VALU_DEP_2) | instskip(NEXT) | instid1(VALU_DEP_1)
	v_sub_f32_e32 v33, v33, v39
	v_sub_f32_e32 v33, v33, v34
	s_delay_alu instid0(VALU_DEP_3) | instskip(NEXT) | instid1(VALU_DEP_2)
	v_sub_f32_e32 v34, v37, v36
	v_add_f32_e32 v9, v9, v33
	v_add_f32_e32 v33, v38, v35
	s_delay_alu instid0(VALU_DEP_1) | instskip(NEXT) | instid1(VALU_DEP_1)
	v_dual_add_f32 v9, v34, v9 :: v_dual_sub_f32 v34, v33, v38
	v_add_f32_e32 v9, v39, v9
	s_delay_alu instid0(VALU_DEP_1) | instskip(NEXT) | instid1(VALU_DEP_1)
	v_dual_sub_f32 v34, v35, v34 :: v_dual_mul_f32 v9, v32, v9
	v_add_f32_e32 v9, v34, v9
	s_delay_alu instid0(VALU_DEP_1) | instskip(NEXT) | instid1(VALU_DEP_1)
	v_add_f32_e32 v32, v33, v9
	v_mul_f32_e32 v34, v32, v32
	s_wait_alu 0xfffe
	s_delay_alu instid0(VALU_DEP_1) | instskip(SKIP_1) | instid1(VALU_DEP_2)
	v_fmaak_f32 v35, s23, v34, 0x3ecc95a3
	v_mul_f32_e32 v36, v32, v34
	v_fmaak_f32 v34, v34, v35, 0x3f2aaada
	v_ldexp_f32 v35, v32, 1
	v_sub_f32_e32 v32, v32, v33
	s_delay_alu instid0(VALU_DEP_3) | instskip(SKIP_1) | instid1(VALU_DEP_3)
	v_mul_f32_e32 v34, v36, v34
	v_mul_f32_e32 v36, 0x3f317218, v8
	v_sub_f32_e32 v9, v9, v32
	s_delay_alu instid0(VALU_DEP_3) | instskip(NEXT) | instid1(VALU_DEP_2)
	v_add_f32_e32 v33, v35, v34
	v_ldexp_f32 v9, v9, 1
	s_delay_alu instid0(VALU_DEP_2) | instskip(SKIP_1) | instid1(VALU_DEP_2)
	v_sub_f32_e32 v32, v33, v35
	v_fma_f32 v35, 0x3f317218, v8, -v36
	v_sub_f32_e32 v32, v34, v32
	s_delay_alu instid0(VALU_DEP_1) | instskip(NEXT) | instid1(VALU_DEP_1)
	v_dual_fmamk_f32 v8, v8, 0xb102e308, v35 :: v_dual_add_f32 v9, v9, v32
	v_add_f32_e32 v32, v36, v8
	s_delay_alu instid0(VALU_DEP_2) | instskip(NEXT) | instid1(VALU_DEP_2)
	v_add_f32_e32 v34, v33, v9
	v_sub_f32_e32 v36, v32, v36
	s_delay_alu instid0(VALU_DEP_2) | instskip(NEXT) | instid1(VALU_DEP_2)
	v_add_f32_e32 v35, v32, v34
	v_sub_f32_e32 v8, v8, v36
	s_delay_alu instid0(VALU_DEP_2) | instskip(SKIP_1) | instid1(VALU_DEP_2)
	v_sub_f32_e32 v37, v35, v32
	v_sub_f32_e32 v33, v34, v33
	;; [unrolled: 1-line block ×3, first 2 shown]
	s_delay_alu instid0(VALU_DEP_2) | instskip(NEXT) | instid1(VALU_DEP_2)
	v_sub_f32_e32 v9, v9, v33
	v_dual_sub_f32 v33, v34, v37 :: v_dual_sub_f32 v32, v32, v38
	s_delay_alu instid0(VALU_DEP_2) | instskip(NEXT) | instid1(VALU_DEP_2)
	v_add_f32_e32 v34, v8, v9
	v_add_f32_e32 v32, v33, v32
	s_delay_alu instid0(VALU_DEP_2) | instskip(NEXT) | instid1(VALU_DEP_2)
	v_sub_f32_e32 v33, v34, v8
	v_add_f32_e32 v32, v34, v32
	s_delay_alu instid0(VALU_DEP_2) | instskip(NEXT) | instid1(VALU_DEP_2)
	v_sub_f32_e32 v34, v34, v33
	v_dual_sub_f32 v9, v9, v33 :: v_dual_add_f32 v36, v35, v32
	s_delay_alu instid0(VALU_DEP_2) | instskip(NEXT) | instid1(VALU_DEP_1)
	v_sub_f32_e32 v8, v8, v34
	v_dual_sub_f32 v33, v36, v35 :: v_dual_add_f32 v8, v9, v8
	s_delay_alu instid0(VALU_DEP_1) | instskip(NEXT) | instid1(VALU_DEP_1)
	v_sub_f32_e32 v9, v32, v33
	v_add_f32_e32 v8, v8, v9
	s_delay_alu instid0(VALU_DEP_1) | instskip(SKIP_1) | instid1(VALU_DEP_1)
	v_add_f32_e32 v8, v36, v8
	s_wait_alu 0xfffd
	v_cndmask_b32_e32 v8, 0x7f800000, v8, vcc_lo
	v_cmp_gt_f32_e64 vcc_lo, 0x33800000, |v10|
	s_wait_alu 0xfffd
	s_delay_alu instid0(VALU_DEP_2) | instskip(NEXT) | instid1(VALU_DEP_1)
	v_cndmask_b32_e32 v8, v8, v10, vcc_lo
	v_add_f32_e32 v7, v7, v8
	s_delay_alu instid0(VALU_DEP_1)
	v_cvt_f16_f32_e32 v8, v7
.LBB356_166:
	s_or_b32 exec_lo, exec_lo, s16
	s_delay_alu instid0(VALU_DEP_1) | instskip(SKIP_2) | instid1(SALU_CYCLE_1)
	v_dual_mov_b32 v8, 0 :: v_dual_and_b32 v7, 0xffff, v8
	s_add_co_i32 s26, ttmp9, 32
	s_mov_b32 s27, 0
	s_lshl_b64 s[26:27], s[26:27], 2
	s_delay_alu instid0(VALU_DEP_1)
	v_or_b32_e32 v7, 0x20000, v7
	s_add_nc_u64 s[26:27], s[38:39], s[26:27]
	global_store_b32 v8, v7, s[26:27] scope:SCOPE_DEV
.LBB356_167:
	s_wait_alu 0xfffe
	s_or_b32 exec_lo, exec_lo, s22
	s_delay_alu instid0(SALU_CYCLE_1)
	s_and_b32 exec_lo, exec_lo, s15
; %bb.168:
	v_mov_b32_e32 v7, 0
	ds_store_b16 v7, v43
.LBB356_169:
	s_or_b32 exec_lo, exec_lo, s24
	v_dual_mov_b32 v7, 0 :: v_dual_mov_b32 v8, v1
	s_wait_storecnt 0x0
	s_wait_loadcnt_dscnt 0x0
	s_barrier_signal -1
	s_barrier_wait -1
	global_inv scope:SCOPE_SE
	ds_load_u16 v7, v7
	s_and_saveexec_b32 s15, s14
	s_cbranch_execz .LBB356_173
; %bb.170:
	v_cvt_f32_f16_e32 v9, v31
	v_max_num_f32_e32 v8, v30, v30
	v_cmp_u_f16_e32 vcc_lo, v31, v31
	s_delay_alu instid0(VALU_DEP_2) | instskip(SKIP_2) | instid1(VALU_DEP_2)
	v_min_num_f32_e32 v10, v9, v8
	v_max_num_f32_e32 v8, v9, v8
	s_wait_alu 0xfffd
	v_cndmask_b32_e32 v10, v10, v9, vcc_lo
	s_delay_alu instid0(VALU_DEP_2) | instskip(NEXT) | instid1(VALU_DEP_2)
	v_cndmask_b32_e32 v8, v8, v9, vcc_lo
	v_cndmask_b32_e64 v10, v10, v30, s13
	s_delay_alu instid0(VALU_DEP_2) | instskip(NEXT) | instid1(VALU_DEP_2)
	v_cndmask_b32_e64 v8, v8, v30, s13
	v_cmp_class_f32_e64 s13, v10, 0x1f8
	s_delay_alu instid0(VALU_DEP_2)
	v_cmp_neq_f32_e32 vcc_lo, v10, v8
	s_or_b32 s14, vcc_lo, s13
	s_wait_alu 0xfffe
	s_and_saveexec_b32 s13, s14
	s_cbranch_execz .LBB356_172
; %bb.171:
	v_sub_f32_e32 v9, v10, v8
	s_mov_b32 s14, 0x3e9b6dac
	s_delay_alu instid0(VALU_DEP_1) | instskip(SKIP_1) | instid1(VALU_DEP_2)
	v_mul_f32_e32 v10, 0x3fb8aa3b, v9
	v_cmp_ngt_f32_e32 vcc_lo, 0xc2ce8ed0, v9
	v_fma_f32 v30, 0x3fb8aa3b, v9, -v10
	v_rndne_f32_e32 v31, v10
	s_delay_alu instid0(VALU_DEP_2) | instskip(NEXT) | instid1(VALU_DEP_2)
	v_fmamk_f32 v30, v9, 0x32a5705f, v30
	v_sub_f32_e32 v10, v10, v31
	s_delay_alu instid0(VALU_DEP_1) | instskip(SKIP_1) | instid1(VALU_DEP_2)
	v_add_f32_e32 v10, v10, v30
	v_cvt_i32_f32_e32 v30, v31
	v_exp_f32_e32 v10, v10
	s_delay_alu instid0(TRANS32_DEP_1) | instskip(SKIP_1) | instid1(VALU_DEP_1)
	v_ldexp_f32 v10, v10, v30
	s_wait_alu 0xfffd
	v_cndmask_b32_e32 v10, 0, v10, vcc_lo
	v_cmp_nlt_f32_e32 vcc_lo, 0x42b17218, v9
	s_wait_alu 0xfffd
	s_delay_alu instid0(VALU_DEP_2) | instskip(NEXT) | instid1(VALU_DEP_1)
	v_cndmask_b32_e32 v30, 0x7f800000, v10, vcc_lo
	v_add_f32_e32 v31, 1.0, v30
	s_delay_alu instid0(VALU_DEP_1) | instskip(NEXT) | instid1(VALU_DEP_1)
	v_cvt_f64_f32_e32 v[9:10], v31
	v_frexp_exp_i32_f64_e32 v9, v[9:10]
	v_frexp_mant_f32_e32 v10, v31
	s_delay_alu instid0(VALU_DEP_1) | instskip(SKIP_1) | instid1(VALU_DEP_1)
	v_cmp_gt_f32_e32 vcc_lo, 0x3f2aaaab, v10
	v_add_f32_e32 v10, -1.0, v31
	v_sub_f32_e32 v33, v10, v31
	s_delay_alu instid0(VALU_DEP_1) | instskip(SKIP_2) | instid1(VALU_DEP_1)
	v_add_f32_e32 v33, 1.0, v33
	s_wait_alu 0xfffd
	v_subrev_co_ci_u32_e64 v9, null, 0, v9, vcc_lo
	v_sub_nc_u32_e32 v32, 0, v9
	v_cvt_f32_i32_e32 v9, v9
	s_delay_alu instid0(VALU_DEP_2) | instskip(SKIP_1) | instid1(VALU_DEP_1)
	v_ldexp_f32 v31, v31, v32
	v_sub_f32_e32 v10, v30, v10
	v_add_f32_e32 v10, v10, v33
	s_delay_alu instid0(VALU_DEP_1) | instskip(NEXT) | instid1(VALU_DEP_4)
	v_ldexp_f32 v10, v10, v32
	v_add_f32_e32 v34, 1.0, v31
	s_delay_alu instid0(VALU_DEP_1) | instskip(NEXT) | instid1(VALU_DEP_1)
	v_add_f32_e32 v33, -1.0, v34
	v_sub_f32_e32 v33, v31, v33
	s_delay_alu instid0(VALU_DEP_1) | instskip(NEXT) | instid1(VALU_DEP_1)
	v_dual_add_f32 v33, v10, v33 :: v_dual_add_f32 v32, -1.0, v31
	v_add_f32_e32 v35, 1.0, v32
	v_cmp_neq_f32_e32 vcc_lo, 0x7f800000, v30
	s_delay_alu instid0(VALU_DEP_2) | instskip(NEXT) | instid1(VALU_DEP_4)
	v_sub_f32_e32 v31, v31, v35
	v_add_f32_e32 v35, v34, v33
	s_delay_alu instid0(VALU_DEP_1) | instskip(NEXT) | instid1(VALU_DEP_3)
	v_sub_f32_e32 v34, v34, v35
	v_add_f32_e32 v10, v10, v31
	v_rcp_f32_e32 v31, v35
	s_delay_alu instid0(VALU_DEP_2) | instskip(NEXT) | instid1(VALU_DEP_2)
	v_add_f32_e32 v33, v33, v34
	v_add_f32_e32 v36, v32, v10
	s_delay_alu instid0(VALU_DEP_1)
	v_sub_f32_e32 v32, v32, v36
	s_delay_alu instid0(TRANS32_DEP_1) | instid1(VALU_DEP_1)
	v_dual_mul_f32 v37, v36, v31 :: v_dual_add_f32 v10, v10, v32
	s_delay_alu instid0(VALU_DEP_1) | instskip(NEXT) | instid1(VALU_DEP_1)
	v_mul_f32_e32 v38, v35, v37
	v_fma_f32 v34, v37, v35, -v38
	s_delay_alu instid0(VALU_DEP_1) | instskip(NEXT) | instid1(VALU_DEP_1)
	v_fmac_f32_e32 v34, v37, v33
	v_add_f32_e32 v39, v38, v34
	s_delay_alu instid0(VALU_DEP_1) | instskip(SKIP_1) | instid1(VALU_DEP_2)
	v_sub_f32_e32 v40, v36, v39
	v_sub_f32_e32 v32, v39, v38
	;; [unrolled: 1-line block ×3, first 2 shown]
	s_delay_alu instid0(VALU_DEP_2) | instskip(NEXT) | instid1(VALU_DEP_2)
	v_sub_f32_e32 v32, v32, v34
	v_sub_f32_e32 v36, v36, v39
	s_delay_alu instid0(VALU_DEP_1) | instskip(NEXT) | instid1(VALU_DEP_1)
	v_add_f32_e32 v10, v10, v36
	v_add_f32_e32 v10, v32, v10
	s_delay_alu instid0(VALU_DEP_1) | instskip(NEXT) | instid1(VALU_DEP_1)
	v_add_f32_e32 v32, v40, v10
	v_mul_f32_e32 v34, v31, v32
	s_delay_alu instid0(VALU_DEP_1) | instskip(NEXT) | instid1(VALU_DEP_1)
	v_dual_sub_f32 v39, v40, v32 :: v_dual_mul_f32 v36, v35, v34
	v_add_f32_e32 v10, v10, v39
	s_delay_alu instid0(VALU_DEP_2) | instskip(NEXT) | instid1(VALU_DEP_1)
	v_fma_f32 v35, v34, v35, -v36
	v_fmac_f32_e32 v35, v34, v33
	s_delay_alu instid0(VALU_DEP_1) | instskip(NEXT) | instid1(VALU_DEP_1)
	v_add_f32_e32 v33, v36, v35
	v_sub_f32_e32 v38, v32, v33
	v_sub_f32_e32 v36, v33, v36
	s_delay_alu instid0(VALU_DEP_2) | instskip(NEXT) | instid1(VALU_DEP_1)
	v_sub_f32_e32 v32, v32, v38
	v_sub_f32_e32 v32, v32, v33
	s_delay_alu instid0(VALU_DEP_1) | instskip(SKIP_1) | instid1(VALU_DEP_1)
	v_dual_sub_f32 v33, v36, v35 :: v_dual_add_f32 v10, v10, v32
	v_add_f32_e32 v32, v37, v34
	v_dual_add_f32 v10, v33, v10 :: v_dual_sub_f32 v33, v32, v37
	s_delay_alu instid0(VALU_DEP_1) | instskip(NEXT) | instid1(VALU_DEP_1)
	v_add_f32_e32 v10, v38, v10
	v_dual_sub_f32 v33, v34, v33 :: v_dual_mul_f32 v10, v31, v10
	s_delay_alu instid0(VALU_DEP_1) | instskip(NEXT) | instid1(VALU_DEP_1)
	v_add_f32_e32 v10, v33, v10
	v_add_f32_e32 v31, v32, v10
	s_delay_alu instid0(VALU_DEP_1) | instskip(SKIP_1) | instid1(VALU_DEP_1)
	v_mul_f32_e32 v33, v31, v31
	s_wait_alu 0xfffe
	v_fmaak_f32 v34, s14, v33, 0x3ecc95a3
	v_mul_f32_e32 v35, v31, v33
	s_delay_alu instid0(VALU_DEP_2) | instskip(SKIP_2) | instid1(VALU_DEP_3)
	v_fmaak_f32 v33, v33, v34, 0x3f2aaada
	v_ldexp_f32 v34, v31, 1
	v_sub_f32_e32 v31, v31, v32
	v_mul_f32_e32 v33, v35, v33
	s_delay_alu instid0(VALU_DEP_2) | instskip(NEXT) | instid1(VALU_DEP_2)
	v_dual_mul_f32 v35, 0x3f317218, v9 :: v_dual_sub_f32 v10, v10, v31
	v_add_f32_e32 v32, v34, v33
	s_delay_alu instid0(VALU_DEP_2) | instskip(NEXT) | instid1(VALU_DEP_2)
	v_ldexp_f32 v10, v10, 1
	v_sub_f32_e32 v31, v32, v34
	s_delay_alu instid0(VALU_DEP_4) | instskip(NEXT) | instid1(VALU_DEP_2)
	v_fma_f32 v34, 0x3f317218, v9, -v35
	v_sub_f32_e32 v31, v33, v31
	s_delay_alu instid0(VALU_DEP_1) | instskip(NEXT) | instid1(VALU_DEP_1)
	v_dual_fmamk_f32 v9, v9, 0xb102e308, v34 :: v_dual_add_f32 v10, v10, v31
	v_add_f32_e32 v31, v35, v9
	s_delay_alu instid0(VALU_DEP_2) | instskip(NEXT) | instid1(VALU_DEP_2)
	v_add_f32_e32 v33, v32, v10
	v_sub_f32_e32 v35, v31, v35
	s_delay_alu instid0(VALU_DEP_2) | instskip(SKIP_1) | instid1(VALU_DEP_3)
	v_add_f32_e32 v34, v31, v33
	v_sub_f32_e32 v32, v33, v32
	v_sub_f32_e32 v9, v9, v35
	s_delay_alu instid0(VALU_DEP_3) | instskip(NEXT) | instid1(VALU_DEP_3)
	v_sub_f32_e32 v36, v34, v31
	v_sub_f32_e32 v10, v10, v32
	s_delay_alu instid0(VALU_DEP_2) | instskip(SKIP_1) | instid1(VALU_DEP_3)
	v_sub_f32_e32 v37, v34, v36
	v_sub_f32_e32 v32, v33, v36
	v_add_f32_e32 v33, v9, v10
	s_delay_alu instid0(VALU_DEP_3) | instskip(NEXT) | instid1(VALU_DEP_1)
	v_sub_f32_e32 v31, v31, v37
	v_dual_add_f32 v31, v32, v31 :: v_dual_sub_f32 v32, v33, v9
	s_delay_alu instid0(VALU_DEP_1) | instskip(NEXT) | instid1(VALU_DEP_2)
	v_add_f32_e32 v31, v33, v31
	v_sub_f32_e32 v33, v33, v32
	v_sub_f32_e32 v10, v10, v32
	s_delay_alu instid0(VALU_DEP_3) | instskip(NEXT) | instid1(VALU_DEP_1)
	v_add_f32_e32 v35, v34, v31
	v_dual_sub_f32 v9, v9, v33 :: v_dual_sub_f32 v32, v35, v34
	s_delay_alu instid0(VALU_DEP_1) | instskip(NEXT) | instid1(VALU_DEP_1)
	v_dual_add_f32 v9, v10, v9 :: v_dual_sub_f32 v10, v31, v32
	v_add_f32_e32 v9, v9, v10
	s_delay_alu instid0(VALU_DEP_1) | instskip(SKIP_1) | instid1(VALU_DEP_1)
	v_add_f32_e32 v9, v35, v9
	s_wait_alu 0xfffd
	v_cndmask_b32_e32 v9, 0x7f800000, v9, vcc_lo
	v_cmp_gt_f32_e64 vcc_lo, 0x33800000, |v30|
	s_wait_alu 0xfffd
	s_delay_alu instid0(VALU_DEP_2) | instskip(NEXT) | instid1(VALU_DEP_1)
	v_cndmask_b32_e32 v9, v9, v30, vcc_lo
	v_add_f32_e32 v8, v8, v9
	s_delay_alu instid0(VALU_DEP_1) | instskip(NEXT) | instid1(VALU_DEP_1)
	v_cvt_f16_f32_e32 v31, v8
	v_cvt_f32_f16_e32 v9, v31
.LBB356_172:
	s_wait_alu 0xfffe
	s_or_b32 exec_lo, exec_lo, s13
	s_delay_alu instid0(VALU_DEP_1)
	v_mov_b32_e32 v30, v9
	v_mov_b32_e32 v8, v31
.LBB356_173:
	s_wait_alu 0xfffe
	s_or_b32 exec_lo, exec_lo, s15
	s_wait_dscnt 0x0
	v_cvt_f32_f16_e32 v31, v7
	v_max_num_f32_e32 v9, v30, v30
	v_cmp_u_f16_e32 vcc_lo, v7, v7
	s_delay_alu instid0(VALU_DEP_2) | instskip(SKIP_1) | instid1(VALU_DEP_1)
	v_min_num_f32_e32 v10, v31, v9
	s_wait_alu 0xfffd
	v_dual_max_num_f32 v9, v31, v9 :: v_dual_cndmask_b32 v10, v10, v31
	s_delay_alu instid0(VALU_DEP_1) | instskip(SKIP_2) | instid1(VALU_DEP_3)
	v_cndmask_b32_e32 v32, v9, v31, vcc_lo
	v_cmp_u_f16_e32 vcc_lo, v8, v8
	s_wait_alu 0xfffd
	v_cndmask_b32_e32 v9, v10, v30, vcc_lo
	s_delay_alu instid0(VALU_DEP_3) | instskip(NEXT) | instid1(VALU_DEP_2)
	v_cndmask_b32_e32 v8, v32, v30, vcc_lo
	v_cmp_class_f32_e64 s13, v9, 0x1f8
	s_delay_alu instid0(VALU_DEP_2)
	v_cmp_neq_f32_e32 vcc_lo, v9, v8
	s_or_b32 s14, vcc_lo, s13
	s_wait_alu 0xfffe
	s_and_saveexec_b32 s13, s14
	s_cbranch_execz .LBB356_175
; %bb.174:
	v_sub_f32_e32 v7, v9, v8
	s_mov_b32 s14, 0x3e9b6dac
	s_delay_alu instid0(VALU_DEP_1) | instskip(SKIP_1) | instid1(VALU_DEP_2)
	v_mul_f32_e32 v9, 0x3fb8aa3b, v7
	v_cmp_ngt_f32_e32 vcc_lo, 0xc2ce8ed0, v7
	v_fma_f32 v10, 0x3fb8aa3b, v7, -v9
	v_rndne_f32_e32 v30, v9
	s_delay_alu instid0(VALU_DEP_1) | instskip(NEXT) | instid1(VALU_DEP_1)
	v_dual_fmamk_f32 v10, v7, 0x32a5705f, v10 :: v_dual_sub_f32 v9, v9, v30
	v_add_f32_e32 v9, v9, v10
	v_cvt_i32_f32_e32 v10, v30
	s_delay_alu instid0(VALU_DEP_2) | instskip(NEXT) | instid1(TRANS32_DEP_1)
	v_exp_f32_e32 v9, v9
	v_ldexp_f32 v9, v9, v10
	s_wait_alu 0xfffd
	s_delay_alu instid0(VALU_DEP_1) | instskip(SKIP_2) | instid1(VALU_DEP_2)
	v_cndmask_b32_e32 v9, 0, v9, vcc_lo
	v_cmp_nlt_f32_e32 vcc_lo, 0x42b17218, v7
	s_wait_alu 0xfffd
	v_cndmask_b32_e32 v7, 0x7f800000, v9, vcc_lo
	s_delay_alu instid0(VALU_DEP_1) | instskip(NEXT) | instid1(VALU_DEP_1)
	v_add_f32_e32 v30, 1.0, v7
	v_cvt_f64_f32_e32 v[9:10], v30
	s_delay_alu instid0(VALU_DEP_1) | instskip(SKIP_1) | instid1(VALU_DEP_1)
	v_frexp_exp_i32_f64_e32 v9, v[9:10]
	v_frexp_mant_f32_e32 v10, v30
	v_cmp_gt_f32_e32 vcc_lo, 0x3f2aaaab, v10
	v_add_f32_e32 v10, -1.0, v30
	s_delay_alu instid0(VALU_DEP_1) | instskip(NEXT) | instid1(VALU_DEP_1)
	v_sub_f32_e32 v32, v10, v30
	v_add_f32_e32 v32, 1.0, v32
	v_sub_f32_e32 v10, v7, v10
	s_delay_alu instid0(VALU_DEP_1) | instskip(SKIP_3) | instid1(VALU_DEP_2)
	v_add_f32_e32 v10, v10, v32
	s_wait_alu 0xfffd
	v_subrev_co_ci_u32_e64 v9, null, 0, v9, vcc_lo
	v_cmp_neq_f32_e32 vcc_lo, 0x7f800000, v7
	v_sub_nc_u32_e32 v31, 0, v9
	v_cvt_f32_i32_e32 v9, v9
	s_delay_alu instid0(VALU_DEP_2) | instskip(SKIP_1) | instid1(VALU_DEP_2)
	v_ldexp_f32 v30, v30, v31
	v_ldexp_f32 v10, v10, v31
	v_add_f32_e32 v33, 1.0, v30
	s_delay_alu instid0(VALU_DEP_1) | instskip(NEXT) | instid1(VALU_DEP_1)
	v_dual_add_f32 v31, -1.0, v30 :: v_dual_add_f32 v32, -1.0, v33
	v_add_f32_e32 v34, 1.0, v31
	s_delay_alu instid0(VALU_DEP_2) | instskip(NEXT) | instid1(VALU_DEP_2)
	v_sub_f32_e32 v32, v30, v32
	v_sub_f32_e32 v30, v30, v34
	s_delay_alu instid0(VALU_DEP_2) | instskip(NEXT) | instid1(VALU_DEP_2)
	v_add_f32_e32 v32, v10, v32
	v_add_f32_e32 v10, v10, v30
	s_delay_alu instid0(VALU_DEP_1) | instskip(NEXT) | instid1(VALU_DEP_1)
	v_dual_add_f32 v35, v31, v10 :: v_dual_add_f32 v34, v33, v32
	v_sub_f32_e32 v31, v31, v35
	s_delay_alu instid0(VALU_DEP_2) | instskip(SKIP_1) | instid1(VALU_DEP_1)
	v_rcp_f32_e32 v30, v34
	v_sub_f32_e32 v33, v33, v34
	v_add_f32_e32 v32, v32, v33
	s_delay_alu instid0(TRANS32_DEP_1) | instskip(NEXT) | instid1(VALU_DEP_1)
	v_mul_f32_e32 v36, v35, v30
	v_mul_f32_e32 v37, v34, v36
	s_delay_alu instid0(VALU_DEP_1) | instskip(NEXT) | instid1(VALU_DEP_1)
	v_fma_f32 v33, v36, v34, -v37
	v_fmac_f32_e32 v33, v36, v32
	s_delay_alu instid0(VALU_DEP_1) | instskip(NEXT) | instid1(VALU_DEP_1)
	v_add_f32_e32 v38, v37, v33
	v_sub_f32_e32 v39, v35, v38
	s_delay_alu instid0(VALU_DEP_1) | instskip(SKIP_2) | instid1(VALU_DEP_3)
	v_sub_f32_e32 v35, v35, v39
	v_add_f32_e32 v10, v10, v31
	v_sub_f32_e32 v31, v38, v37
	v_sub_f32_e32 v35, v35, v38
	s_delay_alu instid0(VALU_DEP_1) | instskip(NEXT) | instid1(VALU_DEP_1)
	v_dual_sub_f32 v31, v31, v33 :: v_dual_add_f32 v10, v10, v35
	v_add_f32_e32 v10, v31, v10
	s_delay_alu instid0(VALU_DEP_1) | instskip(NEXT) | instid1(VALU_DEP_1)
	v_add_f32_e32 v31, v39, v10
	v_mul_f32_e32 v33, v30, v31
	s_delay_alu instid0(VALU_DEP_1) | instskip(NEXT) | instid1(VALU_DEP_1)
	v_dual_sub_f32 v38, v39, v31 :: v_dual_mul_f32 v35, v34, v33
	v_add_f32_e32 v10, v10, v38
	s_delay_alu instid0(VALU_DEP_2) | instskip(NEXT) | instid1(VALU_DEP_1)
	v_fma_f32 v34, v33, v34, -v35
	v_fmac_f32_e32 v34, v33, v32
	s_delay_alu instid0(VALU_DEP_1) | instskip(NEXT) | instid1(VALU_DEP_1)
	v_add_f32_e32 v32, v35, v34
	v_sub_f32_e32 v37, v31, v32
	s_delay_alu instid0(VALU_DEP_1) | instskip(NEXT) | instid1(VALU_DEP_1)
	v_sub_f32_e32 v31, v31, v37
	v_sub_f32_e32 v31, v31, v32
	s_delay_alu instid0(VALU_DEP_1) | instskip(SKIP_1) | instid1(VALU_DEP_1)
	v_dual_add_f32 v10, v10, v31 :: v_dual_add_f32 v31, v36, v33
	v_sub_f32_e32 v35, v32, v35
	v_sub_f32_e32 v32, v35, v34
	s_delay_alu instid0(VALU_DEP_1) | instskip(NEXT) | instid1(VALU_DEP_4)
	v_add_f32_e32 v10, v32, v10
	v_sub_f32_e32 v32, v31, v36
	s_delay_alu instid0(VALU_DEP_2) | instskip(NEXT) | instid1(VALU_DEP_2)
	v_add_f32_e32 v10, v37, v10
	v_sub_f32_e32 v32, v33, v32
	s_delay_alu instid0(VALU_DEP_2) | instskip(NEXT) | instid1(VALU_DEP_1)
	v_mul_f32_e32 v10, v30, v10
	v_add_f32_e32 v10, v32, v10
	s_delay_alu instid0(VALU_DEP_1) | instskip(NEXT) | instid1(VALU_DEP_1)
	v_add_f32_e32 v30, v31, v10
	v_mul_f32_e32 v32, v30, v30
	s_wait_alu 0xfffe
	s_delay_alu instid0(VALU_DEP_1) | instskip(SKIP_1) | instid1(VALU_DEP_2)
	v_fmaak_f32 v33, s14, v32, 0x3ecc95a3
	v_mul_f32_e32 v34, v30, v32
	v_fmaak_f32 v32, v32, v33, 0x3f2aaada
	v_ldexp_f32 v33, v30, 1
	v_sub_f32_e32 v30, v30, v31
	s_delay_alu instid0(VALU_DEP_3) | instskip(SKIP_1) | instid1(VALU_DEP_2)
	v_mul_f32_e32 v32, v34, v32
	v_mul_f32_e32 v34, 0x3f317218, v9
	v_dual_sub_f32 v10, v10, v30 :: v_dual_add_f32 v31, v33, v32
	s_delay_alu instid0(VALU_DEP_1) | instskip(NEXT) | instid1(VALU_DEP_2)
	v_ldexp_f32 v10, v10, 1
	v_sub_f32_e32 v30, v31, v33
	s_delay_alu instid0(VALU_DEP_4) | instskip(NEXT) | instid1(VALU_DEP_1)
	v_fma_f32 v33, 0x3f317218, v9, -v34
	v_dual_sub_f32 v30, v32, v30 :: v_dual_fmamk_f32 v9, v9, 0xb102e308, v33
	s_delay_alu instid0(VALU_DEP_1) | instskip(NEXT) | instid1(VALU_DEP_2)
	v_add_f32_e32 v10, v10, v30
	v_add_f32_e32 v30, v34, v9
	s_delay_alu instid0(VALU_DEP_2) | instskip(NEXT) | instid1(VALU_DEP_2)
	v_add_f32_e32 v32, v31, v10
	v_sub_f32_e32 v34, v30, v34
	s_delay_alu instid0(VALU_DEP_2) | instskip(SKIP_1) | instid1(VALU_DEP_3)
	v_add_f32_e32 v33, v30, v32
	v_sub_f32_e32 v31, v32, v31
	v_sub_f32_e32 v9, v9, v34
	s_delay_alu instid0(VALU_DEP_2) | instskip(NEXT) | instid1(VALU_DEP_1)
	v_dual_sub_f32 v35, v33, v30 :: v_dual_sub_f32 v10, v10, v31
	v_sub_f32_e32 v36, v33, v35
	s_delay_alu instid0(VALU_DEP_2) | instskip(NEXT) | instid1(VALU_DEP_2)
	v_dual_sub_f32 v31, v32, v35 :: v_dual_add_f32 v32, v9, v10
	v_sub_f32_e32 v30, v30, v36
	s_delay_alu instid0(VALU_DEP_1) | instskip(NEXT) | instid1(VALU_DEP_1)
	v_dual_add_f32 v30, v31, v30 :: v_dual_sub_f32 v31, v32, v9
	v_add_f32_e32 v30, v32, v30
	s_delay_alu instid0(VALU_DEP_2) | instskip(SKIP_1) | instid1(VALU_DEP_3)
	v_sub_f32_e32 v32, v32, v31
	v_sub_f32_e32 v10, v10, v31
	v_add_f32_e32 v34, v33, v30
	s_delay_alu instid0(VALU_DEP_3) | instskip(NEXT) | instid1(VALU_DEP_2)
	v_sub_f32_e32 v9, v9, v32
	v_sub_f32_e32 v31, v34, v33
	s_delay_alu instid0(VALU_DEP_2) | instskip(NEXT) | instid1(VALU_DEP_2)
	v_add_f32_e32 v9, v10, v9
	v_sub_f32_e32 v10, v30, v31
	s_delay_alu instid0(VALU_DEP_1) | instskip(NEXT) | instid1(VALU_DEP_1)
	v_add_f32_e32 v9, v9, v10
	v_add_f32_e32 v9, v34, v9
	s_wait_alu 0xfffd
	s_delay_alu instid0(VALU_DEP_1) | instskip(SKIP_2) | instid1(VALU_DEP_2)
	v_cndmask_b32_e32 v9, 0x7f800000, v9, vcc_lo
	v_cmp_gt_f32_e64 vcc_lo, 0x33800000, |v7|
	s_wait_alu 0xfffd
	v_cndmask_b32_e32 v7, v9, v7, vcc_lo
	s_delay_alu instid0(VALU_DEP_1) | instskip(NEXT) | instid1(VALU_DEP_1)
	v_add_f32_e32 v7, v8, v7
	v_cvt_f16_f32_e32 v7, v7
	s_delay_alu instid0(VALU_DEP_1)
	v_cvt_f32_f16_e32 v31, v7
.LBB356_175:
	s_wait_alu 0xfffe
	s_or_b32 exec_lo, exec_lo, s13
	s_delay_alu instid0(VALU_DEP_1) | instskip(SKIP_3) | instid1(VALU_DEP_4)
	v_dual_max_num_f32 v8, v13, v13 :: v_dual_max_num_f32 v9, v31, v31
	v_cmp_u_f16_e32 vcc_lo, v7, v7
	v_mov_b32_e32 v32, v7
	v_mov_b32_e32 v30, v7
	v_min_num_f32_e32 v10, v9, v8
	s_wait_alu 0xfffd
	s_delay_alu instid0(VALU_DEP_1) | instskip(NEXT) | instid1(VALU_DEP_1)
	v_dual_max_num_f32 v8, v9, v8 :: v_dual_cndmask_b32 v9, v10, v31
	v_cndmask_b32_e32 v8, v8, v31, vcc_lo
	s_delay_alu instid0(VALU_DEP_2) | instskip(NEXT) | instid1(VALU_DEP_2)
	v_cndmask_b32_e64 v9, v9, v13, s2
	v_cndmask_b32_e64 v8, v8, v13, s2
	s_delay_alu instid0(VALU_DEP_2) | instskip(NEXT) | instid1(VALU_DEP_2)
	v_cmp_class_f32_e64 s2, v9, 0x1f8
	v_cmp_neq_f32_e32 vcc_lo, v9, v8
	s_or_b32 s13, vcc_lo, s2
	s_wait_alu 0xfffe
	s_and_saveexec_b32 s2, s13
	s_cbranch_execz .LBB356_177
; %bb.176:
	v_sub_f32_e32 v9, v9, v8
	s_mov_b32 s13, 0x3e9b6dac
	s_delay_alu instid0(VALU_DEP_1) | instskip(NEXT) | instid1(VALU_DEP_1)
	v_mul_f32_e32 v10, 0x3fb8aa3b, v9
	v_fma_f32 v30, 0x3fb8aa3b, v9, -v10
	v_rndne_f32_e32 v31, v10
	s_delay_alu instid0(VALU_DEP_1) | instskip(NEXT) | instid1(VALU_DEP_3)
	v_sub_f32_e32 v10, v10, v31
	v_fmamk_f32 v30, v9, 0x32a5705f, v30
	v_cmp_ngt_f32_e32 vcc_lo, 0xc2ce8ed0, v9
	s_delay_alu instid0(VALU_DEP_2) | instskip(SKIP_1) | instid1(VALU_DEP_2)
	v_add_f32_e32 v10, v10, v30
	v_cvt_i32_f32_e32 v30, v31
	v_exp_f32_e32 v10, v10
	s_delay_alu instid0(TRANS32_DEP_1) | instskip(SKIP_1) | instid1(VALU_DEP_1)
	v_ldexp_f32 v10, v10, v30
	s_wait_alu 0xfffd
	v_cndmask_b32_e32 v10, 0, v10, vcc_lo
	v_cmp_nlt_f32_e32 vcc_lo, 0x42b17218, v9
	s_wait_alu 0xfffd
	s_delay_alu instid0(VALU_DEP_2) | instskip(NEXT) | instid1(VALU_DEP_1)
	v_cndmask_b32_e32 v30, 0x7f800000, v10, vcc_lo
	v_add_f32_e32 v31, 1.0, v30
	s_delay_alu instid0(VALU_DEP_1) | instskip(NEXT) | instid1(VALU_DEP_1)
	v_cvt_f64_f32_e32 v[9:10], v31
	v_frexp_exp_i32_f64_e32 v9, v[9:10]
	v_frexp_mant_f32_e32 v10, v31
	s_delay_alu instid0(VALU_DEP_1) | instskip(SKIP_1) | instid1(VALU_DEP_1)
	v_cmp_gt_f32_e32 vcc_lo, 0x3f2aaaab, v10
	v_add_f32_e32 v10, -1.0, v31
	v_sub_f32_e32 v33, v10, v31
	s_delay_alu instid0(VALU_DEP_1) | instskip(SKIP_2) | instid1(VALU_DEP_1)
	v_add_f32_e32 v33, 1.0, v33
	s_wait_alu 0xfffd
	v_subrev_co_ci_u32_e64 v9, null, 0, v9, vcc_lo
	v_sub_nc_u32_e32 v32, 0, v9
	v_cvt_f32_i32_e32 v9, v9
	s_delay_alu instid0(VALU_DEP_2) | instskip(SKIP_1) | instid1(VALU_DEP_1)
	v_ldexp_f32 v31, v31, v32
	v_sub_f32_e32 v10, v30, v10
	v_add_f32_e32 v10, v10, v33
	s_delay_alu instid0(VALU_DEP_1) | instskip(NEXT) | instid1(VALU_DEP_4)
	v_ldexp_f32 v10, v10, v32
	v_add_f32_e32 v34, 1.0, v31
	s_delay_alu instid0(VALU_DEP_1) | instskip(NEXT) | instid1(VALU_DEP_1)
	v_add_f32_e32 v33, -1.0, v34
	v_sub_f32_e32 v33, v31, v33
	s_delay_alu instid0(VALU_DEP_1) | instskip(NEXT) | instid1(VALU_DEP_1)
	v_dual_add_f32 v33, v10, v33 :: v_dual_add_f32 v32, -1.0, v31
	v_add_f32_e32 v35, 1.0, v32
	v_cmp_neq_f32_e32 vcc_lo, 0x7f800000, v30
	s_delay_alu instid0(VALU_DEP_2) | instskip(NEXT) | instid1(VALU_DEP_4)
	v_sub_f32_e32 v31, v31, v35
	v_add_f32_e32 v35, v34, v33
	s_delay_alu instid0(VALU_DEP_1) | instskip(NEXT) | instid1(VALU_DEP_3)
	v_sub_f32_e32 v34, v34, v35
	v_add_f32_e32 v10, v10, v31
	v_rcp_f32_e32 v31, v35
	s_delay_alu instid0(VALU_DEP_2) | instskip(NEXT) | instid1(VALU_DEP_2)
	v_add_f32_e32 v33, v33, v34
	v_add_f32_e32 v36, v32, v10
	s_delay_alu instid0(VALU_DEP_1)
	v_sub_f32_e32 v32, v32, v36
	s_delay_alu instid0(TRANS32_DEP_1) | instid1(VALU_DEP_1)
	v_dual_mul_f32 v37, v36, v31 :: v_dual_add_f32 v10, v10, v32
	s_delay_alu instid0(VALU_DEP_1) | instskip(NEXT) | instid1(VALU_DEP_1)
	v_mul_f32_e32 v38, v35, v37
	v_fma_f32 v34, v37, v35, -v38
	s_delay_alu instid0(VALU_DEP_1) | instskip(NEXT) | instid1(VALU_DEP_1)
	v_fmac_f32_e32 v34, v37, v33
	v_add_f32_e32 v39, v38, v34
	s_delay_alu instid0(VALU_DEP_1) | instskip(SKIP_1) | instid1(VALU_DEP_2)
	v_sub_f32_e32 v40, v36, v39
	v_sub_f32_e32 v32, v39, v38
	;; [unrolled: 1-line block ×3, first 2 shown]
	s_delay_alu instid0(VALU_DEP_2) | instskip(NEXT) | instid1(VALU_DEP_2)
	v_sub_f32_e32 v32, v32, v34
	v_sub_f32_e32 v36, v36, v39
	s_delay_alu instid0(VALU_DEP_1) | instskip(NEXT) | instid1(VALU_DEP_1)
	v_add_f32_e32 v10, v10, v36
	v_add_f32_e32 v10, v32, v10
	s_delay_alu instid0(VALU_DEP_1) | instskip(NEXT) | instid1(VALU_DEP_1)
	v_add_f32_e32 v32, v40, v10
	v_mul_f32_e32 v34, v31, v32
	s_delay_alu instid0(VALU_DEP_1) | instskip(NEXT) | instid1(VALU_DEP_1)
	v_dual_sub_f32 v39, v40, v32 :: v_dual_mul_f32 v36, v35, v34
	v_add_f32_e32 v10, v10, v39
	s_delay_alu instid0(VALU_DEP_2) | instskip(NEXT) | instid1(VALU_DEP_1)
	v_fma_f32 v35, v34, v35, -v36
	v_fmac_f32_e32 v35, v34, v33
	s_delay_alu instid0(VALU_DEP_1) | instskip(NEXT) | instid1(VALU_DEP_1)
	v_add_f32_e32 v33, v36, v35
	v_sub_f32_e32 v38, v32, v33
	v_sub_f32_e32 v36, v33, v36
	s_delay_alu instid0(VALU_DEP_2) | instskip(NEXT) | instid1(VALU_DEP_1)
	v_sub_f32_e32 v32, v32, v38
	v_sub_f32_e32 v32, v32, v33
	s_delay_alu instid0(VALU_DEP_1) | instskip(SKIP_1) | instid1(VALU_DEP_1)
	v_dual_sub_f32 v33, v36, v35 :: v_dual_add_f32 v10, v10, v32
	v_add_f32_e32 v32, v37, v34
	v_dual_add_f32 v10, v33, v10 :: v_dual_sub_f32 v33, v32, v37
	s_delay_alu instid0(VALU_DEP_1) | instskip(NEXT) | instid1(VALU_DEP_1)
	v_add_f32_e32 v10, v38, v10
	v_dual_sub_f32 v33, v34, v33 :: v_dual_mul_f32 v10, v31, v10
	s_delay_alu instid0(VALU_DEP_1) | instskip(NEXT) | instid1(VALU_DEP_1)
	v_add_f32_e32 v10, v33, v10
	v_add_f32_e32 v31, v32, v10
	s_delay_alu instid0(VALU_DEP_1) | instskip(SKIP_1) | instid1(VALU_DEP_1)
	v_mul_f32_e32 v33, v31, v31
	s_wait_alu 0xfffe
	v_fmaak_f32 v34, s13, v33, 0x3ecc95a3
	v_mul_f32_e32 v35, v31, v33
	s_delay_alu instid0(VALU_DEP_2) | instskip(SKIP_2) | instid1(VALU_DEP_3)
	v_fmaak_f32 v33, v33, v34, 0x3f2aaada
	v_ldexp_f32 v34, v31, 1
	v_sub_f32_e32 v31, v31, v32
	v_mul_f32_e32 v33, v35, v33
	s_delay_alu instid0(VALU_DEP_2) | instskip(NEXT) | instid1(VALU_DEP_2)
	v_dual_mul_f32 v35, 0x3f317218, v9 :: v_dual_sub_f32 v10, v10, v31
	v_add_f32_e32 v32, v34, v33
	s_delay_alu instid0(VALU_DEP_2) | instskip(NEXT) | instid1(VALU_DEP_2)
	v_ldexp_f32 v10, v10, 1
	v_sub_f32_e32 v31, v32, v34
	s_delay_alu instid0(VALU_DEP_4) | instskip(NEXT) | instid1(VALU_DEP_2)
	v_fma_f32 v34, 0x3f317218, v9, -v35
	v_sub_f32_e32 v31, v33, v31
	s_delay_alu instid0(VALU_DEP_1) | instskip(NEXT) | instid1(VALU_DEP_1)
	v_dual_fmamk_f32 v9, v9, 0xb102e308, v34 :: v_dual_add_f32 v10, v10, v31
	v_add_f32_e32 v31, v35, v9
	s_delay_alu instid0(VALU_DEP_2) | instskip(NEXT) | instid1(VALU_DEP_2)
	v_add_f32_e32 v33, v32, v10
	v_sub_f32_e32 v35, v31, v35
	s_delay_alu instid0(VALU_DEP_2) | instskip(SKIP_1) | instid1(VALU_DEP_3)
	v_add_f32_e32 v34, v31, v33
	v_sub_f32_e32 v32, v33, v32
	v_sub_f32_e32 v9, v9, v35
	s_delay_alu instid0(VALU_DEP_3) | instskip(NEXT) | instid1(VALU_DEP_3)
	v_sub_f32_e32 v36, v34, v31
	v_sub_f32_e32 v10, v10, v32
	s_delay_alu instid0(VALU_DEP_2) | instskip(SKIP_1) | instid1(VALU_DEP_3)
	v_sub_f32_e32 v37, v34, v36
	v_sub_f32_e32 v32, v33, v36
	v_add_f32_e32 v33, v9, v10
	s_delay_alu instid0(VALU_DEP_3) | instskip(NEXT) | instid1(VALU_DEP_1)
	v_sub_f32_e32 v31, v31, v37
	v_dual_add_f32 v31, v32, v31 :: v_dual_sub_f32 v32, v33, v9
	s_delay_alu instid0(VALU_DEP_1) | instskip(NEXT) | instid1(VALU_DEP_2)
	v_add_f32_e32 v31, v33, v31
	v_sub_f32_e32 v33, v33, v32
	v_sub_f32_e32 v10, v10, v32
	s_delay_alu instid0(VALU_DEP_3) | instskip(NEXT) | instid1(VALU_DEP_1)
	v_add_f32_e32 v35, v34, v31
	v_dual_sub_f32 v9, v9, v33 :: v_dual_sub_f32 v32, v35, v34
	s_delay_alu instid0(VALU_DEP_1) | instskip(NEXT) | instid1(VALU_DEP_1)
	v_dual_add_f32 v9, v10, v9 :: v_dual_sub_f32 v10, v31, v32
	v_add_f32_e32 v9, v9, v10
	s_delay_alu instid0(VALU_DEP_1) | instskip(SKIP_1) | instid1(VALU_DEP_1)
	v_add_f32_e32 v9, v35, v9
	s_wait_alu 0xfffd
	v_cndmask_b32_e32 v9, 0x7f800000, v9, vcc_lo
	v_cmp_gt_f32_e64 vcc_lo, 0x33800000, |v30|
	s_wait_alu 0xfffd
	s_delay_alu instid0(VALU_DEP_2) | instskip(NEXT) | instid1(VALU_DEP_1)
	v_cndmask_b32_e32 v9, v9, v30, vcc_lo
	v_add_f32_e32 v8, v8, v9
	s_delay_alu instid0(VALU_DEP_1) | instskip(NEXT) | instid1(VALU_DEP_1)
	v_cvt_f16_f32_e32 v32, v8
	v_cvt_f32_f16_e32 v31, v32
	v_mov_b32_e32 v30, v32
.LBB356_177:
	s_wait_alu 0xfffe
	s_or_b32 exec_lo, exec_lo, s2
	s_delay_alu instid0(VALU_DEP_2) | instskip(SKIP_1) | instid1(VALU_DEP_2)
	v_dual_max_num_f32 v8, v20, v20 :: v_dual_max_num_f32 v9, v31, v31
	v_cmp_u_f16_e32 vcc_lo, v32, v32
	v_min_num_f32_e32 v10, v9, v8
	s_wait_alu 0xfffd
	s_delay_alu instid0(VALU_DEP_1) | instskip(NEXT) | instid1(VALU_DEP_1)
	v_dual_max_num_f32 v8, v9, v8 :: v_dual_cndmask_b32 v9, v10, v31
	v_cndmask_b32_e32 v8, v8, v31, vcc_lo
	s_delay_alu instid0(VALU_DEP_2) | instskip(NEXT) | instid1(VALU_DEP_2)
	v_cndmask_b32_e64 v10, v9, v20, s3
	v_cndmask_b32_e64 v9, v8, v20, s3
	v_mov_b32_e32 v8, v30
	s_delay_alu instid0(VALU_DEP_3) | instskip(NEXT) | instid1(VALU_DEP_3)
	v_cmp_class_f32_e64 s2, v10, 0x1f8
	v_cmp_neq_f32_e32 vcc_lo, v10, v9
	s_or_b32 s3, vcc_lo, s2
	s_wait_alu 0xfffe
	s_and_saveexec_b32 s2, s3
	s_cbranch_execz .LBB356_179
; %bb.178:
	v_sub_f32_e32 v8, v10, v9
	s_mov_b32 s3, 0x3e9b6dac
	s_delay_alu instid0(VALU_DEP_1) | instskip(SKIP_1) | instid1(VALU_DEP_2)
	v_mul_f32_e32 v10, 0x3fb8aa3b, v8
	v_cmp_ngt_f32_e32 vcc_lo, 0xc2ce8ed0, v8
	v_fma_f32 v20, 0x3fb8aa3b, v8, -v10
	v_rndne_f32_e32 v31, v10
	s_delay_alu instid0(VALU_DEP_2) | instskip(NEXT) | instid1(VALU_DEP_2)
	v_fmamk_f32 v20, v8, 0x32a5705f, v20
	v_sub_f32_e32 v10, v10, v31
	s_delay_alu instid0(VALU_DEP_1) | instskip(SKIP_1) | instid1(VALU_DEP_2)
	v_add_f32_e32 v10, v10, v20
	v_cvt_i32_f32_e32 v20, v31
	v_exp_f32_e32 v10, v10
	s_delay_alu instid0(TRANS32_DEP_1) | instskip(SKIP_1) | instid1(VALU_DEP_1)
	v_ldexp_f32 v10, v10, v20
	s_wait_alu 0xfffd
	v_cndmask_b32_e32 v10, 0, v10, vcc_lo
	v_cmp_nlt_f32_e32 vcc_lo, 0x42b17218, v8
	s_wait_alu 0xfffd
	s_delay_alu instid0(VALU_DEP_2) | instskip(NEXT) | instid1(VALU_DEP_1)
	v_cndmask_b32_e32 v8, 0x7f800000, v10, vcc_lo
	v_add_f32_e32 v10, 1.0, v8
	s_delay_alu instid0(VALU_DEP_1) | instskip(NEXT) | instid1(VALU_DEP_1)
	v_cvt_f64_f32_e32 v[31:32], v10
	v_frexp_exp_i32_f64_e32 v20, v[31:32]
	v_frexp_mant_f32_e32 v31, v10
	s_delay_alu instid0(VALU_DEP_1) | instskip(SKIP_1) | instid1(VALU_DEP_1)
	v_cmp_gt_f32_e32 vcc_lo, 0x3f2aaaab, v31
	v_add_f32_e32 v31, -1.0, v10
	v_sub_f32_e32 v33, v31, v10
	v_sub_f32_e32 v31, v8, v31
	s_delay_alu instid0(VALU_DEP_2) | instskip(NEXT) | instid1(VALU_DEP_1)
	v_add_f32_e32 v33, 1.0, v33
	v_add_f32_e32 v31, v31, v33
	s_wait_alu 0xfffd
	v_subrev_co_ci_u32_e64 v20, null, 0, v20, vcc_lo
	s_delay_alu instid0(VALU_DEP_1) | instskip(SKIP_1) | instid1(VALU_DEP_2)
	v_sub_nc_u32_e32 v32, 0, v20
	v_cvt_f32_i32_e32 v20, v20
	v_ldexp_f32 v10, v10, v32
	v_ldexp_f32 v31, v31, v32
	s_delay_alu instid0(VALU_DEP_2) | instskip(NEXT) | instid1(VALU_DEP_1)
	v_add_f32_e32 v34, 1.0, v10
	v_add_f32_e32 v33, -1.0, v34
	s_delay_alu instid0(VALU_DEP_1) | instskip(SKIP_1) | instid1(VALU_DEP_2)
	v_sub_f32_e32 v33, v10, v33
	v_cmp_neq_f32_e32 vcc_lo, 0x7f800000, v8
	v_dual_add_f32 v33, v31, v33 :: v_dual_add_f32 v32, -1.0, v10
	s_delay_alu instid0(VALU_DEP_1) | instskip(NEXT) | instid1(VALU_DEP_1)
	v_add_f32_e32 v35, 1.0, v32
	v_sub_f32_e32 v10, v10, v35
	s_delay_alu instid0(VALU_DEP_3) | instskip(NEXT) | instid1(VALU_DEP_1)
	v_add_f32_e32 v35, v34, v33
	v_sub_f32_e32 v34, v34, v35
	s_delay_alu instid0(VALU_DEP_1) | instskip(NEXT) | instid1(VALU_DEP_4)
	v_add_f32_e32 v33, v33, v34
	v_add_f32_e32 v10, v31, v10
	v_rcp_f32_e32 v31, v35
	s_delay_alu instid0(VALU_DEP_1) | instskip(NEXT) | instid1(VALU_DEP_1)
	v_add_f32_e32 v36, v32, v10
	v_sub_f32_e32 v32, v32, v36
	s_delay_alu instid0(TRANS32_DEP_1) | instid1(VALU_DEP_1)
	v_dual_mul_f32 v37, v36, v31 :: v_dual_add_f32 v10, v10, v32
	s_delay_alu instid0(VALU_DEP_1) | instskip(NEXT) | instid1(VALU_DEP_1)
	v_mul_f32_e32 v38, v35, v37
	v_fma_f32 v34, v37, v35, -v38
	s_delay_alu instid0(VALU_DEP_1) | instskip(NEXT) | instid1(VALU_DEP_1)
	v_fmac_f32_e32 v34, v37, v33
	v_add_f32_e32 v39, v38, v34
	s_delay_alu instid0(VALU_DEP_1) | instskip(SKIP_1) | instid1(VALU_DEP_2)
	v_sub_f32_e32 v40, v36, v39
	v_sub_f32_e32 v32, v39, v38
	;; [unrolled: 1-line block ×3, first 2 shown]
	s_delay_alu instid0(VALU_DEP_2) | instskip(NEXT) | instid1(VALU_DEP_2)
	v_sub_f32_e32 v32, v32, v34
	v_sub_f32_e32 v36, v36, v39
	s_delay_alu instid0(VALU_DEP_1) | instskip(NEXT) | instid1(VALU_DEP_1)
	v_add_f32_e32 v10, v10, v36
	v_add_f32_e32 v10, v32, v10
	s_delay_alu instid0(VALU_DEP_1) | instskip(NEXT) | instid1(VALU_DEP_1)
	v_add_f32_e32 v32, v40, v10
	v_mul_f32_e32 v34, v31, v32
	s_delay_alu instid0(VALU_DEP_1) | instskip(NEXT) | instid1(VALU_DEP_1)
	v_dual_sub_f32 v39, v40, v32 :: v_dual_mul_f32 v36, v35, v34
	v_add_f32_e32 v10, v10, v39
	s_delay_alu instid0(VALU_DEP_2) | instskip(NEXT) | instid1(VALU_DEP_1)
	v_fma_f32 v35, v34, v35, -v36
	v_fmac_f32_e32 v35, v34, v33
	s_delay_alu instid0(VALU_DEP_1) | instskip(NEXT) | instid1(VALU_DEP_1)
	v_add_f32_e32 v33, v36, v35
	v_sub_f32_e32 v38, v32, v33
	v_sub_f32_e32 v36, v33, v36
	s_delay_alu instid0(VALU_DEP_2) | instskip(NEXT) | instid1(VALU_DEP_1)
	v_sub_f32_e32 v32, v32, v38
	v_sub_f32_e32 v32, v32, v33
	s_delay_alu instid0(VALU_DEP_1) | instskip(SKIP_1) | instid1(VALU_DEP_1)
	v_dual_sub_f32 v33, v36, v35 :: v_dual_add_f32 v10, v10, v32
	v_add_f32_e32 v32, v37, v34
	v_dual_add_f32 v10, v33, v10 :: v_dual_sub_f32 v33, v32, v37
	s_delay_alu instid0(VALU_DEP_1) | instskip(NEXT) | instid1(VALU_DEP_1)
	v_add_f32_e32 v10, v38, v10
	v_dual_sub_f32 v33, v34, v33 :: v_dual_mul_f32 v10, v31, v10
	s_delay_alu instid0(VALU_DEP_1) | instskip(NEXT) | instid1(VALU_DEP_1)
	v_add_f32_e32 v10, v33, v10
	v_add_f32_e32 v31, v32, v10
	s_delay_alu instid0(VALU_DEP_1) | instskip(SKIP_1) | instid1(VALU_DEP_1)
	v_mul_f32_e32 v33, v31, v31
	s_wait_alu 0xfffe
	v_fmaak_f32 v34, s3, v33, 0x3ecc95a3
	v_mul_f32_e32 v35, v31, v33
	s_delay_alu instid0(VALU_DEP_2) | instskip(SKIP_2) | instid1(VALU_DEP_3)
	v_fmaak_f32 v33, v33, v34, 0x3f2aaada
	v_ldexp_f32 v34, v31, 1
	v_sub_f32_e32 v31, v31, v32
	v_mul_f32_e32 v33, v35, v33
	s_delay_alu instid0(VALU_DEP_2) | instskip(NEXT) | instid1(VALU_DEP_2)
	v_dual_mul_f32 v35, 0x3f317218, v20 :: v_dual_sub_f32 v10, v10, v31
	v_add_f32_e32 v32, v34, v33
	s_delay_alu instid0(VALU_DEP_2) | instskip(NEXT) | instid1(VALU_DEP_2)
	v_ldexp_f32 v10, v10, 1
	v_sub_f32_e32 v31, v32, v34
	s_delay_alu instid0(VALU_DEP_4) | instskip(NEXT) | instid1(VALU_DEP_1)
	v_fma_f32 v34, 0x3f317218, v20, -v35
	v_dual_sub_f32 v31, v33, v31 :: v_dual_fmamk_f32 v20, v20, 0xb102e308, v34
	s_delay_alu instid0(VALU_DEP_1) | instskip(NEXT) | instid1(VALU_DEP_1)
	v_dual_add_f32 v10, v10, v31 :: v_dual_add_f32 v31, v35, v20
	v_add_f32_e32 v33, v32, v10
	s_delay_alu instid0(VALU_DEP_2) | instskip(NEXT) | instid1(VALU_DEP_2)
	v_sub_f32_e32 v35, v31, v35
	v_add_f32_e32 v34, v31, v33
	v_sub_f32_e32 v32, v33, v32
	s_delay_alu instid0(VALU_DEP_3) | instskip(NEXT) | instid1(VALU_DEP_3)
	v_sub_f32_e32 v20, v20, v35
	v_sub_f32_e32 v36, v34, v31
	s_delay_alu instid0(VALU_DEP_3) | instskip(NEXT) | instid1(VALU_DEP_2)
	v_sub_f32_e32 v10, v10, v32
	v_sub_f32_e32 v37, v34, v36
	s_delay_alu instid0(VALU_DEP_2) | instskip(NEXT) | instid1(VALU_DEP_2)
	v_dual_sub_f32 v32, v33, v36 :: v_dual_add_f32 v33, v20, v10
	v_sub_f32_e32 v31, v31, v37
	s_delay_alu instid0(VALU_DEP_1) | instskip(NEXT) | instid1(VALU_DEP_1)
	v_dual_add_f32 v31, v32, v31 :: v_dual_sub_f32 v32, v33, v20
	v_add_f32_e32 v31, v33, v31
	s_delay_alu instid0(VALU_DEP_2) | instskip(SKIP_1) | instid1(VALU_DEP_2)
	v_sub_f32_e32 v33, v33, v32
	v_sub_f32_e32 v10, v10, v32
	v_dual_add_f32 v35, v34, v31 :: v_dual_sub_f32 v20, v20, v33
	s_delay_alu instid0(VALU_DEP_1) | instskip(NEXT) | instid1(VALU_DEP_2)
	v_sub_f32_e32 v32, v35, v34
	v_add_f32_e32 v10, v10, v20
	s_delay_alu instid0(VALU_DEP_2) | instskip(NEXT) | instid1(VALU_DEP_1)
	v_sub_f32_e32 v20, v31, v32
	v_add_f32_e32 v10, v10, v20
	s_delay_alu instid0(VALU_DEP_1) | instskip(SKIP_1) | instid1(VALU_DEP_1)
	v_add_f32_e32 v10, v35, v10
	s_wait_alu 0xfffd
	v_cndmask_b32_e32 v10, 0x7f800000, v10, vcc_lo
	v_cmp_gt_f32_e64 vcc_lo, 0x33800000, |v8|
	s_wait_alu 0xfffd
	s_delay_alu instid0(VALU_DEP_2) | instskip(NEXT) | instid1(VALU_DEP_1)
	v_cndmask_b32_e32 v8, v10, v8, vcc_lo
	v_add_f32_e32 v8, v9, v8
	s_delay_alu instid0(VALU_DEP_1) | instskip(NEXT) | instid1(VALU_DEP_1)
	v_cvt_f16_f32_e32 v32, v8
	v_cvt_f32_f16_e32 v31, v32
	v_mov_b32_e32 v8, v32
.LBB356_179:
	s_wait_alu 0xfffe
	s_or_b32 exec_lo, exec_lo, s2
	s_delay_alu instid0(VALU_DEP_2) | instskip(SKIP_1) | instid1(VALU_DEP_2)
	v_dual_max_num_f32 v9, v21, v21 :: v_dual_max_num_f32 v10, v31, v31
	v_cmp_u_f16_e32 vcc_lo, v32, v32
	v_min_num_f32_e32 v20, v10, v9
	v_max_num_f32_e32 v9, v10, v9
	s_wait_alu 0xfffd
	s_delay_alu instid0(VALU_DEP_1) | instskip(NEXT) | instid1(VALU_DEP_3)
	v_cndmask_b32_e32 v9, v9, v31, vcc_lo
	v_cndmask_b32_e32 v10, v20, v31, vcc_lo
	v_mov_b32_e32 v20, v8
	s_delay_alu instid0(VALU_DEP_3) | instskip(NEXT) | instid1(VALU_DEP_3)
	v_cndmask_b32_e64 v9, v9, v21, s4
	v_cndmask_b32_e64 v10, v10, v21, s4
	s_delay_alu instid0(VALU_DEP_1)
	v_cmp_neq_f32_e32 vcc_lo, v10, v9
	v_cmp_class_f32_e64 s2, v10, 0x1f8
	s_or_b32 s3, vcc_lo, s2
	s_wait_alu 0xfffe
	s_and_saveexec_b32 s2, s3
	s_cbranch_execz .LBB356_181
; %bb.180:
	v_sub_f32_e32 v10, v10, v9
	s_mov_b32 s3, 0x3e9b6dac
	s_delay_alu instid0(VALU_DEP_1) | instskip(SKIP_1) | instid1(VALU_DEP_2)
	v_mul_f32_e32 v20, 0x3fb8aa3b, v10
	v_cmp_ngt_f32_e32 vcc_lo, 0xc2ce8ed0, v10
	v_fma_f32 v21, 0x3fb8aa3b, v10, -v20
	v_rndne_f32_e32 v31, v20
	s_delay_alu instid0(VALU_DEP_1) | instskip(NEXT) | instid1(VALU_DEP_1)
	v_dual_fmamk_f32 v21, v10, 0x32a5705f, v21 :: v_dual_sub_f32 v20, v20, v31
	v_add_f32_e32 v20, v20, v21
	v_cvt_i32_f32_e32 v21, v31
	s_delay_alu instid0(VALU_DEP_2) | instskip(NEXT) | instid1(TRANS32_DEP_1)
	v_exp_f32_e32 v20, v20
	v_ldexp_f32 v20, v20, v21
	s_wait_alu 0xfffd
	s_delay_alu instid0(VALU_DEP_1) | instskip(SKIP_2) | instid1(VALU_DEP_2)
	v_cndmask_b32_e32 v20, 0, v20, vcc_lo
	v_cmp_nlt_f32_e32 vcc_lo, 0x42b17218, v10
	s_wait_alu 0xfffd
	v_cndmask_b32_e32 v10, 0x7f800000, v20, vcc_lo
	s_delay_alu instid0(VALU_DEP_1) | instskip(NEXT) | instid1(VALU_DEP_1)
	v_add_f32_e32 v31, 1.0, v10
	v_cvt_f64_f32_e32 v[20:21], v31
	s_delay_alu instid0(VALU_DEP_1) | instskip(SKIP_1) | instid1(VALU_DEP_1)
	v_frexp_exp_i32_f64_e32 v20, v[20:21]
	v_frexp_mant_f32_e32 v21, v31
	v_cmp_gt_f32_e32 vcc_lo, 0x3f2aaaab, v21
	v_add_f32_e32 v21, -1.0, v31
	s_delay_alu instid0(VALU_DEP_1) | instskip(NEXT) | instid1(VALU_DEP_1)
	v_sub_f32_e32 v33, v21, v31
	v_add_f32_e32 v33, 1.0, v33
	v_sub_f32_e32 v21, v10, v21
	s_delay_alu instid0(VALU_DEP_1) | instskip(SKIP_3) | instid1(VALU_DEP_2)
	v_add_f32_e32 v21, v21, v33
	s_wait_alu 0xfffd
	v_subrev_co_ci_u32_e64 v20, null, 0, v20, vcc_lo
	v_cmp_neq_f32_e32 vcc_lo, 0x7f800000, v10
	v_sub_nc_u32_e32 v32, 0, v20
	v_cvt_f32_i32_e32 v20, v20
	s_delay_alu instid0(VALU_DEP_2) | instskip(SKIP_1) | instid1(VALU_DEP_2)
	v_ldexp_f32 v31, v31, v32
	v_ldexp_f32 v21, v21, v32
	v_add_f32_e32 v34, 1.0, v31
	s_delay_alu instid0(VALU_DEP_1) | instskip(NEXT) | instid1(VALU_DEP_1)
	v_dual_add_f32 v32, -1.0, v31 :: v_dual_add_f32 v33, -1.0, v34
	v_add_f32_e32 v35, 1.0, v32
	s_delay_alu instid0(VALU_DEP_2) | instskip(NEXT) | instid1(VALU_DEP_2)
	v_sub_f32_e32 v33, v31, v33
	v_sub_f32_e32 v31, v31, v35
	s_delay_alu instid0(VALU_DEP_2) | instskip(NEXT) | instid1(VALU_DEP_2)
	v_add_f32_e32 v33, v21, v33
	v_add_f32_e32 v21, v21, v31
	s_delay_alu instid0(VALU_DEP_1) | instskip(NEXT) | instid1(VALU_DEP_1)
	v_add_f32_e32 v36, v32, v21
	v_dual_add_f32 v35, v34, v33 :: v_dual_sub_f32 v32, v32, v36
	s_delay_alu instid0(VALU_DEP_1) | instskip(SKIP_1) | instid1(VALU_DEP_1)
	v_rcp_f32_e32 v31, v35
	v_sub_f32_e32 v34, v34, v35
	v_add_f32_e32 v33, v33, v34
	s_delay_alu instid0(TRANS32_DEP_1) | instskip(NEXT) | instid1(VALU_DEP_1)
	v_mul_f32_e32 v37, v36, v31
	v_mul_f32_e32 v38, v35, v37
	s_delay_alu instid0(VALU_DEP_1) | instskip(NEXT) | instid1(VALU_DEP_1)
	v_fma_f32 v34, v37, v35, -v38
	v_fmac_f32_e32 v34, v37, v33
	s_delay_alu instid0(VALU_DEP_1) | instskip(NEXT) | instid1(VALU_DEP_1)
	v_add_f32_e32 v39, v38, v34
	v_sub_f32_e32 v40, v36, v39
	s_delay_alu instid0(VALU_DEP_1) | instskip(SKIP_1) | instid1(VALU_DEP_2)
	v_sub_f32_e32 v36, v36, v40
	v_dual_add_f32 v21, v21, v32 :: v_dual_sub_f32 v32, v39, v38
	v_sub_f32_e32 v36, v36, v39
	s_delay_alu instid0(VALU_DEP_1) | instskip(NEXT) | instid1(VALU_DEP_1)
	v_dual_sub_f32 v32, v32, v34 :: v_dual_add_f32 v21, v21, v36
	v_add_f32_e32 v21, v32, v21
	s_delay_alu instid0(VALU_DEP_1) | instskip(NEXT) | instid1(VALU_DEP_1)
	v_add_f32_e32 v32, v40, v21
	v_mul_f32_e32 v34, v31, v32
	s_delay_alu instid0(VALU_DEP_1) | instskip(NEXT) | instid1(VALU_DEP_1)
	v_dual_sub_f32 v39, v40, v32 :: v_dual_mul_f32 v36, v35, v34
	v_add_f32_e32 v21, v21, v39
	s_delay_alu instid0(VALU_DEP_2) | instskip(NEXT) | instid1(VALU_DEP_1)
	v_fma_f32 v35, v34, v35, -v36
	v_fmac_f32_e32 v35, v34, v33
	s_delay_alu instid0(VALU_DEP_1) | instskip(NEXT) | instid1(VALU_DEP_1)
	v_add_f32_e32 v33, v36, v35
	v_sub_f32_e32 v38, v32, v33
	s_delay_alu instid0(VALU_DEP_1) | instskip(NEXT) | instid1(VALU_DEP_1)
	v_sub_f32_e32 v32, v32, v38
	v_sub_f32_e32 v32, v32, v33
	s_delay_alu instid0(VALU_DEP_1) | instskip(SKIP_2) | instid1(VALU_DEP_1)
	v_add_f32_e32 v21, v21, v32
	v_add_f32_e32 v32, v37, v34
	v_sub_f32_e32 v36, v33, v36
	v_sub_f32_e32 v33, v36, v35
	s_delay_alu instid0(VALU_DEP_1) | instskip(NEXT) | instid1(VALU_DEP_4)
	v_add_f32_e32 v21, v33, v21
	v_sub_f32_e32 v33, v32, v37
	s_delay_alu instid0(VALU_DEP_2) | instskip(NEXT) | instid1(VALU_DEP_2)
	v_add_f32_e32 v21, v38, v21
	v_sub_f32_e32 v33, v34, v33
	s_delay_alu instid0(VALU_DEP_2) | instskip(NEXT) | instid1(VALU_DEP_1)
	v_mul_f32_e32 v21, v31, v21
	v_add_f32_e32 v21, v33, v21
	s_delay_alu instid0(VALU_DEP_1) | instskip(NEXT) | instid1(VALU_DEP_1)
	v_add_f32_e32 v31, v32, v21
	v_mul_f32_e32 v33, v31, v31
	s_wait_alu 0xfffe
	s_delay_alu instid0(VALU_DEP_1) | instskip(SKIP_1) | instid1(VALU_DEP_2)
	v_fmaak_f32 v34, s3, v33, 0x3ecc95a3
	v_mul_f32_e32 v35, v31, v33
	v_fmaak_f32 v33, v33, v34, 0x3f2aaada
	v_ldexp_f32 v34, v31, 1
	v_sub_f32_e32 v31, v31, v32
	s_delay_alu instid0(VALU_DEP_3) | instskip(NEXT) | instid1(VALU_DEP_1)
	v_mul_f32_e32 v33, v35, v33
	v_dual_sub_f32 v21, v21, v31 :: v_dual_add_f32 v32, v34, v33
	s_delay_alu instid0(VALU_DEP_1) | instskip(NEXT) | instid1(VALU_DEP_2)
	v_ldexp_f32 v21, v21, 1
	v_sub_f32_e32 v31, v32, v34
	s_delay_alu instid0(VALU_DEP_1) | instskip(NEXT) | instid1(VALU_DEP_1)
	v_sub_f32_e32 v31, v33, v31
	v_add_f32_e32 v21, v21, v31
	s_delay_alu instid0(VALU_DEP_1) | instskip(SKIP_1) | instid1(VALU_DEP_2)
	v_add_f32_e32 v33, v32, v21
	v_mul_f32_e32 v35, 0x3f317218, v20
	v_sub_f32_e32 v32, v33, v32
	s_delay_alu instid0(VALU_DEP_2) | instskip(NEXT) | instid1(VALU_DEP_1)
	v_fma_f32 v34, 0x3f317218, v20, -v35
	v_dual_sub_f32 v21, v21, v32 :: v_dual_fmamk_f32 v20, v20, 0xb102e308, v34
	s_delay_alu instid0(VALU_DEP_1) | instskip(NEXT) | instid1(VALU_DEP_1)
	v_add_f32_e32 v31, v35, v20
	v_add_f32_e32 v34, v31, v33
	v_sub_f32_e32 v35, v31, v35
	s_delay_alu instid0(VALU_DEP_2) | instskip(NEXT) | instid1(VALU_DEP_1)
	v_sub_f32_e32 v36, v34, v31
	v_dual_sub_f32 v20, v20, v35 :: v_dual_sub_f32 v37, v34, v36
	s_delay_alu instid0(VALU_DEP_1) | instskip(NEXT) | instid1(VALU_DEP_2)
	v_dual_sub_f32 v32, v33, v36 :: v_dual_add_f32 v33, v20, v21
	v_sub_f32_e32 v31, v31, v37
	s_delay_alu instid0(VALU_DEP_1) | instskip(NEXT) | instid1(VALU_DEP_1)
	v_dual_add_f32 v31, v32, v31 :: v_dual_sub_f32 v32, v33, v20
	v_add_f32_e32 v31, v33, v31
	s_delay_alu instid0(VALU_DEP_2) | instskip(SKIP_1) | instid1(VALU_DEP_2)
	v_sub_f32_e32 v33, v33, v32
	v_sub_f32_e32 v21, v21, v32
	v_dual_add_f32 v35, v34, v31 :: v_dual_sub_f32 v20, v20, v33
	s_delay_alu instid0(VALU_DEP_1) | instskip(NEXT) | instid1(VALU_DEP_2)
	v_sub_f32_e32 v32, v35, v34
	v_add_f32_e32 v20, v21, v20
	s_delay_alu instid0(VALU_DEP_2) | instskip(NEXT) | instid1(VALU_DEP_1)
	v_sub_f32_e32 v21, v31, v32
	v_add_f32_e32 v20, v20, v21
	s_delay_alu instid0(VALU_DEP_1) | instskip(SKIP_1) | instid1(VALU_DEP_1)
	v_add_f32_e32 v20, v35, v20
	s_wait_alu 0xfffd
	v_cndmask_b32_e32 v20, 0x7f800000, v20, vcc_lo
	v_cmp_gt_f32_e64 vcc_lo, 0x33800000, |v10|
	s_wait_alu 0xfffd
	s_delay_alu instid0(VALU_DEP_2) | instskip(NEXT) | instid1(VALU_DEP_1)
	v_cndmask_b32_e32 v10, v20, v10, vcc_lo
	v_add_f32_e32 v9, v9, v10
	s_delay_alu instid0(VALU_DEP_1) | instskip(NEXT) | instid1(VALU_DEP_1)
	v_cvt_f16_f32_e32 v32, v9
	v_cvt_f32_f16_e32 v31, v32
	v_mov_b32_e32 v20, v32
.LBB356_181:
	s_wait_alu 0xfffe
	s_or_b32 exec_lo, exec_lo, s2
	s_delay_alu instid0(VALU_DEP_2) | instskip(SKIP_1) | instid1(VALU_DEP_2)
	v_dual_max_num_f32 v9, v22, v22 :: v_dual_max_num_f32 v10, v31, v31
	v_cmp_u_f16_e32 vcc_lo, v32, v32
	v_min_num_f32_e32 v21, v10, v9
	s_wait_alu 0xfffd
	s_delay_alu instid0(VALU_DEP_1) | instskip(NEXT) | instid1(VALU_DEP_1)
	v_dual_max_num_f32 v9, v10, v9 :: v_dual_cndmask_b32 v10, v21, v31
	v_cndmask_b32_e32 v9, v9, v31, vcc_lo
	s_delay_alu instid0(VALU_DEP_2) | instskip(NEXT) | instid1(VALU_DEP_2)
	v_cndmask_b32_e64 v21, v10, v22, s5
	v_cndmask_b32_e64 v10, v9, v22, s5
	v_mov_b32_e32 v9, v20
	s_delay_alu instid0(VALU_DEP_3) | instskip(NEXT) | instid1(VALU_DEP_3)
	v_cmp_class_f32_e64 s2, v21, 0x1f8
	v_cmp_neq_f32_e32 vcc_lo, v21, v10
	s_or_b32 s3, vcc_lo, s2
	s_wait_alu 0xfffe
	s_and_saveexec_b32 s2, s3
	s_cbranch_execz .LBB356_183
; %bb.182:
	v_sub_f32_e32 v9, v21, v10
	s_mov_b32 s3, 0x3e9b6dac
	s_delay_alu instid0(VALU_DEP_1) | instskip(SKIP_1) | instid1(VALU_DEP_2)
	v_mul_f32_e32 v21, 0x3fb8aa3b, v9
	v_cmp_ngt_f32_e32 vcc_lo, 0xc2ce8ed0, v9
	v_fma_f32 v22, 0x3fb8aa3b, v9, -v21
	v_rndne_f32_e32 v31, v21
	s_delay_alu instid0(VALU_DEP_2) | instskip(NEXT) | instid1(VALU_DEP_2)
	v_fmamk_f32 v22, v9, 0x32a5705f, v22
	v_sub_f32_e32 v21, v21, v31
	s_delay_alu instid0(VALU_DEP_1) | instskip(SKIP_1) | instid1(VALU_DEP_2)
	v_add_f32_e32 v21, v21, v22
	v_cvt_i32_f32_e32 v22, v31
	v_exp_f32_e32 v21, v21
	s_delay_alu instid0(TRANS32_DEP_1) | instskip(SKIP_1) | instid1(VALU_DEP_1)
	v_ldexp_f32 v21, v21, v22
	s_wait_alu 0xfffd
	v_cndmask_b32_e32 v21, 0, v21, vcc_lo
	v_cmp_nlt_f32_e32 vcc_lo, 0x42b17218, v9
	s_wait_alu 0xfffd
	s_delay_alu instid0(VALU_DEP_2) | instskip(NEXT) | instid1(VALU_DEP_1)
	v_cndmask_b32_e32 v9, 0x7f800000, v21, vcc_lo
	v_add_f32_e32 v31, 1.0, v9
	s_delay_alu instid0(VALU_DEP_1) | instskip(NEXT) | instid1(VALU_DEP_1)
	v_cvt_f64_f32_e32 v[21:22], v31
	v_frexp_exp_i32_f64_e32 v21, v[21:22]
	v_frexp_mant_f32_e32 v22, v31
	s_delay_alu instid0(VALU_DEP_1) | instskip(SKIP_1) | instid1(VALU_DEP_1)
	v_cmp_gt_f32_e32 vcc_lo, 0x3f2aaaab, v22
	v_add_f32_e32 v22, -1.0, v31
	v_dual_sub_f32 v33, v22, v31 :: v_dual_sub_f32 v22, v9, v22
	s_delay_alu instid0(VALU_DEP_1) | instskip(NEXT) | instid1(VALU_DEP_1)
	v_add_f32_e32 v33, 1.0, v33
	v_add_f32_e32 v22, v22, v33
	s_wait_alu 0xfffd
	v_subrev_co_ci_u32_e64 v21, null, 0, v21, vcc_lo
	s_delay_alu instid0(VALU_DEP_1) | instskip(SKIP_1) | instid1(VALU_DEP_2)
	v_sub_nc_u32_e32 v32, 0, v21
	v_cvt_f32_i32_e32 v21, v21
	v_ldexp_f32 v31, v31, v32
	v_ldexp_f32 v22, v22, v32
	s_delay_alu instid0(VALU_DEP_2) | instskip(SKIP_2) | instid1(VALU_DEP_3)
	v_add_f32_e32 v34, 1.0, v31
	v_add_f32_e32 v32, -1.0, v31
	v_cmp_neq_f32_e32 vcc_lo, 0x7f800000, v9
	v_add_f32_e32 v33, -1.0, v34
	s_delay_alu instid0(VALU_DEP_3) | instskip(NEXT) | instid1(VALU_DEP_2)
	v_add_f32_e32 v35, 1.0, v32
	v_sub_f32_e32 v33, v31, v33
	s_delay_alu instid0(VALU_DEP_2) | instskip(NEXT) | instid1(VALU_DEP_2)
	v_sub_f32_e32 v31, v31, v35
	v_add_f32_e32 v33, v22, v33
	s_delay_alu instid0(VALU_DEP_2) | instskip(NEXT) | instid1(VALU_DEP_1)
	v_add_f32_e32 v22, v22, v31
	v_add_f32_e32 v36, v32, v22
	s_delay_alu instid0(VALU_DEP_1) | instskip(NEXT) | instid1(VALU_DEP_1)
	v_dual_sub_f32 v32, v32, v36 :: v_dual_add_f32 v35, v34, v33
	v_add_f32_e32 v22, v22, v32
	s_delay_alu instid0(VALU_DEP_2) | instskip(SKIP_1) | instid1(VALU_DEP_1)
	v_rcp_f32_e32 v31, v35
	v_sub_f32_e32 v34, v34, v35
	v_add_f32_e32 v33, v33, v34
	s_delay_alu instid0(TRANS32_DEP_1) | instskip(NEXT) | instid1(VALU_DEP_1)
	v_mul_f32_e32 v37, v36, v31
	v_mul_f32_e32 v38, v35, v37
	s_delay_alu instid0(VALU_DEP_1) | instskip(NEXT) | instid1(VALU_DEP_1)
	v_fma_f32 v34, v37, v35, -v38
	v_fmac_f32_e32 v34, v37, v33
	s_delay_alu instid0(VALU_DEP_1) | instskip(NEXT) | instid1(VALU_DEP_1)
	v_add_f32_e32 v39, v38, v34
	v_sub_f32_e32 v40, v36, v39
	v_sub_f32_e32 v32, v39, v38
	s_delay_alu instid0(VALU_DEP_2) | instskip(NEXT) | instid1(VALU_DEP_1)
	v_sub_f32_e32 v36, v36, v40
	v_sub_f32_e32 v36, v36, v39
	s_delay_alu instid0(VALU_DEP_3) | instskip(NEXT) | instid1(VALU_DEP_2)
	v_sub_f32_e32 v32, v32, v34
	v_add_f32_e32 v22, v22, v36
	s_delay_alu instid0(VALU_DEP_1) | instskip(NEXT) | instid1(VALU_DEP_1)
	v_add_f32_e32 v22, v32, v22
	v_add_f32_e32 v32, v40, v22
	s_delay_alu instid0(VALU_DEP_1) | instskip(NEXT) | instid1(VALU_DEP_1)
	v_mul_f32_e32 v34, v31, v32
	v_dual_sub_f32 v39, v40, v32 :: v_dual_mul_f32 v36, v35, v34
	s_delay_alu instid0(VALU_DEP_1) | instskip(NEXT) | instid1(VALU_DEP_2)
	v_add_f32_e32 v22, v22, v39
	v_fma_f32 v35, v34, v35, -v36
	s_delay_alu instid0(VALU_DEP_1) | instskip(NEXT) | instid1(VALU_DEP_1)
	v_fmac_f32_e32 v35, v34, v33
	v_add_f32_e32 v33, v36, v35
	s_delay_alu instid0(VALU_DEP_1) | instskip(NEXT) | instid1(VALU_DEP_1)
	v_sub_f32_e32 v38, v32, v33
	v_sub_f32_e32 v32, v32, v38
	s_delay_alu instid0(VALU_DEP_1) | instskip(NEXT) | instid1(VALU_DEP_1)
	v_sub_f32_e32 v32, v32, v33
	v_add_f32_e32 v22, v22, v32
	v_add_f32_e32 v32, v37, v34
	v_sub_f32_e32 v36, v33, v36
	s_delay_alu instid0(VALU_DEP_1) | instskip(NEXT) | instid1(VALU_DEP_1)
	v_sub_f32_e32 v33, v36, v35
	v_dual_add_f32 v22, v33, v22 :: v_dual_sub_f32 v33, v32, v37
	s_delay_alu instid0(VALU_DEP_1) | instskip(NEXT) | instid1(VALU_DEP_1)
	v_add_f32_e32 v22, v38, v22
	v_dual_sub_f32 v33, v34, v33 :: v_dual_mul_f32 v22, v31, v22
	s_delay_alu instid0(VALU_DEP_1) | instskip(NEXT) | instid1(VALU_DEP_1)
	v_add_f32_e32 v22, v33, v22
	v_add_f32_e32 v31, v32, v22
	s_delay_alu instid0(VALU_DEP_1) | instskip(SKIP_1) | instid1(VALU_DEP_1)
	v_mul_f32_e32 v33, v31, v31
	s_wait_alu 0xfffe
	v_fmaak_f32 v34, s3, v33, 0x3ecc95a3
	v_mul_f32_e32 v35, v31, v33
	s_delay_alu instid0(VALU_DEP_2) | instskip(SKIP_1) | instid1(VALU_DEP_2)
	v_fmaak_f32 v33, v33, v34, 0x3f2aaada
	v_ldexp_f32 v34, v31, 1
	v_mul_f32_e32 v33, v35, v33
	v_mul_f32_e32 v35, 0x3f317218, v21
	s_delay_alu instid0(VALU_DEP_2) | instskip(NEXT) | instid1(VALU_DEP_1)
	v_dual_sub_f32 v31, v31, v32 :: v_dual_add_f32 v32, v34, v33
	v_dual_sub_f32 v22, v22, v31 :: v_dual_sub_f32 v31, v32, v34
	s_delay_alu instid0(VALU_DEP_3) | instskip(NEXT) | instid1(VALU_DEP_2)
	v_fma_f32 v34, 0x3f317218, v21, -v35
	v_ldexp_f32 v22, v22, 1
	s_delay_alu instid0(VALU_DEP_3) | instskip(NEXT) | instid1(VALU_DEP_1)
	v_sub_f32_e32 v31, v33, v31
	v_dual_fmamk_f32 v21, v21, 0xb102e308, v34 :: v_dual_add_f32 v22, v22, v31
	s_delay_alu instid0(VALU_DEP_1) | instskip(NEXT) | instid1(VALU_DEP_1)
	v_add_f32_e32 v31, v35, v21
	v_sub_f32_e32 v35, v31, v35
	s_delay_alu instid0(VALU_DEP_3) | instskip(NEXT) | instid1(VALU_DEP_1)
	v_add_f32_e32 v33, v32, v22
	v_dual_sub_f32 v21, v21, v35 :: v_dual_add_f32 v34, v31, v33
	v_sub_f32_e32 v32, v33, v32
	s_delay_alu instid0(VALU_DEP_2) | instskip(NEXT) | instid1(VALU_DEP_1)
	v_sub_f32_e32 v36, v34, v31
	v_sub_f32_e32 v37, v34, v36
	s_delay_alu instid0(VALU_DEP_1) | instskip(SKIP_1) | instid1(VALU_DEP_1)
	v_dual_sub_f32 v31, v31, v37 :: v_dual_sub_f32 v22, v22, v32
	v_sub_f32_e32 v32, v33, v36
	v_add_f32_e32 v31, v32, v31
	s_delay_alu instid0(VALU_DEP_3) | instskip(NEXT) | instid1(VALU_DEP_1)
	v_add_f32_e32 v33, v21, v22
	v_sub_f32_e32 v32, v33, v21
	s_delay_alu instid0(VALU_DEP_1) | instskip(NEXT) | instid1(VALU_DEP_1)
	v_dual_add_f32 v31, v33, v31 :: v_dual_sub_f32 v22, v22, v32
	v_add_f32_e32 v35, v34, v31
	s_delay_alu instid0(VALU_DEP_1) | instskip(NEXT) | instid1(VALU_DEP_1)
	v_dual_sub_f32 v33, v33, v32 :: v_dual_sub_f32 v32, v35, v34
	v_sub_f32_e32 v21, v21, v33
	s_delay_alu instid0(VALU_DEP_1) | instskip(NEXT) | instid1(VALU_DEP_1)
	v_dual_add_f32 v21, v22, v21 :: v_dual_sub_f32 v22, v31, v32
	v_add_f32_e32 v21, v21, v22
	s_delay_alu instid0(VALU_DEP_1) | instskip(SKIP_1) | instid1(VALU_DEP_1)
	v_add_f32_e32 v21, v35, v21
	s_wait_alu 0xfffd
	v_cndmask_b32_e32 v21, 0x7f800000, v21, vcc_lo
	v_cmp_gt_f32_e64 vcc_lo, 0x33800000, |v9|
	s_wait_alu 0xfffd
	s_delay_alu instid0(VALU_DEP_2) | instskip(NEXT) | instid1(VALU_DEP_1)
	v_cndmask_b32_e32 v9, v21, v9, vcc_lo
	v_add_f32_e32 v9, v10, v9
	s_delay_alu instid0(VALU_DEP_1) | instskip(NEXT) | instid1(VALU_DEP_1)
	v_cvt_f16_f32_e32 v32, v9
	v_cvt_f32_f16_e32 v31, v32
	v_mov_b32_e32 v9, v32
.LBB356_183:
	s_wait_alu 0xfffe
	s_or_b32 exec_lo, exec_lo, s2
	v_max_num_f32_e32 v10, v23, v23
	v_max_num_f32_e32 v21, v31, v31
	v_cmp_u_f16_e32 vcc_lo, v32, v32
	s_delay_alu instid0(VALU_DEP_2) | instskip(SKIP_1) | instid1(VALU_DEP_1)
	v_min_num_f32_e32 v22, v21, v10
	s_wait_alu 0xfffd
	v_dual_max_num_f32 v10, v21, v10 :: v_dual_cndmask_b32 v21, v22, v31
	s_delay_alu instid0(VALU_DEP_1) | instskip(NEXT) | instid1(VALU_DEP_2)
	v_cndmask_b32_e32 v10, v10, v31, vcc_lo
	v_cndmask_b32_e64 v22, v21, v23, s6
	s_delay_alu instid0(VALU_DEP_2) | instskip(SKIP_1) | instid1(VALU_DEP_3)
	v_cndmask_b32_e64 v10, v10, v23, s6
	v_mov_b32_e32 v21, v9
	v_cmp_class_f32_e64 s2, v22, 0x1f8
	s_delay_alu instid0(VALU_DEP_3)
	v_cmp_neq_f32_e32 vcc_lo, v22, v10
	s_or_b32 s3, vcc_lo, s2
	s_wait_alu 0xfffe
	s_and_saveexec_b32 s2, s3
	s_cbranch_execz .LBB356_185
; %bb.184:
	v_sub_f32_e32 v21, v22, v10
	s_mov_b32 s3, 0x3e9b6dac
	s_delay_alu instid0(VALU_DEP_1) | instskip(SKIP_1) | instid1(VALU_DEP_2)
	v_mul_f32_e32 v22, 0x3fb8aa3b, v21
	v_cmp_ngt_f32_e32 vcc_lo, 0xc2ce8ed0, v21
	v_fma_f32 v23, 0x3fb8aa3b, v21, -v22
	v_rndne_f32_e32 v31, v22
	s_delay_alu instid0(VALU_DEP_1) | instskip(NEXT) | instid1(VALU_DEP_1)
	v_dual_fmamk_f32 v23, v21, 0x32a5705f, v23 :: v_dual_sub_f32 v22, v22, v31
	v_add_f32_e32 v22, v22, v23
	v_cvt_i32_f32_e32 v23, v31
	s_delay_alu instid0(VALU_DEP_2) | instskip(NEXT) | instid1(TRANS32_DEP_1)
	v_exp_f32_e32 v22, v22
	v_ldexp_f32 v22, v22, v23
	s_wait_alu 0xfffd
	s_delay_alu instid0(VALU_DEP_1) | instskip(SKIP_2) | instid1(VALU_DEP_2)
	v_cndmask_b32_e32 v22, 0, v22, vcc_lo
	v_cmp_nlt_f32_e32 vcc_lo, 0x42b17218, v21
	s_wait_alu 0xfffd
	v_cndmask_b32_e32 v23, 0x7f800000, v22, vcc_lo
	s_delay_alu instid0(VALU_DEP_1) | instskip(NEXT) | instid1(VALU_DEP_1)
	v_add_f32_e32 v31, 1.0, v23
	v_cvt_f64_f32_e32 v[21:22], v31
	s_delay_alu instid0(VALU_DEP_1) | instskip(SKIP_1) | instid1(VALU_DEP_1)
	v_frexp_exp_i32_f64_e32 v21, v[21:22]
	v_frexp_mant_f32_e32 v22, v31
	v_cmp_gt_f32_e32 vcc_lo, 0x3f2aaaab, v22
	v_add_f32_e32 v22, -1.0, v31
	s_delay_alu instid0(VALU_DEP_1) | instskip(SKIP_2) | instid1(VALU_DEP_1)
	v_sub_f32_e32 v33, v22, v31
	s_wait_alu 0xfffd
	v_subrev_co_ci_u32_e64 v21, null, 0, v21, vcc_lo
	v_sub_nc_u32_e32 v32, 0, v21
	v_cvt_f32_i32_e32 v21, v21
	s_delay_alu instid0(VALU_DEP_2) | instskip(NEXT) | instid1(VALU_DEP_1)
	v_ldexp_f32 v31, v31, v32
	v_add_f32_e32 v34, 1.0, v31
	v_dual_sub_f32 v22, v23, v22 :: v_dual_add_f32 v33, 1.0, v33
	v_cmp_neq_f32_e32 vcc_lo, 0x7f800000, v23
	s_delay_alu instid0(VALU_DEP_2) | instskip(NEXT) | instid1(VALU_DEP_1)
	v_dual_add_f32 v22, v22, v33 :: v_dual_add_f32 v33, -1.0, v34
	v_ldexp_f32 v22, v22, v32
	s_delay_alu instid0(VALU_DEP_2) | instskip(NEXT) | instid1(VALU_DEP_1)
	v_dual_sub_f32 v33, v31, v33 :: v_dual_add_f32 v32, -1.0, v31
	v_add_f32_e32 v33, v22, v33
	s_delay_alu instid0(VALU_DEP_2) | instskip(NEXT) | instid1(VALU_DEP_1)
	v_add_f32_e32 v35, 1.0, v32
	v_sub_f32_e32 v31, v31, v35
	s_delay_alu instid0(VALU_DEP_1) | instskip(NEXT) | instid1(VALU_DEP_1)
	v_add_f32_e32 v22, v22, v31
	v_dual_add_f32 v36, v32, v22 :: v_dual_add_f32 v35, v34, v33
	s_delay_alu instid0(VALU_DEP_1) | instskip(NEXT) | instid1(VALU_DEP_2)
	v_sub_f32_e32 v32, v32, v36
	v_rcp_f32_e32 v31, v35
	v_sub_f32_e32 v34, v34, v35
	s_delay_alu instid0(VALU_DEP_1) | instskip(NEXT) | instid1(TRANS32_DEP_1)
	v_dual_add_f32 v22, v22, v32 :: v_dual_add_f32 v33, v33, v34
	v_mul_f32_e32 v37, v36, v31
	s_delay_alu instid0(VALU_DEP_1) | instskip(NEXT) | instid1(VALU_DEP_1)
	v_mul_f32_e32 v38, v35, v37
	v_fma_f32 v34, v37, v35, -v38
	s_delay_alu instid0(VALU_DEP_1) | instskip(NEXT) | instid1(VALU_DEP_1)
	v_fmac_f32_e32 v34, v37, v33
	v_add_f32_e32 v39, v38, v34
	s_delay_alu instid0(VALU_DEP_1) | instskip(NEXT) | instid1(VALU_DEP_1)
	v_sub_f32_e32 v40, v36, v39
	v_sub_f32_e32 v36, v36, v40
	;; [unrolled: 1-line block ×3, first 2 shown]
	s_delay_alu instid0(VALU_DEP_2) | instskip(NEXT) | instid1(VALU_DEP_2)
	v_sub_f32_e32 v36, v36, v39
	v_sub_f32_e32 v32, v32, v34
	s_delay_alu instid0(VALU_DEP_2) | instskip(NEXT) | instid1(VALU_DEP_1)
	v_add_f32_e32 v22, v22, v36
	v_add_f32_e32 v22, v32, v22
	s_delay_alu instid0(VALU_DEP_1) | instskip(NEXT) | instid1(VALU_DEP_1)
	v_add_f32_e32 v32, v40, v22
	v_mul_f32_e32 v34, v31, v32
	s_delay_alu instid0(VALU_DEP_1) | instskip(NEXT) | instid1(VALU_DEP_1)
	v_dual_sub_f32 v39, v40, v32 :: v_dual_mul_f32 v36, v35, v34
	v_add_f32_e32 v22, v22, v39
	s_delay_alu instid0(VALU_DEP_2) | instskip(NEXT) | instid1(VALU_DEP_1)
	v_fma_f32 v35, v34, v35, -v36
	v_fmac_f32_e32 v35, v34, v33
	s_delay_alu instid0(VALU_DEP_1) | instskip(NEXT) | instid1(VALU_DEP_1)
	v_add_f32_e32 v33, v36, v35
	v_sub_f32_e32 v38, v32, v33
	v_sub_f32_e32 v36, v33, v36
	s_delay_alu instid0(VALU_DEP_2) | instskip(NEXT) | instid1(VALU_DEP_1)
	v_sub_f32_e32 v32, v32, v38
	v_sub_f32_e32 v32, v32, v33
	s_delay_alu instid0(VALU_DEP_1) | instskip(SKIP_1) | instid1(VALU_DEP_1)
	v_dual_sub_f32 v33, v36, v35 :: v_dual_add_f32 v22, v22, v32
	v_add_f32_e32 v32, v37, v34
	v_dual_add_f32 v22, v33, v22 :: v_dual_sub_f32 v33, v32, v37
	s_delay_alu instid0(VALU_DEP_1) | instskip(NEXT) | instid1(VALU_DEP_1)
	v_add_f32_e32 v22, v38, v22
	v_dual_sub_f32 v33, v34, v33 :: v_dual_mul_f32 v22, v31, v22
	s_delay_alu instid0(VALU_DEP_1) | instskip(NEXT) | instid1(VALU_DEP_1)
	v_add_f32_e32 v22, v33, v22
	v_add_f32_e32 v31, v32, v22
	s_delay_alu instid0(VALU_DEP_1) | instskip(SKIP_1) | instid1(VALU_DEP_1)
	v_mul_f32_e32 v33, v31, v31
	s_wait_alu 0xfffe
	v_fmaak_f32 v34, s3, v33, 0x3ecc95a3
	v_mul_f32_e32 v35, v31, v33
	s_delay_alu instid0(VALU_DEP_2) | instskip(SKIP_2) | instid1(VALU_DEP_3)
	v_fmaak_f32 v33, v33, v34, 0x3f2aaada
	v_ldexp_f32 v34, v31, 1
	v_sub_f32_e32 v31, v31, v32
	v_mul_f32_e32 v33, v35, v33
	s_delay_alu instid0(VALU_DEP_2) | instskip(NEXT) | instid1(VALU_DEP_2)
	v_dual_mul_f32 v35, 0x3f317218, v21 :: v_dual_sub_f32 v22, v22, v31
	v_add_f32_e32 v32, v34, v33
	s_delay_alu instid0(VALU_DEP_2) | instskip(NEXT) | instid1(VALU_DEP_2)
	v_ldexp_f32 v22, v22, 1
	v_sub_f32_e32 v31, v32, v34
	s_delay_alu instid0(VALU_DEP_4) | instskip(NEXT) | instid1(VALU_DEP_2)
	v_fma_f32 v34, 0x3f317218, v21, -v35
	v_sub_f32_e32 v31, v33, v31
	s_delay_alu instid0(VALU_DEP_1) | instskip(NEXT) | instid1(VALU_DEP_1)
	v_dual_fmamk_f32 v21, v21, 0xb102e308, v34 :: v_dual_add_f32 v22, v22, v31
	v_add_f32_e32 v31, v35, v21
	s_delay_alu instid0(VALU_DEP_2) | instskip(NEXT) | instid1(VALU_DEP_2)
	v_add_f32_e32 v33, v32, v22
	v_sub_f32_e32 v35, v31, v35
	s_delay_alu instid0(VALU_DEP_2) | instskip(SKIP_1) | instid1(VALU_DEP_3)
	v_add_f32_e32 v34, v31, v33
	v_sub_f32_e32 v32, v33, v32
	v_sub_f32_e32 v21, v21, v35
	s_delay_alu instid0(VALU_DEP_3) | instskip(NEXT) | instid1(VALU_DEP_3)
	v_sub_f32_e32 v36, v34, v31
	v_sub_f32_e32 v22, v22, v32
	s_delay_alu instid0(VALU_DEP_2) | instskip(SKIP_1) | instid1(VALU_DEP_3)
	v_sub_f32_e32 v37, v34, v36
	v_sub_f32_e32 v32, v33, v36
	v_add_f32_e32 v33, v21, v22
	s_delay_alu instid0(VALU_DEP_3) | instskip(NEXT) | instid1(VALU_DEP_1)
	v_sub_f32_e32 v31, v31, v37
	v_dual_add_f32 v31, v32, v31 :: v_dual_sub_f32 v32, v33, v21
	s_delay_alu instid0(VALU_DEP_1) | instskip(NEXT) | instid1(VALU_DEP_2)
	v_add_f32_e32 v31, v33, v31
	v_sub_f32_e32 v33, v33, v32
	v_sub_f32_e32 v22, v22, v32
	s_delay_alu instid0(VALU_DEP_3) | instskip(NEXT) | instid1(VALU_DEP_1)
	v_add_f32_e32 v35, v34, v31
	v_dual_sub_f32 v21, v21, v33 :: v_dual_sub_f32 v32, v35, v34
	s_delay_alu instid0(VALU_DEP_1) | instskip(NEXT) | instid1(VALU_DEP_1)
	v_dual_add_f32 v21, v22, v21 :: v_dual_sub_f32 v22, v31, v32
	v_add_f32_e32 v21, v21, v22
	s_delay_alu instid0(VALU_DEP_1) | instskip(SKIP_1) | instid1(VALU_DEP_1)
	v_add_f32_e32 v21, v35, v21
	s_wait_alu 0xfffd
	v_cndmask_b32_e32 v21, 0x7f800000, v21, vcc_lo
	v_cmp_gt_f32_e64 vcc_lo, 0x33800000, |v23|
	s_wait_alu 0xfffd
	s_delay_alu instid0(VALU_DEP_2) | instskip(NEXT) | instid1(VALU_DEP_1)
	v_cndmask_b32_e32 v21, v21, v23, vcc_lo
	v_add_f32_e32 v10, v10, v21
	s_delay_alu instid0(VALU_DEP_1) | instskip(NEXT) | instid1(VALU_DEP_1)
	v_cvt_f16_f32_e32 v32, v10
	v_cvt_f32_f16_e32 v31, v32
	v_mov_b32_e32 v21, v32
.LBB356_185:
	s_wait_alu 0xfffe
	s_or_b32 exec_lo, exec_lo, s2
	v_max_num_f32_e32 v10, v24, v24
	v_max_num_f32_e32 v22, v31, v31
	v_cmp_u_f16_e32 vcc_lo, v32, v32
	s_delay_alu instid0(VALU_DEP_2) | instskip(SKIP_2) | instid1(VALU_DEP_2)
	v_min_num_f32_e32 v23, v22, v10
	v_max_num_f32_e32 v10, v22, v10
	s_wait_alu 0xfffd
	v_cndmask_b32_e32 v22, v23, v31, vcc_lo
	s_delay_alu instid0(VALU_DEP_2) | instskip(NEXT) | instid1(VALU_DEP_2)
	v_cndmask_b32_e32 v10, v10, v31, vcc_lo
	v_cndmask_b32_e64 v23, v22, v24, s7
	s_delay_alu instid0(VALU_DEP_2) | instskip(SKIP_1) | instid1(VALU_DEP_3)
	v_cndmask_b32_e64 v22, v10, v24, s7
	v_mov_b32_e32 v10, v21
	v_cmp_class_f32_e64 s2, v23, 0x1f8
	s_delay_alu instid0(VALU_DEP_3)
	v_cmp_neq_f32_e32 vcc_lo, v23, v22
	s_or_b32 s3, vcc_lo, s2
	s_wait_alu 0xfffe
	s_and_saveexec_b32 s2, s3
	s_cbranch_execz .LBB356_187
; %bb.186:
	v_sub_f32_e32 v10, v23, v22
	s_mov_b32 s3, 0x3e9b6dac
	s_delay_alu instid0(VALU_DEP_1) | instskip(SKIP_1) | instid1(VALU_DEP_2)
	v_mul_f32_e32 v23, 0x3fb8aa3b, v10
	v_cmp_ngt_f32_e32 vcc_lo, 0xc2ce8ed0, v10
	v_fma_f32 v24, 0x3fb8aa3b, v10, -v23
	v_rndne_f32_e32 v31, v23
	s_delay_alu instid0(VALU_DEP_1) | instskip(NEXT) | instid1(VALU_DEP_1)
	v_dual_fmamk_f32 v24, v10, 0x32a5705f, v24 :: v_dual_sub_f32 v23, v23, v31
	v_add_f32_e32 v23, v23, v24
	v_cvt_i32_f32_e32 v24, v31
	s_delay_alu instid0(VALU_DEP_2) | instskip(NEXT) | instid1(TRANS32_DEP_1)
	v_exp_f32_e32 v23, v23
	v_ldexp_f32 v23, v23, v24
	s_wait_alu 0xfffd
	s_delay_alu instid0(VALU_DEP_1) | instskip(SKIP_2) | instid1(VALU_DEP_2)
	v_cndmask_b32_e32 v23, 0, v23, vcc_lo
	v_cmp_nlt_f32_e32 vcc_lo, 0x42b17218, v10
	s_wait_alu 0xfffd
	v_cndmask_b32_e32 v10, 0x7f800000, v23, vcc_lo
	s_delay_alu instid0(VALU_DEP_1) | instskip(NEXT) | instid1(VALU_DEP_1)
	v_add_f32_e32 v31, 1.0, v10
	v_cvt_f64_f32_e32 v[23:24], v31
	s_delay_alu instid0(VALU_DEP_1) | instskip(SKIP_1) | instid1(VALU_DEP_1)
	v_frexp_exp_i32_f64_e32 v23, v[23:24]
	v_frexp_mant_f32_e32 v24, v31
	v_cmp_gt_f32_e32 vcc_lo, 0x3f2aaaab, v24
	v_add_f32_e32 v24, -1.0, v31
	s_delay_alu instid0(VALU_DEP_1) | instskip(NEXT) | instid1(VALU_DEP_1)
	v_sub_f32_e32 v33, v24, v31
	v_dual_add_f32 v33, 1.0, v33 :: v_dual_sub_f32 v24, v10, v24
	s_wait_alu 0xfffd
	v_subrev_co_ci_u32_e64 v23, null, 0, v23, vcc_lo
	v_cmp_neq_f32_e32 vcc_lo, 0x7f800000, v10
	s_delay_alu instid0(VALU_DEP_2) | instskip(SKIP_1) | instid1(VALU_DEP_2)
	v_sub_nc_u32_e32 v32, 0, v23
	v_cvt_f32_i32_e32 v23, v23
	v_ldexp_f32 v31, v31, v32
	s_delay_alu instid0(VALU_DEP_1) | instskip(NEXT) | instid1(VALU_DEP_1)
	v_add_f32_e32 v34, 1.0, v31
	v_dual_add_f32 v24, v24, v33 :: v_dual_add_f32 v33, -1.0, v34
	s_delay_alu instid0(VALU_DEP_1) | instskip(NEXT) | instid1(VALU_DEP_2)
	v_ldexp_f32 v24, v24, v32
	v_dual_add_f32 v32, -1.0, v31 :: v_dual_sub_f32 v33, v31, v33
	s_delay_alu instid0(VALU_DEP_1) | instskip(NEXT) | instid1(VALU_DEP_2)
	v_add_f32_e32 v35, 1.0, v32
	v_add_f32_e32 v33, v24, v33
	s_delay_alu instid0(VALU_DEP_2) | instskip(NEXT) | instid1(VALU_DEP_1)
	v_sub_f32_e32 v31, v31, v35
	v_add_f32_e32 v24, v24, v31
	s_delay_alu instid0(VALU_DEP_1) | instskip(NEXT) | instid1(VALU_DEP_1)
	v_dual_add_f32 v36, v32, v24 :: v_dual_add_f32 v35, v34, v33
	v_sub_f32_e32 v32, v32, v36
	s_delay_alu instid0(VALU_DEP_2) | instskip(SKIP_1) | instid1(VALU_DEP_1)
	v_rcp_f32_e32 v31, v35
	v_sub_f32_e32 v34, v34, v35
	v_dual_add_f32 v33, v33, v34 :: v_dual_add_f32 v24, v24, v32
	s_delay_alu instid0(TRANS32_DEP_1) | instskip(NEXT) | instid1(VALU_DEP_1)
	v_mul_f32_e32 v37, v36, v31
	v_mul_f32_e32 v38, v35, v37
	s_delay_alu instid0(VALU_DEP_1) | instskip(NEXT) | instid1(VALU_DEP_1)
	v_fma_f32 v34, v37, v35, -v38
	v_fmac_f32_e32 v34, v37, v33
	s_delay_alu instid0(VALU_DEP_1) | instskip(NEXT) | instid1(VALU_DEP_1)
	v_add_f32_e32 v39, v38, v34
	v_sub_f32_e32 v40, v36, v39
	s_delay_alu instid0(VALU_DEP_1) | instskip(SKIP_1) | instid1(VALU_DEP_2)
	v_sub_f32_e32 v36, v36, v40
	v_sub_f32_e32 v32, v39, v38
	;; [unrolled: 1-line block ×3, first 2 shown]
	s_delay_alu instid0(VALU_DEP_2) | instskip(NEXT) | instid1(VALU_DEP_2)
	v_sub_f32_e32 v32, v32, v34
	v_add_f32_e32 v24, v24, v36
	s_delay_alu instid0(VALU_DEP_1) | instskip(NEXT) | instid1(VALU_DEP_1)
	v_add_f32_e32 v24, v32, v24
	v_add_f32_e32 v32, v40, v24
	s_delay_alu instid0(VALU_DEP_1) | instskip(NEXT) | instid1(VALU_DEP_1)
	v_mul_f32_e32 v34, v31, v32
	v_dual_sub_f32 v39, v40, v32 :: v_dual_mul_f32 v36, v35, v34
	s_delay_alu instid0(VALU_DEP_1) | instskip(NEXT) | instid1(VALU_DEP_2)
	v_add_f32_e32 v24, v24, v39
	v_fma_f32 v35, v34, v35, -v36
	s_delay_alu instid0(VALU_DEP_1) | instskip(NEXT) | instid1(VALU_DEP_1)
	v_fmac_f32_e32 v35, v34, v33
	v_add_f32_e32 v33, v36, v35
	s_delay_alu instid0(VALU_DEP_1) | instskip(SKIP_1) | instid1(VALU_DEP_2)
	v_sub_f32_e32 v38, v32, v33
	v_sub_f32_e32 v36, v33, v36
	v_sub_f32_e32 v32, v32, v38
	s_delay_alu instid0(VALU_DEP_1) | instskip(NEXT) | instid1(VALU_DEP_3)
	v_sub_f32_e32 v32, v32, v33
	v_sub_f32_e32 v33, v36, v35
	s_delay_alu instid0(VALU_DEP_2) | instskip(SKIP_1) | instid1(VALU_DEP_1)
	v_add_f32_e32 v24, v24, v32
	v_add_f32_e32 v32, v37, v34
	v_dual_add_f32 v24, v33, v24 :: v_dual_sub_f32 v33, v32, v37
	s_delay_alu instid0(VALU_DEP_1) | instskip(NEXT) | instid1(VALU_DEP_1)
	v_add_f32_e32 v24, v38, v24
	v_dual_sub_f32 v33, v34, v33 :: v_dual_mul_f32 v24, v31, v24
	s_delay_alu instid0(VALU_DEP_1) | instskip(NEXT) | instid1(VALU_DEP_1)
	v_add_f32_e32 v24, v33, v24
	v_add_f32_e32 v31, v32, v24
	s_delay_alu instid0(VALU_DEP_1) | instskip(SKIP_1) | instid1(VALU_DEP_1)
	v_mul_f32_e32 v33, v31, v31
	s_wait_alu 0xfffe
	v_fmaak_f32 v34, s3, v33, 0x3ecc95a3
	v_mul_f32_e32 v35, v31, v33
	s_delay_alu instid0(VALU_DEP_2) | instskip(SKIP_2) | instid1(VALU_DEP_3)
	v_fmaak_f32 v33, v33, v34, 0x3f2aaada
	v_ldexp_f32 v34, v31, 1
	v_sub_f32_e32 v31, v31, v32
	v_mul_f32_e32 v33, v35, v33
	v_mul_f32_e32 v35, 0x3f317218, v23
	s_delay_alu instid0(VALU_DEP_3) | instskip(NEXT) | instid1(VALU_DEP_3)
	v_sub_f32_e32 v24, v24, v31
	v_add_f32_e32 v32, v34, v33
	s_delay_alu instid0(VALU_DEP_2) | instskip(NEXT) | instid1(VALU_DEP_2)
	v_ldexp_f32 v24, v24, 1
	v_sub_f32_e32 v31, v32, v34
	v_fma_f32 v34, 0x3f317218, v23, -v35
	s_delay_alu instid0(VALU_DEP_2) | instskip(NEXT) | instid1(VALU_DEP_1)
	v_sub_f32_e32 v31, v33, v31
	v_dual_fmamk_f32 v23, v23, 0xb102e308, v34 :: v_dual_add_f32 v24, v24, v31
	s_delay_alu instid0(VALU_DEP_1) | instskip(NEXT) | instid1(VALU_DEP_2)
	v_add_f32_e32 v31, v35, v23
	v_add_f32_e32 v33, v32, v24
	s_delay_alu instid0(VALU_DEP_2) | instskip(NEXT) | instid1(VALU_DEP_2)
	v_sub_f32_e32 v35, v31, v35
	v_add_f32_e32 v34, v31, v33
	s_delay_alu instid0(VALU_DEP_2) | instskip(NEXT) | instid1(VALU_DEP_2)
	v_sub_f32_e32 v23, v23, v35
	v_sub_f32_e32 v36, v34, v31
	;; [unrolled: 1-line block ×3, first 2 shown]
	s_delay_alu instid0(VALU_DEP_2) | instskip(NEXT) | instid1(VALU_DEP_2)
	v_sub_f32_e32 v37, v34, v36
	v_sub_f32_e32 v24, v24, v32
	s_delay_alu instid0(VALU_DEP_2) | instskip(NEXT) | instid1(VALU_DEP_2)
	v_dual_sub_f32 v32, v33, v36 :: v_dual_sub_f32 v31, v31, v37
	v_add_f32_e32 v33, v23, v24
	s_delay_alu instid0(VALU_DEP_2) | instskip(NEXT) | instid1(VALU_DEP_2)
	v_add_f32_e32 v31, v32, v31
	v_sub_f32_e32 v32, v33, v23
	s_delay_alu instid0(VALU_DEP_2) | instskip(NEXT) | instid1(VALU_DEP_2)
	v_add_f32_e32 v31, v33, v31
	v_sub_f32_e32 v33, v33, v32
	s_delay_alu instid0(VALU_DEP_2) | instskip(NEXT) | instid1(VALU_DEP_2)
	v_add_f32_e32 v35, v34, v31
	v_dual_sub_f32 v23, v23, v33 :: v_dual_sub_f32 v24, v24, v32
	s_delay_alu instid0(VALU_DEP_1) | instskip(NEXT) | instid1(VALU_DEP_1)
	v_dual_sub_f32 v32, v35, v34 :: v_dual_add_f32 v23, v24, v23
	v_sub_f32_e32 v24, v31, v32
	s_delay_alu instid0(VALU_DEP_1) | instskip(NEXT) | instid1(VALU_DEP_1)
	v_add_f32_e32 v23, v23, v24
	v_add_f32_e32 v23, v35, v23
	s_wait_alu 0xfffd
	s_delay_alu instid0(VALU_DEP_1) | instskip(SKIP_2) | instid1(VALU_DEP_2)
	v_cndmask_b32_e32 v23, 0x7f800000, v23, vcc_lo
	v_cmp_gt_f32_e64 vcc_lo, 0x33800000, |v10|
	s_wait_alu 0xfffd
	v_cndmask_b32_e32 v10, v23, v10, vcc_lo
	s_delay_alu instid0(VALU_DEP_1) | instskip(NEXT) | instid1(VALU_DEP_1)
	v_add_f32_e32 v10, v22, v10
	v_cvt_f16_f32_e32 v32, v10
	s_delay_alu instid0(VALU_DEP_1)
	v_cvt_f32_f16_e32 v31, v32
	v_mov_b32_e32 v10, v32
.LBB356_187:
	s_wait_alu 0xfffe
	s_or_b32 exec_lo, exec_lo, s2
	s_delay_alu instid0(VALU_DEP_2) | instskip(SKIP_1) | instid1(VALU_DEP_2)
	v_dual_max_num_f32 v22, v25, v25 :: v_dual_max_num_f32 v23, v31, v31
	v_cmp_u_f16_e32 vcc_lo, v32, v32
	v_min_num_f32_e32 v24, v23, v22
	s_wait_alu 0xfffd
	s_delay_alu instid0(VALU_DEP_1) | instskip(NEXT) | instid1(VALU_DEP_1)
	v_dual_max_num_f32 v22, v23, v22 :: v_dual_cndmask_b32 v23, v24, v31
	v_cndmask_b32_e32 v22, v22, v31, vcc_lo
	s_delay_alu instid0(VALU_DEP_2) | instskip(NEXT) | instid1(VALU_DEP_2)
	v_cndmask_b32_e64 v24, v23, v25, s8
	v_cndmask_b32_e64 v23, v22, v25, s8
	v_mov_b32_e32 v22, v10
	s_delay_alu instid0(VALU_DEP_3) | instskip(NEXT) | instid1(VALU_DEP_3)
	v_cmp_class_f32_e64 s2, v24, 0x1f8
	v_cmp_neq_f32_e32 vcc_lo, v24, v23
	s_or_b32 s3, vcc_lo, s2
	s_wait_alu 0xfffe
	s_and_saveexec_b32 s2, s3
	s_cbranch_execz .LBB356_189
; %bb.188:
	v_sub_f32_e32 v22, v24, v23
	s_mov_b32 s3, 0x3e9b6dac
	s_delay_alu instid0(VALU_DEP_1) | instskip(SKIP_1) | instid1(VALU_DEP_2)
	v_mul_f32_e32 v24, 0x3fb8aa3b, v22
	v_cmp_ngt_f32_e32 vcc_lo, 0xc2ce8ed0, v22
	v_fma_f32 v25, 0x3fb8aa3b, v22, -v24
	v_rndne_f32_e32 v31, v24
	s_delay_alu instid0(VALU_DEP_1) | instskip(NEXT) | instid1(VALU_DEP_1)
	v_dual_fmamk_f32 v25, v22, 0x32a5705f, v25 :: v_dual_sub_f32 v24, v24, v31
	v_add_f32_e32 v24, v24, v25
	v_cvt_i32_f32_e32 v25, v31
	s_delay_alu instid0(VALU_DEP_2) | instskip(NEXT) | instid1(TRANS32_DEP_1)
	v_exp_f32_e32 v24, v24
	v_ldexp_f32 v24, v24, v25
	s_wait_alu 0xfffd
	s_delay_alu instid0(VALU_DEP_1) | instskip(SKIP_2) | instid1(VALU_DEP_2)
	v_cndmask_b32_e32 v24, 0, v24, vcc_lo
	v_cmp_nlt_f32_e32 vcc_lo, 0x42b17218, v22
	s_wait_alu 0xfffd
	v_cndmask_b32_e32 v22, 0x7f800000, v24, vcc_lo
	s_delay_alu instid0(VALU_DEP_1) | instskip(NEXT) | instid1(VALU_DEP_1)
	v_add_f32_e32 v31, 1.0, v22
	v_cvt_f64_f32_e32 v[24:25], v31
	s_delay_alu instid0(VALU_DEP_1) | instskip(SKIP_1) | instid1(VALU_DEP_1)
	v_frexp_exp_i32_f64_e32 v24, v[24:25]
	v_frexp_mant_f32_e32 v25, v31
	v_cmp_gt_f32_e32 vcc_lo, 0x3f2aaaab, v25
	v_add_f32_e32 v25, -1.0, v31
	s_delay_alu instid0(VALU_DEP_1) | instskip(NEXT) | instid1(VALU_DEP_1)
	v_sub_f32_e32 v33, v25, v31
	v_add_f32_e32 v33, 1.0, v33
	s_wait_alu 0xfffd
	v_subrev_co_ci_u32_e64 v24, null, 0, v24, vcc_lo
	s_delay_alu instid0(VALU_DEP_1) | instskip(SKIP_1) | instid1(VALU_DEP_2)
	v_sub_nc_u32_e32 v32, 0, v24
	v_cvt_f32_i32_e32 v24, v24
	v_ldexp_f32 v31, v31, v32
	s_delay_alu instid0(VALU_DEP_1) | instskip(NEXT) | instid1(VALU_DEP_1)
	v_dual_sub_f32 v25, v22, v25 :: v_dual_add_f32 v34, 1.0, v31
	v_add_f32_e32 v25, v25, v33
	v_cmp_neq_f32_e32 vcc_lo, 0x7f800000, v22
	s_delay_alu instid0(VALU_DEP_3) | instskip(NEXT) | instid1(VALU_DEP_3)
	v_add_f32_e32 v33, -1.0, v34
	v_ldexp_f32 v25, v25, v32
	s_delay_alu instid0(VALU_DEP_2) | instskip(NEXT) | instid1(VALU_DEP_1)
	v_dual_add_f32 v32, -1.0, v31 :: v_dual_sub_f32 v33, v31, v33
	v_add_f32_e32 v35, 1.0, v32
	s_delay_alu instid0(VALU_DEP_2) | instskip(NEXT) | instid1(VALU_DEP_2)
	v_add_f32_e32 v33, v25, v33
	v_sub_f32_e32 v31, v31, v35
	s_delay_alu instid0(VALU_DEP_1) | instskip(NEXT) | instid1(VALU_DEP_1)
	v_add_f32_e32 v25, v25, v31
	v_add_f32_e32 v36, v32, v25
	s_delay_alu instid0(VALU_DEP_1) | instskip(NEXT) | instid1(VALU_DEP_1)
	v_dual_add_f32 v35, v34, v33 :: v_dual_sub_f32 v32, v32, v36
	v_rcp_f32_e32 v31, v35
	v_sub_f32_e32 v34, v34, v35
	s_delay_alu instid0(VALU_DEP_1) | instskip(NEXT) | instid1(TRANS32_DEP_1)
	v_add_f32_e32 v33, v33, v34
	v_mul_f32_e32 v37, v36, v31
	s_delay_alu instid0(VALU_DEP_1) | instskip(NEXT) | instid1(VALU_DEP_1)
	v_mul_f32_e32 v38, v35, v37
	v_fma_f32 v34, v37, v35, -v38
	s_delay_alu instid0(VALU_DEP_1) | instskip(NEXT) | instid1(VALU_DEP_1)
	v_fmac_f32_e32 v34, v37, v33
	v_add_f32_e32 v39, v38, v34
	s_delay_alu instid0(VALU_DEP_1) | instskip(NEXT) | instid1(VALU_DEP_1)
	v_sub_f32_e32 v40, v36, v39
	v_sub_f32_e32 v36, v36, v40
	v_dual_add_f32 v25, v25, v32 :: v_dual_sub_f32 v32, v39, v38
	s_delay_alu instid0(VALU_DEP_2) | instskip(NEXT) | instid1(VALU_DEP_1)
	v_sub_f32_e32 v36, v36, v39
	v_dual_sub_f32 v32, v32, v34 :: v_dual_add_f32 v25, v25, v36
	s_delay_alu instid0(VALU_DEP_1) | instskip(NEXT) | instid1(VALU_DEP_1)
	v_add_f32_e32 v25, v32, v25
	v_add_f32_e32 v32, v40, v25
	s_delay_alu instid0(VALU_DEP_1) | instskip(NEXT) | instid1(VALU_DEP_1)
	v_mul_f32_e32 v34, v31, v32
	v_dual_sub_f32 v39, v40, v32 :: v_dual_mul_f32 v36, v35, v34
	s_delay_alu instid0(VALU_DEP_1) | instskip(NEXT) | instid1(VALU_DEP_2)
	v_add_f32_e32 v25, v25, v39
	v_fma_f32 v35, v34, v35, -v36
	s_delay_alu instid0(VALU_DEP_1) | instskip(NEXT) | instid1(VALU_DEP_1)
	v_fmac_f32_e32 v35, v34, v33
	v_add_f32_e32 v33, v36, v35
	s_delay_alu instid0(VALU_DEP_1) | instskip(NEXT) | instid1(VALU_DEP_1)
	v_sub_f32_e32 v38, v32, v33
	v_sub_f32_e32 v32, v32, v38
	s_delay_alu instid0(VALU_DEP_1) | instskip(NEXT) | instid1(VALU_DEP_1)
	v_sub_f32_e32 v32, v32, v33
	v_add_f32_e32 v25, v25, v32
	v_add_f32_e32 v32, v37, v34
	v_sub_f32_e32 v36, v33, v36
	s_delay_alu instid0(VALU_DEP_1) | instskip(NEXT) | instid1(VALU_DEP_1)
	v_sub_f32_e32 v33, v36, v35
	v_add_f32_e32 v25, v33, v25
	s_delay_alu instid0(VALU_DEP_4) | instskip(NEXT) | instid1(VALU_DEP_2)
	v_sub_f32_e32 v33, v32, v37
	v_add_f32_e32 v25, v38, v25
	s_delay_alu instid0(VALU_DEP_2) | instskip(NEXT) | instid1(VALU_DEP_2)
	v_sub_f32_e32 v33, v34, v33
	v_mul_f32_e32 v25, v31, v25
	s_delay_alu instid0(VALU_DEP_1) | instskip(NEXT) | instid1(VALU_DEP_1)
	v_add_f32_e32 v25, v33, v25
	v_add_f32_e32 v31, v32, v25
	s_delay_alu instid0(VALU_DEP_1) | instskip(SKIP_1) | instid1(VALU_DEP_1)
	v_mul_f32_e32 v33, v31, v31
	s_wait_alu 0xfffe
	v_fmaak_f32 v34, s3, v33, 0x3ecc95a3
	v_mul_f32_e32 v35, v31, v33
	s_delay_alu instid0(VALU_DEP_2) | instskip(SKIP_2) | instid1(VALU_DEP_3)
	v_fmaak_f32 v33, v33, v34, 0x3f2aaada
	v_ldexp_f32 v34, v31, 1
	v_sub_f32_e32 v31, v31, v32
	v_mul_f32_e32 v33, v35, v33
	s_delay_alu instid0(VALU_DEP_1) | instskip(NEXT) | instid1(VALU_DEP_1)
	v_dual_sub_f32 v25, v25, v31 :: v_dual_add_f32 v32, v34, v33
	v_ldexp_f32 v25, v25, 1
	s_delay_alu instid0(VALU_DEP_2) | instskip(NEXT) | instid1(VALU_DEP_1)
	v_sub_f32_e32 v31, v32, v34
	v_sub_f32_e32 v31, v33, v31
	s_delay_alu instid0(VALU_DEP_1) | instskip(NEXT) | instid1(VALU_DEP_1)
	v_add_f32_e32 v25, v25, v31
	v_add_f32_e32 v33, v32, v25
	v_mul_f32_e32 v35, 0x3f317218, v24
	s_delay_alu instid0(VALU_DEP_2) | instskip(NEXT) | instid1(VALU_DEP_2)
	v_sub_f32_e32 v32, v33, v32
	v_fma_f32 v34, 0x3f317218, v24, -v35
	s_delay_alu instid0(VALU_DEP_1) | instskip(NEXT) | instid1(VALU_DEP_1)
	v_dual_sub_f32 v25, v25, v32 :: v_dual_fmamk_f32 v24, v24, 0xb102e308, v34
	v_add_f32_e32 v31, v35, v24
	s_delay_alu instid0(VALU_DEP_1) | instskip(SKIP_1) | instid1(VALU_DEP_2)
	v_add_f32_e32 v34, v31, v33
	v_sub_f32_e32 v35, v31, v35
	v_sub_f32_e32 v36, v34, v31
	s_delay_alu instid0(VALU_DEP_1) | instskip(NEXT) | instid1(VALU_DEP_1)
	v_dual_sub_f32 v24, v24, v35 :: v_dual_sub_f32 v37, v34, v36
	v_dual_sub_f32 v32, v33, v36 :: v_dual_add_f32 v33, v24, v25
	s_delay_alu instid0(VALU_DEP_2) | instskip(NEXT) | instid1(VALU_DEP_1)
	v_sub_f32_e32 v31, v31, v37
	v_dual_add_f32 v31, v32, v31 :: v_dual_sub_f32 v32, v33, v24
	s_delay_alu instid0(VALU_DEP_1) | instskip(NEXT) | instid1(VALU_DEP_2)
	v_add_f32_e32 v31, v33, v31
	v_sub_f32_e32 v33, v33, v32
	v_sub_f32_e32 v25, v25, v32
	s_delay_alu instid0(VALU_DEP_2) | instskip(NEXT) | instid1(VALU_DEP_1)
	v_dual_add_f32 v35, v34, v31 :: v_dual_sub_f32 v24, v24, v33
	v_sub_f32_e32 v32, v35, v34
	s_delay_alu instid0(VALU_DEP_2) | instskip(NEXT) | instid1(VALU_DEP_2)
	v_add_f32_e32 v24, v25, v24
	v_sub_f32_e32 v25, v31, v32
	s_delay_alu instid0(VALU_DEP_1) | instskip(NEXT) | instid1(VALU_DEP_1)
	v_add_f32_e32 v24, v24, v25
	v_add_f32_e32 v24, v35, v24
	s_wait_alu 0xfffd
	s_delay_alu instid0(VALU_DEP_1) | instskip(SKIP_2) | instid1(VALU_DEP_2)
	v_cndmask_b32_e32 v24, 0x7f800000, v24, vcc_lo
	v_cmp_gt_f32_e64 vcc_lo, 0x33800000, |v22|
	s_wait_alu 0xfffd
	v_cndmask_b32_e32 v22, v24, v22, vcc_lo
	s_delay_alu instid0(VALU_DEP_1) | instskip(NEXT) | instid1(VALU_DEP_1)
	v_add_f32_e32 v22, v23, v22
	v_cvt_f16_f32_e32 v32, v22
	s_delay_alu instid0(VALU_DEP_1)
	v_cvt_f32_f16_e32 v31, v32
	v_mov_b32_e32 v22, v32
.LBB356_189:
	s_wait_alu 0xfffe
	s_or_b32 exec_lo, exec_lo, s2
	s_delay_alu instid0(VALU_DEP_2) | instskip(SKIP_1) | instid1(VALU_DEP_2)
	v_dual_max_num_f32 v23, v26, v26 :: v_dual_max_num_f32 v24, v31, v31
	v_cmp_u_f16_e32 vcc_lo, v32, v32
	v_min_num_f32_e32 v25, v24, v23
	v_max_num_f32_e32 v23, v24, v23
	s_wait_alu 0xfffd
	s_delay_alu instid0(VALU_DEP_2) | instskip(NEXT) | instid1(VALU_DEP_2)
	v_cndmask_b32_e32 v24, v25, v31, vcc_lo
	v_cndmask_b32_e32 v23, v23, v31, vcc_lo
	s_delay_alu instid0(VALU_DEP_2) | instskip(NEXT) | instid1(VALU_DEP_2)
	v_cndmask_b32_e64 v25, v24, v26, s9
	v_cndmask_b32_e64 v24, v23, v26, s9
	v_mov_b32_e32 v23, v22
	s_delay_alu instid0(VALU_DEP_3) | instskip(NEXT) | instid1(VALU_DEP_3)
	v_cmp_class_f32_e64 s2, v25, 0x1f8
	v_cmp_neq_f32_e32 vcc_lo, v25, v24
	s_or_b32 s3, vcc_lo, s2
	s_wait_alu 0xfffe
	s_and_saveexec_b32 s2, s3
	s_cbranch_execz .LBB356_191
; %bb.190:
	v_sub_f32_e32 v23, v25, v24
	s_mov_b32 s3, 0x3e9b6dac
	s_delay_alu instid0(VALU_DEP_1) | instskip(SKIP_1) | instid1(VALU_DEP_2)
	v_mul_f32_e32 v25, 0x3fb8aa3b, v23
	v_cmp_ngt_f32_e32 vcc_lo, 0xc2ce8ed0, v23
	v_fma_f32 v26, 0x3fb8aa3b, v23, -v25
	v_rndne_f32_e32 v31, v25
	s_delay_alu instid0(VALU_DEP_1) | instskip(NEXT) | instid1(VALU_DEP_1)
	v_dual_fmamk_f32 v26, v23, 0x32a5705f, v26 :: v_dual_sub_f32 v25, v25, v31
	v_add_f32_e32 v25, v25, v26
	v_cvt_i32_f32_e32 v26, v31
	s_delay_alu instid0(VALU_DEP_2) | instskip(NEXT) | instid1(TRANS32_DEP_1)
	v_exp_f32_e32 v25, v25
	v_ldexp_f32 v25, v25, v26
	s_wait_alu 0xfffd
	s_delay_alu instid0(VALU_DEP_1) | instskip(SKIP_2) | instid1(VALU_DEP_2)
	v_cndmask_b32_e32 v25, 0, v25, vcc_lo
	v_cmp_nlt_f32_e32 vcc_lo, 0x42b17218, v23
	s_wait_alu 0xfffd
	v_cndmask_b32_e32 v23, 0x7f800000, v25, vcc_lo
	s_delay_alu instid0(VALU_DEP_1) | instskip(NEXT) | instid1(VALU_DEP_1)
	v_add_f32_e32 v31, 1.0, v23
	v_cvt_f64_f32_e32 v[25:26], v31
	s_delay_alu instid0(VALU_DEP_1) | instskip(SKIP_1) | instid1(VALU_DEP_1)
	v_frexp_exp_i32_f64_e32 v25, v[25:26]
	v_frexp_mant_f32_e32 v26, v31
	v_cmp_gt_f32_e32 vcc_lo, 0x3f2aaaab, v26
	v_add_f32_e32 v26, -1.0, v31
	s_delay_alu instid0(VALU_DEP_1) | instskip(NEXT) | instid1(VALU_DEP_1)
	v_dual_sub_f32 v33, v26, v31 :: v_dual_sub_f32 v26, v23, v26
	v_add_f32_e32 v33, 1.0, v33
	s_delay_alu instid0(VALU_DEP_1) | instskip(SKIP_2) | instid1(VALU_DEP_1)
	v_add_f32_e32 v26, v26, v33
	s_wait_alu 0xfffd
	v_subrev_co_ci_u32_e64 v25, null, 0, v25, vcc_lo
	v_sub_nc_u32_e32 v32, 0, v25
	v_cvt_f32_i32_e32 v25, v25
	s_delay_alu instid0(VALU_DEP_2) | instskip(SKIP_1) | instid1(VALU_DEP_2)
	v_ldexp_f32 v31, v31, v32
	v_ldexp_f32 v26, v26, v32
	v_add_f32_e32 v34, 1.0, v31
	s_delay_alu instid0(VALU_DEP_1) | instskip(NEXT) | instid1(VALU_DEP_1)
	v_dual_add_f32 v32, -1.0, v31 :: v_dual_add_f32 v33, -1.0, v34
	v_add_f32_e32 v35, 1.0, v32
	s_delay_alu instid0(VALU_DEP_2) | instskip(NEXT) | instid1(VALU_DEP_2)
	v_sub_f32_e32 v33, v31, v33
	v_sub_f32_e32 v31, v31, v35
	s_delay_alu instid0(VALU_DEP_2) | instskip(NEXT) | instid1(VALU_DEP_2)
	v_add_f32_e32 v33, v26, v33
	v_add_f32_e32 v26, v26, v31
	v_cmp_neq_f32_e32 vcc_lo, 0x7f800000, v23
	s_delay_alu instid0(VALU_DEP_2) | instskip(NEXT) | instid1(VALU_DEP_1)
	v_add_f32_e32 v36, v32, v26
	v_dual_sub_f32 v32, v32, v36 :: v_dual_add_f32 v35, v34, v33
	s_delay_alu instid0(VALU_DEP_1) | instskip(NEXT) | instid1(VALU_DEP_2)
	v_add_f32_e32 v26, v26, v32
	v_rcp_f32_e32 v31, v35
	v_sub_f32_e32 v34, v34, v35
	s_delay_alu instid0(VALU_DEP_1) | instskip(NEXT) | instid1(TRANS32_DEP_1)
	v_add_f32_e32 v33, v33, v34
	v_mul_f32_e32 v37, v36, v31
	s_delay_alu instid0(VALU_DEP_1) | instskip(NEXT) | instid1(VALU_DEP_1)
	v_mul_f32_e32 v38, v35, v37
	v_fma_f32 v34, v37, v35, -v38
	s_delay_alu instid0(VALU_DEP_1) | instskip(NEXT) | instid1(VALU_DEP_1)
	v_fmac_f32_e32 v34, v37, v33
	v_add_f32_e32 v39, v38, v34
	s_delay_alu instid0(VALU_DEP_1) | instskip(SKIP_1) | instid1(VALU_DEP_2)
	v_sub_f32_e32 v40, v36, v39
	v_sub_f32_e32 v32, v39, v38
	;; [unrolled: 1-line block ×3, first 2 shown]
	s_delay_alu instid0(VALU_DEP_1) | instskip(NEXT) | instid1(VALU_DEP_3)
	v_sub_f32_e32 v36, v36, v39
	v_sub_f32_e32 v32, v32, v34
	s_delay_alu instid0(VALU_DEP_2) | instskip(NEXT) | instid1(VALU_DEP_1)
	v_add_f32_e32 v26, v26, v36
	v_add_f32_e32 v26, v32, v26
	s_delay_alu instid0(VALU_DEP_1) | instskip(NEXT) | instid1(VALU_DEP_1)
	v_add_f32_e32 v32, v40, v26
	v_mul_f32_e32 v34, v31, v32
	s_delay_alu instid0(VALU_DEP_1) | instskip(NEXT) | instid1(VALU_DEP_1)
	v_dual_sub_f32 v39, v40, v32 :: v_dual_mul_f32 v36, v35, v34
	v_add_f32_e32 v26, v26, v39
	s_delay_alu instid0(VALU_DEP_2) | instskip(NEXT) | instid1(VALU_DEP_1)
	v_fma_f32 v35, v34, v35, -v36
	v_fmac_f32_e32 v35, v34, v33
	s_delay_alu instid0(VALU_DEP_1) | instskip(NEXT) | instid1(VALU_DEP_1)
	v_add_f32_e32 v33, v36, v35
	v_sub_f32_e32 v38, v32, v33
	s_delay_alu instid0(VALU_DEP_1) | instskip(NEXT) | instid1(VALU_DEP_1)
	v_sub_f32_e32 v32, v32, v38
	v_sub_f32_e32 v32, v32, v33
	s_delay_alu instid0(VALU_DEP_1) | instskip(SKIP_2) | instid1(VALU_DEP_1)
	v_add_f32_e32 v26, v26, v32
	v_add_f32_e32 v32, v37, v34
	v_sub_f32_e32 v36, v33, v36
	v_sub_f32_e32 v33, v36, v35
	s_delay_alu instid0(VALU_DEP_1) | instskip(NEXT) | instid1(VALU_DEP_1)
	v_dual_add_f32 v26, v33, v26 :: v_dual_sub_f32 v33, v32, v37
	v_add_f32_e32 v26, v38, v26
	s_delay_alu instid0(VALU_DEP_1) | instskip(NEXT) | instid1(VALU_DEP_1)
	v_dual_sub_f32 v33, v34, v33 :: v_dual_mul_f32 v26, v31, v26
	v_add_f32_e32 v26, v33, v26
	s_delay_alu instid0(VALU_DEP_1) | instskip(NEXT) | instid1(VALU_DEP_1)
	v_add_f32_e32 v31, v32, v26
	v_mul_f32_e32 v33, v31, v31
	s_wait_alu 0xfffe
	s_delay_alu instid0(VALU_DEP_1) | instskip(SKIP_1) | instid1(VALU_DEP_2)
	v_fmaak_f32 v34, s3, v33, 0x3ecc95a3
	v_mul_f32_e32 v35, v31, v33
	v_fmaak_f32 v33, v33, v34, 0x3f2aaada
	v_ldexp_f32 v34, v31, 1
	s_delay_alu instid0(VALU_DEP_2) | instskip(SKIP_1) | instid1(VALU_DEP_2)
	v_mul_f32_e32 v33, v35, v33
	v_mul_f32_e32 v35, 0x3f317218, v25
	v_dual_sub_f32 v31, v31, v32 :: v_dual_add_f32 v32, v34, v33
	s_delay_alu instid0(VALU_DEP_1) | instskip(NEXT) | instid1(VALU_DEP_3)
	v_dual_sub_f32 v26, v26, v31 :: v_dual_sub_f32 v31, v32, v34
	v_fma_f32 v34, 0x3f317218, v25, -v35
	s_delay_alu instid0(VALU_DEP_2) | instskip(NEXT) | instid1(VALU_DEP_3)
	v_ldexp_f32 v26, v26, 1
	v_sub_f32_e32 v31, v33, v31
	s_delay_alu instid0(VALU_DEP_1) | instskip(NEXT) | instid1(VALU_DEP_1)
	v_dual_fmamk_f32 v25, v25, 0xb102e308, v34 :: v_dual_add_f32 v26, v26, v31
	v_add_f32_e32 v31, v35, v25
	s_delay_alu instid0(VALU_DEP_1) | instskip(NEXT) | instid1(VALU_DEP_3)
	v_sub_f32_e32 v35, v31, v35
	v_add_f32_e32 v33, v32, v26
	s_delay_alu instid0(VALU_DEP_1) | instskip(SKIP_1) | instid1(VALU_DEP_2)
	v_dual_sub_f32 v25, v25, v35 :: v_dual_add_f32 v34, v31, v33
	v_sub_f32_e32 v32, v33, v32
	v_sub_f32_e32 v36, v34, v31
	s_delay_alu instid0(VALU_DEP_1) | instskip(NEXT) | instid1(VALU_DEP_1)
	v_sub_f32_e32 v37, v34, v36
	v_dual_sub_f32 v31, v31, v37 :: v_dual_sub_f32 v26, v26, v32
	v_sub_f32_e32 v32, v33, v36
	s_delay_alu instid0(VALU_DEP_1) | instskip(NEXT) | instid1(VALU_DEP_3)
	v_add_f32_e32 v31, v32, v31
	v_add_f32_e32 v33, v25, v26
	s_delay_alu instid0(VALU_DEP_1) | instskip(NEXT) | instid1(VALU_DEP_1)
	v_sub_f32_e32 v32, v33, v25
	v_dual_add_f32 v31, v33, v31 :: v_dual_sub_f32 v26, v26, v32
	s_delay_alu instid0(VALU_DEP_1) | instskip(NEXT) | instid1(VALU_DEP_1)
	v_add_f32_e32 v35, v34, v31
	v_dual_sub_f32 v33, v33, v32 :: v_dual_sub_f32 v32, v35, v34
	s_delay_alu instid0(VALU_DEP_1) | instskip(NEXT) | instid1(VALU_DEP_1)
	v_sub_f32_e32 v25, v25, v33
	v_dual_add_f32 v25, v26, v25 :: v_dual_sub_f32 v26, v31, v32
	s_delay_alu instid0(VALU_DEP_1) | instskip(NEXT) | instid1(VALU_DEP_1)
	v_add_f32_e32 v25, v25, v26
	v_add_f32_e32 v25, v35, v25
	s_wait_alu 0xfffd
	s_delay_alu instid0(VALU_DEP_1) | instskip(SKIP_2) | instid1(VALU_DEP_2)
	v_cndmask_b32_e32 v25, 0x7f800000, v25, vcc_lo
	v_cmp_gt_f32_e64 vcc_lo, 0x33800000, |v23|
	s_wait_alu 0xfffd
	v_cndmask_b32_e32 v23, v25, v23, vcc_lo
	s_delay_alu instid0(VALU_DEP_1) | instskip(NEXT) | instid1(VALU_DEP_1)
	v_add_f32_e32 v23, v24, v23
	v_cvt_f16_f32_e32 v32, v23
	s_delay_alu instid0(VALU_DEP_1)
	v_cvt_f32_f16_e32 v31, v32
	v_mov_b32_e32 v23, v32
.LBB356_191:
	s_wait_alu 0xfffe
	s_or_b32 exec_lo, exec_lo, s2
	v_max_num_f32_e32 v24, v27, v27
	v_max_num_f32_e32 v25, v31, v31
	v_cmp_u_f16_e32 vcc_lo, v32, v32
	s_delay_alu instid0(VALU_DEP_2) | instskip(SKIP_1) | instid1(VALU_DEP_1)
	v_min_num_f32_e32 v26, v25, v24
	s_wait_alu 0xfffd
	v_dual_max_num_f32 v24, v25, v24 :: v_dual_cndmask_b32 v25, v26, v31
	s_delay_alu instid0(VALU_DEP_1) | instskip(NEXT) | instid1(VALU_DEP_2)
	v_cndmask_b32_e32 v24, v24, v31, vcc_lo
	v_cndmask_b32_e64 v26, v25, v27, s10
	s_delay_alu instid0(VALU_DEP_2) | instskip(SKIP_1) | instid1(VALU_DEP_3)
	v_cndmask_b32_e64 v25, v24, v27, s10
	v_mov_b32_e32 v24, v23
	v_cmp_class_f32_e64 s2, v26, 0x1f8
	s_delay_alu instid0(VALU_DEP_3)
	v_cmp_neq_f32_e32 vcc_lo, v26, v25
	s_or_b32 s3, vcc_lo, s2
	s_wait_alu 0xfffe
	s_and_saveexec_b32 s2, s3
	s_cbranch_execz .LBB356_193
; %bb.192:
	v_sub_f32_e32 v24, v26, v25
	s_mov_b32 s3, 0x3e9b6dac
	s_delay_alu instid0(VALU_DEP_1) | instskip(SKIP_1) | instid1(VALU_DEP_2)
	v_mul_f32_e32 v26, 0x3fb8aa3b, v24
	v_cmp_ngt_f32_e32 vcc_lo, 0xc2ce8ed0, v24
	v_fma_f32 v27, 0x3fb8aa3b, v24, -v26
	v_rndne_f32_e32 v31, v26
	s_delay_alu instid0(VALU_DEP_1) | instskip(NEXT) | instid1(VALU_DEP_1)
	v_dual_fmamk_f32 v27, v24, 0x32a5705f, v27 :: v_dual_sub_f32 v26, v26, v31
	v_add_f32_e32 v26, v26, v27
	v_cvt_i32_f32_e32 v27, v31
	s_delay_alu instid0(VALU_DEP_2) | instskip(NEXT) | instid1(TRANS32_DEP_1)
	v_exp_f32_e32 v26, v26
	v_ldexp_f32 v26, v26, v27
	s_wait_alu 0xfffd
	s_delay_alu instid0(VALU_DEP_1) | instskip(SKIP_2) | instid1(VALU_DEP_2)
	v_cndmask_b32_e32 v26, 0, v26, vcc_lo
	v_cmp_nlt_f32_e32 vcc_lo, 0x42b17218, v24
	s_wait_alu 0xfffd
	v_cndmask_b32_e32 v24, 0x7f800000, v26, vcc_lo
	s_delay_alu instid0(VALU_DEP_1) | instskip(NEXT) | instid1(VALU_DEP_1)
	v_add_f32_e32 v31, 1.0, v24
	v_cvt_f64_f32_e32 v[26:27], v31
	s_delay_alu instid0(VALU_DEP_1) | instskip(SKIP_1) | instid1(VALU_DEP_1)
	v_frexp_exp_i32_f64_e32 v26, v[26:27]
	v_frexp_mant_f32_e32 v27, v31
	v_cmp_gt_f32_e32 vcc_lo, 0x3f2aaaab, v27
	v_add_f32_e32 v27, -1.0, v31
	s_delay_alu instid0(VALU_DEP_1) | instskip(NEXT) | instid1(VALU_DEP_1)
	v_sub_f32_e32 v33, v27, v31
	v_add_f32_e32 v33, 1.0, v33
	v_sub_f32_e32 v27, v24, v27
	s_delay_alu instid0(VALU_DEP_1) | instskip(SKIP_3) | instid1(VALU_DEP_2)
	v_add_f32_e32 v27, v27, v33
	s_wait_alu 0xfffd
	v_subrev_co_ci_u32_e64 v26, null, 0, v26, vcc_lo
	v_cmp_neq_f32_e32 vcc_lo, 0x7f800000, v24
	v_sub_nc_u32_e32 v32, 0, v26
	v_cvt_f32_i32_e32 v26, v26
	s_delay_alu instid0(VALU_DEP_2) | instskip(SKIP_1) | instid1(VALU_DEP_2)
	v_ldexp_f32 v31, v31, v32
	v_ldexp_f32 v27, v27, v32
	v_add_f32_e32 v34, 1.0, v31
	s_delay_alu instid0(VALU_DEP_1) | instskip(NEXT) | instid1(VALU_DEP_1)
	v_dual_add_f32 v32, -1.0, v31 :: v_dual_add_f32 v33, -1.0, v34
	v_add_f32_e32 v35, 1.0, v32
	s_delay_alu instid0(VALU_DEP_2) | instskip(NEXT) | instid1(VALU_DEP_2)
	v_sub_f32_e32 v33, v31, v33
	v_sub_f32_e32 v31, v31, v35
	s_delay_alu instid0(VALU_DEP_2) | instskip(NEXT) | instid1(VALU_DEP_2)
	v_add_f32_e32 v33, v27, v33
	v_add_f32_e32 v27, v27, v31
	s_delay_alu instid0(VALU_DEP_1) | instskip(NEXT) | instid1(VALU_DEP_1)
	v_dual_add_f32 v36, v32, v27 :: v_dual_add_f32 v35, v34, v33
	v_sub_f32_e32 v32, v32, v36
	s_delay_alu instid0(VALU_DEP_2) | instskip(SKIP_1) | instid1(VALU_DEP_1)
	v_rcp_f32_e32 v31, v35
	v_sub_f32_e32 v34, v34, v35
	v_add_f32_e32 v33, v33, v34
	s_delay_alu instid0(TRANS32_DEP_1) | instskip(NEXT) | instid1(VALU_DEP_1)
	v_mul_f32_e32 v37, v36, v31
	v_mul_f32_e32 v38, v35, v37
	s_delay_alu instid0(VALU_DEP_1) | instskip(NEXT) | instid1(VALU_DEP_1)
	v_fma_f32 v34, v37, v35, -v38
	v_fmac_f32_e32 v34, v37, v33
	s_delay_alu instid0(VALU_DEP_1) | instskip(NEXT) | instid1(VALU_DEP_1)
	v_add_f32_e32 v39, v38, v34
	v_sub_f32_e32 v40, v36, v39
	s_delay_alu instid0(VALU_DEP_1) | instskip(SKIP_2) | instid1(VALU_DEP_3)
	v_sub_f32_e32 v36, v36, v40
	v_add_f32_e32 v27, v27, v32
	v_sub_f32_e32 v32, v39, v38
	v_sub_f32_e32 v36, v36, v39
	s_delay_alu instid0(VALU_DEP_1) | instskip(NEXT) | instid1(VALU_DEP_1)
	v_dual_sub_f32 v32, v32, v34 :: v_dual_add_f32 v27, v27, v36
	v_add_f32_e32 v27, v32, v27
	s_delay_alu instid0(VALU_DEP_1) | instskip(NEXT) | instid1(VALU_DEP_1)
	v_add_f32_e32 v32, v40, v27
	v_mul_f32_e32 v34, v31, v32
	s_delay_alu instid0(VALU_DEP_1) | instskip(NEXT) | instid1(VALU_DEP_1)
	v_dual_sub_f32 v39, v40, v32 :: v_dual_mul_f32 v36, v35, v34
	v_add_f32_e32 v27, v27, v39
	s_delay_alu instid0(VALU_DEP_2) | instskip(NEXT) | instid1(VALU_DEP_1)
	v_fma_f32 v35, v34, v35, -v36
	v_fmac_f32_e32 v35, v34, v33
	s_delay_alu instid0(VALU_DEP_1) | instskip(NEXT) | instid1(VALU_DEP_1)
	v_add_f32_e32 v33, v36, v35
	v_sub_f32_e32 v38, v32, v33
	s_delay_alu instid0(VALU_DEP_1) | instskip(NEXT) | instid1(VALU_DEP_1)
	v_sub_f32_e32 v32, v32, v38
	v_sub_f32_e32 v32, v32, v33
	s_delay_alu instid0(VALU_DEP_1) | instskip(SKIP_1) | instid1(VALU_DEP_1)
	v_dual_add_f32 v27, v27, v32 :: v_dual_add_f32 v32, v37, v34
	v_sub_f32_e32 v36, v33, v36
	v_sub_f32_e32 v33, v36, v35
	s_delay_alu instid0(VALU_DEP_1) | instskip(NEXT) | instid1(VALU_DEP_4)
	v_add_f32_e32 v27, v33, v27
	v_sub_f32_e32 v33, v32, v37
	s_delay_alu instid0(VALU_DEP_2) | instskip(NEXT) | instid1(VALU_DEP_2)
	v_add_f32_e32 v27, v38, v27
	v_sub_f32_e32 v33, v34, v33
	s_delay_alu instid0(VALU_DEP_2) | instskip(NEXT) | instid1(VALU_DEP_1)
	v_mul_f32_e32 v27, v31, v27
	v_add_f32_e32 v27, v33, v27
	s_delay_alu instid0(VALU_DEP_1) | instskip(NEXT) | instid1(VALU_DEP_1)
	v_add_f32_e32 v31, v32, v27
	v_mul_f32_e32 v33, v31, v31
	s_wait_alu 0xfffe
	s_delay_alu instid0(VALU_DEP_1) | instskip(SKIP_1) | instid1(VALU_DEP_2)
	v_fmaak_f32 v34, s3, v33, 0x3ecc95a3
	v_mul_f32_e32 v35, v31, v33
	v_fmaak_f32 v33, v33, v34, 0x3f2aaada
	v_ldexp_f32 v34, v31, 1
	v_sub_f32_e32 v31, v31, v32
	s_delay_alu instid0(VALU_DEP_3) | instskip(SKIP_1) | instid1(VALU_DEP_2)
	v_mul_f32_e32 v33, v35, v33
	v_mul_f32_e32 v35, 0x3f317218, v26
	v_dual_sub_f32 v27, v27, v31 :: v_dual_add_f32 v32, v34, v33
	s_delay_alu instid0(VALU_DEP_1) | instskip(NEXT) | instid1(VALU_DEP_2)
	v_ldexp_f32 v27, v27, 1
	v_sub_f32_e32 v31, v32, v34
	s_delay_alu instid0(VALU_DEP_4) | instskip(NEXT) | instid1(VALU_DEP_1)
	v_fma_f32 v34, 0x3f317218, v26, -v35
	v_dual_sub_f32 v31, v33, v31 :: v_dual_fmamk_f32 v26, v26, 0xb102e308, v34
	s_delay_alu instid0(VALU_DEP_1) | instskip(NEXT) | instid1(VALU_DEP_2)
	v_add_f32_e32 v27, v27, v31
	v_add_f32_e32 v31, v35, v26
	s_delay_alu instid0(VALU_DEP_2) | instskip(NEXT) | instid1(VALU_DEP_2)
	v_add_f32_e32 v33, v32, v27
	v_sub_f32_e32 v35, v31, v35
	s_delay_alu instid0(VALU_DEP_2) | instskip(SKIP_1) | instid1(VALU_DEP_3)
	v_add_f32_e32 v34, v31, v33
	v_sub_f32_e32 v32, v33, v32
	v_sub_f32_e32 v26, v26, v35
	s_delay_alu instid0(VALU_DEP_2) | instskip(NEXT) | instid1(VALU_DEP_1)
	v_dual_sub_f32 v36, v34, v31 :: v_dual_sub_f32 v27, v27, v32
	v_sub_f32_e32 v37, v34, v36
	s_delay_alu instid0(VALU_DEP_2) | instskip(NEXT) | instid1(VALU_DEP_2)
	v_dual_sub_f32 v32, v33, v36 :: v_dual_add_f32 v33, v26, v27
	v_sub_f32_e32 v31, v31, v37
	s_delay_alu instid0(VALU_DEP_1) | instskip(NEXT) | instid1(VALU_DEP_1)
	v_dual_add_f32 v31, v32, v31 :: v_dual_sub_f32 v32, v33, v26
	v_add_f32_e32 v31, v33, v31
	s_delay_alu instid0(VALU_DEP_2) | instskip(SKIP_1) | instid1(VALU_DEP_3)
	v_sub_f32_e32 v33, v33, v32
	v_sub_f32_e32 v27, v27, v32
	v_add_f32_e32 v35, v34, v31
	s_delay_alu instid0(VALU_DEP_3) | instskip(NEXT) | instid1(VALU_DEP_2)
	v_sub_f32_e32 v26, v26, v33
	v_sub_f32_e32 v32, v35, v34
	s_delay_alu instid0(VALU_DEP_2) | instskip(NEXT) | instid1(VALU_DEP_2)
	v_add_f32_e32 v26, v27, v26
	v_sub_f32_e32 v27, v31, v32
	s_delay_alu instid0(VALU_DEP_1) | instskip(NEXT) | instid1(VALU_DEP_1)
	v_add_f32_e32 v26, v26, v27
	v_add_f32_e32 v26, v35, v26
	s_wait_alu 0xfffd
	s_delay_alu instid0(VALU_DEP_1) | instskip(SKIP_2) | instid1(VALU_DEP_2)
	v_cndmask_b32_e32 v26, 0x7f800000, v26, vcc_lo
	v_cmp_gt_f32_e64 vcc_lo, 0x33800000, |v24|
	s_wait_alu 0xfffd
	v_cndmask_b32_e32 v24, v26, v24, vcc_lo
	s_delay_alu instid0(VALU_DEP_1) | instskip(NEXT) | instid1(VALU_DEP_1)
	v_add_f32_e32 v24, v25, v24
	v_cvt_f16_f32_e32 v32, v24
	s_delay_alu instid0(VALU_DEP_1)
	v_cvt_f32_f16_e32 v31, v32
	v_mov_b32_e32 v24, v32
.LBB356_193:
	s_wait_alu 0xfffe
	s_or_b32 exec_lo, exec_lo, s2
	s_delay_alu instid0(VALU_DEP_2) | instskip(SKIP_1) | instid1(VALU_DEP_2)
	v_dual_max_num_f32 v25, v28, v28 :: v_dual_max_num_f32 v26, v31, v31
	v_cmp_u_f16_e32 vcc_lo, v32, v32
	v_min_num_f32_e32 v27, v26, v25
	s_wait_alu 0xfffd
	s_delay_alu instid0(VALU_DEP_1) | instskip(NEXT) | instid1(VALU_DEP_1)
	v_dual_max_num_f32 v25, v26, v25 :: v_dual_cndmask_b32 v26, v27, v31
	v_cndmask_b32_e32 v25, v25, v31, vcc_lo
	s_delay_alu instid0(VALU_DEP_2) | instskip(NEXT) | instid1(VALU_DEP_2)
	v_cndmask_b32_e64 v27, v26, v28, s11
	v_cndmask_b32_e64 v26, v25, v28, s11
	v_mov_b32_e32 v25, v24
	s_delay_alu instid0(VALU_DEP_3) | instskip(NEXT) | instid1(VALU_DEP_3)
	v_cmp_class_f32_e64 s2, v27, 0x1f8
	v_cmp_neq_f32_e32 vcc_lo, v27, v26
	s_or_b32 s3, vcc_lo, s2
	s_wait_alu 0xfffe
	s_and_saveexec_b32 s2, s3
	s_cbranch_execz .LBB356_195
; %bb.194:
	v_sub_f32_e32 v25, v27, v26
	s_mov_b32 s3, 0x3e9b6dac
	s_delay_alu instid0(VALU_DEP_1) | instskip(SKIP_1) | instid1(VALU_DEP_2)
	v_mul_f32_e32 v27, 0x3fb8aa3b, v25
	v_cmp_ngt_f32_e32 vcc_lo, 0xc2ce8ed0, v25
	v_fma_f32 v28, 0x3fb8aa3b, v25, -v27
	v_rndne_f32_e32 v31, v27
	s_delay_alu instid0(VALU_DEP_1) | instskip(NEXT) | instid1(VALU_DEP_1)
	v_dual_fmamk_f32 v28, v25, 0x32a5705f, v28 :: v_dual_sub_f32 v27, v27, v31
	v_add_f32_e32 v27, v27, v28
	v_cvt_i32_f32_e32 v28, v31
	s_delay_alu instid0(VALU_DEP_2) | instskip(NEXT) | instid1(TRANS32_DEP_1)
	v_exp_f32_e32 v27, v27
	v_ldexp_f32 v27, v27, v28
	s_wait_alu 0xfffd
	s_delay_alu instid0(VALU_DEP_1) | instskip(SKIP_2) | instid1(VALU_DEP_2)
	v_cndmask_b32_e32 v27, 0, v27, vcc_lo
	v_cmp_nlt_f32_e32 vcc_lo, 0x42b17218, v25
	s_wait_alu 0xfffd
	v_cndmask_b32_e32 v25, 0x7f800000, v27, vcc_lo
	s_delay_alu instid0(VALU_DEP_1) | instskip(NEXT) | instid1(VALU_DEP_1)
	v_add_f32_e32 v31, 1.0, v25
	v_cvt_f64_f32_e32 v[27:28], v31
	s_delay_alu instid0(VALU_DEP_1) | instskip(SKIP_1) | instid1(VALU_DEP_1)
	v_frexp_exp_i32_f64_e32 v27, v[27:28]
	v_frexp_mant_f32_e32 v28, v31
	v_cmp_gt_f32_e32 vcc_lo, 0x3f2aaaab, v28
	v_add_f32_e32 v28, -1.0, v31
	s_delay_alu instid0(VALU_DEP_1) | instskip(SKIP_2) | instid1(VALU_DEP_1)
	v_dual_sub_f32 v33, v28, v31 :: v_dual_sub_f32 v28, v25, v28
	s_wait_alu 0xfffd
	v_subrev_co_ci_u32_e64 v27, null, 0, v27, vcc_lo
	v_sub_nc_u32_e32 v32, 0, v27
	v_cvt_f32_i32_e32 v27, v27
	s_delay_alu instid0(VALU_DEP_2) | instskip(NEXT) | instid1(VALU_DEP_1)
	v_ldexp_f32 v31, v31, v32
	v_dual_add_f32 v33, 1.0, v33 :: v_dual_add_f32 v34, 1.0, v31
	s_delay_alu instid0(VALU_DEP_1) | instskip(NEXT) | instid1(VALU_DEP_1)
	v_add_f32_e32 v28, v28, v33
	v_ldexp_f32 v28, v28, v32
	s_delay_alu instid0(VALU_DEP_3) | instskip(NEXT) | instid1(VALU_DEP_1)
	v_dual_add_f32 v32, -1.0, v31 :: v_dual_add_f32 v33, -1.0, v34
	v_add_f32_e32 v35, 1.0, v32
	s_delay_alu instid0(VALU_DEP_2) | instskip(NEXT) | instid1(VALU_DEP_2)
	v_sub_f32_e32 v33, v31, v33
	v_sub_f32_e32 v31, v31, v35
	s_delay_alu instid0(VALU_DEP_2) | instskip(NEXT) | instid1(VALU_DEP_2)
	v_add_f32_e32 v33, v28, v33
	v_add_f32_e32 v28, v28, v31
	s_delay_alu instid0(VALU_DEP_1) | instskip(SKIP_1) | instid1(VALU_DEP_2)
	v_dual_add_f32 v36, v32, v28 :: v_dual_add_f32 v35, v34, v33
	v_cmp_neq_f32_e32 vcc_lo, 0x7f800000, v25
	v_sub_f32_e32 v32, v32, v36
	s_delay_alu instid0(VALU_DEP_3) | instskip(SKIP_1) | instid1(VALU_DEP_1)
	v_rcp_f32_e32 v31, v35
	v_sub_f32_e32 v34, v34, v35
	v_dual_add_f32 v28, v28, v32 :: v_dual_add_f32 v33, v33, v34
	s_delay_alu instid0(TRANS32_DEP_1) | instskip(NEXT) | instid1(VALU_DEP_1)
	v_mul_f32_e32 v37, v36, v31
	v_mul_f32_e32 v38, v35, v37
	s_delay_alu instid0(VALU_DEP_1) | instskip(NEXT) | instid1(VALU_DEP_1)
	v_fma_f32 v34, v37, v35, -v38
	v_fmac_f32_e32 v34, v37, v33
	s_delay_alu instid0(VALU_DEP_1) | instskip(NEXT) | instid1(VALU_DEP_1)
	v_add_f32_e32 v39, v38, v34
	v_sub_f32_e32 v40, v36, v39
	s_delay_alu instid0(VALU_DEP_1) | instskip(NEXT) | instid1(VALU_DEP_1)
	v_sub_f32_e32 v36, v36, v40
	v_sub_f32_e32 v36, v36, v39
	s_delay_alu instid0(VALU_DEP_1) | instskip(SKIP_1) | instid1(VALU_DEP_1)
	v_add_f32_e32 v28, v28, v36
	v_sub_f32_e32 v32, v39, v38
	v_sub_f32_e32 v32, v32, v34
	s_delay_alu instid0(VALU_DEP_1) | instskip(NEXT) | instid1(VALU_DEP_1)
	v_add_f32_e32 v28, v32, v28
	v_add_f32_e32 v32, v40, v28
	s_delay_alu instid0(VALU_DEP_1) | instskip(NEXT) | instid1(VALU_DEP_1)
	v_mul_f32_e32 v34, v31, v32
	v_dual_sub_f32 v39, v40, v32 :: v_dual_mul_f32 v36, v35, v34
	s_delay_alu instid0(VALU_DEP_1) | instskip(NEXT) | instid1(VALU_DEP_2)
	v_add_f32_e32 v28, v28, v39
	v_fma_f32 v35, v34, v35, -v36
	s_delay_alu instid0(VALU_DEP_1) | instskip(NEXT) | instid1(VALU_DEP_1)
	v_fmac_f32_e32 v35, v34, v33
	v_add_f32_e32 v33, v36, v35
	s_delay_alu instid0(VALU_DEP_1) | instskip(NEXT) | instid1(VALU_DEP_1)
	v_sub_f32_e32 v38, v32, v33
	v_sub_f32_e32 v32, v32, v38
	s_delay_alu instid0(VALU_DEP_1) | instskip(NEXT) | instid1(VALU_DEP_1)
	v_sub_f32_e32 v32, v32, v33
	v_add_f32_e32 v28, v28, v32
	v_add_f32_e32 v32, v37, v34
	v_sub_f32_e32 v36, v33, v36
	s_delay_alu instid0(VALU_DEP_1) | instskip(NEXT) | instid1(VALU_DEP_1)
	v_sub_f32_e32 v33, v36, v35
	v_dual_add_f32 v28, v33, v28 :: v_dual_sub_f32 v33, v32, v37
	s_delay_alu instid0(VALU_DEP_1) | instskip(NEXT) | instid1(VALU_DEP_1)
	v_add_f32_e32 v28, v38, v28
	v_dual_sub_f32 v33, v34, v33 :: v_dual_mul_f32 v28, v31, v28
	s_delay_alu instid0(VALU_DEP_1) | instskip(NEXT) | instid1(VALU_DEP_1)
	v_add_f32_e32 v28, v33, v28
	v_add_f32_e32 v31, v32, v28
	s_delay_alu instid0(VALU_DEP_1) | instskip(SKIP_1) | instid1(VALU_DEP_1)
	v_mul_f32_e32 v33, v31, v31
	s_wait_alu 0xfffe
	v_fmaak_f32 v34, s3, v33, 0x3ecc95a3
	v_mul_f32_e32 v35, v31, v33
	s_delay_alu instid0(VALU_DEP_2) | instskip(SKIP_2) | instid1(VALU_DEP_3)
	v_fmaak_f32 v33, v33, v34, 0x3f2aaada
	v_ldexp_f32 v34, v31, 1
	v_sub_f32_e32 v31, v31, v32
	v_mul_f32_e32 v33, v35, v33
	v_mul_f32_e32 v35, 0x3f317218, v27
	s_delay_alu instid0(VALU_DEP_3) | instskip(NEXT) | instid1(VALU_DEP_3)
	v_sub_f32_e32 v28, v28, v31
	v_add_f32_e32 v32, v34, v33
	s_delay_alu instid0(VALU_DEP_2) | instskip(NEXT) | instid1(VALU_DEP_2)
	v_ldexp_f32 v28, v28, 1
	v_sub_f32_e32 v31, v32, v34
	v_fma_f32 v34, 0x3f317218, v27, -v35
	s_delay_alu instid0(VALU_DEP_2) | instskip(NEXT) | instid1(VALU_DEP_1)
	v_sub_f32_e32 v31, v33, v31
	v_dual_fmamk_f32 v27, v27, 0xb102e308, v34 :: v_dual_add_f32 v28, v28, v31
	s_delay_alu instid0(VALU_DEP_1) | instskip(NEXT) | instid1(VALU_DEP_2)
	v_add_f32_e32 v31, v35, v27
	v_add_f32_e32 v33, v32, v28
	s_delay_alu instid0(VALU_DEP_1) | instskip(NEXT) | instid1(VALU_DEP_1)
	v_add_f32_e32 v34, v31, v33
	v_sub_f32_e32 v36, v34, v31
	v_dual_sub_f32 v35, v31, v35 :: v_dual_sub_f32 v32, v33, v32
	s_delay_alu instid0(VALU_DEP_2) | instskip(NEXT) | instid1(VALU_DEP_1)
	v_sub_f32_e32 v37, v34, v36
	v_sub_f32_e32 v31, v31, v37
	s_delay_alu instid0(VALU_DEP_3) | instskip(SKIP_1) | instid1(VALU_DEP_2)
	v_dual_sub_f32 v27, v27, v35 :: v_dual_sub_f32 v28, v28, v32
	v_sub_f32_e32 v32, v33, v36
	v_add_f32_e32 v33, v27, v28
	s_delay_alu instid0(VALU_DEP_2) | instskip(NEXT) | instid1(VALU_DEP_2)
	v_add_f32_e32 v31, v32, v31
	v_sub_f32_e32 v32, v33, v27
	s_delay_alu instid0(VALU_DEP_2) | instskip(NEXT) | instid1(VALU_DEP_1)
	v_add_f32_e32 v31, v33, v31
	v_add_f32_e32 v35, v34, v31
	s_delay_alu instid0(VALU_DEP_3) | instskip(NEXT) | instid1(VALU_DEP_1)
	v_sub_f32_e32 v33, v33, v32
	v_dual_sub_f32 v27, v27, v33 :: v_dual_sub_f32 v28, v28, v32
	s_delay_alu instid0(VALU_DEP_1) | instskip(NEXT) | instid1(VALU_DEP_1)
	v_dual_sub_f32 v32, v35, v34 :: v_dual_add_f32 v27, v28, v27
	v_sub_f32_e32 v28, v31, v32
	s_delay_alu instid0(VALU_DEP_1) | instskip(NEXT) | instid1(VALU_DEP_1)
	v_add_f32_e32 v27, v27, v28
	v_add_f32_e32 v27, v35, v27
	s_wait_alu 0xfffd
	s_delay_alu instid0(VALU_DEP_1) | instskip(SKIP_2) | instid1(VALU_DEP_2)
	v_cndmask_b32_e32 v27, 0x7f800000, v27, vcc_lo
	v_cmp_gt_f32_e64 vcc_lo, 0x33800000, |v25|
	s_wait_alu 0xfffd
	v_cndmask_b32_e32 v25, v27, v25, vcc_lo
	s_delay_alu instid0(VALU_DEP_1) | instskip(NEXT) | instid1(VALU_DEP_1)
	v_add_f32_e32 v25, v26, v25
	v_cvt_f16_f32_e32 v32, v25
	s_delay_alu instid0(VALU_DEP_1)
	v_cvt_f32_f16_e32 v31, v32
	v_mov_b32_e32 v25, v32
.LBB356_195:
	s_wait_alu 0xfffe
	s_or_b32 exec_lo, exec_lo, s2
	s_delay_alu instid0(VALU_DEP_2) | instskip(SKIP_1) | instid1(VALU_DEP_2)
	v_dual_max_num_f32 v26, v29, v29 :: v_dual_max_num_f32 v27, v31, v31
	v_cmp_u_f16_e32 vcc_lo, v32, v32
	v_min_num_f32_e32 v28, v27, v26
	s_wait_alu 0xfffd
	s_delay_alu instid0(VALU_DEP_1) | instskip(NEXT) | instid1(VALU_DEP_1)
	v_dual_max_num_f32 v26, v27, v26 :: v_dual_cndmask_b32 v27, v28, v31
	v_cndmask_b32_e32 v26, v26, v31, vcc_lo
	s_delay_alu instid0(VALU_DEP_2) | instskip(NEXT) | instid1(VALU_DEP_2)
	v_cndmask_b32_e64 v28, v27, v29, s12
	v_cndmask_b32_e64 v26, v26, v29, s12
	v_mov_b32_e32 v27, v25
	s_delay_alu instid0(VALU_DEP_3) | instskip(NEXT) | instid1(VALU_DEP_3)
	v_cmp_class_f32_e64 s2, v28, 0x1f8
	v_cmp_neq_f32_e32 vcc_lo, v28, v26
	s_or_b32 s3, vcc_lo, s2
	s_wait_alu 0xfffe
	s_and_saveexec_b32 s2, s3
	s_cbranch_execz .LBB356_197
; %bb.196:
	v_sub_f32_e32 v27, v28, v26
	s_mov_b32 s3, 0x3e9b6dac
	s_delay_alu instid0(VALU_DEP_1) | instskip(SKIP_1) | instid1(VALU_DEP_2)
	v_mul_f32_e32 v28, 0x3fb8aa3b, v27
	v_cmp_ngt_f32_e32 vcc_lo, 0xc2ce8ed0, v27
	v_fma_f32 v29, 0x3fb8aa3b, v27, -v28
	v_rndne_f32_e32 v31, v28
	s_delay_alu instid0(VALU_DEP_1) | instskip(NEXT) | instid1(VALU_DEP_1)
	v_dual_fmamk_f32 v29, v27, 0x32a5705f, v29 :: v_dual_sub_f32 v28, v28, v31
	v_add_f32_e32 v28, v28, v29
	v_cvt_i32_f32_e32 v29, v31
	s_delay_alu instid0(VALU_DEP_2) | instskip(NEXT) | instid1(TRANS32_DEP_1)
	v_exp_f32_e32 v28, v28
	v_ldexp_f32 v28, v28, v29
	s_wait_alu 0xfffd
	s_delay_alu instid0(VALU_DEP_1) | instskip(SKIP_2) | instid1(VALU_DEP_2)
	v_cndmask_b32_e32 v28, 0, v28, vcc_lo
	v_cmp_nlt_f32_e32 vcc_lo, 0x42b17218, v27
	s_wait_alu 0xfffd
	v_cndmask_b32_e32 v29, 0x7f800000, v28, vcc_lo
	s_delay_alu instid0(VALU_DEP_1) | instskip(NEXT) | instid1(VALU_DEP_1)
	v_add_f32_e32 v31, 1.0, v29
	v_cvt_f64_f32_e32 v[27:28], v31
	s_delay_alu instid0(VALU_DEP_1) | instskip(SKIP_1) | instid1(VALU_DEP_1)
	v_frexp_exp_i32_f64_e32 v27, v[27:28]
	v_frexp_mant_f32_e32 v28, v31
	v_cmp_gt_f32_e32 vcc_lo, 0x3f2aaaab, v28
	v_add_f32_e32 v28, -1.0, v31
	s_delay_alu instid0(VALU_DEP_1) | instskip(SKIP_3) | instid1(VALU_DEP_2)
	v_dual_sub_f32 v33, v28, v31 :: v_dual_sub_f32 v28, v29, v28
	s_wait_alu 0xfffd
	v_subrev_co_ci_u32_e64 v27, null, 0, v27, vcc_lo
	v_cmp_neq_f32_e32 vcc_lo, 0x7f800000, v29
	v_sub_nc_u32_e32 v32, 0, v27
	v_cvt_f32_i32_e32 v27, v27
	s_delay_alu instid0(VALU_DEP_2) | instskip(NEXT) | instid1(VALU_DEP_1)
	v_ldexp_f32 v31, v31, v32
	v_dual_add_f32 v33, 1.0, v33 :: v_dual_add_f32 v34, 1.0, v31
	s_delay_alu instid0(VALU_DEP_1) | instskip(NEXT) | instid1(VALU_DEP_1)
	v_dual_add_f32 v28, v28, v33 :: v_dual_add_f32 v33, -1.0, v34
	v_ldexp_f32 v28, v28, v32
	s_delay_alu instid0(VALU_DEP_2) | instskip(NEXT) | instid1(VALU_DEP_1)
	v_dual_add_f32 v32, -1.0, v31 :: v_dual_sub_f32 v33, v31, v33
	v_add_f32_e32 v35, 1.0, v32
	s_delay_alu instid0(VALU_DEP_2) | instskip(NEXT) | instid1(VALU_DEP_2)
	v_add_f32_e32 v33, v28, v33
	v_sub_f32_e32 v31, v31, v35
	s_delay_alu instid0(VALU_DEP_1) | instskip(NEXT) | instid1(VALU_DEP_1)
	v_dual_add_f32 v35, v34, v33 :: v_dual_add_f32 v28, v28, v31
	v_rcp_f32_e32 v31, v35
	v_sub_f32_e32 v34, v34, v35
	s_delay_alu instid0(VALU_DEP_1) | instskip(NEXT) | instid1(VALU_DEP_1)
	v_dual_add_f32 v36, v32, v28 :: v_dual_add_f32 v33, v33, v34
	v_sub_f32_e32 v32, v32, v36
	s_delay_alu instid0(TRANS32_DEP_1) | instskip(NEXT) | instid1(VALU_DEP_2)
	v_mul_f32_e32 v37, v36, v31
	v_add_f32_e32 v28, v28, v32
	s_delay_alu instid0(VALU_DEP_2) | instskip(NEXT) | instid1(VALU_DEP_1)
	v_mul_f32_e32 v38, v35, v37
	v_fma_f32 v34, v37, v35, -v38
	s_delay_alu instid0(VALU_DEP_1) | instskip(NEXT) | instid1(VALU_DEP_1)
	v_fmac_f32_e32 v34, v37, v33
	v_add_f32_e32 v39, v38, v34
	s_delay_alu instid0(VALU_DEP_1) | instskip(SKIP_1) | instid1(VALU_DEP_2)
	v_sub_f32_e32 v40, v36, v39
	v_sub_f32_e32 v32, v39, v38
	;; [unrolled: 1-line block ×3, first 2 shown]
	s_delay_alu instid0(VALU_DEP_2) | instskip(NEXT) | instid1(VALU_DEP_2)
	v_sub_f32_e32 v32, v32, v34
	v_sub_f32_e32 v36, v36, v39
	s_delay_alu instid0(VALU_DEP_1) | instskip(NEXT) | instid1(VALU_DEP_1)
	v_add_f32_e32 v28, v28, v36
	v_add_f32_e32 v28, v32, v28
	s_delay_alu instid0(VALU_DEP_1) | instskip(NEXT) | instid1(VALU_DEP_1)
	v_add_f32_e32 v32, v40, v28
	v_mul_f32_e32 v34, v31, v32
	s_delay_alu instid0(VALU_DEP_1) | instskip(NEXT) | instid1(VALU_DEP_1)
	v_mul_f32_e32 v36, v35, v34
	v_fma_f32 v35, v34, v35, -v36
	s_delay_alu instid0(VALU_DEP_1) | instskip(SKIP_1) | instid1(VALU_DEP_2)
	v_fmac_f32_e32 v35, v34, v33
	v_sub_f32_e32 v39, v40, v32
	v_add_f32_e32 v33, v36, v35
	s_delay_alu instid0(VALU_DEP_2) | instskip(NEXT) | instid1(VALU_DEP_2)
	v_add_f32_e32 v28, v28, v39
	v_sub_f32_e32 v38, v32, v33
	v_sub_f32_e32 v36, v33, v36
	s_delay_alu instid0(VALU_DEP_2) | instskip(NEXT) | instid1(VALU_DEP_1)
	v_sub_f32_e32 v32, v32, v38
	v_sub_f32_e32 v32, v32, v33
	s_delay_alu instid0(VALU_DEP_3) | instskip(NEXT) | instid1(VALU_DEP_2)
	v_sub_f32_e32 v33, v36, v35
	v_add_f32_e32 v28, v28, v32
	v_add_f32_e32 v32, v37, v34
	s_delay_alu instid0(VALU_DEP_1) | instskip(NEXT) | instid1(VALU_DEP_1)
	v_dual_add_f32 v28, v33, v28 :: v_dual_sub_f32 v33, v32, v37
	v_add_f32_e32 v28, v38, v28
	s_delay_alu instid0(VALU_DEP_1) | instskip(NEXT) | instid1(VALU_DEP_1)
	v_dual_sub_f32 v33, v34, v33 :: v_dual_mul_f32 v28, v31, v28
	v_add_f32_e32 v28, v33, v28
	s_delay_alu instid0(VALU_DEP_1) | instskip(NEXT) | instid1(VALU_DEP_1)
	v_add_f32_e32 v31, v32, v28
	v_mul_f32_e32 v33, v31, v31
	s_wait_alu 0xfffe
	s_delay_alu instid0(VALU_DEP_1) | instskip(SKIP_1) | instid1(VALU_DEP_2)
	v_fmaak_f32 v34, s3, v33, 0x3ecc95a3
	v_mul_f32_e32 v35, v31, v33
	v_fmaak_f32 v33, v33, v34, 0x3f2aaada
	v_ldexp_f32 v34, v31, 1
	v_sub_f32_e32 v31, v31, v32
	s_delay_alu instid0(VALU_DEP_3) | instskip(SKIP_1) | instid1(VALU_DEP_3)
	v_mul_f32_e32 v33, v35, v33
	v_mul_f32_e32 v35, 0x3f317218, v27
	v_sub_f32_e32 v28, v28, v31
	s_delay_alu instid0(VALU_DEP_3) | instskip(NEXT) | instid1(VALU_DEP_2)
	v_add_f32_e32 v32, v34, v33
	v_ldexp_f32 v28, v28, 1
	s_delay_alu instid0(VALU_DEP_2) | instskip(SKIP_1) | instid1(VALU_DEP_2)
	v_sub_f32_e32 v31, v32, v34
	v_fma_f32 v34, 0x3f317218, v27, -v35
	v_sub_f32_e32 v31, v33, v31
	s_delay_alu instid0(VALU_DEP_1) | instskip(NEXT) | instid1(VALU_DEP_1)
	v_dual_fmamk_f32 v27, v27, 0xb102e308, v34 :: v_dual_add_f32 v28, v28, v31
	v_add_f32_e32 v31, v35, v27
	s_delay_alu instid0(VALU_DEP_2) | instskip(NEXT) | instid1(VALU_DEP_2)
	v_add_f32_e32 v33, v32, v28
	v_sub_f32_e32 v35, v31, v35
	s_delay_alu instid0(VALU_DEP_2) | instskip(NEXT) | instid1(VALU_DEP_2)
	v_add_f32_e32 v34, v31, v33
	v_sub_f32_e32 v27, v27, v35
	s_delay_alu instid0(VALU_DEP_2) | instskip(SKIP_1) | instid1(VALU_DEP_2)
	v_sub_f32_e32 v36, v34, v31
	v_sub_f32_e32 v32, v33, v32
	;; [unrolled: 1-line block ×3, first 2 shown]
	s_delay_alu instid0(VALU_DEP_2) | instskip(NEXT) | instid1(VALU_DEP_2)
	v_sub_f32_e32 v28, v28, v32
	v_dual_sub_f32 v32, v33, v36 :: v_dual_sub_f32 v31, v31, v37
	s_delay_alu instid0(VALU_DEP_2) | instskip(NEXT) | instid1(VALU_DEP_2)
	v_add_f32_e32 v33, v27, v28
	v_add_f32_e32 v31, v32, v31
	s_delay_alu instid0(VALU_DEP_2) | instskip(NEXT) | instid1(VALU_DEP_2)
	v_sub_f32_e32 v32, v33, v27
	v_add_f32_e32 v31, v33, v31
	s_delay_alu instid0(VALU_DEP_2) | instskip(NEXT) | instid1(VALU_DEP_2)
	v_sub_f32_e32 v33, v33, v32
	v_dual_sub_f32 v28, v28, v32 :: v_dual_add_f32 v35, v34, v31
	s_delay_alu instid0(VALU_DEP_2) | instskip(NEXT) | instid1(VALU_DEP_1)
	v_sub_f32_e32 v27, v27, v33
	v_dual_sub_f32 v32, v35, v34 :: v_dual_add_f32 v27, v28, v27
	s_delay_alu instid0(VALU_DEP_1) | instskip(NEXT) | instid1(VALU_DEP_1)
	v_sub_f32_e32 v28, v31, v32
	v_add_f32_e32 v27, v27, v28
	s_delay_alu instid0(VALU_DEP_1) | instskip(SKIP_1) | instid1(VALU_DEP_1)
	v_add_f32_e32 v27, v35, v27
	s_wait_alu 0xfffd
	v_cndmask_b32_e32 v27, 0x7f800000, v27, vcc_lo
	v_cmp_gt_f32_e64 vcc_lo, 0x33800000, |v29|
	s_wait_alu 0xfffd
	s_delay_alu instid0(VALU_DEP_2) | instskip(NEXT) | instid1(VALU_DEP_1)
	v_cndmask_b32_e32 v27, v27, v29, vcc_lo
	v_add_f32_e32 v26, v26, v27
	s_delay_alu instid0(VALU_DEP_1)
	v_cvt_f16_f32_e32 v27, v26
.LBB356_197:
	s_wait_alu 0xfffe
	s_or_b32 exec_lo, exec_lo, s2
	s_load_b256 s[24:31], s[0:1], 0x38
	s_branch .LBB356_305
.LBB356_198:
	v_cmp_eq_u32_e64 s12, 0, v0
	s_wait_kmcnt 0x0
	s_cmp_lg_u64 s[28:29], 0
	v_cmp_ne_u32_e64 s10, 0, v0
	s_cselect_b32 s0, -1, 0
	s_delay_alu instid0(SALU_CYCLE_1) | instskip(NEXT) | instid1(SALU_CYCLE_1)
	s_and_b32 s1, s12, s0
	s_and_saveexec_b32 s0, s1
	s_cbranch_execz .LBB356_202
; %bb.199:
	v_cvt_f32_f16_e32 v9, v1
	v_mov_b32_e32 v7, 0
	global_load_u16 v7, v7, s[24:25]
	s_wait_loadcnt 0x0
	v_cvt_f32_f16_e32 v8, v7
	v_cmp_u_f16_e32 vcc_lo, v7, v7
	s_delay_alu instid0(VALU_DEP_2) | instskip(SKIP_1) | instid1(VALU_DEP_1)
	v_min_num_f32_e32 v10, v8, v9
	v_max_num_f32_e32 v20, v8, v9
	v_cndmask_b32_e32 v20, v20, v8, vcc_lo
	s_delay_alu instid0(VALU_DEP_3) | instskip(SKIP_2) | instid1(VALU_DEP_3)
	v_cndmask_b32_e32 v10, v10, v8, vcc_lo
	v_cmp_u_f16_e32 vcc_lo, v1, v1
	s_wait_alu 0xfffd
	v_cndmask_b32_e32 v1, v20, v9, vcc_lo
	s_delay_alu instid0(VALU_DEP_3) | instskip(NEXT) | instid1(VALU_DEP_1)
	v_cndmask_b32_e32 v8, v10, v9, vcc_lo
	v_cmp_neq_f32_e32 vcc_lo, v8, v1
	v_cmp_class_f32_e64 s1, v8, 0x1f8
	s_or_b32 s2, vcc_lo, s1
	s_delay_alu instid0(SALU_CYCLE_1)
	s_and_saveexec_b32 s1, s2
	s_cbranch_execz .LBB356_201
; %bb.200:
	v_sub_f32_e32 v7, v8, v1
	s_mov_b32 s2, 0x3e9b6dac
	s_delay_alu instid0(VALU_DEP_1) | instskip(SKIP_1) | instid1(VALU_DEP_2)
	v_mul_f32_e32 v8, 0x3fb8aa3b, v7
	v_cmp_ngt_f32_e32 vcc_lo, 0xc2ce8ed0, v7
	v_fma_f32 v9, 0x3fb8aa3b, v7, -v8
	v_rndne_f32_e32 v10, v8
	s_delay_alu instid0(VALU_DEP_1) | instskip(NEXT) | instid1(VALU_DEP_1)
	v_dual_fmamk_f32 v9, v7, 0x32a5705f, v9 :: v_dual_sub_f32 v8, v8, v10
	v_add_f32_e32 v8, v8, v9
	v_cvt_i32_f32_e32 v9, v10
	s_delay_alu instid0(VALU_DEP_2) | instskip(NEXT) | instid1(TRANS32_DEP_1)
	v_exp_f32_e32 v8, v8
	v_ldexp_f32 v8, v8, v9
	s_wait_alu 0xfffd
	s_delay_alu instid0(VALU_DEP_1) | instskip(SKIP_2) | instid1(VALU_DEP_2)
	v_cndmask_b32_e32 v8, 0, v8, vcc_lo
	v_cmp_nlt_f32_e32 vcc_lo, 0x42b17218, v7
	s_wait_alu 0xfffd
	v_cndmask_b32_e32 v9, 0x7f800000, v8, vcc_lo
	s_delay_alu instid0(VALU_DEP_1) | instskip(NEXT) | instid1(VALU_DEP_1)
	v_add_f32_e32 v10, 1.0, v9
	v_cvt_f64_f32_e32 v[7:8], v10
	s_delay_alu instid0(VALU_DEP_1) | instskip(SKIP_1) | instid1(VALU_DEP_1)
	v_frexp_exp_i32_f64_e32 v7, v[7:8]
	v_frexp_mant_f32_e32 v8, v10
	v_cmp_gt_f32_e32 vcc_lo, 0x3f2aaaab, v8
	v_add_f32_e32 v8, -1.0, v10
	s_delay_alu instid0(VALU_DEP_1) | instskip(NEXT) | instid1(VALU_DEP_1)
	v_dual_sub_f32 v21, v8, v10 :: v_dual_sub_f32 v8, v9, v8
	v_add_f32_e32 v21, 1.0, v21
	s_delay_alu instid0(VALU_DEP_1) | instskip(SKIP_3) | instid1(VALU_DEP_2)
	v_add_f32_e32 v8, v8, v21
	s_wait_alu 0xfffd
	v_subrev_co_ci_u32_e64 v7, null, 0, v7, vcc_lo
	v_cmp_neq_f32_e32 vcc_lo, 0x7f800000, v9
	v_sub_nc_u32_e32 v20, 0, v7
	v_cvt_f32_i32_e32 v7, v7
	s_delay_alu instid0(VALU_DEP_2) | instskip(SKIP_1) | instid1(VALU_DEP_2)
	v_ldexp_f32 v10, v10, v20
	v_ldexp_f32 v8, v8, v20
	v_add_f32_e32 v22, 1.0, v10
	s_delay_alu instid0(VALU_DEP_1) | instskip(NEXT) | instid1(VALU_DEP_1)
	v_add_f32_e32 v21, -1.0, v22
	v_dual_sub_f32 v21, v10, v21 :: v_dual_add_f32 v20, -1.0, v10
	s_delay_alu instid0(VALU_DEP_1) | instskip(NEXT) | instid1(VALU_DEP_2)
	v_add_f32_e32 v21, v8, v21
	v_add_f32_e32 v23, 1.0, v20
	s_delay_alu instid0(VALU_DEP_1) | instskip(NEXT) | instid1(VALU_DEP_1)
	v_sub_f32_e32 v10, v10, v23
	v_dual_add_f32 v23, v22, v21 :: v_dual_add_f32 v8, v8, v10
	s_delay_alu instid0(VALU_DEP_1) | instskip(SKIP_1) | instid1(VALU_DEP_1)
	v_rcp_f32_e32 v10, v23
	v_sub_f32_e32 v22, v22, v23
	v_dual_add_f32 v24, v20, v8 :: v_dual_add_f32 v21, v21, v22
	s_delay_alu instid0(TRANS32_DEP_1) | instid1(VALU_DEP_1)
	v_mul_f32_e32 v25, v24, v10
	s_delay_alu instid0(VALU_DEP_1) | instskip(NEXT) | instid1(VALU_DEP_1)
	v_mul_f32_e32 v26, v23, v25
	v_fma_f32 v22, v25, v23, -v26
	s_delay_alu instid0(VALU_DEP_1) | instskip(NEXT) | instid1(VALU_DEP_1)
	v_fmac_f32_e32 v22, v25, v21
	v_dual_add_f32 v27, v26, v22 :: v_dual_sub_f32 v20, v20, v24
	s_delay_alu instid0(VALU_DEP_1) | instskip(NEXT) | instid1(VALU_DEP_2)
	v_sub_f32_e32 v28, v24, v27
	v_add_f32_e32 v8, v8, v20
	v_sub_f32_e32 v20, v27, v26
	s_delay_alu instid0(VALU_DEP_3) | instskip(NEXT) | instid1(VALU_DEP_2)
	v_sub_f32_e32 v24, v24, v28
	v_sub_f32_e32 v20, v20, v22
	s_delay_alu instid0(VALU_DEP_2) | instskip(NEXT) | instid1(VALU_DEP_1)
	v_sub_f32_e32 v24, v24, v27
	v_add_f32_e32 v8, v8, v24
	s_delay_alu instid0(VALU_DEP_1) | instskip(NEXT) | instid1(VALU_DEP_1)
	v_add_f32_e32 v8, v20, v8
	v_add_f32_e32 v20, v28, v8
	s_delay_alu instid0(VALU_DEP_1) | instskip(NEXT) | instid1(VALU_DEP_1)
	v_mul_f32_e32 v22, v10, v20
	v_mul_f32_e32 v24, v23, v22
	s_delay_alu instid0(VALU_DEP_1) | instskip(NEXT) | instid1(VALU_DEP_1)
	v_fma_f32 v23, v22, v23, -v24
	v_fmac_f32_e32 v23, v22, v21
	v_sub_f32_e32 v27, v28, v20
	s_delay_alu instid0(VALU_DEP_2) | instskip(NEXT) | instid1(VALU_DEP_2)
	v_add_f32_e32 v21, v24, v23
	v_add_f32_e32 v8, v8, v27
	s_delay_alu instid0(VALU_DEP_2) | instskip(SKIP_1) | instid1(VALU_DEP_2)
	v_sub_f32_e32 v26, v20, v21
	v_sub_f32_e32 v24, v21, v24
	v_sub_f32_e32 v20, v20, v26
	s_delay_alu instid0(VALU_DEP_1) | instskip(NEXT) | instid1(VALU_DEP_3)
	v_sub_f32_e32 v20, v20, v21
	v_sub_f32_e32 v21, v24, v23
	s_delay_alu instid0(VALU_DEP_2) | instskip(SKIP_1) | instid1(VALU_DEP_1)
	v_add_f32_e32 v8, v8, v20
	v_add_f32_e32 v20, v25, v22
	v_dual_add_f32 v8, v21, v8 :: v_dual_sub_f32 v21, v20, v25
	s_delay_alu instid0(VALU_DEP_1) | instskip(NEXT) | instid1(VALU_DEP_2)
	v_add_f32_e32 v8, v26, v8
	v_sub_f32_e32 v21, v22, v21
	s_delay_alu instid0(VALU_DEP_2) | instskip(NEXT) | instid1(VALU_DEP_1)
	v_mul_f32_e32 v8, v10, v8
	v_add_f32_e32 v8, v21, v8
	s_delay_alu instid0(VALU_DEP_1) | instskip(NEXT) | instid1(VALU_DEP_1)
	v_add_f32_e32 v10, v20, v8
	v_mul_f32_e32 v21, v10, v10
	s_delay_alu instid0(VALU_DEP_1) | instskip(SKIP_1) | instid1(VALU_DEP_2)
	v_fmaak_f32 v22, s2, v21, 0x3ecc95a3
	v_mul_f32_e32 v23, v10, v21
	v_fmaak_f32 v21, v21, v22, 0x3f2aaada
	v_ldexp_f32 v22, v10, 1
	s_delay_alu instid0(VALU_DEP_2) | instskip(NEXT) | instid1(VALU_DEP_1)
	v_dual_sub_f32 v10, v10, v20 :: v_dual_mul_f32 v21, v23, v21
	v_dual_mul_f32 v23, 0x3f317218, v7 :: v_dual_sub_f32 v8, v8, v10
	s_delay_alu instid0(VALU_DEP_2) | instskip(NEXT) | instid1(VALU_DEP_2)
	v_add_f32_e32 v20, v22, v21
	v_ldexp_f32 v8, v8, 1
	s_delay_alu instid0(VALU_DEP_2) | instskip(NEXT) | instid1(VALU_DEP_4)
	v_sub_f32_e32 v10, v20, v22
	v_fma_f32 v22, 0x3f317218, v7, -v23
	s_delay_alu instid0(VALU_DEP_1) | instskip(NEXT) | instid1(VALU_DEP_1)
	v_dual_sub_f32 v10, v21, v10 :: v_dual_fmamk_f32 v7, v7, 0xb102e308, v22
	v_add_f32_e32 v8, v8, v10
	s_delay_alu instid0(VALU_DEP_1) | instskip(NEXT) | instid1(VALU_DEP_1)
	v_dual_add_f32 v10, v23, v7 :: v_dual_add_f32 v21, v20, v8
	v_sub_f32_e32 v23, v10, v23
	s_delay_alu instid0(VALU_DEP_2) | instskip(NEXT) | instid1(VALU_DEP_2)
	v_add_f32_e32 v22, v10, v21
	v_dual_sub_f32 v20, v21, v20 :: v_dual_sub_f32 v7, v7, v23
	s_delay_alu instid0(VALU_DEP_2) | instskip(NEXT) | instid1(VALU_DEP_2)
	v_sub_f32_e32 v24, v22, v10
	v_sub_f32_e32 v8, v8, v20
	s_delay_alu instid0(VALU_DEP_2) | instskip(SKIP_1) | instid1(VALU_DEP_2)
	v_sub_f32_e32 v25, v22, v24
	v_sub_f32_e32 v20, v21, v24
	v_dual_add_f32 v21, v7, v8 :: v_dual_sub_f32 v10, v10, v25
	s_delay_alu instid0(VALU_DEP_1) | instskip(NEXT) | instid1(VALU_DEP_2)
	v_add_f32_e32 v10, v20, v10
	v_sub_f32_e32 v20, v21, v7
	s_delay_alu instid0(VALU_DEP_2) | instskip(NEXT) | instid1(VALU_DEP_2)
	v_add_f32_e32 v10, v21, v10
	v_sub_f32_e32 v21, v21, v20
	s_delay_alu instid0(VALU_DEP_2) | instskip(NEXT) | instid1(VALU_DEP_2)
	v_dual_sub_f32 v8, v8, v20 :: v_dual_add_f32 v23, v22, v10
	v_sub_f32_e32 v7, v7, v21
	s_delay_alu instid0(VALU_DEP_1) | instskip(NEXT) | instid1(VALU_DEP_1)
	v_dual_sub_f32 v20, v23, v22 :: v_dual_add_f32 v7, v8, v7
	v_sub_f32_e32 v8, v10, v20
	s_delay_alu instid0(VALU_DEP_1) | instskip(NEXT) | instid1(VALU_DEP_1)
	v_add_f32_e32 v7, v7, v8
	v_add_f32_e32 v7, v23, v7
	s_wait_alu 0xfffd
	s_delay_alu instid0(VALU_DEP_1) | instskip(SKIP_2) | instid1(VALU_DEP_2)
	v_cndmask_b32_e32 v7, 0x7f800000, v7, vcc_lo
	v_cmp_gt_f32_e64 vcc_lo, 0x33800000, |v9|
	s_wait_alu 0xfffd
	v_cndmask_b32_e32 v7, v7, v9, vcc_lo
	s_delay_alu instid0(VALU_DEP_1) | instskip(NEXT) | instid1(VALU_DEP_1)
	v_add_f32_e32 v1, v1, v7
	v_cvt_f16_f32_e32 v7, v1
.LBB356_201:
	s_or_b32 exec_lo, exec_lo, s1
	s_delay_alu instid0(VALU_DEP_1)
	v_mov_b32_e32 v1, v7
.LBB356_202:
	s_or_b32 exec_lo, exec_lo, s0
	s_delay_alu instid0(VALU_DEP_1) | instskip(SKIP_3) | instid1(VALU_DEP_4)
	v_cvt_f32_f16_e32 v7, v1
	v_cmp_u_f16_e64 s11, v1, v1
	v_cmp_u_f16_e32 vcc_lo, v19, v19
	v_dual_mov_b32 v22, v1 :: v_dual_mov_b32 v19, v1
	v_min_num_f32_e32 v20, v7, v13
	v_max_num_f32_e32 v21, v7, v13
	v_mov_b32_e32 v23, v7
	s_delay_alu instid0(VALU_DEP_3) | instskip(NEXT) | instid1(VALU_DEP_3)
	v_cndmask_b32_e64 v8, v20, v7, s11
	v_cndmask_b32_e64 v10, v21, v7, s11
	s_wait_alu 0xfffd
	s_delay_alu instid0(VALU_DEP_2) | instskip(NEXT) | instid1(VALU_DEP_2)
	v_cndmask_b32_e32 v9, v8, v13, vcc_lo
	v_cndmask_b32_e32 v8, v10, v13, vcc_lo
	s_delay_alu instid0(VALU_DEP_2) | instskip(NEXT) | instid1(VALU_DEP_2)
	v_cmp_class_f32_e64 s1, v9, 0x1f8
	v_cmp_neq_f32_e64 s0, v9, v8
	s_or_b32 s0, s0, s1
	s_delay_alu instid0(SALU_CYCLE_1)
	s_and_saveexec_b32 s1, s0
	s_cbranch_execz .LBB356_204
; %bb.203:
	v_sub_f32_e32 v9, v9, v8
	s_delay_alu instid0(VALU_DEP_1) | instskip(NEXT) | instid1(VALU_DEP_1)
	v_mul_f32_e32 v10, 0x3fb8aa3b, v9
	v_fma_f32 v19, 0x3fb8aa3b, v9, -v10
	v_rndne_f32_e32 v22, v10
	s_delay_alu instid0(VALU_DEP_1) | instskip(SKIP_1) | instid1(VALU_DEP_2)
	v_dual_sub_f32 v10, v10, v22 :: v_dual_fmamk_f32 v19, v9, 0x32a5705f, v19
	v_cmp_ngt_f32_e64 s0, 0xc2ce8ed0, v9
	v_add_f32_e32 v10, v10, v19
	v_cvt_i32_f32_e32 v19, v22
	s_delay_alu instid0(VALU_DEP_2) | instskip(NEXT) | instid1(TRANS32_DEP_1)
	v_exp_f32_e32 v10, v10
	v_ldexp_f32 v10, v10, v19
	s_delay_alu instid0(VALU_DEP_1) | instskip(SKIP_2) | instid1(VALU_DEP_1)
	v_cndmask_b32_e64 v10, 0, v10, s0
	v_cmp_nlt_f32_e64 s0, 0x42b17218, v9
	s_wait_alu 0xf1ff
	v_cndmask_b32_e64 v19, 0x7f800000, v10, s0
	s_delay_alu instid0(VALU_DEP_1) | instskip(NEXT) | instid1(VALU_DEP_1)
	v_add_f32_e32 v22, 1.0, v19
	v_cvt_f64_f32_e32 v[9:10], v22
	s_delay_alu instid0(VALU_DEP_1) | instskip(SKIP_1) | instid1(VALU_DEP_1)
	v_frexp_exp_i32_f64_e32 v9, v[9:10]
	v_frexp_mant_f32_e32 v10, v22
	v_cmp_gt_f32_e64 s0, 0x3f2aaaab, v10
	v_add_f32_e32 v10, -1.0, v22
	s_delay_alu instid0(VALU_DEP_1)
	v_sub_f32_e32 v24, v10, v22
	v_sub_f32_e32 v10, v19, v10
	s_wait_alu 0xf1ff
	v_subrev_co_ci_u32_e64 v9, null, 0, v9, s0
	s_mov_b32 s0, 0x3e9b6dac
	v_sub_nc_u32_e32 v23, 0, v9
	v_cvt_f32_i32_e32 v9, v9
	s_delay_alu instid0(VALU_DEP_2) | instskip(NEXT) | instid1(VALU_DEP_1)
	v_ldexp_f32 v22, v22, v23
	v_dual_add_f32 v25, 1.0, v22 :: v_dual_add_f32 v24, 1.0, v24
	s_delay_alu instid0(VALU_DEP_1) | instskip(NEXT) | instid1(VALU_DEP_2)
	v_add_f32_e32 v10, v10, v24
	v_add_f32_e32 v24, -1.0, v25
	s_delay_alu instid0(VALU_DEP_2) | instskip(NEXT) | instid1(VALU_DEP_2)
	v_ldexp_f32 v10, v10, v23
	v_dual_add_f32 v23, -1.0, v22 :: v_dual_sub_f32 v24, v22, v24
	s_delay_alu instid0(VALU_DEP_1) | instskip(NEXT) | instid1(VALU_DEP_2)
	v_add_f32_e32 v26, 1.0, v23
	v_add_f32_e32 v24, v10, v24
	s_delay_alu instid0(VALU_DEP_2) | instskip(NEXT) | instid1(VALU_DEP_2)
	v_sub_f32_e32 v22, v22, v26
	v_add_f32_e32 v26, v25, v24
	s_delay_alu instid0(VALU_DEP_2) | instskip(NEXT) | instid1(VALU_DEP_2)
	v_add_f32_e32 v10, v10, v22
	v_rcp_f32_e32 v22, v26
	v_sub_f32_e32 v25, v25, v26
	s_delay_alu instid0(VALU_DEP_1) | instskip(NEXT) | instid1(VALU_DEP_1)
	v_dual_add_f32 v27, v23, v10 :: v_dual_add_f32 v24, v24, v25
	v_sub_f32_e32 v23, v23, v27
	s_delay_alu instid0(TRANS32_DEP_1) | instskip(NEXT) | instid1(VALU_DEP_2)
	v_mul_f32_e32 v28, v27, v22
	v_add_f32_e32 v10, v10, v23
	s_delay_alu instid0(VALU_DEP_2) | instskip(NEXT) | instid1(VALU_DEP_1)
	v_mul_f32_e32 v29, v26, v28
	v_fma_f32 v25, v28, v26, -v29
	s_delay_alu instid0(VALU_DEP_1) | instskip(NEXT) | instid1(VALU_DEP_1)
	v_fmac_f32_e32 v25, v28, v24
	v_add_f32_e32 v30, v29, v25
	s_delay_alu instid0(VALU_DEP_1) | instskip(SKIP_1) | instid1(VALU_DEP_2)
	v_sub_f32_e32 v31, v27, v30
	v_sub_f32_e32 v23, v30, v29
	;; [unrolled: 1-line block ×3, first 2 shown]
	s_delay_alu instid0(VALU_DEP_2) | instskip(NEXT) | instid1(VALU_DEP_2)
	v_sub_f32_e32 v23, v23, v25
	v_sub_f32_e32 v27, v27, v30
	s_delay_alu instid0(VALU_DEP_1) | instskip(NEXT) | instid1(VALU_DEP_1)
	v_add_f32_e32 v10, v10, v27
	v_add_f32_e32 v10, v23, v10
	s_delay_alu instid0(VALU_DEP_1) | instskip(NEXT) | instid1(VALU_DEP_1)
	v_add_f32_e32 v23, v31, v10
	v_mul_f32_e32 v25, v22, v23
	s_delay_alu instid0(VALU_DEP_1) | instskip(NEXT) | instid1(VALU_DEP_1)
	v_dual_sub_f32 v30, v31, v23 :: v_dual_mul_f32 v27, v26, v25
	v_add_f32_e32 v10, v10, v30
	s_delay_alu instid0(VALU_DEP_2) | instskip(NEXT) | instid1(VALU_DEP_1)
	v_fma_f32 v26, v25, v26, -v27
	v_fmac_f32_e32 v26, v25, v24
	s_delay_alu instid0(VALU_DEP_1) | instskip(NEXT) | instid1(VALU_DEP_1)
	v_add_f32_e32 v24, v27, v26
	v_sub_f32_e32 v29, v23, v24
	v_sub_f32_e32 v27, v24, v27
	s_delay_alu instid0(VALU_DEP_2) | instskip(NEXT) | instid1(VALU_DEP_1)
	v_sub_f32_e32 v23, v23, v29
	v_sub_f32_e32 v23, v23, v24
	s_delay_alu instid0(VALU_DEP_3) | instskip(NEXT) | instid1(VALU_DEP_2)
	v_sub_f32_e32 v24, v27, v26
	v_dual_add_f32 v10, v10, v23 :: v_dual_add_f32 v23, v28, v25
	s_delay_alu instid0(VALU_DEP_1) | instskip(NEXT) | instid1(VALU_DEP_2)
	v_add_f32_e32 v10, v24, v10
	v_sub_f32_e32 v24, v23, v28
	s_delay_alu instid0(VALU_DEP_2) | instskip(NEXT) | instid1(VALU_DEP_2)
	v_add_f32_e32 v10, v29, v10
	v_sub_f32_e32 v24, v25, v24
	s_delay_alu instid0(VALU_DEP_2) | instskip(NEXT) | instid1(VALU_DEP_1)
	v_mul_f32_e32 v10, v22, v10
	v_add_f32_e32 v10, v24, v10
	s_delay_alu instid0(VALU_DEP_1) | instskip(NEXT) | instid1(VALU_DEP_1)
	v_add_f32_e32 v22, v23, v10
	v_mul_f32_e32 v24, v22, v22
	s_wait_alu 0xfffe
	s_delay_alu instid0(VALU_DEP_1) | instskip(SKIP_2) | instid1(VALU_DEP_3)
	v_fmaak_f32 v25, s0, v24, 0x3ecc95a3
	v_mul_f32_e32 v26, v22, v24
	v_cmp_neq_f32_e64 s0, 0x7f800000, v19
	v_fmaak_f32 v24, v24, v25, 0x3f2aaada
	v_ldexp_f32 v25, v22, 1
	v_sub_f32_e32 v22, v22, v23
	s_delay_alu instid0(VALU_DEP_3) | instskip(SKIP_1) | instid1(VALU_DEP_2)
	v_mul_f32_e32 v24, v26, v24
	v_mul_f32_e32 v26, 0x3f317218, v9
	v_dual_sub_f32 v10, v10, v22 :: v_dual_add_f32 v23, v25, v24
	s_delay_alu instid0(VALU_DEP_1) | instskip(NEXT) | instid1(VALU_DEP_2)
	v_ldexp_f32 v10, v10, 1
	v_sub_f32_e32 v22, v23, v25
	s_delay_alu instid0(VALU_DEP_4) | instskip(NEXT) | instid1(VALU_DEP_1)
	v_fma_f32 v25, 0x3f317218, v9, -v26
	v_dual_sub_f32 v22, v24, v22 :: v_dual_fmamk_f32 v9, v9, 0xb102e308, v25
	s_delay_alu instid0(VALU_DEP_1) | instskip(NEXT) | instid1(VALU_DEP_2)
	v_add_f32_e32 v10, v10, v22
	v_add_f32_e32 v22, v26, v9
	s_delay_alu instid0(VALU_DEP_2) | instskip(NEXT) | instid1(VALU_DEP_2)
	v_add_f32_e32 v24, v23, v10
	v_sub_f32_e32 v26, v22, v26
	s_delay_alu instid0(VALU_DEP_2) | instskip(SKIP_1) | instid1(VALU_DEP_3)
	v_add_f32_e32 v25, v22, v24
	v_sub_f32_e32 v23, v24, v23
	v_sub_f32_e32 v9, v9, v26
	s_delay_alu instid0(VALU_DEP_2) | instskip(NEXT) | instid1(VALU_DEP_1)
	v_dual_sub_f32 v27, v25, v22 :: v_dual_sub_f32 v10, v10, v23
	v_sub_f32_e32 v28, v25, v27
	s_delay_alu instid0(VALU_DEP_2) | instskip(NEXT) | instid1(VALU_DEP_2)
	v_dual_sub_f32 v23, v24, v27 :: v_dual_add_f32 v24, v9, v10
	v_sub_f32_e32 v22, v22, v28
	s_delay_alu instid0(VALU_DEP_1) | instskip(NEXT) | instid1(VALU_DEP_1)
	v_dual_add_f32 v22, v23, v22 :: v_dual_sub_f32 v23, v24, v9
	v_add_f32_e32 v22, v24, v22
	s_delay_alu instid0(VALU_DEP_2) | instskip(SKIP_1) | instid1(VALU_DEP_3)
	v_sub_f32_e32 v24, v24, v23
	v_sub_f32_e32 v10, v10, v23
	v_add_f32_e32 v26, v25, v22
	s_delay_alu instid0(VALU_DEP_3) | instskip(NEXT) | instid1(VALU_DEP_2)
	v_sub_f32_e32 v9, v9, v24
	v_sub_f32_e32 v23, v26, v25
	s_delay_alu instid0(VALU_DEP_2) | instskip(NEXT) | instid1(VALU_DEP_2)
	v_add_f32_e32 v9, v10, v9
	v_sub_f32_e32 v10, v22, v23
	s_delay_alu instid0(VALU_DEP_1) | instskip(NEXT) | instid1(VALU_DEP_1)
	v_add_f32_e32 v9, v9, v10
	v_add_f32_e32 v9, v26, v9
	s_wait_alu 0xf1ff
	s_delay_alu instid0(VALU_DEP_1) | instskip(SKIP_2) | instid1(VALU_DEP_1)
	v_cndmask_b32_e64 v9, 0x7f800000, v9, s0
	v_cmp_gt_f32_e64 s0, 0x33800000, |v19|
	s_wait_alu 0xf1ff
	v_cndmask_b32_e64 v9, v9, v19, s0
	s_delay_alu instid0(VALU_DEP_1) | instskip(NEXT) | instid1(VALU_DEP_1)
	v_add_f32_e32 v8, v8, v9
	v_cvt_f16_f32_e32 v22, v8
	s_delay_alu instid0(VALU_DEP_1)
	v_cvt_f32_f16_e32 v23, v22
	v_mov_b32_e32 v19, v22
.LBB356_204:
	s_or_b32 exec_lo, exec_lo, s1
	v_cvt_f32_f16_e32 v8, v2
	s_delay_alu instid0(VALU_DEP_3) | instskip(SKIP_1) | instid1(VALU_DEP_2)
	v_max_num_f32_e32 v9, v23, v23
	v_cmp_u_f16_e64 s0, v22, v22
	v_min_num_f32_e32 v10, v9, v8
	v_max_num_f32_e32 v9, v9, v8
	s_wait_alu 0xf1ff
	s_delay_alu instid0(VALU_DEP_2) | instskip(NEXT) | instid1(VALU_DEP_2)
	v_cndmask_b32_e64 v10, v10, v23, s0
	v_cndmask_b32_e64 v24, v9, v23, s0
	v_cmp_u_f16_e64 s0, v2, v2
	s_wait_alu 0xf1ff
	s_delay_alu instid0(VALU_DEP_1) | instskip(NEXT) | instid1(VALU_DEP_3)
	v_cndmask_b32_e64 v9, v10, v8, s0
	v_cndmask_b32_e64 v2, v24, v8, s0
	s_delay_alu instid0(VALU_DEP_2) | instskip(NEXT) | instid1(VALU_DEP_2)
	v_cmp_class_f32_e64 s2, v9, 0x1f8
	v_cmp_neq_f32_e64 s1, v9, v2
	s_or_b32 s1, s1, s2
	s_wait_alu 0xfffe
	s_and_saveexec_b32 s2, s1
	s_cbranch_execz .LBB356_206
; %bb.205:
	v_sub_f32_e32 v9, v9, v2
	s_delay_alu instid0(VALU_DEP_1) | instskip(NEXT) | instid1(VALU_DEP_1)
	v_mul_f32_e32 v10, 0x3fb8aa3b, v9
	v_fma_f32 v19, 0x3fb8aa3b, v9, -v10
	v_rndne_f32_e32 v22, v10
	s_delay_alu instid0(VALU_DEP_1) | instskip(NEXT) | instid1(VALU_DEP_1)
	v_dual_fmamk_f32 v19, v9, 0x32a5705f, v19 :: v_dual_sub_f32 v10, v10, v22
	v_add_f32_e32 v10, v10, v19
	v_cvt_i32_f32_e32 v19, v22
	v_cmp_ngt_f32_e64 s1, 0xc2ce8ed0, v9
	s_delay_alu instid0(VALU_DEP_3) | instskip(NEXT) | instid1(TRANS32_DEP_1)
	v_exp_f32_e32 v10, v10
	v_ldexp_f32 v10, v10, v19
	s_wait_alu 0xf1ff
	s_delay_alu instid0(VALU_DEP_1) | instskip(SKIP_2) | instid1(VALU_DEP_1)
	v_cndmask_b32_e64 v10, 0, v10, s1
	v_cmp_nlt_f32_e64 s1, 0x42b17218, v9
	s_wait_alu 0xf1ff
	v_cndmask_b32_e64 v19, 0x7f800000, v10, s1
	s_delay_alu instid0(VALU_DEP_1) | instskip(NEXT) | instid1(VALU_DEP_1)
	v_add_f32_e32 v22, 1.0, v19
	v_cvt_f64_f32_e32 v[9:10], v22
	s_delay_alu instid0(VALU_DEP_1) | instskip(SKIP_1) | instid1(VALU_DEP_1)
	v_frexp_exp_i32_f64_e32 v9, v[9:10]
	v_frexp_mant_f32_e32 v10, v22
	v_cmp_gt_f32_e64 s1, 0x3f2aaaab, v10
	v_add_f32_e32 v10, -1.0, v22
	s_delay_alu instid0(VALU_DEP_1)
	v_sub_f32_e32 v24, v10, v22
	v_sub_f32_e32 v10, v19, v10
	s_wait_alu 0xf1ff
	v_subrev_co_ci_u32_e64 v9, null, 0, v9, s1
	s_mov_b32 s1, 0x3e9b6dac
	v_sub_nc_u32_e32 v23, 0, v9
	v_cvt_f32_i32_e32 v9, v9
	s_delay_alu instid0(VALU_DEP_2) | instskip(NEXT) | instid1(VALU_DEP_1)
	v_ldexp_f32 v22, v22, v23
	v_dual_add_f32 v24, 1.0, v24 :: v_dual_add_f32 v25, 1.0, v22
	s_delay_alu instid0(VALU_DEP_1) | instskip(NEXT) | instid1(VALU_DEP_2)
	v_add_f32_e32 v10, v10, v24
	v_add_f32_e32 v24, -1.0, v25
	s_delay_alu instid0(VALU_DEP_2) | instskip(NEXT) | instid1(VALU_DEP_2)
	v_ldexp_f32 v10, v10, v23
	v_dual_add_f32 v23, -1.0, v22 :: v_dual_sub_f32 v24, v22, v24
	s_delay_alu instid0(VALU_DEP_1) | instskip(NEXT) | instid1(VALU_DEP_2)
	v_add_f32_e32 v26, 1.0, v23
	v_add_f32_e32 v24, v10, v24
	s_delay_alu instid0(VALU_DEP_2) | instskip(NEXT) | instid1(VALU_DEP_2)
	v_sub_f32_e32 v22, v22, v26
	v_add_f32_e32 v26, v25, v24
	s_delay_alu instid0(VALU_DEP_2) | instskip(NEXT) | instid1(VALU_DEP_2)
	v_add_f32_e32 v10, v10, v22
	v_rcp_f32_e32 v22, v26
	v_sub_f32_e32 v25, v25, v26
	s_delay_alu instid0(VALU_DEP_1) | instskip(NEXT) | instid1(VALU_DEP_1)
	v_dual_add_f32 v27, v23, v10 :: v_dual_add_f32 v24, v24, v25
	v_sub_f32_e32 v23, v23, v27
	s_delay_alu instid0(TRANS32_DEP_1) | instskip(NEXT) | instid1(VALU_DEP_2)
	v_mul_f32_e32 v28, v27, v22
	v_add_f32_e32 v10, v10, v23
	s_delay_alu instid0(VALU_DEP_2) | instskip(NEXT) | instid1(VALU_DEP_1)
	v_mul_f32_e32 v29, v26, v28
	v_fma_f32 v25, v28, v26, -v29
	s_delay_alu instid0(VALU_DEP_1) | instskip(NEXT) | instid1(VALU_DEP_1)
	v_fmac_f32_e32 v25, v28, v24
	v_add_f32_e32 v30, v29, v25
	s_delay_alu instid0(VALU_DEP_1) | instskip(SKIP_1) | instid1(VALU_DEP_2)
	v_sub_f32_e32 v31, v27, v30
	v_sub_f32_e32 v23, v30, v29
	;; [unrolled: 1-line block ×3, first 2 shown]
	s_delay_alu instid0(VALU_DEP_2) | instskip(NEXT) | instid1(VALU_DEP_2)
	v_sub_f32_e32 v23, v23, v25
	v_sub_f32_e32 v27, v27, v30
	s_delay_alu instid0(VALU_DEP_1) | instskip(NEXT) | instid1(VALU_DEP_1)
	v_add_f32_e32 v10, v10, v27
	v_add_f32_e32 v10, v23, v10
	s_delay_alu instid0(VALU_DEP_1) | instskip(NEXT) | instid1(VALU_DEP_1)
	v_add_f32_e32 v23, v31, v10
	v_mul_f32_e32 v25, v22, v23
	s_delay_alu instid0(VALU_DEP_1) | instskip(NEXT) | instid1(VALU_DEP_1)
	v_dual_sub_f32 v30, v31, v23 :: v_dual_mul_f32 v27, v26, v25
	v_add_f32_e32 v10, v10, v30
	s_delay_alu instid0(VALU_DEP_2) | instskip(NEXT) | instid1(VALU_DEP_1)
	v_fma_f32 v26, v25, v26, -v27
	v_fmac_f32_e32 v26, v25, v24
	s_delay_alu instid0(VALU_DEP_1) | instskip(NEXT) | instid1(VALU_DEP_1)
	v_add_f32_e32 v24, v27, v26
	v_sub_f32_e32 v29, v23, v24
	v_sub_f32_e32 v27, v24, v27
	s_delay_alu instid0(VALU_DEP_2) | instskip(NEXT) | instid1(VALU_DEP_1)
	v_sub_f32_e32 v23, v23, v29
	v_sub_f32_e32 v23, v23, v24
	s_delay_alu instid0(VALU_DEP_1) | instskip(NEXT) | instid1(VALU_DEP_4)
	v_dual_add_f32 v10, v10, v23 :: v_dual_add_f32 v23, v28, v25
	v_sub_f32_e32 v24, v27, v26
	s_delay_alu instid0(VALU_DEP_1) | instskip(NEXT) | instid1(VALU_DEP_3)
	v_add_f32_e32 v10, v24, v10
	v_sub_f32_e32 v24, v23, v28
	s_delay_alu instid0(VALU_DEP_2) | instskip(NEXT) | instid1(VALU_DEP_2)
	v_add_f32_e32 v10, v29, v10
	v_sub_f32_e32 v24, v25, v24
	s_delay_alu instid0(VALU_DEP_2) | instskip(NEXT) | instid1(VALU_DEP_1)
	v_mul_f32_e32 v10, v22, v10
	v_add_f32_e32 v10, v24, v10
	s_delay_alu instid0(VALU_DEP_1) | instskip(NEXT) | instid1(VALU_DEP_1)
	v_add_f32_e32 v22, v23, v10
	v_mul_f32_e32 v24, v22, v22
	s_wait_alu 0xfffe
	s_delay_alu instid0(VALU_DEP_1) | instskip(SKIP_2) | instid1(VALU_DEP_3)
	v_fmaak_f32 v25, s1, v24, 0x3ecc95a3
	v_mul_f32_e32 v26, v22, v24
	v_cmp_neq_f32_e64 s1, 0x7f800000, v19
	v_fmaak_f32 v24, v24, v25, 0x3f2aaada
	v_ldexp_f32 v25, v22, 1
	v_sub_f32_e32 v22, v22, v23
	s_delay_alu instid0(VALU_DEP_3) | instskip(SKIP_1) | instid1(VALU_DEP_2)
	v_mul_f32_e32 v24, v26, v24
	v_mul_f32_e32 v26, 0x3f317218, v9
	v_dual_sub_f32 v10, v10, v22 :: v_dual_add_f32 v23, v25, v24
	s_delay_alu instid0(VALU_DEP_1) | instskip(NEXT) | instid1(VALU_DEP_2)
	v_ldexp_f32 v10, v10, 1
	v_sub_f32_e32 v22, v23, v25
	s_delay_alu instid0(VALU_DEP_4) | instskip(NEXT) | instid1(VALU_DEP_1)
	v_fma_f32 v25, 0x3f317218, v9, -v26
	v_dual_sub_f32 v22, v24, v22 :: v_dual_fmamk_f32 v9, v9, 0xb102e308, v25
	s_delay_alu instid0(VALU_DEP_1) | instskip(NEXT) | instid1(VALU_DEP_2)
	v_add_f32_e32 v10, v10, v22
	v_add_f32_e32 v22, v26, v9
	s_delay_alu instid0(VALU_DEP_2) | instskip(NEXT) | instid1(VALU_DEP_2)
	v_add_f32_e32 v24, v23, v10
	v_sub_f32_e32 v26, v22, v26
	s_delay_alu instid0(VALU_DEP_2) | instskip(SKIP_1) | instid1(VALU_DEP_3)
	v_add_f32_e32 v25, v22, v24
	v_sub_f32_e32 v23, v24, v23
	v_sub_f32_e32 v9, v9, v26
	s_delay_alu instid0(VALU_DEP_2) | instskip(NEXT) | instid1(VALU_DEP_1)
	v_dual_sub_f32 v27, v25, v22 :: v_dual_sub_f32 v10, v10, v23
	v_sub_f32_e32 v28, v25, v27
	s_delay_alu instid0(VALU_DEP_2) | instskip(NEXT) | instid1(VALU_DEP_2)
	v_dual_sub_f32 v23, v24, v27 :: v_dual_add_f32 v24, v9, v10
	v_sub_f32_e32 v22, v22, v28
	s_delay_alu instid0(VALU_DEP_1) | instskip(NEXT) | instid1(VALU_DEP_1)
	v_dual_add_f32 v22, v23, v22 :: v_dual_sub_f32 v23, v24, v9
	v_add_f32_e32 v22, v24, v22
	s_delay_alu instid0(VALU_DEP_2) | instskip(SKIP_1) | instid1(VALU_DEP_3)
	v_sub_f32_e32 v24, v24, v23
	v_sub_f32_e32 v10, v10, v23
	v_add_f32_e32 v26, v25, v22
	s_delay_alu instid0(VALU_DEP_3) | instskip(NEXT) | instid1(VALU_DEP_2)
	v_sub_f32_e32 v9, v9, v24
	v_sub_f32_e32 v23, v26, v25
	s_delay_alu instid0(VALU_DEP_2) | instskip(NEXT) | instid1(VALU_DEP_2)
	v_add_f32_e32 v9, v10, v9
	v_sub_f32_e32 v10, v22, v23
	s_delay_alu instid0(VALU_DEP_1) | instskip(NEXT) | instid1(VALU_DEP_1)
	v_add_f32_e32 v9, v9, v10
	v_add_f32_e32 v9, v26, v9
	s_wait_alu 0xf1ff
	s_delay_alu instid0(VALU_DEP_1) | instskip(SKIP_2) | instid1(VALU_DEP_1)
	v_cndmask_b32_e64 v9, 0x7f800000, v9, s1
	v_cmp_gt_f32_e64 s1, 0x33800000, |v19|
	s_wait_alu 0xf1ff
	v_cndmask_b32_e64 v9, v9, v19, s1
	s_delay_alu instid0(VALU_DEP_1) | instskip(NEXT) | instid1(VALU_DEP_1)
	v_add_f32_e32 v2, v2, v9
	v_cvt_f16_f32_e32 v22, v2
	s_delay_alu instid0(VALU_DEP_1)
	v_cvt_f32_f16_e32 v23, v22
	v_mov_b32_e32 v19, v22
.LBB356_206:
	s_wait_alu 0xfffe
	s_or_b32 exec_lo, exec_lo, s2
	v_cvt_f32_f16_e32 v2, v18
	v_max_num_f32_e32 v9, v23, v23
	v_cmp_u_f16_e64 s1, v22, v22
	s_delay_alu instid0(VALU_DEP_2) | instskip(SKIP_2) | instid1(VALU_DEP_2)
	v_min_num_f32_e32 v10, v9, v2
	v_max_num_f32_e32 v9, v9, v2
	s_wait_alu 0xf1ff
	v_cndmask_b32_e64 v10, v10, v23, s1
	s_delay_alu instid0(VALU_DEP_2) | instskip(SKIP_2) | instid1(VALU_DEP_1)
	v_cndmask_b32_e64 v9, v9, v23, s1
	v_cmp_u_f16_e64 s1, v18, v18
	s_wait_alu 0xf1ff
	v_cndmask_b32_e64 v10, v10, v2, s1
	s_delay_alu instid0(VALU_DEP_3) | instskip(NEXT) | instid1(VALU_DEP_2)
	v_cndmask_b32_e64 v9, v9, v2, s1
	v_cmp_class_f32_e64 s3, v10, 0x1f8
	s_delay_alu instid0(VALU_DEP_2)
	v_cmp_neq_f32_e64 s2, v10, v9
	s_or_b32 s2, s2, s3
	s_wait_alu 0xfffe
	s_and_saveexec_b32 s3, s2
	s_cbranch_execz .LBB356_208
; %bb.207:
	v_sub_f32_e32 v10, v10, v9
	s_delay_alu instid0(VALU_DEP_1) | instskip(SKIP_1) | instid1(VALU_DEP_2)
	v_mul_f32_e32 v18, 0x3fb8aa3b, v10
	v_cmp_ngt_f32_e64 s2, 0xc2ce8ed0, v10
	v_fma_f32 v19, 0x3fb8aa3b, v10, -v18
	v_rndne_f32_e32 v22, v18
	s_delay_alu instid0(VALU_DEP_2) | instskip(NEXT) | instid1(VALU_DEP_2)
	v_fmamk_f32 v19, v10, 0x32a5705f, v19
	v_sub_f32_e32 v18, v18, v22
	s_delay_alu instid0(VALU_DEP_1) | instskip(SKIP_1) | instid1(VALU_DEP_2)
	v_add_f32_e32 v18, v18, v19
	v_cvt_i32_f32_e32 v19, v22
	v_exp_f32_e32 v18, v18
	s_delay_alu instid0(TRANS32_DEP_1) | instskip(SKIP_1) | instid1(VALU_DEP_1)
	v_ldexp_f32 v18, v18, v19
	s_wait_alu 0xf1ff
	v_cndmask_b32_e64 v18, 0, v18, s2
	v_cmp_nlt_f32_e64 s2, 0x42b17218, v10
	s_wait_alu 0xf1ff
	s_delay_alu instid0(VALU_DEP_1) | instskip(NEXT) | instid1(VALU_DEP_1)
	v_cndmask_b32_e64 v10, 0x7f800000, v18, s2
	v_add_f32_e32 v22, 1.0, v10
	s_delay_alu instid0(VALU_DEP_1) | instskip(NEXT) | instid1(VALU_DEP_1)
	v_cvt_f64_f32_e32 v[18:19], v22
	v_frexp_exp_i32_f64_e32 v18, v[18:19]
	v_frexp_mant_f32_e32 v19, v22
	s_delay_alu instid0(VALU_DEP_1) | instskip(SKIP_1) | instid1(VALU_DEP_1)
	v_cmp_gt_f32_e64 s2, 0x3f2aaaab, v19
	v_add_f32_e32 v19, -1.0, v22
	v_dual_sub_f32 v24, v19, v22 :: v_dual_sub_f32 v19, v10, v19
	s_wait_alu 0xf1ff
	s_delay_alu instid0(VALU_DEP_3) | instskip(SKIP_3) | instid1(VALU_DEP_2)
	v_subrev_co_ci_u32_e64 v18, null, 0, v18, s2
	s_mov_b32 s2, 0x3e9b6dac
	v_sub_nc_u32_e32 v23, 0, v18
	v_cvt_f32_i32_e32 v18, v18
	v_ldexp_f32 v22, v22, v23
	s_delay_alu instid0(VALU_DEP_1) | instskip(NEXT) | instid1(VALU_DEP_1)
	v_dual_add_f32 v24, 1.0, v24 :: v_dual_add_f32 v25, 1.0, v22
	v_add_f32_e32 v19, v19, v24
	s_delay_alu instid0(VALU_DEP_1) | instskip(NEXT) | instid1(VALU_DEP_3)
	v_ldexp_f32 v19, v19, v23
	v_dual_add_f32 v23, -1.0, v22 :: v_dual_add_f32 v24, -1.0, v25
	s_delay_alu instid0(VALU_DEP_1) | instskip(NEXT) | instid1(VALU_DEP_2)
	v_add_f32_e32 v26, 1.0, v23
	v_sub_f32_e32 v24, v22, v24
	s_delay_alu instid0(VALU_DEP_2) | instskip(NEXT) | instid1(VALU_DEP_2)
	v_sub_f32_e32 v22, v22, v26
	v_add_f32_e32 v24, v19, v24
	s_delay_alu instid0(VALU_DEP_2) | instskip(NEXT) | instid1(VALU_DEP_1)
	v_add_f32_e32 v19, v19, v22
	v_dual_add_f32 v27, v23, v19 :: v_dual_add_f32 v26, v25, v24
	s_delay_alu instid0(VALU_DEP_1) | instskip(NEXT) | instid1(VALU_DEP_2)
	v_sub_f32_e32 v23, v23, v27
	v_rcp_f32_e32 v22, v26
	v_sub_f32_e32 v25, v25, v26
	s_delay_alu instid0(VALU_DEP_1) | instskip(NEXT) | instid1(TRANS32_DEP_1)
	v_dual_add_f32 v19, v19, v23 :: v_dual_add_f32 v24, v24, v25
	v_mul_f32_e32 v28, v27, v22
	s_delay_alu instid0(VALU_DEP_1) | instskip(NEXT) | instid1(VALU_DEP_1)
	v_mul_f32_e32 v29, v26, v28
	v_fma_f32 v25, v28, v26, -v29
	s_delay_alu instid0(VALU_DEP_1) | instskip(NEXT) | instid1(VALU_DEP_1)
	v_fmac_f32_e32 v25, v28, v24
	v_add_f32_e32 v30, v29, v25
	s_delay_alu instid0(VALU_DEP_1) | instskip(SKIP_1) | instid1(VALU_DEP_2)
	v_sub_f32_e32 v31, v27, v30
	v_sub_f32_e32 v23, v30, v29
	;; [unrolled: 1-line block ×3, first 2 shown]
	s_delay_alu instid0(VALU_DEP_2) | instskip(NEXT) | instid1(VALU_DEP_2)
	v_sub_f32_e32 v23, v23, v25
	v_sub_f32_e32 v27, v27, v30
	s_delay_alu instid0(VALU_DEP_1) | instskip(NEXT) | instid1(VALU_DEP_1)
	v_add_f32_e32 v19, v19, v27
	v_add_f32_e32 v19, v23, v19
	s_delay_alu instid0(VALU_DEP_1) | instskip(NEXT) | instid1(VALU_DEP_1)
	v_add_f32_e32 v23, v31, v19
	v_mul_f32_e32 v25, v22, v23
	s_delay_alu instid0(VALU_DEP_1) | instskip(NEXT) | instid1(VALU_DEP_1)
	v_dual_sub_f32 v30, v31, v23 :: v_dual_mul_f32 v27, v26, v25
	v_add_f32_e32 v19, v19, v30
	s_delay_alu instid0(VALU_DEP_2) | instskip(NEXT) | instid1(VALU_DEP_1)
	v_fma_f32 v26, v25, v26, -v27
	v_fmac_f32_e32 v26, v25, v24
	s_delay_alu instid0(VALU_DEP_1) | instskip(NEXT) | instid1(VALU_DEP_1)
	v_add_f32_e32 v24, v27, v26
	v_sub_f32_e32 v29, v23, v24
	s_delay_alu instid0(VALU_DEP_1) | instskip(NEXT) | instid1(VALU_DEP_1)
	v_sub_f32_e32 v23, v23, v29
	v_sub_f32_e32 v23, v23, v24
	s_delay_alu instid0(VALU_DEP_1) | instskip(SKIP_2) | instid1(VALU_DEP_1)
	v_add_f32_e32 v19, v19, v23
	v_add_f32_e32 v23, v28, v25
	v_sub_f32_e32 v27, v24, v27
	v_sub_f32_e32 v24, v27, v26
	s_delay_alu instid0(VALU_DEP_1) | instskip(NEXT) | instid1(VALU_DEP_1)
	v_dual_add_f32 v19, v24, v19 :: v_dual_sub_f32 v24, v23, v28
	v_add_f32_e32 v19, v29, v19
	s_delay_alu instid0(VALU_DEP_1) | instskip(NEXT) | instid1(VALU_DEP_1)
	v_dual_sub_f32 v24, v25, v24 :: v_dual_mul_f32 v19, v22, v19
	v_add_f32_e32 v19, v24, v19
	s_delay_alu instid0(VALU_DEP_1) | instskip(NEXT) | instid1(VALU_DEP_1)
	v_add_f32_e32 v22, v23, v19
	v_mul_f32_e32 v24, v22, v22
	s_wait_alu 0xfffe
	s_delay_alu instid0(VALU_DEP_1) | instskip(SKIP_2) | instid1(VALU_DEP_3)
	v_fmaak_f32 v25, s2, v24, 0x3ecc95a3
	v_mul_f32_e32 v26, v22, v24
	v_cmp_neq_f32_e64 s2, 0x7f800000, v10
	v_fmaak_f32 v24, v24, v25, 0x3f2aaada
	v_ldexp_f32 v25, v22, 1
	v_sub_f32_e32 v22, v22, v23
	s_delay_alu instid0(VALU_DEP_3) | instskip(SKIP_1) | instid1(VALU_DEP_3)
	v_mul_f32_e32 v24, v26, v24
	v_mul_f32_e32 v26, 0x3f317218, v18
	v_sub_f32_e32 v19, v19, v22
	s_delay_alu instid0(VALU_DEP_3) | instskip(NEXT) | instid1(VALU_DEP_2)
	v_add_f32_e32 v23, v25, v24
	v_ldexp_f32 v19, v19, 1
	s_delay_alu instid0(VALU_DEP_2) | instskip(SKIP_1) | instid1(VALU_DEP_2)
	v_sub_f32_e32 v22, v23, v25
	v_fma_f32 v25, 0x3f317218, v18, -v26
	v_sub_f32_e32 v22, v24, v22
	s_delay_alu instid0(VALU_DEP_1) | instskip(NEXT) | instid1(VALU_DEP_1)
	v_dual_fmamk_f32 v18, v18, 0xb102e308, v25 :: v_dual_add_f32 v19, v19, v22
	v_add_f32_e32 v22, v26, v18
	s_delay_alu instid0(VALU_DEP_1) | instskip(NEXT) | instid1(VALU_DEP_1)
	v_sub_f32_e32 v26, v22, v26
	v_sub_f32_e32 v18, v18, v26
	s_delay_alu instid0(VALU_DEP_4) | instskip(NEXT) | instid1(VALU_DEP_1)
	v_add_f32_e32 v24, v23, v19
	v_add_f32_e32 v25, v22, v24
	s_delay_alu instid0(VALU_DEP_1) | instskip(SKIP_1) | instid1(VALU_DEP_2)
	v_sub_f32_e32 v27, v25, v22
	v_sub_f32_e32 v23, v24, v23
	;; [unrolled: 1-line block ×3, first 2 shown]
	s_delay_alu instid0(VALU_DEP_1) | instskip(SKIP_1) | instid1(VALU_DEP_2)
	v_dual_sub_f32 v22, v22, v28 :: v_dual_sub_f32 v19, v19, v23
	v_sub_f32_e32 v23, v24, v27
	v_add_f32_e32 v24, v18, v19
	s_delay_alu instid0(VALU_DEP_2) | instskip(NEXT) | instid1(VALU_DEP_2)
	v_add_f32_e32 v22, v23, v22
	v_sub_f32_e32 v23, v24, v18
	s_delay_alu instid0(VALU_DEP_2) | instskip(NEXT) | instid1(VALU_DEP_1)
	v_add_f32_e32 v22, v24, v22
	v_add_f32_e32 v26, v25, v22
	s_delay_alu instid0(VALU_DEP_3) | instskip(NEXT) | instid1(VALU_DEP_1)
	v_sub_f32_e32 v24, v24, v23
	v_dual_sub_f32 v18, v18, v24 :: v_dual_sub_f32 v19, v19, v23
	s_delay_alu instid0(VALU_DEP_1) | instskip(NEXT) | instid1(VALU_DEP_1)
	v_dual_sub_f32 v23, v26, v25 :: v_dual_add_f32 v18, v19, v18
	v_sub_f32_e32 v19, v22, v23
	s_delay_alu instid0(VALU_DEP_1) | instskip(NEXT) | instid1(VALU_DEP_1)
	v_add_f32_e32 v18, v18, v19
	v_add_f32_e32 v18, v26, v18
	s_wait_alu 0xf1ff
	s_delay_alu instid0(VALU_DEP_1) | instskip(SKIP_2) | instid1(VALU_DEP_1)
	v_cndmask_b32_e64 v18, 0x7f800000, v18, s2
	v_cmp_gt_f32_e64 s2, 0x33800000, |v10|
	s_wait_alu 0xf1ff
	v_cndmask_b32_e64 v10, v18, v10, s2
	s_delay_alu instid0(VALU_DEP_1) | instskip(NEXT) | instid1(VALU_DEP_1)
	v_add_f32_e32 v9, v9, v10
	v_cvt_f16_f32_e32 v22, v9
	s_delay_alu instid0(VALU_DEP_1)
	v_cvt_f32_f16_e32 v23, v22
	v_mov_b32_e32 v19, v22
.LBB356_208:
	s_wait_alu 0xfffe
	s_or_b32 exec_lo, exec_lo, s3
	v_cvt_f32_f16_e32 v9, v3
	v_max_num_f32_e32 v10, v23, v23
	v_cmp_u_f16_e64 s2, v22, v22
	s_delay_alu instid0(VALU_DEP_2) | instskip(SKIP_2) | instid1(VALU_DEP_2)
	v_min_num_f32_e32 v18, v10, v9
	v_max_num_f32_e32 v10, v10, v9
	s_wait_alu 0xf1ff
	v_cndmask_b32_e64 v18, v18, v23, s2
	s_delay_alu instid0(VALU_DEP_2) | instskip(SKIP_2) | instid1(VALU_DEP_1)
	v_cndmask_b32_e64 v24, v10, v23, s2
	v_cmp_u_f16_e64 s2, v3, v3
	s_wait_alu 0xf1ff
	v_cndmask_b32_e64 v10, v18, v9, s2
	s_delay_alu instid0(VALU_DEP_3) | instskip(NEXT) | instid1(VALU_DEP_2)
	v_cndmask_b32_e64 v3, v24, v9, s2
	v_cmp_class_f32_e64 s4, v10, 0x1f8
	s_delay_alu instid0(VALU_DEP_2)
	v_cmp_neq_f32_e64 s3, v10, v3
	s_or_b32 s3, s3, s4
	s_wait_alu 0xfffe
	s_and_saveexec_b32 s4, s3
	s_cbranch_execz .LBB356_210
; %bb.209:
	v_sub_f32_e32 v10, v10, v3
	s_delay_alu instid0(VALU_DEP_1) | instskip(SKIP_1) | instid1(VALU_DEP_2)
	v_mul_f32_e32 v18, 0x3fb8aa3b, v10
	v_cmp_ngt_f32_e64 s3, 0xc2ce8ed0, v10
	v_fma_f32 v19, 0x3fb8aa3b, v10, -v18
	v_rndne_f32_e32 v22, v18
	s_delay_alu instid0(VALU_DEP_2) | instskip(NEXT) | instid1(VALU_DEP_2)
	v_fmamk_f32 v19, v10, 0x32a5705f, v19
	v_sub_f32_e32 v18, v18, v22
	s_delay_alu instid0(VALU_DEP_1) | instskip(SKIP_1) | instid1(VALU_DEP_2)
	v_add_f32_e32 v18, v18, v19
	v_cvt_i32_f32_e32 v19, v22
	v_exp_f32_e32 v18, v18
	s_delay_alu instid0(TRANS32_DEP_1) | instskip(SKIP_1) | instid1(VALU_DEP_1)
	v_ldexp_f32 v18, v18, v19
	s_wait_alu 0xf1ff
	v_cndmask_b32_e64 v18, 0, v18, s3
	v_cmp_nlt_f32_e64 s3, 0x42b17218, v10
	s_wait_alu 0xf1ff
	s_delay_alu instid0(VALU_DEP_1) | instskip(NEXT) | instid1(VALU_DEP_1)
	v_cndmask_b32_e64 v10, 0x7f800000, v18, s3
	v_add_f32_e32 v22, 1.0, v10
	s_delay_alu instid0(VALU_DEP_1) | instskip(NEXT) | instid1(VALU_DEP_1)
	v_cvt_f64_f32_e32 v[18:19], v22
	v_frexp_exp_i32_f64_e32 v18, v[18:19]
	v_frexp_mant_f32_e32 v19, v22
	s_delay_alu instid0(VALU_DEP_1) | instskip(SKIP_1) | instid1(VALU_DEP_1)
	v_cmp_gt_f32_e64 s3, 0x3f2aaaab, v19
	v_add_f32_e32 v19, -1.0, v22
	v_dual_sub_f32 v24, v19, v22 :: v_dual_sub_f32 v19, v10, v19
	s_wait_alu 0xf1ff
	s_delay_alu instid0(VALU_DEP_3) | instskip(SKIP_3) | instid1(VALU_DEP_2)
	v_subrev_co_ci_u32_e64 v18, null, 0, v18, s3
	s_mov_b32 s3, 0x3e9b6dac
	v_sub_nc_u32_e32 v23, 0, v18
	v_cvt_f32_i32_e32 v18, v18
	v_ldexp_f32 v22, v22, v23
	s_delay_alu instid0(VALU_DEP_1) | instskip(NEXT) | instid1(VALU_DEP_1)
	v_dual_add_f32 v24, 1.0, v24 :: v_dual_add_f32 v25, 1.0, v22
	v_add_f32_e32 v19, v19, v24
	s_delay_alu instid0(VALU_DEP_1) | instskip(NEXT) | instid1(VALU_DEP_3)
	v_ldexp_f32 v19, v19, v23
	v_dual_add_f32 v23, -1.0, v22 :: v_dual_add_f32 v24, -1.0, v25
	s_delay_alu instid0(VALU_DEP_1) | instskip(NEXT) | instid1(VALU_DEP_2)
	v_add_f32_e32 v26, 1.0, v23
	v_sub_f32_e32 v24, v22, v24
	s_delay_alu instid0(VALU_DEP_2) | instskip(NEXT) | instid1(VALU_DEP_2)
	v_sub_f32_e32 v22, v22, v26
	v_add_f32_e32 v24, v19, v24
	s_delay_alu instid0(VALU_DEP_2) | instskip(NEXT) | instid1(VALU_DEP_1)
	v_add_f32_e32 v19, v19, v22
	v_dual_add_f32 v27, v23, v19 :: v_dual_add_f32 v26, v25, v24
	s_delay_alu instid0(VALU_DEP_1) | instskip(NEXT) | instid1(VALU_DEP_2)
	v_sub_f32_e32 v23, v23, v27
	v_rcp_f32_e32 v22, v26
	v_sub_f32_e32 v25, v25, v26
	s_delay_alu instid0(VALU_DEP_1) | instskip(NEXT) | instid1(TRANS32_DEP_1)
	v_dual_add_f32 v19, v19, v23 :: v_dual_add_f32 v24, v24, v25
	v_mul_f32_e32 v28, v27, v22
	s_delay_alu instid0(VALU_DEP_1) | instskip(NEXT) | instid1(VALU_DEP_1)
	v_mul_f32_e32 v29, v26, v28
	v_fma_f32 v25, v28, v26, -v29
	s_delay_alu instid0(VALU_DEP_1) | instskip(NEXT) | instid1(VALU_DEP_1)
	v_fmac_f32_e32 v25, v28, v24
	v_add_f32_e32 v30, v29, v25
	s_delay_alu instid0(VALU_DEP_1) | instskip(SKIP_1) | instid1(VALU_DEP_2)
	v_sub_f32_e32 v31, v27, v30
	v_sub_f32_e32 v23, v30, v29
	;; [unrolled: 1-line block ×3, first 2 shown]
	s_delay_alu instid0(VALU_DEP_2) | instskip(NEXT) | instid1(VALU_DEP_2)
	v_sub_f32_e32 v23, v23, v25
	v_sub_f32_e32 v27, v27, v30
	s_delay_alu instid0(VALU_DEP_1) | instskip(NEXT) | instid1(VALU_DEP_1)
	v_add_f32_e32 v19, v19, v27
	v_add_f32_e32 v19, v23, v19
	s_delay_alu instid0(VALU_DEP_1) | instskip(NEXT) | instid1(VALU_DEP_1)
	v_add_f32_e32 v23, v31, v19
	v_mul_f32_e32 v25, v22, v23
	s_delay_alu instid0(VALU_DEP_1) | instskip(NEXT) | instid1(VALU_DEP_1)
	v_dual_sub_f32 v30, v31, v23 :: v_dual_mul_f32 v27, v26, v25
	v_add_f32_e32 v19, v19, v30
	s_delay_alu instid0(VALU_DEP_2) | instskip(NEXT) | instid1(VALU_DEP_1)
	v_fma_f32 v26, v25, v26, -v27
	v_fmac_f32_e32 v26, v25, v24
	s_delay_alu instid0(VALU_DEP_1) | instskip(NEXT) | instid1(VALU_DEP_1)
	v_add_f32_e32 v24, v27, v26
	v_sub_f32_e32 v29, v23, v24
	s_delay_alu instid0(VALU_DEP_1) | instskip(NEXT) | instid1(VALU_DEP_1)
	v_sub_f32_e32 v23, v23, v29
	v_sub_f32_e32 v23, v23, v24
	s_delay_alu instid0(VALU_DEP_1) | instskip(SKIP_2) | instid1(VALU_DEP_1)
	v_add_f32_e32 v19, v19, v23
	v_add_f32_e32 v23, v28, v25
	v_sub_f32_e32 v27, v24, v27
	v_sub_f32_e32 v24, v27, v26
	s_delay_alu instid0(VALU_DEP_1) | instskip(NEXT) | instid1(VALU_DEP_1)
	v_dual_add_f32 v19, v24, v19 :: v_dual_sub_f32 v24, v23, v28
	v_add_f32_e32 v19, v29, v19
	s_delay_alu instid0(VALU_DEP_1) | instskip(NEXT) | instid1(VALU_DEP_1)
	v_dual_sub_f32 v24, v25, v24 :: v_dual_mul_f32 v19, v22, v19
	v_add_f32_e32 v19, v24, v19
	s_delay_alu instid0(VALU_DEP_1) | instskip(NEXT) | instid1(VALU_DEP_1)
	v_add_f32_e32 v22, v23, v19
	v_mul_f32_e32 v24, v22, v22
	s_wait_alu 0xfffe
	s_delay_alu instid0(VALU_DEP_1) | instskip(SKIP_2) | instid1(VALU_DEP_3)
	v_fmaak_f32 v25, s3, v24, 0x3ecc95a3
	v_mul_f32_e32 v26, v22, v24
	v_cmp_neq_f32_e64 s3, 0x7f800000, v10
	v_fmaak_f32 v24, v24, v25, 0x3f2aaada
	v_ldexp_f32 v25, v22, 1
	v_sub_f32_e32 v22, v22, v23
	s_delay_alu instid0(VALU_DEP_3) | instskip(SKIP_1) | instid1(VALU_DEP_3)
	v_mul_f32_e32 v24, v26, v24
	v_mul_f32_e32 v26, 0x3f317218, v18
	v_sub_f32_e32 v19, v19, v22
	s_delay_alu instid0(VALU_DEP_3) | instskip(NEXT) | instid1(VALU_DEP_2)
	v_add_f32_e32 v23, v25, v24
	v_ldexp_f32 v19, v19, 1
	s_delay_alu instid0(VALU_DEP_2) | instskip(SKIP_1) | instid1(VALU_DEP_2)
	v_sub_f32_e32 v22, v23, v25
	v_fma_f32 v25, 0x3f317218, v18, -v26
	v_sub_f32_e32 v22, v24, v22
	s_delay_alu instid0(VALU_DEP_1) | instskip(NEXT) | instid1(VALU_DEP_1)
	v_dual_fmamk_f32 v18, v18, 0xb102e308, v25 :: v_dual_add_f32 v19, v19, v22
	v_add_f32_e32 v22, v26, v18
	s_delay_alu instid0(VALU_DEP_1) | instskip(NEXT) | instid1(VALU_DEP_1)
	v_sub_f32_e32 v26, v22, v26
	v_sub_f32_e32 v18, v18, v26
	s_delay_alu instid0(VALU_DEP_4) | instskip(NEXT) | instid1(VALU_DEP_1)
	v_add_f32_e32 v24, v23, v19
	v_add_f32_e32 v25, v22, v24
	s_delay_alu instid0(VALU_DEP_1) | instskip(SKIP_1) | instid1(VALU_DEP_2)
	v_sub_f32_e32 v27, v25, v22
	v_sub_f32_e32 v23, v24, v23
	;; [unrolled: 1-line block ×3, first 2 shown]
	s_delay_alu instid0(VALU_DEP_1) | instskip(SKIP_1) | instid1(VALU_DEP_2)
	v_dual_sub_f32 v22, v22, v28 :: v_dual_sub_f32 v19, v19, v23
	v_sub_f32_e32 v23, v24, v27
	v_add_f32_e32 v24, v18, v19
	s_delay_alu instid0(VALU_DEP_2) | instskip(NEXT) | instid1(VALU_DEP_2)
	v_add_f32_e32 v22, v23, v22
	v_sub_f32_e32 v23, v24, v18
	s_delay_alu instid0(VALU_DEP_2) | instskip(NEXT) | instid1(VALU_DEP_1)
	v_add_f32_e32 v22, v24, v22
	v_add_f32_e32 v26, v25, v22
	s_delay_alu instid0(VALU_DEP_3) | instskip(NEXT) | instid1(VALU_DEP_1)
	v_sub_f32_e32 v24, v24, v23
	v_dual_sub_f32 v18, v18, v24 :: v_dual_sub_f32 v19, v19, v23
	s_delay_alu instid0(VALU_DEP_1) | instskip(NEXT) | instid1(VALU_DEP_1)
	v_dual_sub_f32 v23, v26, v25 :: v_dual_add_f32 v18, v19, v18
	v_sub_f32_e32 v19, v22, v23
	s_delay_alu instid0(VALU_DEP_1) | instskip(NEXT) | instid1(VALU_DEP_1)
	v_add_f32_e32 v18, v18, v19
	v_add_f32_e32 v18, v26, v18
	s_wait_alu 0xf1ff
	s_delay_alu instid0(VALU_DEP_1) | instskip(SKIP_2) | instid1(VALU_DEP_1)
	v_cndmask_b32_e64 v18, 0x7f800000, v18, s3
	v_cmp_gt_f32_e64 s3, 0x33800000, |v10|
	s_wait_alu 0xf1ff
	v_cndmask_b32_e64 v10, v18, v10, s3
	s_delay_alu instid0(VALU_DEP_1) | instskip(NEXT) | instid1(VALU_DEP_1)
	v_add_f32_e32 v3, v3, v10
	v_cvt_f16_f32_e32 v22, v3
	s_delay_alu instid0(VALU_DEP_1)
	v_cvt_f32_f16_e32 v23, v22
	v_mov_b32_e32 v19, v22
.LBB356_210:
	s_or_b32 exec_lo, exec_lo, s4
	v_cvt_f32_f16_e32 v3, v17
	s_delay_alu instid0(VALU_DEP_3) | instskip(SKIP_1) | instid1(VALU_DEP_2)
	v_max_num_f32_e32 v10, v23, v23
	v_cmp_u_f16_e64 s3, v22, v22
	v_min_num_f32_e32 v18, v10, v3
	v_max_num_f32_e32 v10, v10, v3
	s_wait_alu 0xf1ff
	s_delay_alu instid0(VALU_DEP_2) | instskip(NEXT) | instid1(VALU_DEP_2)
	v_cndmask_b32_e64 v18, v18, v23, s3
	v_cndmask_b32_e64 v10, v10, v23, s3
	v_cmp_u_f16_e64 s3, v17, v17
	s_wait_alu 0xf1ff
	s_delay_alu instid0(VALU_DEP_1) | instskip(NEXT) | instid1(VALU_DEP_3)
	v_cndmask_b32_e64 v17, v18, v3, s3
	v_cndmask_b32_e64 v10, v10, v3, s3
	s_delay_alu instid0(VALU_DEP_2) | instskip(NEXT) | instid1(VALU_DEP_2)
	v_cmp_class_f32_e64 s5, v17, 0x1f8
	v_cmp_neq_f32_e64 s4, v17, v10
	s_or_b32 s4, s4, s5
	s_delay_alu instid0(SALU_CYCLE_1)
	s_and_saveexec_b32 s5, s4
	s_cbranch_execz .LBB356_212
; %bb.211:
	v_sub_f32_e32 v17, v17, v10
	s_delay_alu instid0(VALU_DEP_1) | instskip(NEXT) | instid1(VALU_DEP_1)
	v_mul_f32_e32 v18, 0x3fb8aa3b, v17
	v_fma_f32 v19, 0x3fb8aa3b, v17, -v18
	v_rndne_f32_e32 v22, v18
	s_delay_alu instid0(VALU_DEP_1) | instskip(NEXT) | instid1(VALU_DEP_1)
	v_dual_fmamk_f32 v19, v17, 0x32a5705f, v19 :: v_dual_sub_f32 v18, v18, v22
	v_add_f32_e32 v18, v18, v19
	v_cvt_i32_f32_e32 v19, v22
	v_cmp_ngt_f32_e64 s4, 0xc2ce8ed0, v17
	s_delay_alu instid0(VALU_DEP_3) | instskip(NEXT) | instid1(TRANS32_DEP_1)
	v_exp_f32_e32 v18, v18
	v_ldexp_f32 v18, v18, v19
	s_delay_alu instid0(VALU_DEP_1) | instskip(SKIP_2) | instid1(VALU_DEP_1)
	v_cndmask_b32_e64 v18, 0, v18, s4
	v_cmp_nlt_f32_e64 s4, 0x42b17218, v17
	s_wait_alu 0xf1ff
	v_cndmask_b32_e64 v19, 0x7f800000, v18, s4
	s_delay_alu instid0(VALU_DEP_1) | instskip(NEXT) | instid1(VALU_DEP_1)
	v_add_f32_e32 v22, 1.0, v19
	v_cvt_f64_f32_e32 v[17:18], v22
	s_delay_alu instid0(VALU_DEP_1) | instskip(SKIP_1) | instid1(VALU_DEP_1)
	v_frexp_exp_i32_f64_e32 v17, v[17:18]
	v_frexp_mant_f32_e32 v18, v22
	v_cmp_gt_f32_e64 s4, 0x3f2aaaab, v18
	v_add_f32_e32 v18, -1.0, v22
	s_delay_alu instid0(VALU_DEP_1)
	v_sub_f32_e32 v24, v18, v22
	v_sub_f32_e32 v18, v19, v18
	s_wait_alu 0xf1ff
	v_subrev_co_ci_u32_e64 v17, null, 0, v17, s4
	s_mov_b32 s4, 0x3e9b6dac
	v_sub_nc_u32_e32 v23, 0, v17
	v_cvt_f32_i32_e32 v17, v17
	s_delay_alu instid0(VALU_DEP_2) | instskip(NEXT) | instid1(VALU_DEP_1)
	v_ldexp_f32 v22, v22, v23
	v_dual_add_f32 v24, 1.0, v24 :: v_dual_add_f32 v25, 1.0, v22
	s_delay_alu instid0(VALU_DEP_1) | instskip(NEXT) | instid1(VALU_DEP_2)
	v_add_f32_e32 v18, v18, v24
	v_add_f32_e32 v24, -1.0, v25
	s_delay_alu instid0(VALU_DEP_2) | instskip(NEXT) | instid1(VALU_DEP_2)
	v_ldexp_f32 v18, v18, v23
	v_dual_add_f32 v23, -1.0, v22 :: v_dual_sub_f32 v24, v22, v24
	s_delay_alu instid0(VALU_DEP_1) | instskip(NEXT) | instid1(VALU_DEP_2)
	v_add_f32_e32 v26, 1.0, v23
	v_add_f32_e32 v24, v18, v24
	s_delay_alu instid0(VALU_DEP_2) | instskip(NEXT) | instid1(VALU_DEP_2)
	v_sub_f32_e32 v22, v22, v26
	v_add_f32_e32 v26, v25, v24
	s_delay_alu instid0(VALU_DEP_2) | instskip(NEXT) | instid1(VALU_DEP_2)
	v_add_f32_e32 v18, v18, v22
	v_rcp_f32_e32 v22, v26
	v_sub_f32_e32 v25, v25, v26
	s_delay_alu instid0(VALU_DEP_1) | instskip(NEXT) | instid1(VALU_DEP_1)
	v_dual_add_f32 v27, v23, v18 :: v_dual_add_f32 v24, v24, v25
	v_sub_f32_e32 v23, v23, v27
	s_delay_alu instid0(TRANS32_DEP_1) | instskip(NEXT) | instid1(VALU_DEP_2)
	v_mul_f32_e32 v28, v27, v22
	v_add_f32_e32 v18, v18, v23
	s_delay_alu instid0(VALU_DEP_2) | instskip(NEXT) | instid1(VALU_DEP_1)
	v_mul_f32_e32 v29, v26, v28
	v_fma_f32 v25, v28, v26, -v29
	s_delay_alu instid0(VALU_DEP_1) | instskip(NEXT) | instid1(VALU_DEP_1)
	v_fmac_f32_e32 v25, v28, v24
	v_add_f32_e32 v30, v29, v25
	s_delay_alu instid0(VALU_DEP_1) | instskip(SKIP_1) | instid1(VALU_DEP_2)
	v_sub_f32_e32 v31, v27, v30
	v_sub_f32_e32 v23, v30, v29
	;; [unrolled: 1-line block ×3, first 2 shown]
	s_delay_alu instid0(VALU_DEP_2) | instskip(NEXT) | instid1(VALU_DEP_2)
	v_sub_f32_e32 v23, v23, v25
	v_sub_f32_e32 v27, v27, v30
	s_delay_alu instid0(VALU_DEP_1) | instskip(NEXT) | instid1(VALU_DEP_1)
	v_add_f32_e32 v18, v18, v27
	v_add_f32_e32 v18, v23, v18
	s_delay_alu instid0(VALU_DEP_1) | instskip(NEXT) | instid1(VALU_DEP_1)
	v_add_f32_e32 v23, v31, v18
	v_mul_f32_e32 v25, v22, v23
	s_delay_alu instid0(VALU_DEP_1) | instskip(NEXT) | instid1(VALU_DEP_1)
	v_dual_sub_f32 v30, v31, v23 :: v_dual_mul_f32 v27, v26, v25
	v_add_f32_e32 v18, v18, v30
	s_delay_alu instid0(VALU_DEP_2) | instskip(NEXT) | instid1(VALU_DEP_1)
	v_fma_f32 v26, v25, v26, -v27
	v_fmac_f32_e32 v26, v25, v24
	s_delay_alu instid0(VALU_DEP_1) | instskip(NEXT) | instid1(VALU_DEP_1)
	v_add_f32_e32 v24, v27, v26
	v_sub_f32_e32 v29, v23, v24
	v_sub_f32_e32 v27, v24, v27
	s_delay_alu instid0(VALU_DEP_2) | instskip(NEXT) | instid1(VALU_DEP_1)
	v_sub_f32_e32 v23, v23, v29
	v_sub_f32_e32 v23, v23, v24
	s_delay_alu instid0(VALU_DEP_1) | instskip(NEXT) | instid1(VALU_DEP_4)
	v_dual_add_f32 v18, v18, v23 :: v_dual_add_f32 v23, v28, v25
	v_sub_f32_e32 v24, v27, v26
	s_delay_alu instid0(VALU_DEP_1) | instskip(NEXT) | instid1(VALU_DEP_3)
	v_add_f32_e32 v18, v24, v18
	v_sub_f32_e32 v24, v23, v28
	s_delay_alu instid0(VALU_DEP_2) | instskip(NEXT) | instid1(VALU_DEP_2)
	v_add_f32_e32 v18, v29, v18
	v_sub_f32_e32 v24, v25, v24
	s_delay_alu instid0(VALU_DEP_2) | instskip(NEXT) | instid1(VALU_DEP_1)
	v_mul_f32_e32 v18, v22, v18
	v_add_f32_e32 v18, v24, v18
	s_delay_alu instid0(VALU_DEP_1) | instskip(NEXT) | instid1(VALU_DEP_1)
	v_add_f32_e32 v22, v23, v18
	v_mul_f32_e32 v24, v22, v22
	s_wait_alu 0xfffe
	s_delay_alu instid0(VALU_DEP_1) | instskip(SKIP_2) | instid1(VALU_DEP_3)
	v_fmaak_f32 v25, s4, v24, 0x3ecc95a3
	v_mul_f32_e32 v26, v22, v24
	v_cmp_neq_f32_e64 s4, 0x7f800000, v19
	v_fmaak_f32 v24, v24, v25, 0x3f2aaada
	v_ldexp_f32 v25, v22, 1
	v_sub_f32_e32 v22, v22, v23
	s_delay_alu instid0(VALU_DEP_3) | instskip(SKIP_1) | instid1(VALU_DEP_2)
	v_mul_f32_e32 v24, v26, v24
	v_mul_f32_e32 v26, 0x3f317218, v17
	v_dual_sub_f32 v18, v18, v22 :: v_dual_add_f32 v23, v25, v24
	s_delay_alu instid0(VALU_DEP_1) | instskip(NEXT) | instid1(VALU_DEP_2)
	v_ldexp_f32 v18, v18, 1
	v_sub_f32_e32 v22, v23, v25
	s_delay_alu instid0(VALU_DEP_4) | instskip(NEXT) | instid1(VALU_DEP_1)
	v_fma_f32 v25, 0x3f317218, v17, -v26
	v_dual_sub_f32 v22, v24, v22 :: v_dual_fmamk_f32 v17, v17, 0xb102e308, v25
	s_delay_alu instid0(VALU_DEP_1) | instskip(NEXT) | instid1(VALU_DEP_2)
	v_add_f32_e32 v18, v18, v22
	v_add_f32_e32 v22, v26, v17
	s_delay_alu instid0(VALU_DEP_2) | instskip(NEXT) | instid1(VALU_DEP_2)
	v_add_f32_e32 v24, v23, v18
	v_sub_f32_e32 v26, v22, v26
	s_delay_alu instid0(VALU_DEP_2) | instskip(SKIP_1) | instid1(VALU_DEP_3)
	v_add_f32_e32 v25, v22, v24
	v_sub_f32_e32 v23, v24, v23
	v_sub_f32_e32 v17, v17, v26
	s_delay_alu instid0(VALU_DEP_2) | instskip(NEXT) | instid1(VALU_DEP_1)
	v_dual_sub_f32 v27, v25, v22 :: v_dual_sub_f32 v18, v18, v23
	v_sub_f32_e32 v28, v25, v27
	s_delay_alu instid0(VALU_DEP_2) | instskip(NEXT) | instid1(VALU_DEP_2)
	v_dual_sub_f32 v23, v24, v27 :: v_dual_add_f32 v24, v17, v18
	v_sub_f32_e32 v22, v22, v28
	s_delay_alu instid0(VALU_DEP_1) | instskip(NEXT) | instid1(VALU_DEP_1)
	v_dual_add_f32 v22, v23, v22 :: v_dual_sub_f32 v23, v24, v17
	v_add_f32_e32 v22, v24, v22
	s_delay_alu instid0(VALU_DEP_2) | instskip(SKIP_1) | instid1(VALU_DEP_3)
	v_sub_f32_e32 v24, v24, v23
	v_sub_f32_e32 v18, v18, v23
	v_add_f32_e32 v26, v25, v22
	s_delay_alu instid0(VALU_DEP_3) | instskip(NEXT) | instid1(VALU_DEP_2)
	v_sub_f32_e32 v17, v17, v24
	v_sub_f32_e32 v23, v26, v25
	s_delay_alu instid0(VALU_DEP_2) | instskip(NEXT) | instid1(VALU_DEP_2)
	v_add_f32_e32 v17, v18, v17
	v_sub_f32_e32 v18, v22, v23
	s_delay_alu instid0(VALU_DEP_1) | instskip(NEXT) | instid1(VALU_DEP_1)
	v_add_f32_e32 v17, v17, v18
	v_add_f32_e32 v17, v26, v17
	s_wait_alu 0xf1ff
	s_delay_alu instid0(VALU_DEP_1) | instskip(SKIP_2) | instid1(VALU_DEP_1)
	v_cndmask_b32_e64 v17, 0x7f800000, v17, s4
	v_cmp_gt_f32_e64 s4, 0x33800000, |v19|
	s_wait_alu 0xf1ff
	v_cndmask_b32_e64 v17, v17, v19, s4
	s_delay_alu instid0(VALU_DEP_1) | instskip(NEXT) | instid1(VALU_DEP_1)
	v_add_f32_e32 v10, v10, v17
	v_cvt_f16_f32_e32 v22, v10
	s_delay_alu instid0(VALU_DEP_1)
	v_cvt_f32_f16_e32 v23, v22
	v_mov_b32_e32 v19, v22
.LBB356_212:
	s_or_b32 exec_lo, exec_lo, s5
	v_cvt_f32_f16_e32 v10, v4
	s_delay_alu instid0(VALU_DEP_3) | instskip(SKIP_1) | instid1(VALU_DEP_2)
	v_max_num_f32_e32 v17, v23, v23
	v_cmp_u_f16_e64 s4, v22, v22
	v_min_num_f32_e32 v18, v17, v10
	v_max_num_f32_e32 v17, v17, v10
	s_wait_alu 0xf1ff
	s_delay_alu instid0(VALU_DEP_2) | instskip(NEXT) | instid1(VALU_DEP_2)
	v_cndmask_b32_e64 v18, v18, v23, s4
	v_cndmask_b32_e64 v24, v17, v23, s4
	v_cmp_u_f16_e64 s4, v4, v4
	s_wait_alu 0xf1ff
	s_delay_alu instid0(VALU_DEP_1) | instskip(NEXT) | instid1(VALU_DEP_3)
	v_cndmask_b32_e64 v17, v18, v10, s4
	v_cndmask_b32_e64 v4, v24, v10, s4
	s_delay_alu instid0(VALU_DEP_2) | instskip(NEXT) | instid1(VALU_DEP_2)
	v_cmp_class_f32_e64 s6, v17, 0x1f8
	v_cmp_neq_f32_e64 s5, v17, v4
	s_or_b32 s5, s5, s6
	s_wait_alu 0xfffe
	s_and_saveexec_b32 s6, s5
	s_cbranch_execz .LBB356_214
; %bb.213:
	v_sub_f32_e32 v17, v17, v4
	s_delay_alu instid0(VALU_DEP_1) | instskip(NEXT) | instid1(VALU_DEP_1)
	v_mul_f32_e32 v18, 0x3fb8aa3b, v17
	v_fma_f32 v19, 0x3fb8aa3b, v17, -v18
	v_rndne_f32_e32 v22, v18
	s_delay_alu instid0(VALU_DEP_1) | instskip(SKIP_1) | instid1(VALU_DEP_2)
	v_dual_sub_f32 v18, v18, v22 :: v_dual_fmamk_f32 v19, v17, 0x32a5705f, v19
	v_cmp_ngt_f32_e64 s5, 0xc2ce8ed0, v17
	v_add_f32_e32 v18, v18, v19
	v_cvt_i32_f32_e32 v19, v22
	s_delay_alu instid0(VALU_DEP_2) | instskip(NEXT) | instid1(TRANS32_DEP_1)
	v_exp_f32_e32 v18, v18
	v_ldexp_f32 v18, v18, v19
	s_wait_alu 0xf1ff
	s_delay_alu instid0(VALU_DEP_1) | instskip(SKIP_2) | instid1(VALU_DEP_1)
	v_cndmask_b32_e64 v18, 0, v18, s5
	v_cmp_nlt_f32_e64 s5, 0x42b17218, v17
	s_wait_alu 0xf1ff
	v_cndmask_b32_e64 v19, 0x7f800000, v18, s5
	s_delay_alu instid0(VALU_DEP_1) | instskip(NEXT) | instid1(VALU_DEP_1)
	v_add_f32_e32 v22, 1.0, v19
	v_cvt_f64_f32_e32 v[17:18], v22
	s_delay_alu instid0(VALU_DEP_1) | instskip(SKIP_1) | instid1(VALU_DEP_1)
	v_frexp_exp_i32_f64_e32 v17, v[17:18]
	v_frexp_mant_f32_e32 v18, v22
	v_cmp_gt_f32_e64 s5, 0x3f2aaaab, v18
	v_add_f32_e32 v18, -1.0, v22
	s_delay_alu instid0(VALU_DEP_1)
	v_sub_f32_e32 v24, v18, v22
	v_sub_f32_e32 v18, v19, v18
	s_wait_alu 0xf1ff
	v_subrev_co_ci_u32_e64 v17, null, 0, v17, s5
	s_mov_b32 s5, 0x3e9b6dac
	v_sub_nc_u32_e32 v23, 0, v17
	v_cvt_f32_i32_e32 v17, v17
	s_delay_alu instid0(VALU_DEP_2) | instskip(NEXT) | instid1(VALU_DEP_1)
	v_ldexp_f32 v22, v22, v23
	v_dual_add_f32 v25, 1.0, v22 :: v_dual_add_f32 v24, 1.0, v24
	s_delay_alu instid0(VALU_DEP_1) | instskip(NEXT) | instid1(VALU_DEP_2)
	v_add_f32_e32 v18, v18, v24
	v_add_f32_e32 v24, -1.0, v25
	s_delay_alu instid0(VALU_DEP_2) | instskip(NEXT) | instid1(VALU_DEP_2)
	v_ldexp_f32 v18, v18, v23
	v_dual_add_f32 v23, -1.0, v22 :: v_dual_sub_f32 v24, v22, v24
	s_delay_alu instid0(VALU_DEP_1) | instskip(NEXT) | instid1(VALU_DEP_2)
	v_add_f32_e32 v26, 1.0, v23
	v_add_f32_e32 v24, v18, v24
	s_delay_alu instid0(VALU_DEP_2) | instskip(NEXT) | instid1(VALU_DEP_2)
	v_sub_f32_e32 v22, v22, v26
	v_add_f32_e32 v26, v25, v24
	s_delay_alu instid0(VALU_DEP_2) | instskip(NEXT) | instid1(VALU_DEP_2)
	v_add_f32_e32 v18, v18, v22
	v_rcp_f32_e32 v22, v26
	v_sub_f32_e32 v25, v25, v26
	s_delay_alu instid0(VALU_DEP_1) | instskip(NEXT) | instid1(VALU_DEP_1)
	v_dual_add_f32 v27, v23, v18 :: v_dual_add_f32 v24, v24, v25
	v_sub_f32_e32 v23, v23, v27
	s_delay_alu instid0(TRANS32_DEP_1) | instskip(NEXT) | instid1(VALU_DEP_2)
	v_mul_f32_e32 v28, v27, v22
	v_add_f32_e32 v18, v18, v23
	s_delay_alu instid0(VALU_DEP_2) | instskip(NEXT) | instid1(VALU_DEP_1)
	v_mul_f32_e32 v29, v26, v28
	v_fma_f32 v25, v28, v26, -v29
	s_delay_alu instid0(VALU_DEP_1) | instskip(NEXT) | instid1(VALU_DEP_1)
	v_fmac_f32_e32 v25, v28, v24
	v_add_f32_e32 v30, v29, v25
	s_delay_alu instid0(VALU_DEP_1) | instskip(SKIP_1) | instid1(VALU_DEP_2)
	v_sub_f32_e32 v31, v27, v30
	v_sub_f32_e32 v23, v30, v29
	;; [unrolled: 1-line block ×3, first 2 shown]
	s_delay_alu instid0(VALU_DEP_2) | instskip(NEXT) | instid1(VALU_DEP_2)
	v_sub_f32_e32 v23, v23, v25
	v_sub_f32_e32 v27, v27, v30
	s_delay_alu instid0(VALU_DEP_1) | instskip(NEXT) | instid1(VALU_DEP_1)
	v_add_f32_e32 v18, v18, v27
	v_add_f32_e32 v18, v23, v18
	s_delay_alu instid0(VALU_DEP_1) | instskip(NEXT) | instid1(VALU_DEP_1)
	v_add_f32_e32 v23, v31, v18
	v_mul_f32_e32 v25, v22, v23
	s_delay_alu instid0(VALU_DEP_1) | instskip(NEXT) | instid1(VALU_DEP_1)
	v_dual_sub_f32 v30, v31, v23 :: v_dual_mul_f32 v27, v26, v25
	v_add_f32_e32 v18, v18, v30
	s_delay_alu instid0(VALU_DEP_2) | instskip(NEXT) | instid1(VALU_DEP_1)
	v_fma_f32 v26, v25, v26, -v27
	v_fmac_f32_e32 v26, v25, v24
	s_delay_alu instid0(VALU_DEP_1) | instskip(NEXT) | instid1(VALU_DEP_1)
	v_add_f32_e32 v24, v27, v26
	v_sub_f32_e32 v29, v23, v24
	v_sub_f32_e32 v27, v24, v27
	s_delay_alu instid0(VALU_DEP_2) | instskip(NEXT) | instid1(VALU_DEP_1)
	v_sub_f32_e32 v23, v23, v29
	v_sub_f32_e32 v23, v23, v24
	s_delay_alu instid0(VALU_DEP_3) | instskip(NEXT) | instid1(VALU_DEP_2)
	v_sub_f32_e32 v24, v27, v26
	v_dual_add_f32 v18, v18, v23 :: v_dual_add_f32 v23, v28, v25
	s_delay_alu instid0(VALU_DEP_1) | instskip(NEXT) | instid1(VALU_DEP_2)
	v_add_f32_e32 v18, v24, v18
	v_sub_f32_e32 v24, v23, v28
	s_delay_alu instid0(VALU_DEP_2) | instskip(NEXT) | instid1(VALU_DEP_2)
	v_add_f32_e32 v18, v29, v18
	v_sub_f32_e32 v24, v25, v24
	s_delay_alu instid0(VALU_DEP_2) | instskip(NEXT) | instid1(VALU_DEP_1)
	v_mul_f32_e32 v18, v22, v18
	v_add_f32_e32 v18, v24, v18
	s_delay_alu instid0(VALU_DEP_1) | instskip(NEXT) | instid1(VALU_DEP_1)
	v_add_f32_e32 v22, v23, v18
	v_mul_f32_e32 v24, v22, v22
	s_wait_alu 0xfffe
	s_delay_alu instid0(VALU_DEP_1) | instskip(SKIP_2) | instid1(VALU_DEP_3)
	v_fmaak_f32 v25, s5, v24, 0x3ecc95a3
	v_mul_f32_e32 v26, v22, v24
	v_cmp_neq_f32_e64 s5, 0x7f800000, v19
	v_fmaak_f32 v24, v24, v25, 0x3f2aaada
	v_ldexp_f32 v25, v22, 1
	v_sub_f32_e32 v22, v22, v23
	s_delay_alu instid0(VALU_DEP_3) | instskip(SKIP_1) | instid1(VALU_DEP_2)
	v_mul_f32_e32 v24, v26, v24
	v_mul_f32_e32 v26, 0x3f317218, v17
	v_dual_sub_f32 v18, v18, v22 :: v_dual_add_f32 v23, v25, v24
	s_delay_alu instid0(VALU_DEP_1) | instskip(NEXT) | instid1(VALU_DEP_2)
	v_ldexp_f32 v18, v18, 1
	v_sub_f32_e32 v22, v23, v25
	s_delay_alu instid0(VALU_DEP_4) | instskip(NEXT) | instid1(VALU_DEP_1)
	v_fma_f32 v25, 0x3f317218, v17, -v26
	v_dual_sub_f32 v22, v24, v22 :: v_dual_fmamk_f32 v17, v17, 0xb102e308, v25
	s_delay_alu instid0(VALU_DEP_1) | instskip(NEXT) | instid1(VALU_DEP_2)
	v_add_f32_e32 v18, v18, v22
	v_add_f32_e32 v22, v26, v17
	s_delay_alu instid0(VALU_DEP_2) | instskip(NEXT) | instid1(VALU_DEP_2)
	v_add_f32_e32 v24, v23, v18
	v_sub_f32_e32 v26, v22, v26
	s_delay_alu instid0(VALU_DEP_2) | instskip(SKIP_1) | instid1(VALU_DEP_3)
	v_add_f32_e32 v25, v22, v24
	v_sub_f32_e32 v23, v24, v23
	v_sub_f32_e32 v17, v17, v26
	s_delay_alu instid0(VALU_DEP_2) | instskip(NEXT) | instid1(VALU_DEP_1)
	v_dual_sub_f32 v27, v25, v22 :: v_dual_sub_f32 v18, v18, v23
	v_sub_f32_e32 v28, v25, v27
	s_delay_alu instid0(VALU_DEP_2) | instskip(NEXT) | instid1(VALU_DEP_2)
	v_dual_sub_f32 v23, v24, v27 :: v_dual_add_f32 v24, v17, v18
	v_sub_f32_e32 v22, v22, v28
	s_delay_alu instid0(VALU_DEP_1) | instskip(NEXT) | instid1(VALU_DEP_1)
	v_dual_add_f32 v22, v23, v22 :: v_dual_sub_f32 v23, v24, v17
	v_add_f32_e32 v22, v24, v22
	s_delay_alu instid0(VALU_DEP_2) | instskip(SKIP_1) | instid1(VALU_DEP_3)
	v_sub_f32_e32 v24, v24, v23
	v_sub_f32_e32 v18, v18, v23
	v_add_f32_e32 v26, v25, v22
	s_delay_alu instid0(VALU_DEP_3) | instskip(NEXT) | instid1(VALU_DEP_2)
	v_sub_f32_e32 v17, v17, v24
	v_sub_f32_e32 v23, v26, v25
	s_delay_alu instid0(VALU_DEP_2) | instskip(NEXT) | instid1(VALU_DEP_2)
	v_add_f32_e32 v17, v18, v17
	v_sub_f32_e32 v18, v22, v23
	s_delay_alu instid0(VALU_DEP_1) | instskip(NEXT) | instid1(VALU_DEP_1)
	v_add_f32_e32 v17, v17, v18
	v_add_f32_e32 v17, v26, v17
	s_wait_alu 0xf1ff
	s_delay_alu instid0(VALU_DEP_1) | instskip(SKIP_2) | instid1(VALU_DEP_1)
	v_cndmask_b32_e64 v17, 0x7f800000, v17, s5
	v_cmp_gt_f32_e64 s5, 0x33800000, |v19|
	s_wait_alu 0xf1ff
	v_cndmask_b32_e64 v17, v17, v19, s5
	s_delay_alu instid0(VALU_DEP_1) | instskip(NEXT) | instid1(VALU_DEP_1)
	v_add_f32_e32 v4, v4, v17
	v_cvt_f16_f32_e32 v22, v4
	s_delay_alu instid0(VALU_DEP_1)
	v_cvt_f32_f16_e32 v23, v22
	v_mov_b32_e32 v19, v22
.LBB356_214:
	s_or_b32 exec_lo, exec_lo, s6
	v_cvt_f32_f16_e32 v4, v16
	s_delay_alu instid0(VALU_DEP_3) | instskip(SKIP_1) | instid1(VALU_DEP_2)
	v_max_num_f32_e32 v17, v23, v23
	v_cmp_u_f16_e64 s5, v22, v22
	v_min_num_f32_e32 v18, v17, v4
	v_max_num_f32_e32 v17, v17, v4
	s_wait_alu 0xf1ff
	s_delay_alu instid0(VALU_DEP_2) | instskip(NEXT) | instid1(VALU_DEP_2)
	v_cndmask_b32_e64 v18, v18, v23, s5
	v_cndmask_b32_e64 v24, v17, v23, s5
	v_cmp_u_f16_e64 s5, v16, v16
	s_wait_alu 0xf1ff
	s_delay_alu instid0(VALU_DEP_1) | instskip(NEXT) | instid1(VALU_DEP_3)
	v_cndmask_b32_e64 v17, v18, v4, s5
	v_cndmask_b32_e64 v16, v24, v4, s5
	s_delay_alu instid0(VALU_DEP_2) | instskip(NEXT) | instid1(VALU_DEP_2)
	v_cmp_class_f32_e64 s7, v17, 0x1f8
	v_cmp_neq_f32_e64 s6, v17, v16
	s_or_b32 s6, s6, s7
	s_delay_alu instid0(SALU_CYCLE_1)
	s_and_saveexec_b32 s7, s6
	s_cbranch_execz .LBB356_216
; %bb.215:
	v_sub_f32_e32 v17, v17, v16
	s_delay_alu instid0(VALU_DEP_1) | instskip(NEXT) | instid1(VALU_DEP_1)
	v_mul_f32_e32 v18, 0x3fb8aa3b, v17
	v_fma_f32 v19, 0x3fb8aa3b, v17, -v18
	v_rndne_f32_e32 v22, v18
	s_delay_alu instid0(VALU_DEP_1) | instskip(SKIP_1) | instid1(VALU_DEP_2)
	v_dual_sub_f32 v18, v18, v22 :: v_dual_fmamk_f32 v19, v17, 0x32a5705f, v19
	v_cmp_ngt_f32_e64 s6, 0xc2ce8ed0, v17
	v_add_f32_e32 v18, v18, v19
	v_cvt_i32_f32_e32 v19, v22
	s_delay_alu instid0(VALU_DEP_2) | instskip(NEXT) | instid1(TRANS32_DEP_1)
	v_exp_f32_e32 v18, v18
	v_ldexp_f32 v18, v18, v19
	s_delay_alu instid0(VALU_DEP_1) | instskip(SKIP_2) | instid1(VALU_DEP_1)
	v_cndmask_b32_e64 v18, 0, v18, s6
	v_cmp_nlt_f32_e64 s6, 0x42b17218, v17
	s_wait_alu 0xf1ff
	v_cndmask_b32_e64 v19, 0x7f800000, v18, s6
	s_delay_alu instid0(VALU_DEP_1) | instskip(NEXT) | instid1(VALU_DEP_1)
	v_add_f32_e32 v22, 1.0, v19
	v_cvt_f64_f32_e32 v[17:18], v22
	s_delay_alu instid0(VALU_DEP_1) | instskip(SKIP_1) | instid1(VALU_DEP_1)
	v_frexp_exp_i32_f64_e32 v17, v[17:18]
	v_frexp_mant_f32_e32 v18, v22
	v_cmp_gt_f32_e64 s6, 0x3f2aaaab, v18
	v_add_f32_e32 v18, -1.0, v22
	s_delay_alu instid0(VALU_DEP_1)
	v_sub_f32_e32 v24, v18, v22
	v_sub_f32_e32 v18, v19, v18
	s_wait_alu 0xf1ff
	v_subrev_co_ci_u32_e64 v17, null, 0, v17, s6
	s_mov_b32 s6, 0x3e9b6dac
	v_sub_nc_u32_e32 v23, 0, v17
	v_cvt_f32_i32_e32 v17, v17
	s_delay_alu instid0(VALU_DEP_2) | instskip(NEXT) | instid1(VALU_DEP_1)
	v_ldexp_f32 v22, v22, v23
	v_dual_add_f32 v25, 1.0, v22 :: v_dual_add_f32 v24, 1.0, v24
	s_delay_alu instid0(VALU_DEP_1) | instskip(NEXT) | instid1(VALU_DEP_2)
	v_add_f32_e32 v18, v18, v24
	v_add_f32_e32 v24, -1.0, v25
	s_delay_alu instid0(VALU_DEP_2) | instskip(NEXT) | instid1(VALU_DEP_2)
	v_ldexp_f32 v18, v18, v23
	v_dual_add_f32 v23, -1.0, v22 :: v_dual_sub_f32 v24, v22, v24
	s_delay_alu instid0(VALU_DEP_1) | instskip(NEXT) | instid1(VALU_DEP_2)
	v_add_f32_e32 v26, 1.0, v23
	v_add_f32_e32 v24, v18, v24
	s_delay_alu instid0(VALU_DEP_2) | instskip(NEXT) | instid1(VALU_DEP_2)
	v_sub_f32_e32 v22, v22, v26
	v_add_f32_e32 v26, v25, v24
	s_delay_alu instid0(VALU_DEP_2) | instskip(NEXT) | instid1(VALU_DEP_2)
	v_add_f32_e32 v18, v18, v22
	v_rcp_f32_e32 v22, v26
	v_sub_f32_e32 v25, v25, v26
	s_delay_alu instid0(VALU_DEP_1) | instskip(NEXT) | instid1(VALU_DEP_1)
	v_dual_add_f32 v27, v23, v18 :: v_dual_add_f32 v24, v24, v25
	v_sub_f32_e32 v23, v23, v27
	s_delay_alu instid0(TRANS32_DEP_1) | instskip(NEXT) | instid1(VALU_DEP_2)
	v_mul_f32_e32 v28, v27, v22
	v_add_f32_e32 v18, v18, v23
	s_delay_alu instid0(VALU_DEP_2) | instskip(NEXT) | instid1(VALU_DEP_1)
	v_mul_f32_e32 v29, v26, v28
	v_fma_f32 v25, v28, v26, -v29
	s_delay_alu instid0(VALU_DEP_1) | instskip(NEXT) | instid1(VALU_DEP_1)
	v_fmac_f32_e32 v25, v28, v24
	v_add_f32_e32 v30, v29, v25
	s_delay_alu instid0(VALU_DEP_1) | instskip(SKIP_1) | instid1(VALU_DEP_2)
	v_sub_f32_e32 v31, v27, v30
	v_sub_f32_e32 v23, v30, v29
	;; [unrolled: 1-line block ×3, first 2 shown]
	s_delay_alu instid0(VALU_DEP_2) | instskip(NEXT) | instid1(VALU_DEP_2)
	v_sub_f32_e32 v23, v23, v25
	v_sub_f32_e32 v27, v27, v30
	s_delay_alu instid0(VALU_DEP_1) | instskip(NEXT) | instid1(VALU_DEP_1)
	v_add_f32_e32 v18, v18, v27
	v_add_f32_e32 v18, v23, v18
	s_delay_alu instid0(VALU_DEP_1) | instskip(NEXT) | instid1(VALU_DEP_1)
	v_add_f32_e32 v23, v31, v18
	v_mul_f32_e32 v25, v22, v23
	s_delay_alu instid0(VALU_DEP_1) | instskip(NEXT) | instid1(VALU_DEP_1)
	v_dual_sub_f32 v30, v31, v23 :: v_dual_mul_f32 v27, v26, v25
	v_add_f32_e32 v18, v18, v30
	s_delay_alu instid0(VALU_DEP_2) | instskip(NEXT) | instid1(VALU_DEP_1)
	v_fma_f32 v26, v25, v26, -v27
	v_fmac_f32_e32 v26, v25, v24
	s_delay_alu instid0(VALU_DEP_1) | instskip(NEXT) | instid1(VALU_DEP_1)
	v_add_f32_e32 v24, v27, v26
	v_sub_f32_e32 v29, v23, v24
	v_sub_f32_e32 v27, v24, v27
	s_delay_alu instid0(VALU_DEP_2) | instskip(NEXT) | instid1(VALU_DEP_1)
	v_sub_f32_e32 v23, v23, v29
	v_sub_f32_e32 v23, v23, v24
	s_delay_alu instid0(VALU_DEP_3) | instskip(NEXT) | instid1(VALU_DEP_2)
	v_sub_f32_e32 v24, v27, v26
	v_dual_add_f32 v18, v18, v23 :: v_dual_add_f32 v23, v28, v25
	s_delay_alu instid0(VALU_DEP_1) | instskip(NEXT) | instid1(VALU_DEP_2)
	v_add_f32_e32 v18, v24, v18
	v_sub_f32_e32 v24, v23, v28
	s_delay_alu instid0(VALU_DEP_2) | instskip(NEXT) | instid1(VALU_DEP_2)
	v_add_f32_e32 v18, v29, v18
	v_sub_f32_e32 v24, v25, v24
	s_delay_alu instid0(VALU_DEP_2) | instskip(NEXT) | instid1(VALU_DEP_1)
	v_mul_f32_e32 v18, v22, v18
	v_add_f32_e32 v18, v24, v18
	s_delay_alu instid0(VALU_DEP_1) | instskip(NEXT) | instid1(VALU_DEP_1)
	v_add_f32_e32 v22, v23, v18
	v_mul_f32_e32 v24, v22, v22
	s_wait_alu 0xfffe
	s_delay_alu instid0(VALU_DEP_1) | instskip(SKIP_2) | instid1(VALU_DEP_3)
	v_fmaak_f32 v25, s6, v24, 0x3ecc95a3
	v_mul_f32_e32 v26, v22, v24
	v_cmp_neq_f32_e64 s6, 0x7f800000, v19
	v_fmaak_f32 v24, v24, v25, 0x3f2aaada
	v_ldexp_f32 v25, v22, 1
	v_sub_f32_e32 v22, v22, v23
	s_delay_alu instid0(VALU_DEP_3) | instskip(SKIP_1) | instid1(VALU_DEP_2)
	v_mul_f32_e32 v24, v26, v24
	v_mul_f32_e32 v26, 0x3f317218, v17
	v_dual_sub_f32 v18, v18, v22 :: v_dual_add_f32 v23, v25, v24
	s_delay_alu instid0(VALU_DEP_1) | instskip(NEXT) | instid1(VALU_DEP_2)
	v_ldexp_f32 v18, v18, 1
	v_sub_f32_e32 v22, v23, v25
	s_delay_alu instid0(VALU_DEP_4) | instskip(NEXT) | instid1(VALU_DEP_1)
	v_fma_f32 v25, 0x3f317218, v17, -v26
	v_dual_sub_f32 v22, v24, v22 :: v_dual_fmamk_f32 v17, v17, 0xb102e308, v25
	s_delay_alu instid0(VALU_DEP_1) | instskip(NEXT) | instid1(VALU_DEP_2)
	v_add_f32_e32 v18, v18, v22
	v_add_f32_e32 v22, v26, v17
	s_delay_alu instid0(VALU_DEP_2) | instskip(NEXT) | instid1(VALU_DEP_2)
	v_add_f32_e32 v24, v23, v18
	v_sub_f32_e32 v26, v22, v26
	s_delay_alu instid0(VALU_DEP_2) | instskip(SKIP_1) | instid1(VALU_DEP_3)
	v_add_f32_e32 v25, v22, v24
	v_sub_f32_e32 v23, v24, v23
	v_sub_f32_e32 v17, v17, v26
	s_delay_alu instid0(VALU_DEP_2) | instskip(NEXT) | instid1(VALU_DEP_1)
	v_dual_sub_f32 v27, v25, v22 :: v_dual_sub_f32 v18, v18, v23
	v_sub_f32_e32 v28, v25, v27
	s_delay_alu instid0(VALU_DEP_2) | instskip(NEXT) | instid1(VALU_DEP_2)
	v_dual_sub_f32 v23, v24, v27 :: v_dual_add_f32 v24, v17, v18
	v_sub_f32_e32 v22, v22, v28
	s_delay_alu instid0(VALU_DEP_1) | instskip(NEXT) | instid1(VALU_DEP_1)
	v_dual_add_f32 v22, v23, v22 :: v_dual_sub_f32 v23, v24, v17
	v_add_f32_e32 v22, v24, v22
	s_delay_alu instid0(VALU_DEP_2) | instskip(SKIP_1) | instid1(VALU_DEP_3)
	v_sub_f32_e32 v24, v24, v23
	v_sub_f32_e32 v18, v18, v23
	v_add_f32_e32 v26, v25, v22
	s_delay_alu instid0(VALU_DEP_3) | instskip(NEXT) | instid1(VALU_DEP_2)
	v_sub_f32_e32 v17, v17, v24
	v_sub_f32_e32 v23, v26, v25
	s_delay_alu instid0(VALU_DEP_2) | instskip(NEXT) | instid1(VALU_DEP_2)
	v_add_f32_e32 v17, v18, v17
	v_sub_f32_e32 v18, v22, v23
	s_delay_alu instid0(VALU_DEP_1) | instskip(NEXT) | instid1(VALU_DEP_1)
	v_add_f32_e32 v17, v17, v18
	v_add_f32_e32 v17, v26, v17
	s_wait_alu 0xf1ff
	s_delay_alu instid0(VALU_DEP_1) | instskip(SKIP_2) | instid1(VALU_DEP_1)
	v_cndmask_b32_e64 v17, 0x7f800000, v17, s6
	v_cmp_gt_f32_e64 s6, 0x33800000, |v19|
	s_wait_alu 0xf1ff
	v_cndmask_b32_e64 v17, v17, v19, s6
	s_delay_alu instid0(VALU_DEP_1) | instskip(NEXT) | instid1(VALU_DEP_1)
	v_add_f32_e32 v16, v16, v17
	v_cvt_f16_f32_e32 v22, v16
	s_delay_alu instid0(VALU_DEP_1)
	v_cvt_f32_f16_e32 v23, v22
	v_mov_b32_e32 v19, v22
.LBB356_216:
	s_or_b32 exec_lo, exec_lo, s7
	v_cvt_f32_f16_e32 v16, v5
	s_delay_alu instid0(VALU_DEP_3) | instskip(SKIP_1) | instid1(VALU_DEP_2)
	v_max_num_f32_e32 v17, v23, v23
	v_cmp_u_f16_e64 s6, v22, v22
	v_min_num_f32_e32 v18, v17, v16
	v_max_num_f32_e32 v17, v17, v16
	s_wait_alu 0xf1ff
	s_delay_alu instid0(VALU_DEP_2) | instskip(NEXT) | instid1(VALU_DEP_2)
	v_cndmask_b32_e64 v18, v18, v23, s6
	v_cndmask_b32_e64 v24, v17, v23, s6
	v_cmp_u_f16_e64 s6, v5, v5
	s_wait_alu 0xf1ff
	s_delay_alu instid0(VALU_DEP_1) | instskip(NEXT) | instid1(VALU_DEP_3)
	v_cndmask_b32_e64 v17, v18, v16, s6
	v_cndmask_b32_e64 v5, v24, v16, s6
	s_delay_alu instid0(VALU_DEP_2) | instskip(NEXT) | instid1(VALU_DEP_2)
	v_cmp_class_f32_e64 s8, v17, 0x1f8
	v_cmp_neq_f32_e64 s7, v17, v5
	s_or_b32 s7, s7, s8
	s_wait_alu 0xfffe
	s_and_saveexec_b32 s8, s7
	s_cbranch_execz .LBB356_218
; %bb.217:
	v_sub_f32_e32 v17, v17, v5
	s_delay_alu instid0(VALU_DEP_1) | instskip(NEXT) | instid1(VALU_DEP_1)
	v_mul_f32_e32 v18, 0x3fb8aa3b, v17
	v_fma_f32 v19, 0x3fb8aa3b, v17, -v18
	v_rndne_f32_e32 v22, v18
	s_delay_alu instid0(VALU_DEP_1) | instskip(SKIP_1) | instid1(VALU_DEP_2)
	v_dual_sub_f32 v18, v18, v22 :: v_dual_fmamk_f32 v19, v17, 0x32a5705f, v19
	v_cmp_ngt_f32_e64 s7, 0xc2ce8ed0, v17
	v_add_f32_e32 v18, v18, v19
	v_cvt_i32_f32_e32 v19, v22
	s_delay_alu instid0(VALU_DEP_2) | instskip(NEXT) | instid1(TRANS32_DEP_1)
	v_exp_f32_e32 v18, v18
	v_ldexp_f32 v18, v18, v19
	s_wait_alu 0xf1ff
	s_delay_alu instid0(VALU_DEP_1) | instskip(SKIP_2) | instid1(VALU_DEP_1)
	v_cndmask_b32_e64 v18, 0, v18, s7
	v_cmp_nlt_f32_e64 s7, 0x42b17218, v17
	s_wait_alu 0xf1ff
	v_cndmask_b32_e64 v19, 0x7f800000, v18, s7
	s_delay_alu instid0(VALU_DEP_1) | instskip(NEXT) | instid1(VALU_DEP_1)
	v_add_f32_e32 v22, 1.0, v19
	v_cvt_f64_f32_e32 v[17:18], v22
	s_delay_alu instid0(VALU_DEP_1) | instskip(SKIP_1) | instid1(VALU_DEP_1)
	v_frexp_exp_i32_f64_e32 v17, v[17:18]
	v_frexp_mant_f32_e32 v18, v22
	v_cmp_gt_f32_e64 s7, 0x3f2aaaab, v18
	v_add_f32_e32 v18, -1.0, v22
	s_delay_alu instid0(VALU_DEP_1)
	v_sub_f32_e32 v24, v18, v22
	v_sub_f32_e32 v18, v19, v18
	s_wait_alu 0xf1ff
	v_subrev_co_ci_u32_e64 v17, null, 0, v17, s7
	s_mov_b32 s7, 0x3e9b6dac
	v_sub_nc_u32_e32 v23, 0, v17
	v_cvt_f32_i32_e32 v17, v17
	s_delay_alu instid0(VALU_DEP_2) | instskip(NEXT) | instid1(VALU_DEP_1)
	v_ldexp_f32 v22, v22, v23
	v_dual_add_f32 v25, 1.0, v22 :: v_dual_add_f32 v24, 1.0, v24
	s_delay_alu instid0(VALU_DEP_1) | instskip(NEXT) | instid1(VALU_DEP_2)
	v_add_f32_e32 v18, v18, v24
	v_add_f32_e32 v24, -1.0, v25
	s_delay_alu instid0(VALU_DEP_2) | instskip(NEXT) | instid1(VALU_DEP_2)
	v_ldexp_f32 v18, v18, v23
	v_dual_add_f32 v23, -1.0, v22 :: v_dual_sub_f32 v24, v22, v24
	s_delay_alu instid0(VALU_DEP_1) | instskip(NEXT) | instid1(VALU_DEP_2)
	v_add_f32_e32 v26, 1.0, v23
	v_add_f32_e32 v24, v18, v24
	s_delay_alu instid0(VALU_DEP_2) | instskip(NEXT) | instid1(VALU_DEP_2)
	v_sub_f32_e32 v22, v22, v26
	v_add_f32_e32 v26, v25, v24
	s_delay_alu instid0(VALU_DEP_2) | instskip(NEXT) | instid1(VALU_DEP_2)
	v_add_f32_e32 v18, v18, v22
	v_rcp_f32_e32 v22, v26
	v_sub_f32_e32 v25, v25, v26
	s_delay_alu instid0(VALU_DEP_1) | instskip(NEXT) | instid1(VALU_DEP_1)
	v_dual_add_f32 v27, v23, v18 :: v_dual_add_f32 v24, v24, v25
	v_sub_f32_e32 v23, v23, v27
	s_delay_alu instid0(TRANS32_DEP_1) | instskip(NEXT) | instid1(VALU_DEP_2)
	v_mul_f32_e32 v28, v27, v22
	v_add_f32_e32 v18, v18, v23
	s_delay_alu instid0(VALU_DEP_2) | instskip(NEXT) | instid1(VALU_DEP_1)
	v_mul_f32_e32 v29, v26, v28
	v_fma_f32 v25, v28, v26, -v29
	s_delay_alu instid0(VALU_DEP_1) | instskip(NEXT) | instid1(VALU_DEP_1)
	v_fmac_f32_e32 v25, v28, v24
	v_add_f32_e32 v30, v29, v25
	s_delay_alu instid0(VALU_DEP_1) | instskip(SKIP_1) | instid1(VALU_DEP_2)
	v_sub_f32_e32 v31, v27, v30
	v_sub_f32_e32 v23, v30, v29
	;; [unrolled: 1-line block ×3, first 2 shown]
	s_delay_alu instid0(VALU_DEP_2) | instskip(NEXT) | instid1(VALU_DEP_2)
	v_sub_f32_e32 v23, v23, v25
	v_sub_f32_e32 v27, v27, v30
	s_delay_alu instid0(VALU_DEP_1) | instskip(NEXT) | instid1(VALU_DEP_1)
	v_add_f32_e32 v18, v18, v27
	v_add_f32_e32 v18, v23, v18
	s_delay_alu instid0(VALU_DEP_1) | instskip(NEXT) | instid1(VALU_DEP_1)
	v_add_f32_e32 v23, v31, v18
	v_mul_f32_e32 v25, v22, v23
	s_delay_alu instid0(VALU_DEP_1) | instskip(NEXT) | instid1(VALU_DEP_1)
	v_dual_sub_f32 v30, v31, v23 :: v_dual_mul_f32 v27, v26, v25
	v_add_f32_e32 v18, v18, v30
	s_delay_alu instid0(VALU_DEP_2) | instskip(NEXT) | instid1(VALU_DEP_1)
	v_fma_f32 v26, v25, v26, -v27
	v_fmac_f32_e32 v26, v25, v24
	s_delay_alu instid0(VALU_DEP_1) | instskip(NEXT) | instid1(VALU_DEP_1)
	v_add_f32_e32 v24, v27, v26
	v_sub_f32_e32 v29, v23, v24
	v_sub_f32_e32 v27, v24, v27
	s_delay_alu instid0(VALU_DEP_2) | instskip(NEXT) | instid1(VALU_DEP_1)
	v_sub_f32_e32 v23, v23, v29
	v_sub_f32_e32 v23, v23, v24
	s_delay_alu instid0(VALU_DEP_3) | instskip(NEXT) | instid1(VALU_DEP_2)
	v_sub_f32_e32 v24, v27, v26
	v_dual_add_f32 v18, v18, v23 :: v_dual_add_f32 v23, v28, v25
	s_delay_alu instid0(VALU_DEP_1) | instskip(NEXT) | instid1(VALU_DEP_2)
	v_add_f32_e32 v18, v24, v18
	v_sub_f32_e32 v24, v23, v28
	s_delay_alu instid0(VALU_DEP_2) | instskip(NEXT) | instid1(VALU_DEP_2)
	v_add_f32_e32 v18, v29, v18
	v_sub_f32_e32 v24, v25, v24
	s_delay_alu instid0(VALU_DEP_2) | instskip(NEXT) | instid1(VALU_DEP_1)
	v_mul_f32_e32 v18, v22, v18
	v_add_f32_e32 v18, v24, v18
	s_delay_alu instid0(VALU_DEP_1) | instskip(NEXT) | instid1(VALU_DEP_1)
	v_add_f32_e32 v22, v23, v18
	v_mul_f32_e32 v24, v22, v22
	s_wait_alu 0xfffe
	s_delay_alu instid0(VALU_DEP_1) | instskip(SKIP_2) | instid1(VALU_DEP_3)
	v_fmaak_f32 v25, s7, v24, 0x3ecc95a3
	v_mul_f32_e32 v26, v22, v24
	v_cmp_neq_f32_e64 s7, 0x7f800000, v19
	v_fmaak_f32 v24, v24, v25, 0x3f2aaada
	v_ldexp_f32 v25, v22, 1
	v_sub_f32_e32 v22, v22, v23
	s_delay_alu instid0(VALU_DEP_3) | instskip(SKIP_1) | instid1(VALU_DEP_2)
	v_mul_f32_e32 v24, v26, v24
	v_mul_f32_e32 v26, 0x3f317218, v17
	v_dual_sub_f32 v18, v18, v22 :: v_dual_add_f32 v23, v25, v24
	s_delay_alu instid0(VALU_DEP_1) | instskip(NEXT) | instid1(VALU_DEP_2)
	v_ldexp_f32 v18, v18, 1
	v_sub_f32_e32 v22, v23, v25
	s_delay_alu instid0(VALU_DEP_4) | instskip(NEXT) | instid1(VALU_DEP_1)
	v_fma_f32 v25, 0x3f317218, v17, -v26
	v_dual_sub_f32 v22, v24, v22 :: v_dual_fmamk_f32 v17, v17, 0xb102e308, v25
	s_delay_alu instid0(VALU_DEP_1) | instskip(NEXT) | instid1(VALU_DEP_2)
	v_add_f32_e32 v18, v18, v22
	v_add_f32_e32 v22, v26, v17
	s_delay_alu instid0(VALU_DEP_2) | instskip(NEXT) | instid1(VALU_DEP_2)
	v_add_f32_e32 v24, v23, v18
	v_sub_f32_e32 v26, v22, v26
	s_delay_alu instid0(VALU_DEP_2) | instskip(SKIP_1) | instid1(VALU_DEP_3)
	v_add_f32_e32 v25, v22, v24
	v_sub_f32_e32 v23, v24, v23
	v_sub_f32_e32 v17, v17, v26
	s_delay_alu instid0(VALU_DEP_2) | instskip(NEXT) | instid1(VALU_DEP_1)
	v_dual_sub_f32 v27, v25, v22 :: v_dual_sub_f32 v18, v18, v23
	v_sub_f32_e32 v28, v25, v27
	s_delay_alu instid0(VALU_DEP_2) | instskip(NEXT) | instid1(VALU_DEP_2)
	v_dual_sub_f32 v23, v24, v27 :: v_dual_add_f32 v24, v17, v18
	v_sub_f32_e32 v22, v22, v28
	s_delay_alu instid0(VALU_DEP_1) | instskip(NEXT) | instid1(VALU_DEP_1)
	v_dual_add_f32 v22, v23, v22 :: v_dual_sub_f32 v23, v24, v17
	v_add_f32_e32 v22, v24, v22
	s_delay_alu instid0(VALU_DEP_2) | instskip(SKIP_1) | instid1(VALU_DEP_3)
	v_sub_f32_e32 v24, v24, v23
	v_sub_f32_e32 v18, v18, v23
	v_add_f32_e32 v26, v25, v22
	s_delay_alu instid0(VALU_DEP_3) | instskip(NEXT) | instid1(VALU_DEP_2)
	v_sub_f32_e32 v17, v17, v24
	v_sub_f32_e32 v23, v26, v25
	s_delay_alu instid0(VALU_DEP_2) | instskip(NEXT) | instid1(VALU_DEP_2)
	v_add_f32_e32 v17, v18, v17
	v_sub_f32_e32 v18, v22, v23
	s_delay_alu instid0(VALU_DEP_1) | instskip(NEXT) | instid1(VALU_DEP_1)
	v_add_f32_e32 v17, v17, v18
	v_add_f32_e32 v17, v26, v17
	s_wait_alu 0xf1ff
	s_delay_alu instid0(VALU_DEP_1) | instskip(SKIP_2) | instid1(VALU_DEP_1)
	v_cndmask_b32_e64 v17, 0x7f800000, v17, s7
	v_cmp_gt_f32_e64 s7, 0x33800000, |v19|
	s_wait_alu 0xf1ff
	v_cndmask_b32_e64 v17, v17, v19, s7
	s_delay_alu instid0(VALU_DEP_1) | instskip(NEXT) | instid1(VALU_DEP_1)
	v_add_f32_e32 v5, v5, v17
	v_cvt_f16_f32_e32 v22, v5
	s_delay_alu instid0(VALU_DEP_1)
	v_cvt_f32_f16_e32 v23, v22
	v_mov_b32_e32 v19, v22
.LBB356_218:
	s_or_b32 exec_lo, exec_lo, s8
	v_cvt_f32_f16_e32 v5, v15
	s_delay_alu instid0(VALU_DEP_3) | instskip(SKIP_1) | instid1(VALU_DEP_2)
	v_max_num_f32_e32 v17, v23, v23
	v_cmp_u_f16_e64 s7, v22, v22
	v_min_num_f32_e32 v18, v17, v5
	v_max_num_f32_e32 v17, v17, v5
	s_wait_alu 0xf1ff
	s_delay_alu instid0(VALU_DEP_2) | instskip(NEXT) | instid1(VALU_DEP_2)
	v_cndmask_b32_e64 v18, v18, v23, s7
	v_cndmask_b32_e64 v24, v17, v23, s7
	v_cmp_u_f16_e64 s7, v15, v15
	s_wait_alu 0xf1ff
	s_delay_alu instid0(VALU_DEP_1) | instskip(NEXT) | instid1(VALU_DEP_3)
	v_cndmask_b32_e64 v17, v18, v5, s7
	v_cndmask_b32_e64 v15, v24, v5, s7
	s_delay_alu instid0(VALU_DEP_2) | instskip(NEXT) | instid1(VALU_DEP_2)
	v_cmp_class_f32_e64 s9, v17, 0x1f8
	v_cmp_neq_f32_e64 s8, v17, v15
	s_or_b32 s8, s8, s9
	s_delay_alu instid0(SALU_CYCLE_1)
	s_and_saveexec_b32 s9, s8
	s_cbranch_execz .LBB356_220
; %bb.219:
	v_sub_f32_e32 v17, v17, v15
	s_delay_alu instid0(VALU_DEP_1) | instskip(NEXT) | instid1(VALU_DEP_1)
	v_mul_f32_e32 v18, 0x3fb8aa3b, v17
	v_fma_f32 v19, 0x3fb8aa3b, v17, -v18
	v_rndne_f32_e32 v22, v18
	s_delay_alu instid0(VALU_DEP_1) | instskip(SKIP_1) | instid1(VALU_DEP_2)
	v_dual_sub_f32 v18, v18, v22 :: v_dual_fmamk_f32 v19, v17, 0x32a5705f, v19
	v_cmp_ngt_f32_e64 s8, 0xc2ce8ed0, v17
	v_add_f32_e32 v18, v18, v19
	v_cvt_i32_f32_e32 v19, v22
	s_delay_alu instid0(VALU_DEP_2) | instskip(NEXT) | instid1(TRANS32_DEP_1)
	v_exp_f32_e32 v18, v18
	v_ldexp_f32 v18, v18, v19
	s_delay_alu instid0(VALU_DEP_1) | instskip(SKIP_2) | instid1(VALU_DEP_1)
	v_cndmask_b32_e64 v18, 0, v18, s8
	v_cmp_nlt_f32_e64 s8, 0x42b17218, v17
	s_wait_alu 0xf1ff
	v_cndmask_b32_e64 v19, 0x7f800000, v18, s8
	s_delay_alu instid0(VALU_DEP_1) | instskip(NEXT) | instid1(VALU_DEP_1)
	v_add_f32_e32 v22, 1.0, v19
	v_cvt_f64_f32_e32 v[17:18], v22
	s_delay_alu instid0(VALU_DEP_1) | instskip(SKIP_1) | instid1(VALU_DEP_1)
	v_frexp_exp_i32_f64_e32 v17, v[17:18]
	v_frexp_mant_f32_e32 v18, v22
	v_cmp_gt_f32_e64 s8, 0x3f2aaaab, v18
	v_add_f32_e32 v18, -1.0, v22
	s_delay_alu instid0(VALU_DEP_1)
	v_sub_f32_e32 v24, v18, v22
	v_sub_f32_e32 v18, v19, v18
	s_wait_alu 0xf1ff
	v_subrev_co_ci_u32_e64 v17, null, 0, v17, s8
	s_mov_b32 s8, 0x3e9b6dac
	v_sub_nc_u32_e32 v23, 0, v17
	v_cvt_f32_i32_e32 v17, v17
	s_delay_alu instid0(VALU_DEP_2) | instskip(NEXT) | instid1(VALU_DEP_1)
	v_ldexp_f32 v22, v22, v23
	v_dual_add_f32 v25, 1.0, v22 :: v_dual_add_f32 v24, 1.0, v24
	s_delay_alu instid0(VALU_DEP_1) | instskip(NEXT) | instid1(VALU_DEP_2)
	v_add_f32_e32 v18, v18, v24
	v_add_f32_e32 v24, -1.0, v25
	s_delay_alu instid0(VALU_DEP_2) | instskip(NEXT) | instid1(VALU_DEP_2)
	v_ldexp_f32 v18, v18, v23
	v_dual_add_f32 v23, -1.0, v22 :: v_dual_sub_f32 v24, v22, v24
	s_delay_alu instid0(VALU_DEP_1) | instskip(NEXT) | instid1(VALU_DEP_2)
	v_add_f32_e32 v26, 1.0, v23
	v_add_f32_e32 v24, v18, v24
	s_delay_alu instid0(VALU_DEP_2) | instskip(NEXT) | instid1(VALU_DEP_2)
	v_sub_f32_e32 v22, v22, v26
	v_add_f32_e32 v26, v25, v24
	s_delay_alu instid0(VALU_DEP_2) | instskip(NEXT) | instid1(VALU_DEP_2)
	v_add_f32_e32 v18, v18, v22
	v_rcp_f32_e32 v22, v26
	v_sub_f32_e32 v25, v25, v26
	s_delay_alu instid0(VALU_DEP_1) | instskip(NEXT) | instid1(VALU_DEP_1)
	v_dual_add_f32 v27, v23, v18 :: v_dual_add_f32 v24, v24, v25
	v_sub_f32_e32 v23, v23, v27
	s_delay_alu instid0(TRANS32_DEP_1) | instskip(NEXT) | instid1(VALU_DEP_2)
	v_mul_f32_e32 v28, v27, v22
	v_add_f32_e32 v18, v18, v23
	s_delay_alu instid0(VALU_DEP_2) | instskip(NEXT) | instid1(VALU_DEP_1)
	v_mul_f32_e32 v29, v26, v28
	v_fma_f32 v25, v28, v26, -v29
	s_delay_alu instid0(VALU_DEP_1) | instskip(NEXT) | instid1(VALU_DEP_1)
	v_fmac_f32_e32 v25, v28, v24
	v_add_f32_e32 v30, v29, v25
	s_delay_alu instid0(VALU_DEP_1) | instskip(SKIP_1) | instid1(VALU_DEP_2)
	v_sub_f32_e32 v31, v27, v30
	v_sub_f32_e32 v23, v30, v29
	v_sub_f32_e32 v27, v27, v31
	s_delay_alu instid0(VALU_DEP_2) | instskip(NEXT) | instid1(VALU_DEP_2)
	v_sub_f32_e32 v23, v23, v25
	v_sub_f32_e32 v27, v27, v30
	s_delay_alu instid0(VALU_DEP_1) | instskip(NEXT) | instid1(VALU_DEP_1)
	v_add_f32_e32 v18, v18, v27
	v_add_f32_e32 v18, v23, v18
	s_delay_alu instid0(VALU_DEP_1) | instskip(NEXT) | instid1(VALU_DEP_1)
	v_add_f32_e32 v23, v31, v18
	v_mul_f32_e32 v25, v22, v23
	s_delay_alu instid0(VALU_DEP_1) | instskip(NEXT) | instid1(VALU_DEP_1)
	v_dual_sub_f32 v30, v31, v23 :: v_dual_mul_f32 v27, v26, v25
	v_add_f32_e32 v18, v18, v30
	s_delay_alu instid0(VALU_DEP_2) | instskip(NEXT) | instid1(VALU_DEP_1)
	v_fma_f32 v26, v25, v26, -v27
	v_fmac_f32_e32 v26, v25, v24
	s_delay_alu instid0(VALU_DEP_1) | instskip(NEXT) | instid1(VALU_DEP_1)
	v_add_f32_e32 v24, v27, v26
	v_sub_f32_e32 v29, v23, v24
	v_sub_f32_e32 v27, v24, v27
	s_delay_alu instid0(VALU_DEP_2) | instskip(NEXT) | instid1(VALU_DEP_1)
	v_sub_f32_e32 v23, v23, v29
	v_sub_f32_e32 v23, v23, v24
	s_delay_alu instid0(VALU_DEP_3) | instskip(NEXT) | instid1(VALU_DEP_2)
	v_sub_f32_e32 v24, v27, v26
	v_dual_add_f32 v18, v18, v23 :: v_dual_add_f32 v23, v28, v25
	s_delay_alu instid0(VALU_DEP_1) | instskip(NEXT) | instid1(VALU_DEP_2)
	v_add_f32_e32 v18, v24, v18
	v_sub_f32_e32 v24, v23, v28
	s_delay_alu instid0(VALU_DEP_2) | instskip(NEXT) | instid1(VALU_DEP_2)
	v_add_f32_e32 v18, v29, v18
	v_sub_f32_e32 v24, v25, v24
	s_delay_alu instid0(VALU_DEP_2) | instskip(NEXT) | instid1(VALU_DEP_1)
	v_mul_f32_e32 v18, v22, v18
	v_add_f32_e32 v18, v24, v18
	s_delay_alu instid0(VALU_DEP_1) | instskip(NEXT) | instid1(VALU_DEP_1)
	v_add_f32_e32 v22, v23, v18
	v_mul_f32_e32 v24, v22, v22
	s_wait_alu 0xfffe
	s_delay_alu instid0(VALU_DEP_1) | instskip(SKIP_2) | instid1(VALU_DEP_3)
	v_fmaak_f32 v25, s8, v24, 0x3ecc95a3
	v_mul_f32_e32 v26, v22, v24
	v_cmp_neq_f32_e64 s8, 0x7f800000, v19
	v_fmaak_f32 v24, v24, v25, 0x3f2aaada
	v_ldexp_f32 v25, v22, 1
	v_sub_f32_e32 v22, v22, v23
	s_delay_alu instid0(VALU_DEP_3) | instskip(SKIP_1) | instid1(VALU_DEP_2)
	v_mul_f32_e32 v24, v26, v24
	v_mul_f32_e32 v26, 0x3f317218, v17
	v_dual_sub_f32 v18, v18, v22 :: v_dual_add_f32 v23, v25, v24
	s_delay_alu instid0(VALU_DEP_1) | instskip(NEXT) | instid1(VALU_DEP_2)
	v_ldexp_f32 v18, v18, 1
	v_sub_f32_e32 v22, v23, v25
	s_delay_alu instid0(VALU_DEP_4) | instskip(NEXT) | instid1(VALU_DEP_1)
	v_fma_f32 v25, 0x3f317218, v17, -v26
	v_dual_sub_f32 v22, v24, v22 :: v_dual_fmamk_f32 v17, v17, 0xb102e308, v25
	s_delay_alu instid0(VALU_DEP_1) | instskip(NEXT) | instid1(VALU_DEP_2)
	v_add_f32_e32 v18, v18, v22
	v_add_f32_e32 v22, v26, v17
	s_delay_alu instid0(VALU_DEP_2) | instskip(NEXT) | instid1(VALU_DEP_2)
	v_add_f32_e32 v24, v23, v18
	v_sub_f32_e32 v26, v22, v26
	s_delay_alu instid0(VALU_DEP_2) | instskip(SKIP_1) | instid1(VALU_DEP_3)
	v_add_f32_e32 v25, v22, v24
	v_sub_f32_e32 v23, v24, v23
	v_sub_f32_e32 v17, v17, v26
	s_delay_alu instid0(VALU_DEP_2) | instskip(NEXT) | instid1(VALU_DEP_1)
	v_dual_sub_f32 v27, v25, v22 :: v_dual_sub_f32 v18, v18, v23
	v_sub_f32_e32 v28, v25, v27
	s_delay_alu instid0(VALU_DEP_2) | instskip(NEXT) | instid1(VALU_DEP_2)
	v_dual_sub_f32 v23, v24, v27 :: v_dual_add_f32 v24, v17, v18
	v_sub_f32_e32 v22, v22, v28
	s_delay_alu instid0(VALU_DEP_1) | instskip(NEXT) | instid1(VALU_DEP_1)
	v_dual_add_f32 v22, v23, v22 :: v_dual_sub_f32 v23, v24, v17
	v_add_f32_e32 v22, v24, v22
	s_delay_alu instid0(VALU_DEP_2) | instskip(SKIP_1) | instid1(VALU_DEP_3)
	v_sub_f32_e32 v24, v24, v23
	v_sub_f32_e32 v18, v18, v23
	v_add_f32_e32 v26, v25, v22
	s_delay_alu instid0(VALU_DEP_3) | instskip(NEXT) | instid1(VALU_DEP_2)
	v_sub_f32_e32 v17, v17, v24
	v_sub_f32_e32 v23, v26, v25
	s_delay_alu instid0(VALU_DEP_2) | instskip(NEXT) | instid1(VALU_DEP_2)
	v_add_f32_e32 v17, v18, v17
	v_sub_f32_e32 v18, v22, v23
	s_delay_alu instid0(VALU_DEP_1) | instskip(NEXT) | instid1(VALU_DEP_1)
	v_add_f32_e32 v17, v17, v18
	v_add_f32_e32 v17, v26, v17
	s_wait_alu 0xf1ff
	s_delay_alu instid0(VALU_DEP_1) | instskip(SKIP_2) | instid1(VALU_DEP_1)
	v_cndmask_b32_e64 v17, 0x7f800000, v17, s8
	v_cmp_gt_f32_e64 s8, 0x33800000, |v19|
	s_wait_alu 0xf1ff
	v_cndmask_b32_e64 v17, v17, v19, s8
	s_delay_alu instid0(VALU_DEP_1) | instskip(NEXT) | instid1(VALU_DEP_1)
	v_add_f32_e32 v15, v15, v17
	v_cvt_f16_f32_e32 v22, v15
	s_delay_alu instid0(VALU_DEP_1)
	v_cvt_f32_f16_e32 v23, v22
	v_mov_b32_e32 v19, v22
.LBB356_220:
	s_or_b32 exec_lo, exec_lo, s9
	v_cvt_f32_f16_e32 v15, v6
	s_delay_alu instid0(VALU_DEP_3) | instskip(SKIP_1) | instid1(VALU_DEP_2)
	v_max_num_f32_e32 v17, v23, v23
	v_cmp_u_f16_e64 s8, v22, v22
	v_min_num_f32_e32 v18, v17, v15
	v_max_num_f32_e32 v17, v17, v15
	s_wait_alu 0xf1ff
	s_delay_alu instid0(VALU_DEP_2) | instskip(NEXT) | instid1(VALU_DEP_2)
	v_cndmask_b32_e64 v18, v18, v23, s8
	v_cndmask_b32_e64 v24, v17, v23, s8
	v_cmp_u_f16_e64 s8, v6, v6
	s_wait_alu 0xf1ff
	s_delay_alu instid0(VALU_DEP_1) | instskip(NEXT) | instid1(VALU_DEP_3)
	v_cndmask_b32_e64 v17, v18, v15, s8
	v_cndmask_b32_e64 v6, v24, v15, s8
	s_delay_alu instid0(VALU_DEP_2) | instskip(NEXT) | instid1(VALU_DEP_2)
	v_cmp_class_f32_e64 s13, v17, 0x1f8
	v_cmp_neq_f32_e64 s9, v17, v6
	s_or_b32 s9, s9, s13
	s_wait_alu 0xfffe
	s_and_saveexec_b32 s13, s9
	s_cbranch_execz .LBB356_222
; %bb.221:
	v_sub_f32_e32 v17, v17, v6
	s_delay_alu instid0(VALU_DEP_1) | instskip(NEXT) | instid1(VALU_DEP_1)
	v_mul_f32_e32 v18, 0x3fb8aa3b, v17
	v_fma_f32 v19, 0x3fb8aa3b, v17, -v18
	v_rndne_f32_e32 v22, v18
	s_delay_alu instid0(VALU_DEP_1) | instskip(NEXT) | instid1(VALU_DEP_1)
	v_dual_fmamk_f32 v19, v17, 0x32a5705f, v19 :: v_dual_sub_f32 v18, v18, v22
	v_add_f32_e32 v18, v18, v19
	v_cvt_i32_f32_e32 v19, v22
	v_cmp_ngt_f32_e64 s9, 0xc2ce8ed0, v17
	s_delay_alu instid0(VALU_DEP_3) | instskip(NEXT) | instid1(TRANS32_DEP_1)
	v_exp_f32_e32 v18, v18
	v_ldexp_f32 v18, v18, v19
	s_wait_alu 0xf1ff
	s_delay_alu instid0(VALU_DEP_1) | instskip(SKIP_2) | instid1(VALU_DEP_1)
	v_cndmask_b32_e64 v18, 0, v18, s9
	v_cmp_nlt_f32_e64 s9, 0x42b17218, v17
	s_wait_alu 0xf1ff
	v_cndmask_b32_e64 v19, 0x7f800000, v18, s9
	s_delay_alu instid0(VALU_DEP_1) | instskip(NEXT) | instid1(VALU_DEP_1)
	v_add_f32_e32 v22, 1.0, v19
	v_cvt_f64_f32_e32 v[17:18], v22
	s_delay_alu instid0(VALU_DEP_1) | instskip(SKIP_1) | instid1(VALU_DEP_1)
	v_frexp_exp_i32_f64_e32 v17, v[17:18]
	v_frexp_mant_f32_e32 v18, v22
	v_cmp_gt_f32_e64 s9, 0x3f2aaaab, v18
	v_add_f32_e32 v18, -1.0, v22
	s_delay_alu instid0(VALU_DEP_1)
	v_sub_f32_e32 v24, v18, v22
	v_sub_f32_e32 v18, v19, v18
	s_wait_alu 0xf1ff
	v_subrev_co_ci_u32_e64 v17, null, 0, v17, s9
	s_mov_b32 s9, 0x3e9b6dac
	v_sub_nc_u32_e32 v23, 0, v17
	v_cvt_f32_i32_e32 v17, v17
	s_delay_alu instid0(VALU_DEP_2) | instskip(NEXT) | instid1(VALU_DEP_1)
	v_ldexp_f32 v22, v22, v23
	v_dual_add_f32 v24, 1.0, v24 :: v_dual_add_f32 v25, 1.0, v22
	s_delay_alu instid0(VALU_DEP_1) | instskip(NEXT) | instid1(VALU_DEP_2)
	v_add_f32_e32 v18, v18, v24
	v_add_f32_e32 v24, -1.0, v25
	s_delay_alu instid0(VALU_DEP_2) | instskip(NEXT) | instid1(VALU_DEP_2)
	v_ldexp_f32 v18, v18, v23
	v_dual_add_f32 v23, -1.0, v22 :: v_dual_sub_f32 v24, v22, v24
	s_delay_alu instid0(VALU_DEP_1) | instskip(NEXT) | instid1(VALU_DEP_2)
	v_add_f32_e32 v26, 1.0, v23
	v_add_f32_e32 v24, v18, v24
	s_delay_alu instid0(VALU_DEP_2) | instskip(NEXT) | instid1(VALU_DEP_2)
	v_sub_f32_e32 v22, v22, v26
	v_add_f32_e32 v26, v25, v24
	s_delay_alu instid0(VALU_DEP_2) | instskip(NEXT) | instid1(VALU_DEP_2)
	v_add_f32_e32 v18, v18, v22
	v_rcp_f32_e32 v22, v26
	v_sub_f32_e32 v25, v25, v26
	s_delay_alu instid0(VALU_DEP_1) | instskip(NEXT) | instid1(VALU_DEP_1)
	v_dual_add_f32 v27, v23, v18 :: v_dual_add_f32 v24, v24, v25
	v_sub_f32_e32 v23, v23, v27
	s_delay_alu instid0(TRANS32_DEP_1) | instskip(NEXT) | instid1(VALU_DEP_2)
	v_mul_f32_e32 v28, v27, v22
	v_add_f32_e32 v18, v18, v23
	s_delay_alu instid0(VALU_DEP_2) | instskip(NEXT) | instid1(VALU_DEP_1)
	v_mul_f32_e32 v29, v26, v28
	v_fma_f32 v25, v28, v26, -v29
	s_delay_alu instid0(VALU_DEP_1) | instskip(NEXT) | instid1(VALU_DEP_1)
	v_fmac_f32_e32 v25, v28, v24
	v_add_f32_e32 v30, v29, v25
	s_delay_alu instid0(VALU_DEP_1) | instskip(SKIP_1) | instid1(VALU_DEP_2)
	v_sub_f32_e32 v31, v27, v30
	v_sub_f32_e32 v23, v30, v29
	;; [unrolled: 1-line block ×3, first 2 shown]
	s_delay_alu instid0(VALU_DEP_2) | instskip(NEXT) | instid1(VALU_DEP_2)
	v_sub_f32_e32 v23, v23, v25
	v_sub_f32_e32 v27, v27, v30
	s_delay_alu instid0(VALU_DEP_1) | instskip(NEXT) | instid1(VALU_DEP_1)
	v_add_f32_e32 v18, v18, v27
	v_add_f32_e32 v18, v23, v18
	s_delay_alu instid0(VALU_DEP_1) | instskip(NEXT) | instid1(VALU_DEP_1)
	v_add_f32_e32 v23, v31, v18
	v_mul_f32_e32 v25, v22, v23
	s_delay_alu instid0(VALU_DEP_1) | instskip(NEXT) | instid1(VALU_DEP_1)
	v_dual_sub_f32 v30, v31, v23 :: v_dual_mul_f32 v27, v26, v25
	v_add_f32_e32 v18, v18, v30
	s_delay_alu instid0(VALU_DEP_2) | instskip(NEXT) | instid1(VALU_DEP_1)
	v_fma_f32 v26, v25, v26, -v27
	v_fmac_f32_e32 v26, v25, v24
	s_delay_alu instid0(VALU_DEP_1) | instskip(NEXT) | instid1(VALU_DEP_1)
	v_add_f32_e32 v24, v27, v26
	v_sub_f32_e32 v29, v23, v24
	v_sub_f32_e32 v27, v24, v27
	s_delay_alu instid0(VALU_DEP_2) | instskip(NEXT) | instid1(VALU_DEP_1)
	v_sub_f32_e32 v23, v23, v29
	v_sub_f32_e32 v23, v23, v24
	s_delay_alu instid0(VALU_DEP_1) | instskip(NEXT) | instid1(VALU_DEP_4)
	v_dual_add_f32 v18, v18, v23 :: v_dual_add_f32 v23, v28, v25
	v_sub_f32_e32 v24, v27, v26
	s_delay_alu instid0(VALU_DEP_1) | instskip(NEXT) | instid1(VALU_DEP_3)
	v_add_f32_e32 v18, v24, v18
	v_sub_f32_e32 v24, v23, v28
	s_delay_alu instid0(VALU_DEP_2) | instskip(NEXT) | instid1(VALU_DEP_2)
	v_add_f32_e32 v18, v29, v18
	v_sub_f32_e32 v24, v25, v24
	s_delay_alu instid0(VALU_DEP_2) | instskip(NEXT) | instid1(VALU_DEP_1)
	v_mul_f32_e32 v18, v22, v18
	v_add_f32_e32 v18, v24, v18
	s_delay_alu instid0(VALU_DEP_1) | instskip(NEXT) | instid1(VALU_DEP_1)
	v_add_f32_e32 v22, v23, v18
	v_mul_f32_e32 v24, v22, v22
	s_wait_alu 0xfffe
	s_delay_alu instid0(VALU_DEP_1) | instskip(SKIP_2) | instid1(VALU_DEP_3)
	v_fmaak_f32 v25, s9, v24, 0x3ecc95a3
	v_mul_f32_e32 v26, v22, v24
	v_cmp_neq_f32_e64 s9, 0x7f800000, v19
	v_fmaak_f32 v24, v24, v25, 0x3f2aaada
	v_ldexp_f32 v25, v22, 1
	v_sub_f32_e32 v22, v22, v23
	s_delay_alu instid0(VALU_DEP_3) | instskip(SKIP_1) | instid1(VALU_DEP_2)
	v_mul_f32_e32 v24, v26, v24
	v_mul_f32_e32 v26, 0x3f317218, v17
	v_dual_sub_f32 v18, v18, v22 :: v_dual_add_f32 v23, v25, v24
	s_delay_alu instid0(VALU_DEP_1) | instskip(NEXT) | instid1(VALU_DEP_2)
	v_ldexp_f32 v18, v18, 1
	v_sub_f32_e32 v22, v23, v25
	s_delay_alu instid0(VALU_DEP_4) | instskip(NEXT) | instid1(VALU_DEP_1)
	v_fma_f32 v25, 0x3f317218, v17, -v26
	v_dual_sub_f32 v22, v24, v22 :: v_dual_fmamk_f32 v17, v17, 0xb102e308, v25
	s_delay_alu instid0(VALU_DEP_1) | instskip(NEXT) | instid1(VALU_DEP_2)
	v_add_f32_e32 v18, v18, v22
	v_add_f32_e32 v22, v26, v17
	s_delay_alu instid0(VALU_DEP_2) | instskip(NEXT) | instid1(VALU_DEP_2)
	v_add_f32_e32 v24, v23, v18
	v_sub_f32_e32 v26, v22, v26
	s_delay_alu instid0(VALU_DEP_2) | instskip(SKIP_1) | instid1(VALU_DEP_3)
	v_add_f32_e32 v25, v22, v24
	v_sub_f32_e32 v23, v24, v23
	v_sub_f32_e32 v17, v17, v26
	s_delay_alu instid0(VALU_DEP_2) | instskip(NEXT) | instid1(VALU_DEP_1)
	v_dual_sub_f32 v27, v25, v22 :: v_dual_sub_f32 v18, v18, v23
	v_sub_f32_e32 v28, v25, v27
	s_delay_alu instid0(VALU_DEP_2) | instskip(NEXT) | instid1(VALU_DEP_2)
	v_dual_sub_f32 v23, v24, v27 :: v_dual_add_f32 v24, v17, v18
	v_sub_f32_e32 v22, v22, v28
	s_delay_alu instid0(VALU_DEP_1) | instskip(NEXT) | instid1(VALU_DEP_1)
	v_dual_add_f32 v22, v23, v22 :: v_dual_sub_f32 v23, v24, v17
	v_add_f32_e32 v22, v24, v22
	s_delay_alu instid0(VALU_DEP_2) | instskip(SKIP_1) | instid1(VALU_DEP_3)
	v_sub_f32_e32 v24, v24, v23
	v_sub_f32_e32 v18, v18, v23
	v_add_f32_e32 v26, v25, v22
	s_delay_alu instid0(VALU_DEP_3) | instskip(NEXT) | instid1(VALU_DEP_2)
	v_sub_f32_e32 v17, v17, v24
	v_sub_f32_e32 v23, v26, v25
	s_delay_alu instid0(VALU_DEP_2) | instskip(NEXT) | instid1(VALU_DEP_2)
	v_add_f32_e32 v17, v18, v17
	v_sub_f32_e32 v18, v22, v23
	s_delay_alu instid0(VALU_DEP_1) | instskip(NEXT) | instid1(VALU_DEP_1)
	v_add_f32_e32 v17, v17, v18
	v_add_f32_e32 v17, v26, v17
	s_wait_alu 0xf1ff
	s_delay_alu instid0(VALU_DEP_1) | instskip(SKIP_2) | instid1(VALU_DEP_1)
	v_cndmask_b32_e64 v17, 0x7f800000, v17, s9
	v_cmp_gt_f32_e64 s9, 0x33800000, |v19|
	s_wait_alu 0xf1ff
	v_cndmask_b32_e64 v17, v17, v19, s9
	s_delay_alu instid0(VALU_DEP_1) | instskip(NEXT) | instid1(VALU_DEP_1)
	v_add_f32_e32 v6, v6, v17
	v_cvt_f16_f32_e32 v22, v6
	s_delay_alu instid0(VALU_DEP_1)
	v_cvt_f32_f16_e32 v23, v22
	v_mov_b32_e32 v19, v22
.LBB356_222:
	s_or_b32 exec_lo, exec_lo, s13
	v_cvt_f32_f16_e32 v6, v14
	s_delay_alu instid0(VALU_DEP_3) | instskip(SKIP_1) | instid1(VALU_DEP_2)
	v_max_num_f32_e32 v17, v23, v23
	v_cmp_u_f16_e64 s9, v22, v22
	v_min_num_f32_e32 v18, v17, v6
	v_max_num_f32_e32 v17, v17, v6
	s_wait_alu 0xf1ff
	s_delay_alu instid0(VALU_DEP_2) | instskip(NEXT) | instid1(VALU_DEP_2)
	v_cndmask_b32_e64 v18, v18, v23, s9
	v_cndmask_b32_e64 v22, v17, v23, s9
	v_cmp_u_f16_e64 s9, v14, v14
	s_wait_alu 0xf1ff
	s_delay_alu instid0(VALU_DEP_1) | instskip(NEXT) | instid1(VALU_DEP_3)
	v_cndmask_b32_e64 v17, v18, v6, s9
	v_cndmask_b32_e64 v14, v22, v6, s9
	s_delay_alu instid0(VALU_DEP_2) | instskip(NEXT) | instid1(VALU_DEP_2)
	v_cmp_class_f32_e64 s14, v17, 0x1f8
	v_cmp_neq_f32_e64 s13, v17, v14
	s_or_b32 s13, s13, s14
	s_delay_alu instid0(SALU_CYCLE_1)
	s_and_saveexec_b32 s14, s13
	s_cbranch_execz .LBB356_224
; %bb.223:
	v_sub_f32_e32 v17, v17, v14
	s_delay_alu instid0(VALU_DEP_1) | instskip(NEXT) | instid1(VALU_DEP_1)
	v_mul_f32_e32 v18, 0x3fb8aa3b, v17
	v_fma_f32 v19, 0x3fb8aa3b, v17, -v18
	v_rndne_f32_e32 v22, v18
	s_delay_alu instid0(VALU_DEP_1) | instskip(NEXT) | instid1(VALU_DEP_1)
	v_dual_fmamk_f32 v19, v17, 0x32a5705f, v19 :: v_dual_sub_f32 v18, v18, v22
	v_add_f32_e32 v18, v18, v19
	v_cvt_i32_f32_e32 v19, v22
	v_cmp_ngt_f32_e64 s13, 0xc2ce8ed0, v17
	s_delay_alu instid0(VALU_DEP_3) | instskip(NEXT) | instid1(TRANS32_DEP_1)
	v_exp_f32_e32 v18, v18
	v_ldexp_f32 v18, v18, v19
	s_delay_alu instid0(VALU_DEP_1) | instskip(SKIP_2) | instid1(VALU_DEP_1)
	v_cndmask_b32_e64 v18, 0, v18, s13
	v_cmp_nlt_f32_e64 s13, 0x42b17218, v17
	s_wait_alu 0xf1ff
	v_cndmask_b32_e64 v19, 0x7f800000, v18, s13
	s_delay_alu instid0(VALU_DEP_1) | instskip(NEXT) | instid1(VALU_DEP_1)
	v_add_f32_e32 v22, 1.0, v19
	v_cvt_f64_f32_e32 v[17:18], v22
	s_delay_alu instid0(VALU_DEP_1) | instskip(SKIP_1) | instid1(VALU_DEP_1)
	v_frexp_exp_i32_f64_e32 v17, v[17:18]
	v_frexp_mant_f32_e32 v18, v22
	v_cmp_gt_f32_e64 s13, 0x3f2aaaab, v18
	v_add_f32_e32 v18, -1.0, v22
	s_delay_alu instid0(VALU_DEP_1)
	v_sub_f32_e32 v24, v18, v22
	v_sub_f32_e32 v18, v19, v18
	s_wait_alu 0xf1ff
	v_subrev_co_ci_u32_e64 v17, null, 0, v17, s13
	s_mov_b32 s13, 0x3e9b6dac
	v_sub_nc_u32_e32 v23, 0, v17
	v_cvt_f32_i32_e32 v17, v17
	s_delay_alu instid0(VALU_DEP_2) | instskip(NEXT) | instid1(VALU_DEP_1)
	v_ldexp_f32 v22, v22, v23
	v_dual_add_f32 v24, 1.0, v24 :: v_dual_add_f32 v25, 1.0, v22
	s_delay_alu instid0(VALU_DEP_1) | instskip(NEXT) | instid1(VALU_DEP_2)
	v_add_f32_e32 v18, v18, v24
	v_add_f32_e32 v24, -1.0, v25
	s_delay_alu instid0(VALU_DEP_2) | instskip(NEXT) | instid1(VALU_DEP_2)
	v_ldexp_f32 v18, v18, v23
	v_dual_add_f32 v23, -1.0, v22 :: v_dual_sub_f32 v24, v22, v24
	s_delay_alu instid0(VALU_DEP_1) | instskip(NEXT) | instid1(VALU_DEP_2)
	v_add_f32_e32 v26, 1.0, v23
	v_add_f32_e32 v24, v18, v24
	s_delay_alu instid0(VALU_DEP_2) | instskip(NEXT) | instid1(VALU_DEP_2)
	v_sub_f32_e32 v22, v22, v26
	v_add_f32_e32 v26, v25, v24
	s_delay_alu instid0(VALU_DEP_2) | instskip(NEXT) | instid1(VALU_DEP_2)
	v_add_f32_e32 v18, v18, v22
	v_rcp_f32_e32 v22, v26
	v_sub_f32_e32 v25, v25, v26
	s_delay_alu instid0(VALU_DEP_1) | instskip(NEXT) | instid1(VALU_DEP_1)
	v_dual_add_f32 v27, v23, v18 :: v_dual_add_f32 v24, v24, v25
	v_sub_f32_e32 v23, v23, v27
	s_delay_alu instid0(TRANS32_DEP_1) | instskip(NEXT) | instid1(VALU_DEP_2)
	v_mul_f32_e32 v28, v27, v22
	v_add_f32_e32 v18, v18, v23
	s_delay_alu instid0(VALU_DEP_2) | instskip(NEXT) | instid1(VALU_DEP_1)
	v_mul_f32_e32 v29, v26, v28
	v_fma_f32 v25, v28, v26, -v29
	s_delay_alu instid0(VALU_DEP_1) | instskip(NEXT) | instid1(VALU_DEP_1)
	v_fmac_f32_e32 v25, v28, v24
	v_add_f32_e32 v30, v29, v25
	s_delay_alu instid0(VALU_DEP_1) | instskip(SKIP_1) | instid1(VALU_DEP_2)
	v_sub_f32_e32 v31, v27, v30
	v_sub_f32_e32 v23, v30, v29
	;; [unrolled: 1-line block ×3, first 2 shown]
	s_delay_alu instid0(VALU_DEP_2) | instskip(NEXT) | instid1(VALU_DEP_2)
	v_sub_f32_e32 v23, v23, v25
	v_sub_f32_e32 v27, v27, v30
	s_delay_alu instid0(VALU_DEP_1) | instskip(NEXT) | instid1(VALU_DEP_1)
	v_add_f32_e32 v18, v18, v27
	v_add_f32_e32 v18, v23, v18
	s_delay_alu instid0(VALU_DEP_1) | instskip(NEXT) | instid1(VALU_DEP_1)
	v_add_f32_e32 v23, v31, v18
	v_mul_f32_e32 v25, v22, v23
	s_delay_alu instid0(VALU_DEP_1) | instskip(NEXT) | instid1(VALU_DEP_1)
	v_dual_sub_f32 v30, v31, v23 :: v_dual_mul_f32 v27, v26, v25
	v_add_f32_e32 v18, v18, v30
	s_delay_alu instid0(VALU_DEP_2) | instskip(NEXT) | instid1(VALU_DEP_1)
	v_fma_f32 v26, v25, v26, -v27
	v_fmac_f32_e32 v26, v25, v24
	s_delay_alu instid0(VALU_DEP_1) | instskip(NEXT) | instid1(VALU_DEP_1)
	v_add_f32_e32 v24, v27, v26
	v_sub_f32_e32 v29, v23, v24
	v_sub_f32_e32 v27, v24, v27
	s_delay_alu instid0(VALU_DEP_2) | instskip(NEXT) | instid1(VALU_DEP_1)
	v_sub_f32_e32 v23, v23, v29
	v_sub_f32_e32 v23, v23, v24
	s_delay_alu instid0(VALU_DEP_1) | instskip(NEXT) | instid1(VALU_DEP_4)
	v_dual_add_f32 v18, v18, v23 :: v_dual_add_f32 v23, v28, v25
	v_sub_f32_e32 v24, v27, v26
	s_delay_alu instid0(VALU_DEP_1) | instskip(NEXT) | instid1(VALU_DEP_3)
	v_add_f32_e32 v18, v24, v18
	v_sub_f32_e32 v24, v23, v28
	s_delay_alu instid0(VALU_DEP_2) | instskip(NEXT) | instid1(VALU_DEP_2)
	v_add_f32_e32 v18, v29, v18
	v_sub_f32_e32 v24, v25, v24
	s_delay_alu instid0(VALU_DEP_2) | instskip(NEXT) | instid1(VALU_DEP_1)
	v_mul_f32_e32 v18, v22, v18
	v_add_f32_e32 v18, v24, v18
	s_delay_alu instid0(VALU_DEP_1) | instskip(NEXT) | instid1(VALU_DEP_1)
	v_add_f32_e32 v22, v23, v18
	v_mul_f32_e32 v24, v22, v22
	s_wait_alu 0xfffe
	s_delay_alu instid0(VALU_DEP_1) | instskip(SKIP_2) | instid1(VALU_DEP_3)
	v_fmaak_f32 v25, s13, v24, 0x3ecc95a3
	v_mul_f32_e32 v26, v22, v24
	v_cmp_neq_f32_e64 s13, 0x7f800000, v19
	v_fmaak_f32 v24, v24, v25, 0x3f2aaada
	v_ldexp_f32 v25, v22, 1
	v_sub_f32_e32 v22, v22, v23
	s_delay_alu instid0(VALU_DEP_3) | instskip(SKIP_1) | instid1(VALU_DEP_2)
	v_mul_f32_e32 v24, v26, v24
	v_mul_f32_e32 v26, 0x3f317218, v17
	v_dual_sub_f32 v18, v18, v22 :: v_dual_add_f32 v23, v25, v24
	s_delay_alu instid0(VALU_DEP_1) | instskip(NEXT) | instid1(VALU_DEP_2)
	v_ldexp_f32 v18, v18, 1
	v_sub_f32_e32 v22, v23, v25
	s_delay_alu instid0(VALU_DEP_4) | instskip(NEXT) | instid1(VALU_DEP_1)
	v_fma_f32 v25, 0x3f317218, v17, -v26
	v_dual_sub_f32 v22, v24, v22 :: v_dual_fmamk_f32 v17, v17, 0xb102e308, v25
	s_delay_alu instid0(VALU_DEP_1) | instskip(NEXT) | instid1(VALU_DEP_2)
	v_add_f32_e32 v18, v18, v22
	v_add_f32_e32 v22, v26, v17
	s_delay_alu instid0(VALU_DEP_2) | instskip(NEXT) | instid1(VALU_DEP_2)
	v_add_f32_e32 v24, v23, v18
	v_sub_f32_e32 v26, v22, v26
	s_delay_alu instid0(VALU_DEP_2) | instskip(SKIP_1) | instid1(VALU_DEP_3)
	v_add_f32_e32 v25, v22, v24
	v_sub_f32_e32 v23, v24, v23
	v_sub_f32_e32 v17, v17, v26
	s_delay_alu instid0(VALU_DEP_2) | instskip(NEXT) | instid1(VALU_DEP_1)
	v_dual_sub_f32 v27, v25, v22 :: v_dual_sub_f32 v18, v18, v23
	v_sub_f32_e32 v28, v25, v27
	s_delay_alu instid0(VALU_DEP_2) | instskip(NEXT) | instid1(VALU_DEP_2)
	v_dual_sub_f32 v23, v24, v27 :: v_dual_add_f32 v24, v17, v18
	v_sub_f32_e32 v22, v22, v28
	s_delay_alu instid0(VALU_DEP_1) | instskip(NEXT) | instid1(VALU_DEP_1)
	v_dual_add_f32 v22, v23, v22 :: v_dual_sub_f32 v23, v24, v17
	v_add_f32_e32 v22, v24, v22
	s_delay_alu instid0(VALU_DEP_2) | instskip(SKIP_1) | instid1(VALU_DEP_3)
	v_sub_f32_e32 v24, v24, v23
	v_sub_f32_e32 v18, v18, v23
	v_add_f32_e32 v26, v25, v22
	s_delay_alu instid0(VALU_DEP_3) | instskip(NEXT) | instid1(VALU_DEP_2)
	v_sub_f32_e32 v17, v17, v24
	v_sub_f32_e32 v23, v26, v25
	s_delay_alu instid0(VALU_DEP_2) | instskip(NEXT) | instid1(VALU_DEP_2)
	v_add_f32_e32 v17, v18, v17
	v_sub_f32_e32 v18, v22, v23
	s_delay_alu instid0(VALU_DEP_1) | instskip(NEXT) | instid1(VALU_DEP_1)
	v_add_f32_e32 v17, v17, v18
	v_add_f32_e32 v17, v26, v17
	s_wait_alu 0xf1ff
	s_delay_alu instid0(VALU_DEP_1) | instskip(SKIP_2) | instid1(VALU_DEP_1)
	v_cndmask_b32_e64 v17, 0x7f800000, v17, s13
	v_cmp_gt_f32_e64 s13, 0x33800000, |v19|
	s_wait_alu 0xf1ff
	v_cndmask_b32_e64 v17, v17, v19, s13
	s_delay_alu instid0(VALU_DEP_1) | instskip(NEXT) | instid1(VALU_DEP_1)
	v_add_f32_e32 v14, v14, v17
	v_cvt_f16_f32_e32 v19, v14
.LBB356_224:
	s_or_b32 exec_lo, exec_lo, s14
	v_lshrrev_b32_e32 v14, 4, v0
	s_mov_b32 s15, exec_lo
	s_delay_alu instid0(VALU_DEP_1) | instskip(NEXT) | instid1(VALU_DEP_1)
	v_and_b32_e32 v14, 14, v14
	v_lshl_add_u32 v14, v0, 1, v14
	ds_store_b16 v14, v19
	s_wait_loadcnt_dscnt 0x0
	s_barrier_signal -1
	s_barrier_wait -1
	global_inv scope:SCOPE_SE
	v_cmpx_gt_u32_e32 32, v0
	s_cbranch_execz .LBB356_276
; %bb.225:
	v_lshrrev_b32_e32 v14, 1, v0
	v_lshlrev_b32_e32 v17, 4, v0
	s_delay_alu instid0(VALU_DEP_2) | instskip(NEXT) | instid1(VALU_DEP_1)
	v_and_b32_e32 v14, 0x7e, v14
	v_add_nc_u32_e32 v14, v14, v17
	ds_load_u16 v23, v14
	ds_load_u16 v18, v14 offset:2
	s_wait_dscnt 0x1
	v_cvt_f32_f16_e32 v17, v23
	s_wait_dscnt 0x0
	v_cvt_f32_f16_e32 v22, v18
	v_cmp_u_f16_e64 s13, v23, v23
	v_cmp_u_f16_e64 s14, v18, v18
	v_mov_b32_e32 v18, v17
	s_delay_alu instid0(VALU_DEP_4) | instskip(SKIP_2) | instid1(VALU_DEP_2)
	v_min_num_f32_e32 v24, v17, v22
	v_max_num_f32_e32 v25, v17, v22
	s_wait_alu 0xf1ff
	v_cndmask_b32_e64 v24, v24, v17, s13
	s_delay_alu instid0(VALU_DEP_2) | instskip(NEXT) | instid1(VALU_DEP_2)
	v_cndmask_b32_e64 v25, v25, v17, s13
	v_cndmask_b32_e64 v24, v24, v22, s14
	s_delay_alu instid0(VALU_DEP_2) | instskip(NEXT) | instid1(VALU_DEP_2)
	v_cndmask_b32_e64 v22, v25, v22, s14
	v_cmp_class_f32_e64 s16, v24, 0x1f8
	s_delay_alu instid0(VALU_DEP_2)
	v_cmp_neq_f32_e64 s14, v24, v22
	s_or_b32 s14, s14, s16
	s_wait_alu 0xfffe
	s_and_saveexec_b32 s16, s14
	s_cbranch_execz .LBB356_227
; %bb.226:
	v_sub_f32_e32 v18, v24, v22
	s_delay_alu instid0(VALU_DEP_1) | instskip(NEXT) | instid1(VALU_DEP_1)
	v_mul_f32_e32 v23, 0x3fb8aa3b, v18
	v_fma_f32 v24, 0x3fb8aa3b, v18, -v23
	v_rndne_f32_e32 v25, v23
	s_delay_alu instid0(VALU_DEP_1) | instskip(SKIP_1) | instid1(VALU_DEP_2)
	v_dual_sub_f32 v23, v23, v25 :: v_dual_fmamk_f32 v24, v18, 0x32a5705f, v24
	v_cmp_ngt_f32_e64 s14, 0xc2ce8ed0, v18
	v_add_f32_e32 v23, v23, v24
	v_cvt_i32_f32_e32 v24, v25
	s_delay_alu instid0(VALU_DEP_2) | instskip(NEXT) | instid1(TRANS32_DEP_1)
	v_exp_f32_e32 v23, v23
	v_ldexp_f32 v23, v23, v24
	s_wait_alu 0xf1ff
	s_delay_alu instid0(VALU_DEP_1) | instskip(SKIP_2) | instid1(VALU_DEP_1)
	v_cndmask_b32_e64 v23, 0, v23, s14
	v_cmp_nlt_f32_e64 s14, 0x42b17218, v18
	s_wait_alu 0xf1ff
	v_cndmask_b32_e64 v18, 0x7f800000, v23, s14
	s_delay_alu instid0(VALU_DEP_1) | instskip(NEXT) | instid1(VALU_DEP_1)
	v_add_f32_e32 v25, 1.0, v18
	v_cvt_f64_f32_e32 v[23:24], v25
	s_delay_alu instid0(VALU_DEP_1) | instskip(SKIP_1) | instid1(VALU_DEP_1)
	v_frexp_exp_i32_f64_e32 v23, v[23:24]
	v_frexp_mant_f32_e32 v24, v25
	v_cmp_gt_f32_e64 s14, 0x3f2aaaab, v24
	v_add_f32_e32 v24, -1.0, v25
	s_delay_alu instid0(VALU_DEP_1) | instskip(SKIP_1) | instid1(VALU_DEP_3)
	v_dual_sub_f32 v27, v24, v25 :: v_dual_sub_f32 v24, v18, v24
	s_wait_alu 0xf1ff
	v_subrev_co_ci_u32_e64 v23, null, 0, v23, s14
	s_mov_b32 s14, 0x3e9b6dac
	v_sub_nc_u32_e32 v26, 0, v23
	v_cvt_f32_i32_e32 v23, v23
	s_delay_alu instid0(VALU_DEP_2) | instskip(NEXT) | instid1(VALU_DEP_1)
	v_ldexp_f32 v25, v25, v26
	v_dual_add_f32 v27, 1.0, v27 :: v_dual_add_f32 v28, 1.0, v25
	s_delay_alu instid0(VALU_DEP_1) | instskip(NEXT) | instid1(VALU_DEP_1)
	v_dual_add_f32 v24, v24, v27 :: v_dual_add_f32 v27, -1.0, v28
	v_ldexp_f32 v24, v24, v26
	s_delay_alu instid0(VALU_DEP_2) | instskip(NEXT) | instid1(VALU_DEP_1)
	v_dual_add_f32 v26, -1.0, v25 :: v_dual_sub_f32 v27, v25, v27
	v_add_f32_e32 v29, 1.0, v26
	s_delay_alu instid0(VALU_DEP_2) | instskip(NEXT) | instid1(VALU_DEP_2)
	v_add_f32_e32 v27, v24, v27
	v_sub_f32_e32 v25, v25, v29
	s_delay_alu instid0(VALU_DEP_1) | instskip(NEXT) | instid1(VALU_DEP_1)
	v_add_f32_e32 v24, v24, v25
	v_dual_add_f32 v30, v26, v24 :: v_dual_add_f32 v29, v28, v27
	s_delay_alu instid0(VALU_DEP_1) | instskip(NEXT) | instid1(VALU_DEP_2)
	v_sub_f32_e32 v26, v26, v30
	v_rcp_f32_e32 v25, v29
	v_sub_f32_e32 v28, v28, v29
	s_delay_alu instid0(VALU_DEP_1) | instskip(NEXT) | instid1(TRANS32_DEP_1)
	v_dual_add_f32 v24, v24, v26 :: v_dual_add_f32 v27, v27, v28
	v_mul_f32_e32 v31, v30, v25
	s_delay_alu instid0(VALU_DEP_1) | instskip(NEXT) | instid1(VALU_DEP_1)
	v_mul_f32_e32 v32, v29, v31
	v_fma_f32 v28, v31, v29, -v32
	s_delay_alu instid0(VALU_DEP_1) | instskip(NEXT) | instid1(VALU_DEP_1)
	v_fmac_f32_e32 v28, v31, v27
	v_add_f32_e32 v33, v32, v28
	s_delay_alu instid0(VALU_DEP_1) | instskip(NEXT) | instid1(VALU_DEP_1)
	v_sub_f32_e32 v34, v30, v33
	v_sub_f32_e32 v30, v30, v34
	;; [unrolled: 1-line block ×3, first 2 shown]
	s_delay_alu instid0(VALU_DEP_2) | instskip(NEXT) | instid1(VALU_DEP_2)
	v_sub_f32_e32 v30, v30, v33
	v_sub_f32_e32 v26, v26, v28
	s_delay_alu instid0(VALU_DEP_2) | instskip(NEXT) | instid1(VALU_DEP_1)
	v_add_f32_e32 v24, v24, v30
	v_add_f32_e32 v24, v26, v24
	s_delay_alu instid0(VALU_DEP_1) | instskip(NEXT) | instid1(VALU_DEP_1)
	v_add_f32_e32 v26, v34, v24
	v_mul_f32_e32 v28, v25, v26
	s_delay_alu instid0(VALU_DEP_1) | instskip(NEXT) | instid1(VALU_DEP_1)
	v_dual_sub_f32 v33, v34, v26 :: v_dual_mul_f32 v30, v29, v28
	v_add_f32_e32 v24, v24, v33
	s_delay_alu instid0(VALU_DEP_2) | instskip(NEXT) | instid1(VALU_DEP_1)
	v_fma_f32 v29, v28, v29, -v30
	v_fmac_f32_e32 v29, v28, v27
	s_delay_alu instid0(VALU_DEP_1) | instskip(NEXT) | instid1(VALU_DEP_1)
	v_add_f32_e32 v27, v30, v29
	v_sub_f32_e32 v32, v26, v27
	v_sub_f32_e32 v30, v27, v30
	s_delay_alu instid0(VALU_DEP_2) | instskip(NEXT) | instid1(VALU_DEP_1)
	v_sub_f32_e32 v26, v26, v32
	v_sub_f32_e32 v26, v26, v27
	s_delay_alu instid0(VALU_DEP_1) | instskip(SKIP_1) | instid1(VALU_DEP_1)
	v_dual_sub_f32 v27, v30, v29 :: v_dual_add_f32 v24, v24, v26
	v_add_f32_e32 v26, v31, v28
	v_dual_add_f32 v24, v27, v24 :: v_dual_sub_f32 v27, v26, v31
	s_delay_alu instid0(VALU_DEP_1) | instskip(NEXT) | instid1(VALU_DEP_1)
	v_add_f32_e32 v24, v32, v24
	v_dual_sub_f32 v27, v28, v27 :: v_dual_mul_f32 v24, v25, v24
	s_delay_alu instid0(VALU_DEP_1) | instskip(NEXT) | instid1(VALU_DEP_1)
	v_add_f32_e32 v24, v27, v24
	v_add_f32_e32 v25, v26, v24
	s_delay_alu instid0(VALU_DEP_1) | instskip(SKIP_1) | instid1(VALU_DEP_1)
	v_mul_f32_e32 v27, v25, v25
	s_wait_alu 0xfffe
	v_fmaak_f32 v28, s14, v27, 0x3ecc95a3
	v_mul_f32_e32 v29, v25, v27
	v_cmp_neq_f32_e64 s14, 0x7f800000, v18
	s_delay_alu instid0(VALU_DEP_3) | instskip(SKIP_2) | instid1(VALU_DEP_3)
	v_fmaak_f32 v27, v27, v28, 0x3f2aaada
	v_ldexp_f32 v28, v25, 1
	v_sub_f32_e32 v25, v25, v26
	v_mul_f32_e32 v27, v29, v27
	s_delay_alu instid0(VALU_DEP_2) | instskip(NEXT) | instid1(VALU_DEP_2)
	v_dual_mul_f32 v29, 0x3f317218, v23 :: v_dual_sub_f32 v24, v24, v25
	v_add_f32_e32 v26, v28, v27
	s_delay_alu instid0(VALU_DEP_2) | instskip(NEXT) | instid1(VALU_DEP_2)
	v_ldexp_f32 v24, v24, 1
	v_sub_f32_e32 v25, v26, v28
	s_delay_alu instid0(VALU_DEP_4) | instskip(NEXT) | instid1(VALU_DEP_2)
	v_fma_f32 v28, 0x3f317218, v23, -v29
	v_sub_f32_e32 v25, v27, v25
	s_delay_alu instid0(VALU_DEP_1) | instskip(NEXT) | instid1(VALU_DEP_1)
	v_dual_fmamk_f32 v23, v23, 0xb102e308, v28 :: v_dual_add_f32 v24, v24, v25
	v_add_f32_e32 v25, v29, v23
	s_delay_alu instid0(VALU_DEP_1) | instskip(NEXT) | instid1(VALU_DEP_1)
	v_sub_f32_e32 v29, v25, v29
	v_sub_f32_e32 v23, v23, v29
	s_delay_alu instid0(VALU_DEP_4) | instskip(NEXT) | instid1(VALU_DEP_1)
	v_add_f32_e32 v27, v26, v24
	v_sub_f32_e32 v26, v27, v26
	s_delay_alu instid0(VALU_DEP_1) | instskip(SKIP_1) | instid1(VALU_DEP_1)
	v_sub_f32_e32 v24, v24, v26
	v_add_f32_e32 v28, v25, v27
	v_sub_f32_e32 v30, v28, v25
	s_delay_alu instid0(VALU_DEP_1) | instskip(NEXT) | instid1(VALU_DEP_4)
	v_sub_f32_e32 v26, v27, v30
	v_add_f32_e32 v27, v23, v24
	v_sub_f32_e32 v31, v28, v30
	s_delay_alu instid0(VALU_DEP_1) | instskip(NEXT) | instid1(VALU_DEP_1)
	v_sub_f32_e32 v25, v25, v31
	v_dual_add_f32 v25, v26, v25 :: v_dual_sub_f32 v26, v27, v23
	s_delay_alu instid0(VALU_DEP_1) | instskip(SKIP_1) | instid1(VALU_DEP_2)
	v_dual_add_f32 v25, v27, v25 :: v_dual_sub_f32 v24, v24, v26
	v_sub_f32_e32 v27, v27, v26
	v_add_f32_e32 v29, v28, v25
	s_delay_alu instid0(VALU_DEP_1) | instskip(NEXT) | instid1(VALU_DEP_1)
	v_dual_sub_f32 v23, v23, v27 :: v_dual_sub_f32 v26, v29, v28
	v_dual_add_f32 v23, v24, v23 :: v_dual_sub_f32 v24, v25, v26
	s_delay_alu instid0(VALU_DEP_1) | instskip(NEXT) | instid1(VALU_DEP_1)
	v_add_f32_e32 v23, v23, v24
	v_add_f32_e32 v23, v29, v23
	s_wait_alu 0xf1ff
	s_delay_alu instid0(VALU_DEP_1) | instskip(SKIP_2) | instid1(VALU_DEP_1)
	v_cndmask_b32_e64 v23, 0x7f800000, v23, s14
	v_cmp_gt_f32_e64 s14, 0x33800000, |v18|
	s_wait_alu 0xf1ff
	v_cndmask_b32_e64 v18, v23, v18, s14
	s_delay_alu instid0(VALU_DEP_1) | instskip(NEXT) | instid1(VALU_DEP_1)
	v_add_f32_e32 v18, v22, v18
	v_cvt_f16_f32_e32 v23, v18
	s_delay_alu instid0(VALU_DEP_1)
	v_cvt_f32_f16_e32 v18, v23
.LBB356_227:
	s_or_b32 exec_lo, exec_lo, s16
	ds_load_u16 v22, v14 offset:4
	v_max_num_f32_e32 v24, v18, v18
	v_cmp_u_f16_e64 s14, v23, v23
	s_wait_dscnt 0x0
	v_cvt_f32_f16_e32 v25, v22
	s_delay_alu instid0(VALU_DEP_1) | instskip(SKIP_2) | instid1(VALU_DEP_2)
	v_min_num_f32_e32 v26, v24, v25
	v_max_num_f32_e32 v24, v24, v25
	s_wait_alu 0xf1ff
	v_cndmask_b32_e64 v26, v26, v18, s14
	s_delay_alu instid0(VALU_DEP_2) | instskip(SKIP_2) | instid1(VALU_DEP_1)
	v_cndmask_b32_e64 v27, v24, v18, s14
	v_cmp_u_f16_e64 s14, v22, v22
	s_wait_alu 0xf1ff
	v_cndmask_b32_e64 v24, v26, v25, s14
	s_delay_alu instid0(VALU_DEP_3) | instskip(NEXT) | instid1(VALU_DEP_2)
	v_cndmask_b32_e64 v22, v27, v25, s14
	v_cmp_class_f32_e64 s16, v24, 0x1f8
	s_delay_alu instid0(VALU_DEP_2)
	v_cmp_neq_f32_e64 s14, v24, v22
	s_or_b32 s14, s14, s16
	s_wait_alu 0xfffe
	s_and_saveexec_b32 s16, s14
	s_cbranch_execz .LBB356_229
; %bb.228:
	v_sub_f32_e32 v18, v24, v22
	s_delay_alu instid0(VALU_DEP_1) | instskip(NEXT) | instid1(VALU_DEP_1)
	v_mul_f32_e32 v23, 0x3fb8aa3b, v18
	v_fma_f32 v24, 0x3fb8aa3b, v18, -v23
	v_rndne_f32_e32 v25, v23
	s_delay_alu instid0(VALU_DEP_1) | instskip(SKIP_1) | instid1(VALU_DEP_2)
	v_dual_sub_f32 v23, v23, v25 :: v_dual_fmamk_f32 v24, v18, 0x32a5705f, v24
	v_cmp_ngt_f32_e64 s14, 0xc2ce8ed0, v18
	v_add_f32_e32 v23, v23, v24
	v_cvt_i32_f32_e32 v24, v25
	s_delay_alu instid0(VALU_DEP_2) | instskip(NEXT) | instid1(TRANS32_DEP_1)
	v_exp_f32_e32 v23, v23
	v_ldexp_f32 v23, v23, v24
	s_wait_alu 0xf1ff
	s_delay_alu instid0(VALU_DEP_1) | instskip(SKIP_2) | instid1(VALU_DEP_1)
	v_cndmask_b32_e64 v23, 0, v23, s14
	v_cmp_nlt_f32_e64 s14, 0x42b17218, v18
	s_wait_alu 0xf1ff
	v_cndmask_b32_e64 v18, 0x7f800000, v23, s14
	s_delay_alu instid0(VALU_DEP_1) | instskip(NEXT) | instid1(VALU_DEP_1)
	v_add_f32_e32 v25, 1.0, v18
	v_cvt_f64_f32_e32 v[23:24], v25
	s_delay_alu instid0(VALU_DEP_1) | instskip(SKIP_1) | instid1(VALU_DEP_1)
	v_frexp_exp_i32_f64_e32 v23, v[23:24]
	v_frexp_mant_f32_e32 v24, v25
	v_cmp_gt_f32_e64 s14, 0x3f2aaaab, v24
	v_add_f32_e32 v24, -1.0, v25
	s_delay_alu instid0(VALU_DEP_1) | instskip(SKIP_1) | instid1(VALU_DEP_3)
	v_dual_sub_f32 v27, v24, v25 :: v_dual_sub_f32 v24, v18, v24
	s_wait_alu 0xf1ff
	v_subrev_co_ci_u32_e64 v23, null, 0, v23, s14
	s_mov_b32 s14, 0x3e9b6dac
	v_sub_nc_u32_e32 v26, 0, v23
	v_cvt_f32_i32_e32 v23, v23
	s_delay_alu instid0(VALU_DEP_2) | instskip(NEXT) | instid1(VALU_DEP_1)
	v_ldexp_f32 v25, v25, v26
	v_dual_add_f32 v27, 1.0, v27 :: v_dual_add_f32 v28, 1.0, v25
	s_delay_alu instid0(VALU_DEP_1) | instskip(NEXT) | instid1(VALU_DEP_1)
	v_dual_add_f32 v24, v24, v27 :: v_dual_add_f32 v27, -1.0, v28
	v_ldexp_f32 v24, v24, v26
	s_delay_alu instid0(VALU_DEP_2) | instskip(NEXT) | instid1(VALU_DEP_1)
	v_dual_add_f32 v26, -1.0, v25 :: v_dual_sub_f32 v27, v25, v27
	v_add_f32_e32 v29, 1.0, v26
	s_delay_alu instid0(VALU_DEP_2) | instskip(NEXT) | instid1(VALU_DEP_2)
	v_add_f32_e32 v27, v24, v27
	v_sub_f32_e32 v25, v25, v29
	s_delay_alu instid0(VALU_DEP_1) | instskip(NEXT) | instid1(VALU_DEP_1)
	v_add_f32_e32 v24, v24, v25
	v_dual_add_f32 v30, v26, v24 :: v_dual_add_f32 v29, v28, v27
	s_delay_alu instid0(VALU_DEP_1) | instskip(NEXT) | instid1(VALU_DEP_2)
	v_sub_f32_e32 v26, v26, v30
	v_rcp_f32_e32 v25, v29
	v_sub_f32_e32 v28, v28, v29
	s_delay_alu instid0(VALU_DEP_1) | instskip(NEXT) | instid1(TRANS32_DEP_1)
	v_dual_add_f32 v24, v24, v26 :: v_dual_add_f32 v27, v27, v28
	v_mul_f32_e32 v31, v30, v25
	s_delay_alu instid0(VALU_DEP_1) | instskip(NEXT) | instid1(VALU_DEP_1)
	v_mul_f32_e32 v32, v29, v31
	v_fma_f32 v28, v31, v29, -v32
	s_delay_alu instid0(VALU_DEP_1) | instskip(NEXT) | instid1(VALU_DEP_1)
	v_fmac_f32_e32 v28, v31, v27
	v_add_f32_e32 v33, v32, v28
	s_delay_alu instid0(VALU_DEP_1) | instskip(NEXT) | instid1(VALU_DEP_1)
	v_sub_f32_e32 v34, v30, v33
	v_sub_f32_e32 v30, v30, v34
	;; [unrolled: 1-line block ×3, first 2 shown]
	s_delay_alu instid0(VALU_DEP_2) | instskip(NEXT) | instid1(VALU_DEP_2)
	v_sub_f32_e32 v30, v30, v33
	v_sub_f32_e32 v26, v26, v28
	s_delay_alu instid0(VALU_DEP_2) | instskip(NEXT) | instid1(VALU_DEP_1)
	v_add_f32_e32 v24, v24, v30
	v_add_f32_e32 v24, v26, v24
	s_delay_alu instid0(VALU_DEP_1) | instskip(NEXT) | instid1(VALU_DEP_1)
	v_add_f32_e32 v26, v34, v24
	v_mul_f32_e32 v28, v25, v26
	s_delay_alu instid0(VALU_DEP_1) | instskip(NEXT) | instid1(VALU_DEP_1)
	v_dual_sub_f32 v33, v34, v26 :: v_dual_mul_f32 v30, v29, v28
	v_add_f32_e32 v24, v24, v33
	s_delay_alu instid0(VALU_DEP_2) | instskip(NEXT) | instid1(VALU_DEP_1)
	v_fma_f32 v29, v28, v29, -v30
	v_fmac_f32_e32 v29, v28, v27
	s_delay_alu instid0(VALU_DEP_1) | instskip(NEXT) | instid1(VALU_DEP_1)
	v_add_f32_e32 v27, v30, v29
	v_sub_f32_e32 v32, v26, v27
	v_sub_f32_e32 v30, v27, v30
	s_delay_alu instid0(VALU_DEP_2) | instskip(NEXT) | instid1(VALU_DEP_1)
	v_sub_f32_e32 v26, v26, v32
	v_sub_f32_e32 v26, v26, v27
	s_delay_alu instid0(VALU_DEP_1) | instskip(SKIP_1) | instid1(VALU_DEP_1)
	v_dual_sub_f32 v27, v30, v29 :: v_dual_add_f32 v24, v24, v26
	v_add_f32_e32 v26, v31, v28
	v_dual_add_f32 v24, v27, v24 :: v_dual_sub_f32 v27, v26, v31
	s_delay_alu instid0(VALU_DEP_1) | instskip(NEXT) | instid1(VALU_DEP_1)
	v_add_f32_e32 v24, v32, v24
	v_dual_sub_f32 v27, v28, v27 :: v_dual_mul_f32 v24, v25, v24
	s_delay_alu instid0(VALU_DEP_1) | instskip(NEXT) | instid1(VALU_DEP_1)
	v_add_f32_e32 v24, v27, v24
	v_add_f32_e32 v25, v26, v24
	s_delay_alu instid0(VALU_DEP_1) | instskip(SKIP_1) | instid1(VALU_DEP_1)
	v_mul_f32_e32 v27, v25, v25
	s_wait_alu 0xfffe
	v_fmaak_f32 v28, s14, v27, 0x3ecc95a3
	v_mul_f32_e32 v29, v25, v27
	v_cmp_neq_f32_e64 s14, 0x7f800000, v18
	s_delay_alu instid0(VALU_DEP_3) | instskip(SKIP_2) | instid1(VALU_DEP_3)
	v_fmaak_f32 v27, v27, v28, 0x3f2aaada
	v_ldexp_f32 v28, v25, 1
	v_sub_f32_e32 v25, v25, v26
	v_mul_f32_e32 v27, v29, v27
	s_delay_alu instid0(VALU_DEP_2) | instskip(NEXT) | instid1(VALU_DEP_2)
	v_dual_mul_f32 v29, 0x3f317218, v23 :: v_dual_sub_f32 v24, v24, v25
	v_add_f32_e32 v26, v28, v27
	s_delay_alu instid0(VALU_DEP_2) | instskip(NEXT) | instid1(VALU_DEP_2)
	v_ldexp_f32 v24, v24, 1
	v_sub_f32_e32 v25, v26, v28
	s_delay_alu instid0(VALU_DEP_4) | instskip(NEXT) | instid1(VALU_DEP_2)
	v_fma_f32 v28, 0x3f317218, v23, -v29
	v_sub_f32_e32 v25, v27, v25
	s_delay_alu instid0(VALU_DEP_1) | instskip(NEXT) | instid1(VALU_DEP_1)
	v_dual_fmamk_f32 v23, v23, 0xb102e308, v28 :: v_dual_add_f32 v24, v24, v25
	v_add_f32_e32 v25, v29, v23
	s_delay_alu instid0(VALU_DEP_1) | instskip(NEXT) | instid1(VALU_DEP_1)
	v_sub_f32_e32 v29, v25, v29
	v_sub_f32_e32 v23, v23, v29
	s_delay_alu instid0(VALU_DEP_4) | instskip(NEXT) | instid1(VALU_DEP_1)
	v_add_f32_e32 v27, v26, v24
	v_sub_f32_e32 v26, v27, v26
	s_delay_alu instid0(VALU_DEP_1) | instskip(SKIP_1) | instid1(VALU_DEP_1)
	v_sub_f32_e32 v24, v24, v26
	v_add_f32_e32 v28, v25, v27
	v_sub_f32_e32 v30, v28, v25
	s_delay_alu instid0(VALU_DEP_1) | instskip(NEXT) | instid1(VALU_DEP_4)
	v_sub_f32_e32 v26, v27, v30
	v_add_f32_e32 v27, v23, v24
	v_sub_f32_e32 v31, v28, v30
	s_delay_alu instid0(VALU_DEP_1) | instskip(NEXT) | instid1(VALU_DEP_1)
	v_sub_f32_e32 v25, v25, v31
	v_dual_add_f32 v25, v26, v25 :: v_dual_sub_f32 v26, v27, v23
	s_delay_alu instid0(VALU_DEP_1) | instskip(SKIP_1) | instid1(VALU_DEP_2)
	v_dual_add_f32 v25, v27, v25 :: v_dual_sub_f32 v24, v24, v26
	v_sub_f32_e32 v27, v27, v26
	v_add_f32_e32 v29, v28, v25
	s_delay_alu instid0(VALU_DEP_1) | instskip(NEXT) | instid1(VALU_DEP_1)
	v_dual_sub_f32 v23, v23, v27 :: v_dual_sub_f32 v26, v29, v28
	v_dual_add_f32 v23, v24, v23 :: v_dual_sub_f32 v24, v25, v26
	s_delay_alu instid0(VALU_DEP_1) | instskip(NEXT) | instid1(VALU_DEP_1)
	v_add_f32_e32 v23, v23, v24
	v_add_f32_e32 v23, v29, v23
	s_wait_alu 0xf1ff
	s_delay_alu instid0(VALU_DEP_1) | instskip(SKIP_2) | instid1(VALU_DEP_1)
	v_cndmask_b32_e64 v23, 0x7f800000, v23, s14
	v_cmp_gt_f32_e64 s14, 0x33800000, |v18|
	s_wait_alu 0xf1ff
	v_cndmask_b32_e64 v18, v23, v18, s14
	s_delay_alu instid0(VALU_DEP_1) | instskip(NEXT) | instid1(VALU_DEP_1)
	v_add_f32_e32 v18, v22, v18
	v_cvt_f16_f32_e32 v23, v18
	s_delay_alu instid0(VALU_DEP_1)
	v_cvt_f32_f16_e32 v18, v23
.LBB356_229:
	s_or_b32 exec_lo, exec_lo, s16
	ds_load_u16 v22, v14 offset:6
	v_max_num_f32_e32 v24, v18, v18
	v_cmp_u_f16_e64 s14, v23, v23
	s_wait_dscnt 0x0
	v_cvt_f32_f16_e32 v25, v22
	s_delay_alu instid0(VALU_DEP_1) | instskip(SKIP_2) | instid1(VALU_DEP_2)
	v_min_num_f32_e32 v26, v24, v25
	v_max_num_f32_e32 v24, v24, v25
	s_wait_alu 0xf1ff
	v_cndmask_b32_e64 v26, v26, v18, s14
	s_delay_alu instid0(VALU_DEP_2) | instskip(SKIP_2) | instid1(VALU_DEP_1)
	v_cndmask_b32_e64 v27, v24, v18, s14
	v_cmp_u_f16_e64 s14, v22, v22
	s_wait_alu 0xf1ff
	v_cndmask_b32_e64 v24, v26, v25, s14
	s_delay_alu instid0(VALU_DEP_3) | instskip(NEXT) | instid1(VALU_DEP_2)
	v_cndmask_b32_e64 v22, v27, v25, s14
	v_cmp_class_f32_e64 s16, v24, 0x1f8
	s_delay_alu instid0(VALU_DEP_2)
	v_cmp_neq_f32_e64 s14, v24, v22
	s_or_b32 s14, s14, s16
	s_wait_alu 0xfffe
	s_and_saveexec_b32 s16, s14
	s_cbranch_execz .LBB356_231
; %bb.230:
	v_sub_f32_e32 v18, v24, v22
	s_delay_alu instid0(VALU_DEP_1) | instskip(NEXT) | instid1(VALU_DEP_1)
	v_mul_f32_e32 v23, 0x3fb8aa3b, v18
	v_fma_f32 v24, 0x3fb8aa3b, v18, -v23
	v_rndne_f32_e32 v25, v23
	s_delay_alu instid0(VALU_DEP_1) | instskip(SKIP_1) | instid1(VALU_DEP_2)
	v_dual_sub_f32 v23, v23, v25 :: v_dual_fmamk_f32 v24, v18, 0x32a5705f, v24
	v_cmp_ngt_f32_e64 s14, 0xc2ce8ed0, v18
	v_add_f32_e32 v23, v23, v24
	v_cvt_i32_f32_e32 v24, v25
	s_delay_alu instid0(VALU_DEP_2) | instskip(NEXT) | instid1(TRANS32_DEP_1)
	v_exp_f32_e32 v23, v23
	v_ldexp_f32 v23, v23, v24
	s_wait_alu 0xf1ff
	s_delay_alu instid0(VALU_DEP_1) | instskip(SKIP_2) | instid1(VALU_DEP_1)
	v_cndmask_b32_e64 v23, 0, v23, s14
	v_cmp_nlt_f32_e64 s14, 0x42b17218, v18
	s_wait_alu 0xf1ff
	v_cndmask_b32_e64 v18, 0x7f800000, v23, s14
	s_delay_alu instid0(VALU_DEP_1) | instskip(NEXT) | instid1(VALU_DEP_1)
	v_add_f32_e32 v25, 1.0, v18
	v_cvt_f64_f32_e32 v[23:24], v25
	s_delay_alu instid0(VALU_DEP_1) | instskip(SKIP_1) | instid1(VALU_DEP_1)
	v_frexp_exp_i32_f64_e32 v23, v[23:24]
	v_frexp_mant_f32_e32 v24, v25
	v_cmp_gt_f32_e64 s14, 0x3f2aaaab, v24
	v_add_f32_e32 v24, -1.0, v25
	s_delay_alu instid0(VALU_DEP_1) | instskip(SKIP_1) | instid1(VALU_DEP_3)
	v_dual_sub_f32 v27, v24, v25 :: v_dual_sub_f32 v24, v18, v24
	s_wait_alu 0xf1ff
	v_subrev_co_ci_u32_e64 v23, null, 0, v23, s14
	s_mov_b32 s14, 0x3e9b6dac
	v_sub_nc_u32_e32 v26, 0, v23
	v_cvt_f32_i32_e32 v23, v23
	s_delay_alu instid0(VALU_DEP_2) | instskip(NEXT) | instid1(VALU_DEP_1)
	v_ldexp_f32 v25, v25, v26
	v_dual_add_f32 v27, 1.0, v27 :: v_dual_add_f32 v28, 1.0, v25
	s_delay_alu instid0(VALU_DEP_1) | instskip(NEXT) | instid1(VALU_DEP_1)
	v_dual_add_f32 v24, v24, v27 :: v_dual_add_f32 v27, -1.0, v28
	v_ldexp_f32 v24, v24, v26
	s_delay_alu instid0(VALU_DEP_2) | instskip(NEXT) | instid1(VALU_DEP_1)
	v_dual_add_f32 v26, -1.0, v25 :: v_dual_sub_f32 v27, v25, v27
	v_add_f32_e32 v29, 1.0, v26
	s_delay_alu instid0(VALU_DEP_2) | instskip(NEXT) | instid1(VALU_DEP_2)
	v_add_f32_e32 v27, v24, v27
	v_sub_f32_e32 v25, v25, v29
	s_delay_alu instid0(VALU_DEP_1) | instskip(NEXT) | instid1(VALU_DEP_1)
	v_add_f32_e32 v24, v24, v25
	v_dual_add_f32 v30, v26, v24 :: v_dual_add_f32 v29, v28, v27
	s_delay_alu instid0(VALU_DEP_1) | instskip(NEXT) | instid1(VALU_DEP_2)
	v_sub_f32_e32 v26, v26, v30
	v_rcp_f32_e32 v25, v29
	v_sub_f32_e32 v28, v28, v29
	s_delay_alu instid0(VALU_DEP_1) | instskip(NEXT) | instid1(TRANS32_DEP_1)
	v_dual_add_f32 v24, v24, v26 :: v_dual_add_f32 v27, v27, v28
	v_mul_f32_e32 v31, v30, v25
	s_delay_alu instid0(VALU_DEP_1) | instskip(NEXT) | instid1(VALU_DEP_1)
	v_mul_f32_e32 v32, v29, v31
	v_fma_f32 v28, v31, v29, -v32
	s_delay_alu instid0(VALU_DEP_1) | instskip(NEXT) | instid1(VALU_DEP_1)
	v_fmac_f32_e32 v28, v31, v27
	v_add_f32_e32 v33, v32, v28
	s_delay_alu instid0(VALU_DEP_1) | instskip(NEXT) | instid1(VALU_DEP_1)
	v_sub_f32_e32 v34, v30, v33
	v_sub_f32_e32 v30, v30, v34
	;; [unrolled: 1-line block ×3, first 2 shown]
	s_delay_alu instid0(VALU_DEP_2) | instskip(NEXT) | instid1(VALU_DEP_2)
	v_sub_f32_e32 v30, v30, v33
	v_sub_f32_e32 v26, v26, v28
	s_delay_alu instid0(VALU_DEP_2) | instskip(NEXT) | instid1(VALU_DEP_1)
	v_add_f32_e32 v24, v24, v30
	v_add_f32_e32 v24, v26, v24
	s_delay_alu instid0(VALU_DEP_1) | instskip(NEXT) | instid1(VALU_DEP_1)
	v_add_f32_e32 v26, v34, v24
	v_mul_f32_e32 v28, v25, v26
	s_delay_alu instid0(VALU_DEP_1) | instskip(NEXT) | instid1(VALU_DEP_1)
	v_dual_sub_f32 v33, v34, v26 :: v_dual_mul_f32 v30, v29, v28
	v_add_f32_e32 v24, v24, v33
	s_delay_alu instid0(VALU_DEP_2) | instskip(NEXT) | instid1(VALU_DEP_1)
	v_fma_f32 v29, v28, v29, -v30
	v_fmac_f32_e32 v29, v28, v27
	s_delay_alu instid0(VALU_DEP_1) | instskip(NEXT) | instid1(VALU_DEP_1)
	v_add_f32_e32 v27, v30, v29
	v_sub_f32_e32 v32, v26, v27
	v_sub_f32_e32 v30, v27, v30
	s_delay_alu instid0(VALU_DEP_2) | instskip(NEXT) | instid1(VALU_DEP_1)
	v_sub_f32_e32 v26, v26, v32
	v_sub_f32_e32 v26, v26, v27
	s_delay_alu instid0(VALU_DEP_1) | instskip(SKIP_1) | instid1(VALU_DEP_1)
	v_dual_sub_f32 v27, v30, v29 :: v_dual_add_f32 v24, v24, v26
	v_add_f32_e32 v26, v31, v28
	v_dual_add_f32 v24, v27, v24 :: v_dual_sub_f32 v27, v26, v31
	s_delay_alu instid0(VALU_DEP_1) | instskip(NEXT) | instid1(VALU_DEP_1)
	v_add_f32_e32 v24, v32, v24
	v_dual_sub_f32 v27, v28, v27 :: v_dual_mul_f32 v24, v25, v24
	s_delay_alu instid0(VALU_DEP_1) | instskip(NEXT) | instid1(VALU_DEP_1)
	v_add_f32_e32 v24, v27, v24
	v_add_f32_e32 v25, v26, v24
	s_delay_alu instid0(VALU_DEP_1) | instskip(SKIP_1) | instid1(VALU_DEP_1)
	v_mul_f32_e32 v27, v25, v25
	s_wait_alu 0xfffe
	v_fmaak_f32 v28, s14, v27, 0x3ecc95a3
	v_mul_f32_e32 v29, v25, v27
	v_cmp_neq_f32_e64 s14, 0x7f800000, v18
	s_delay_alu instid0(VALU_DEP_3) | instskip(SKIP_2) | instid1(VALU_DEP_3)
	v_fmaak_f32 v27, v27, v28, 0x3f2aaada
	v_ldexp_f32 v28, v25, 1
	v_sub_f32_e32 v25, v25, v26
	v_mul_f32_e32 v27, v29, v27
	s_delay_alu instid0(VALU_DEP_2) | instskip(NEXT) | instid1(VALU_DEP_2)
	v_dual_mul_f32 v29, 0x3f317218, v23 :: v_dual_sub_f32 v24, v24, v25
	v_add_f32_e32 v26, v28, v27
	s_delay_alu instid0(VALU_DEP_2) | instskip(NEXT) | instid1(VALU_DEP_2)
	v_ldexp_f32 v24, v24, 1
	v_sub_f32_e32 v25, v26, v28
	s_delay_alu instid0(VALU_DEP_4) | instskip(NEXT) | instid1(VALU_DEP_2)
	v_fma_f32 v28, 0x3f317218, v23, -v29
	v_sub_f32_e32 v25, v27, v25
	s_delay_alu instid0(VALU_DEP_1) | instskip(NEXT) | instid1(VALU_DEP_1)
	v_dual_fmamk_f32 v23, v23, 0xb102e308, v28 :: v_dual_add_f32 v24, v24, v25
	v_add_f32_e32 v25, v29, v23
	s_delay_alu instid0(VALU_DEP_1) | instskip(NEXT) | instid1(VALU_DEP_1)
	v_sub_f32_e32 v29, v25, v29
	v_sub_f32_e32 v23, v23, v29
	s_delay_alu instid0(VALU_DEP_4) | instskip(NEXT) | instid1(VALU_DEP_1)
	v_add_f32_e32 v27, v26, v24
	v_sub_f32_e32 v26, v27, v26
	s_delay_alu instid0(VALU_DEP_1) | instskip(SKIP_1) | instid1(VALU_DEP_1)
	v_sub_f32_e32 v24, v24, v26
	v_add_f32_e32 v28, v25, v27
	v_sub_f32_e32 v30, v28, v25
	s_delay_alu instid0(VALU_DEP_1) | instskip(NEXT) | instid1(VALU_DEP_4)
	v_sub_f32_e32 v26, v27, v30
	v_add_f32_e32 v27, v23, v24
	v_sub_f32_e32 v31, v28, v30
	s_delay_alu instid0(VALU_DEP_1) | instskip(NEXT) | instid1(VALU_DEP_1)
	v_sub_f32_e32 v25, v25, v31
	v_dual_add_f32 v25, v26, v25 :: v_dual_sub_f32 v26, v27, v23
	s_delay_alu instid0(VALU_DEP_1) | instskip(SKIP_1) | instid1(VALU_DEP_2)
	v_dual_add_f32 v25, v27, v25 :: v_dual_sub_f32 v24, v24, v26
	v_sub_f32_e32 v27, v27, v26
	v_add_f32_e32 v29, v28, v25
	s_delay_alu instid0(VALU_DEP_1) | instskip(NEXT) | instid1(VALU_DEP_1)
	v_dual_sub_f32 v23, v23, v27 :: v_dual_sub_f32 v26, v29, v28
	v_dual_add_f32 v23, v24, v23 :: v_dual_sub_f32 v24, v25, v26
	s_delay_alu instid0(VALU_DEP_1) | instskip(NEXT) | instid1(VALU_DEP_1)
	v_add_f32_e32 v23, v23, v24
	v_add_f32_e32 v23, v29, v23
	s_wait_alu 0xf1ff
	s_delay_alu instid0(VALU_DEP_1) | instskip(SKIP_2) | instid1(VALU_DEP_1)
	v_cndmask_b32_e64 v23, 0x7f800000, v23, s14
	v_cmp_gt_f32_e64 s14, 0x33800000, |v18|
	s_wait_alu 0xf1ff
	v_cndmask_b32_e64 v18, v23, v18, s14
	s_delay_alu instid0(VALU_DEP_1) | instskip(NEXT) | instid1(VALU_DEP_1)
	v_add_f32_e32 v18, v22, v18
	v_cvt_f16_f32_e32 v23, v18
	s_delay_alu instid0(VALU_DEP_1)
	v_cvt_f32_f16_e32 v18, v23
.LBB356_231:
	s_or_b32 exec_lo, exec_lo, s16
	ds_load_u16 v22, v14 offset:8
	v_max_num_f32_e32 v24, v18, v18
	v_cmp_u_f16_e64 s14, v23, v23
	s_wait_dscnt 0x0
	v_cvt_f32_f16_e32 v25, v22
	s_delay_alu instid0(VALU_DEP_1) | instskip(SKIP_2) | instid1(VALU_DEP_2)
	v_min_num_f32_e32 v26, v24, v25
	v_max_num_f32_e32 v24, v24, v25
	s_wait_alu 0xf1ff
	v_cndmask_b32_e64 v26, v26, v18, s14
	s_delay_alu instid0(VALU_DEP_2) | instskip(SKIP_2) | instid1(VALU_DEP_1)
	v_cndmask_b32_e64 v27, v24, v18, s14
	v_cmp_u_f16_e64 s14, v22, v22
	s_wait_alu 0xf1ff
	v_cndmask_b32_e64 v24, v26, v25, s14
	s_delay_alu instid0(VALU_DEP_3) | instskip(NEXT) | instid1(VALU_DEP_2)
	v_cndmask_b32_e64 v22, v27, v25, s14
	v_cmp_class_f32_e64 s16, v24, 0x1f8
	s_delay_alu instid0(VALU_DEP_2)
	v_cmp_neq_f32_e64 s14, v24, v22
	s_or_b32 s14, s14, s16
	s_wait_alu 0xfffe
	s_and_saveexec_b32 s16, s14
	s_cbranch_execz .LBB356_233
; %bb.232:
	v_sub_f32_e32 v18, v24, v22
	s_delay_alu instid0(VALU_DEP_1) | instskip(NEXT) | instid1(VALU_DEP_1)
	v_mul_f32_e32 v23, 0x3fb8aa3b, v18
	v_fma_f32 v24, 0x3fb8aa3b, v18, -v23
	v_rndne_f32_e32 v25, v23
	s_delay_alu instid0(VALU_DEP_1) | instskip(SKIP_1) | instid1(VALU_DEP_2)
	v_dual_sub_f32 v23, v23, v25 :: v_dual_fmamk_f32 v24, v18, 0x32a5705f, v24
	v_cmp_ngt_f32_e64 s14, 0xc2ce8ed0, v18
	v_add_f32_e32 v23, v23, v24
	v_cvt_i32_f32_e32 v24, v25
	s_delay_alu instid0(VALU_DEP_2) | instskip(NEXT) | instid1(TRANS32_DEP_1)
	v_exp_f32_e32 v23, v23
	v_ldexp_f32 v23, v23, v24
	s_wait_alu 0xf1ff
	s_delay_alu instid0(VALU_DEP_1) | instskip(SKIP_2) | instid1(VALU_DEP_1)
	v_cndmask_b32_e64 v23, 0, v23, s14
	v_cmp_nlt_f32_e64 s14, 0x42b17218, v18
	s_wait_alu 0xf1ff
	v_cndmask_b32_e64 v18, 0x7f800000, v23, s14
	s_delay_alu instid0(VALU_DEP_1) | instskip(NEXT) | instid1(VALU_DEP_1)
	v_add_f32_e32 v25, 1.0, v18
	v_cvt_f64_f32_e32 v[23:24], v25
	s_delay_alu instid0(VALU_DEP_1) | instskip(SKIP_1) | instid1(VALU_DEP_1)
	v_frexp_exp_i32_f64_e32 v23, v[23:24]
	v_frexp_mant_f32_e32 v24, v25
	v_cmp_gt_f32_e64 s14, 0x3f2aaaab, v24
	v_add_f32_e32 v24, -1.0, v25
	s_delay_alu instid0(VALU_DEP_1) | instskip(SKIP_1) | instid1(VALU_DEP_3)
	v_dual_sub_f32 v27, v24, v25 :: v_dual_sub_f32 v24, v18, v24
	s_wait_alu 0xf1ff
	v_subrev_co_ci_u32_e64 v23, null, 0, v23, s14
	s_mov_b32 s14, 0x3e9b6dac
	v_sub_nc_u32_e32 v26, 0, v23
	v_cvt_f32_i32_e32 v23, v23
	s_delay_alu instid0(VALU_DEP_2) | instskip(NEXT) | instid1(VALU_DEP_1)
	v_ldexp_f32 v25, v25, v26
	v_dual_add_f32 v27, 1.0, v27 :: v_dual_add_f32 v28, 1.0, v25
	s_delay_alu instid0(VALU_DEP_1) | instskip(NEXT) | instid1(VALU_DEP_1)
	v_dual_add_f32 v24, v24, v27 :: v_dual_add_f32 v27, -1.0, v28
	v_ldexp_f32 v24, v24, v26
	s_delay_alu instid0(VALU_DEP_2) | instskip(NEXT) | instid1(VALU_DEP_1)
	v_dual_add_f32 v26, -1.0, v25 :: v_dual_sub_f32 v27, v25, v27
	v_add_f32_e32 v29, 1.0, v26
	s_delay_alu instid0(VALU_DEP_2) | instskip(NEXT) | instid1(VALU_DEP_2)
	v_add_f32_e32 v27, v24, v27
	v_sub_f32_e32 v25, v25, v29
	s_delay_alu instid0(VALU_DEP_1) | instskip(NEXT) | instid1(VALU_DEP_1)
	v_add_f32_e32 v24, v24, v25
	v_dual_add_f32 v30, v26, v24 :: v_dual_add_f32 v29, v28, v27
	s_delay_alu instid0(VALU_DEP_1) | instskip(NEXT) | instid1(VALU_DEP_2)
	v_sub_f32_e32 v26, v26, v30
	v_rcp_f32_e32 v25, v29
	v_sub_f32_e32 v28, v28, v29
	s_delay_alu instid0(VALU_DEP_1) | instskip(NEXT) | instid1(TRANS32_DEP_1)
	v_dual_add_f32 v24, v24, v26 :: v_dual_add_f32 v27, v27, v28
	v_mul_f32_e32 v31, v30, v25
	s_delay_alu instid0(VALU_DEP_1) | instskip(NEXT) | instid1(VALU_DEP_1)
	v_mul_f32_e32 v32, v29, v31
	v_fma_f32 v28, v31, v29, -v32
	s_delay_alu instid0(VALU_DEP_1) | instskip(NEXT) | instid1(VALU_DEP_1)
	v_fmac_f32_e32 v28, v31, v27
	v_add_f32_e32 v33, v32, v28
	s_delay_alu instid0(VALU_DEP_1) | instskip(NEXT) | instid1(VALU_DEP_1)
	v_sub_f32_e32 v34, v30, v33
	v_sub_f32_e32 v30, v30, v34
	;; [unrolled: 1-line block ×3, first 2 shown]
	s_delay_alu instid0(VALU_DEP_2) | instskip(NEXT) | instid1(VALU_DEP_2)
	v_sub_f32_e32 v30, v30, v33
	v_sub_f32_e32 v26, v26, v28
	s_delay_alu instid0(VALU_DEP_2) | instskip(NEXT) | instid1(VALU_DEP_1)
	v_add_f32_e32 v24, v24, v30
	v_add_f32_e32 v24, v26, v24
	s_delay_alu instid0(VALU_DEP_1) | instskip(NEXT) | instid1(VALU_DEP_1)
	v_add_f32_e32 v26, v34, v24
	v_mul_f32_e32 v28, v25, v26
	s_delay_alu instid0(VALU_DEP_1) | instskip(NEXT) | instid1(VALU_DEP_1)
	v_dual_sub_f32 v33, v34, v26 :: v_dual_mul_f32 v30, v29, v28
	v_add_f32_e32 v24, v24, v33
	s_delay_alu instid0(VALU_DEP_2) | instskip(NEXT) | instid1(VALU_DEP_1)
	v_fma_f32 v29, v28, v29, -v30
	v_fmac_f32_e32 v29, v28, v27
	s_delay_alu instid0(VALU_DEP_1) | instskip(NEXT) | instid1(VALU_DEP_1)
	v_add_f32_e32 v27, v30, v29
	v_sub_f32_e32 v32, v26, v27
	v_sub_f32_e32 v30, v27, v30
	s_delay_alu instid0(VALU_DEP_2) | instskip(NEXT) | instid1(VALU_DEP_1)
	v_sub_f32_e32 v26, v26, v32
	v_sub_f32_e32 v26, v26, v27
	s_delay_alu instid0(VALU_DEP_1) | instskip(SKIP_1) | instid1(VALU_DEP_1)
	v_dual_sub_f32 v27, v30, v29 :: v_dual_add_f32 v24, v24, v26
	v_add_f32_e32 v26, v31, v28
	v_dual_add_f32 v24, v27, v24 :: v_dual_sub_f32 v27, v26, v31
	s_delay_alu instid0(VALU_DEP_1) | instskip(NEXT) | instid1(VALU_DEP_1)
	v_add_f32_e32 v24, v32, v24
	v_dual_sub_f32 v27, v28, v27 :: v_dual_mul_f32 v24, v25, v24
	s_delay_alu instid0(VALU_DEP_1) | instskip(NEXT) | instid1(VALU_DEP_1)
	v_add_f32_e32 v24, v27, v24
	v_add_f32_e32 v25, v26, v24
	s_delay_alu instid0(VALU_DEP_1) | instskip(SKIP_1) | instid1(VALU_DEP_1)
	v_mul_f32_e32 v27, v25, v25
	s_wait_alu 0xfffe
	v_fmaak_f32 v28, s14, v27, 0x3ecc95a3
	v_mul_f32_e32 v29, v25, v27
	v_cmp_neq_f32_e64 s14, 0x7f800000, v18
	s_delay_alu instid0(VALU_DEP_3) | instskip(SKIP_2) | instid1(VALU_DEP_3)
	v_fmaak_f32 v27, v27, v28, 0x3f2aaada
	v_ldexp_f32 v28, v25, 1
	v_sub_f32_e32 v25, v25, v26
	v_mul_f32_e32 v27, v29, v27
	s_delay_alu instid0(VALU_DEP_2) | instskip(NEXT) | instid1(VALU_DEP_2)
	v_dual_mul_f32 v29, 0x3f317218, v23 :: v_dual_sub_f32 v24, v24, v25
	v_add_f32_e32 v26, v28, v27
	s_delay_alu instid0(VALU_DEP_2) | instskip(NEXT) | instid1(VALU_DEP_2)
	v_ldexp_f32 v24, v24, 1
	v_sub_f32_e32 v25, v26, v28
	s_delay_alu instid0(VALU_DEP_4) | instskip(NEXT) | instid1(VALU_DEP_2)
	v_fma_f32 v28, 0x3f317218, v23, -v29
	v_sub_f32_e32 v25, v27, v25
	s_delay_alu instid0(VALU_DEP_1) | instskip(NEXT) | instid1(VALU_DEP_1)
	v_dual_fmamk_f32 v23, v23, 0xb102e308, v28 :: v_dual_add_f32 v24, v24, v25
	v_add_f32_e32 v25, v29, v23
	s_delay_alu instid0(VALU_DEP_1) | instskip(NEXT) | instid1(VALU_DEP_1)
	v_sub_f32_e32 v29, v25, v29
	v_sub_f32_e32 v23, v23, v29
	s_delay_alu instid0(VALU_DEP_4) | instskip(NEXT) | instid1(VALU_DEP_1)
	v_add_f32_e32 v27, v26, v24
	v_sub_f32_e32 v26, v27, v26
	s_delay_alu instid0(VALU_DEP_1) | instskip(SKIP_1) | instid1(VALU_DEP_1)
	v_sub_f32_e32 v24, v24, v26
	v_add_f32_e32 v28, v25, v27
	v_sub_f32_e32 v30, v28, v25
	s_delay_alu instid0(VALU_DEP_1) | instskip(NEXT) | instid1(VALU_DEP_4)
	v_sub_f32_e32 v26, v27, v30
	v_add_f32_e32 v27, v23, v24
	v_sub_f32_e32 v31, v28, v30
	s_delay_alu instid0(VALU_DEP_1) | instskip(NEXT) | instid1(VALU_DEP_1)
	v_sub_f32_e32 v25, v25, v31
	v_dual_add_f32 v25, v26, v25 :: v_dual_sub_f32 v26, v27, v23
	s_delay_alu instid0(VALU_DEP_1) | instskip(SKIP_1) | instid1(VALU_DEP_2)
	v_dual_add_f32 v25, v27, v25 :: v_dual_sub_f32 v24, v24, v26
	v_sub_f32_e32 v27, v27, v26
	v_add_f32_e32 v29, v28, v25
	s_delay_alu instid0(VALU_DEP_1) | instskip(NEXT) | instid1(VALU_DEP_1)
	v_dual_sub_f32 v23, v23, v27 :: v_dual_sub_f32 v26, v29, v28
	v_dual_add_f32 v23, v24, v23 :: v_dual_sub_f32 v24, v25, v26
	s_delay_alu instid0(VALU_DEP_1) | instskip(NEXT) | instid1(VALU_DEP_1)
	v_add_f32_e32 v23, v23, v24
	v_add_f32_e32 v23, v29, v23
	s_wait_alu 0xf1ff
	s_delay_alu instid0(VALU_DEP_1) | instskip(SKIP_2) | instid1(VALU_DEP_1)
	v_cndmask_b32_e64 v23, 0x7f800000, v23, s14
	v_cmp_gt_f32_e64 s14, 0x33800000, |v18|
	s_wait_alu 0xf1ff
	v_cndmask_b32_e64 v18, v23, v18, s14
	s_delay_alu instid0(VALU_DEP_1) | instskip(NEXT) | instid1(VALU_DEP_1)
	v_add_f32_e32 v18, v22, v18
	v_cvt_f16_f32_e32 v23, v18
	s_delay_alu instid0(VALU_DEP_1)
	v_cvt_f32_f16_e32 v18, v23
.LBB356_233:
	s_or_b32 exec_lo, exec_lo, s16
	ds_load_u16 v22, v14 offset:10
	v_max_num_f32_e32 v24, v18, v18
	v_cmp_u_f16_e64 s14, v23, v23
	s_wait_dscnt 0x0
	v_cvt_f32_f16_e32 v25, v22
	s_delay_alu instid0(VALU_DEP_1) | instskip(SKIP_2) | instid1(VALU_DEP_2)
	v_min_num_f32_e32 v26, v24, v25
	v_max_num_f32_e32 v24, v24, v25
	s_wait_alu 0xf1ff
	v_cndmask_b32_e64 v26, v26, v18, s14
	s_delay_alu instid0(VALU_DEP_2) | instskip(SKIP_2) | instid1(VALU_DEP_1)
	v_cndmask_b32_e64 v27, v24, v18, s14
	v_cmp_u_f16_e64 s14, v22, v22
	s_wait_alu 0xf1ff
	v_cndmask_b32_e64 v24, v26, v25, s14
	s_delay_alu instid0(VALU_DEP_3) | instskip(NEXT) | instid1(VALU_DEP_2)
	v_cndmask_b32_e64 v22, v27, v25, s14
	v_cmp_class_f32_e64 s16, v24, 0x1f8
	s_delay_alu instid0(VALU_DEP_2)
	v_cmp_neq_f32_e64 s14, v24, v22
	s_or_b32 s14, s14, s16
	s_wait_alu 0xfffe
	s_and_saveexec_b32 s16, s14
	s_cbranch_execz .LBB356_235
; %bb.234:
	v_sub_f32_e32 v18, v24, v22
	s_delay_alu instid0(VALU_DEP_1) | instskip(NEXT) | instid1(VALU_DEP_1)
	v_mul_f32_e32 v23, 0x3fb8aa3b, v18
	v_fma_f32 v24, 0x3fb8aa3b, v18, -v23
	v_rndne_f32_e32 v25, v23
	s_delay_alu instid0(VALU_DEP_1) | instskip(SKIP_1) | instid1(VALU_DEP_2)
	v_dual_sub_f32 v23, v23, v25 :: v_dual_fmamk_f32 v24, v18, 0x32a5705f, v24
	v_cmp_ngt_f32_e64 s14, 0xc2ce8ed0, v18
	v_add_f32_e32 v23, v23, v24
	v_cvt_i32_f32_e32 v24, v25
	s_delay_alu instid0(VALU_DEP_2) | instskip(NEXT) | instid1(TRANS32_DEP_1)
	v_exp_f32_e32 v23, v23
	v_ldexp_f32 v23, v23, v24
	s_wait_alu 0xf1ff
	s_delay_alu instid0(VALU_DEP_1) | instskip(SKIP_2) | instid1(VALU_DEP_1)
	v_cndmask_b32_e64 v23, 0, v23, s14
	v_cmp_nlt_f32_e64 s14, 0x42b17218, v18
	s_wait_alu 0xf1ff
	v_cndmask_b32_e64 v18, 0x7f800000, v23, s14
	s_delay_alu instid0(VALU_DEP_1) | instskip(NEXT) | instid1(VALU_DEP_1)
	v_add_f32_e32 v25, 1.0, v18
	v_cvt_f64_f32_e32 v[23:24], v25
	s_delay_alu instid0(VALU_DEP_1) | instskip(SKIP_1) | instid1(VALU_DEP_1)
	v_frexp_exp_i32_f64_e32 v23, v[23:24]
	v_frexp_mant_f32_e32 v24, v25
	v_cmp_gt_f32_e64 s14, 0x3f2aaaab, v24
	v_add_f32_e32 v24, -1.0, v25
	s_delay_alu instid0(VALU_DEP_1) | instskip(SKIP_1) | instid1(VALU_DEP_3)
	v_dual_sub_f32 v27, v24, v25 :: v_dual_sub_f32 v24, v18, v24
	s_wait_alu 0xf1ff
	v_subrev_co_ci_u32_e64 v23, null, 0, v23, s14
	s_mov_b32 s14, 0x3e9b6dac
	v_sub_nc_u32_e32 v26, 0, v23
	v_cvt_f32_i32_e32 v23, v23
	s_delay_alu instid0(VALU_DEP_2) | instskip(NEXT) | instid1(VALU_DEP_1)
	v_ldexp_f32 v25, v25, v26
	v_dual_add_f32 v27, 1.0, v27 :: v_dual_add_f32 v28, 1.0, v25
	s_delay_alu instid0(VALU_DEP_1) | instskip(NEXT) | instid1(VALU_DEP_1)
	v_dual_add_f32 v24, v24, v27 :: v_dual_add_f32 v27, -1.0, v28
	v_ldexp_f32 v24, v24, v26
	s_delay_alu instid0(VALU_DEP_2) | instskip(NEXT) | instid1(VALU_DEP_1)
	v_dual_add_f32 v26, -1.0, v25 :: v_dual_sub_f32 v27, v25, v27
	v_add_f32_e32 v29, 1.0, v26
	s_delay_alu instid0(VALU_DEP_2) | instskip(NEXT) | instid1(VALU_DEP_2)
	v_add_f32_e32 v27, v24, v27
	v_sub_f32_e32 v25, v25, v29
	s_delay_alu instid0(VALU_DEP_1) | instskip(NEXT) | instid1(VALU_DEP_1)
	v_add_f32_e32 v24, v24, v25
	v_dual_add_f32 v30, v26, v24 :: v_dual_add_f32 v29, v28, v27
	s_delay_alu instid0(VALU_DEP_1) | instskip(NEXT) | instid1(VALU_DEP_2)
	v_sub_f32_e32 v26, v26, v30
	v_rcp_f32_e32 v25, v29
	v_sub_f32_e32 v28, v28, v29
	s_delay_alu instid0(VALU_DEP_1) | instskip(NEXT) | instid1(TRANS32_DEP_1)
	v_dual_add_f32 v24, v24, v26 :: v_dual_add_f32 v27, v27, v28
	v_mul_f32_e32 v31, v30, v25
	s_delay_alu instid0(VALU_DEP_1) | instskip(NEXT) | instid1(VALU_DEP_1)
	v_mul_f32_e32 v32, v29, v31
	v_fma_f32 v28, v31, v29, -v32
	s_delay_alu instid0(VALU_DEP_1) | instskip(NEXT) | instid1(VALU_DEP_1)
	v_fmac_f32_e32 v28, v31, v27
	v_add_f32_e32 v33, v32, v28
	s_delay_alu instid0(VALU_DEP_1) | instskip(NEXT) | instid1(VALU_DEP_1)
	v_sub_f32_e32 v34, v30, v33
	v_sub_f32_e32 v30, v30, v34
	;; [unrolled: 1-line block ×3, first 2 shown]
	s_delay_alu instid0(VALU_DEP_2) | instskip(NEXT) | instid1(VALU_DEP_2)
	v_sub_f32_e32 v30, v30, v33
	v_sub_f32_e32 v26, v26, v28
	s_delay_alu instid0(VALU_DEP_2) | instskip(NEXT) | instid1(VALU_DEP_1)
	v_add_f32_e32 v24, v24, v30
	v_add_f32_e32 v24, v26, v24
	s_delay_alu instid0(VALU_DEP_1) | instskip(NEXT) | instid1(VALU_DEP_1)
	v_add_f32_e32 v26, v34, v24
	v_mul_f32_e32 v28, v25, v26
	s_delay_alu instid0(VALU_DEP_1) | instskip(NEXT) | instid1(VALU_DEP_1)
	v_dual_sub_f32 v33, v34, v26 :: v_dual_mul_f32 v30, v29, v28
	v_add_f32_e32 v24, v24, v33
	s_delay_alu instid0(VALU_DEP_2) | instskip(NEXT) | instid1(VALU_DEP_1)
	v_fma_f32 v29, v28, v29, -v30
	v_fmac_f32_e32 v29, v28, v27
	s_delay_alu instid0(VALU_DEP_1) | instskip(NEXT) | instid1(VALU_DEP_1)
	v_add_f32_e32 v27, v30, v29
	v_sub_f32_e32 v32, v26, v27
	v_sub_f32_e32 v30, v27, v30
	s_delay_alu instid0(VALU_DEP_2) | instskip(NEXT) | instid1(VALU_DEP_1)
	v_sub_f32_e32 v26, v26, v32
	v_sub_f32_e32 v26, v26, v27
	s_delay_alu instid0(VALU_DEP_1) | instskip(SKIP_1) | instid1(VALU_DEP_1)
	v_dual_sub_f32 v27, v30, v29 :: v_dual_add_f32 v24, v24, v26
	v_add_f32_e32 v26, v31, v28
	v_dual_add_f32 v24, v27, v24 :: v_dual_sub_f32 v27, v26, v31
	s_delay_alu instid0(VALU_DEP_1) | instskip(NEXT) | instid1(VALU_DEP_1)
	v_add_f32_e32 v24, v32, v24
	v_dual_sub_f32 v27, v28, v27 :: v_dual_mul_f32 v24, v25, v24
	s_delay_alu instid0(VALU_DEP_1) | instskip(NEXT) | instid1(VALU_DEP_1)
	v_add_f32_e32 v24, v27, v24
	v_add_f32_e32 v25, v26, v24
	s_delay_alu instid0(VALU_DEP_1) | instskip(SKIP_1) | instid1(VALU_DEP_1)
	v_mul_f32_e32 v27, v25, v25
	s_wait_alu 0xfffe
	v_fmaak_f32 v28, s14, v27, 0x3ecc95a3
	v_mul_f32_e32 v29, v25, v27
	v_cmp_neq_f32_e64 s14, 0x7f800000, v18
	s_delay_alu instid0(VALU_DEP_3) | instskip(SKIP_2) | instid1(VALU_DEP_3)
	v_fmaak_f32 v27, v27, v28, 0x3f2aaada
	v_ldexp_f32 v28, v25, 1
	v_sub_f32_e32 v25, v25, v26
	v_mul_f32_e32 v27, v29, v27
	s_delay_alu instid0(VALU_DEP_2) | instskip(NEXT) | instid1(VALU_DEP_2)
	v_dual_mul_f32 v29, 0x3f317218, v23 :: v_dual_sub_f32 v24, v24, v25
	v_add_f32_e32 v26, v28, v27
	s_delay_alu instid0(VALU_DEP_2) | instskip(NEXT) | instid1(VALU_DEP_2)
	v_ldexp_f32 v24, v24, 1
	v_sub_f32_e32 v25, v26, v28
	s_delay_alu instid0(VALU_DEP_4) | instskip(NEXT) | instid1(VALU_DEP_2)
	v_fma_f32 v28, 0x3f317218, v23, -v29
	v_sub_f32_e32 v25, v27, v25
	s_delay_alu instid0(VALU_DEP_1) | instskip(NEXT) | instid1(VALU_DEP_1)
	v_dual_fmamk_f32 v23, v23, 0xb102e308, v28 :: v_dual_add_f32 v24, v24, v25
	v_add_f32_e32 v25, v29, v23
	s_delay_alu instid0(VALU_DEP_1) | instskip(NEXT) | instid1(VALU_DEP_1)
	v_sub_f32_e32 v29, v25, v29
	v_sub_f32_e32 v23, v23, v29
	s_delay_alu instid0(VALU_DEP_4) | instskip(NEXT) | instid1(VALU_DEP_1)
	v_add_f32_e32 v27, v26, v24
	v_sub_f32_e32 v26, v27, v26
	s_delay_alu instid0(VALU_DEP_1) | instskip(SKIP_1) | instid1(VALU_DEP_1)
	v_sub_f32_e32 v24, v24, v26
	v_add_f32_e32 v28, v25, v27
	v_sub_f32_e32 v30, v28, v25
	s_delay_alu instid0(VALU_DEP_1) | instskip(NEXT) | instid1(VALU_DEP_4)
	v_sub_f32_e32 v26, v27, v30
	v_add_f32_e32 v27, v23, v24
	v_sub_f32_e32 v31, v28, v30
	s_delay_alu instid0(VALU_DEP_1) | instskip(NEXT) | instid1(VALU_DEP_1)
	v_sub_f32_e32 v25, v25, v31
	v_dual_add_f32 v25, v26, v25 :: v_dual_sub_f32 v26, v27, v23
	s_delay_alu instid0(VALU_DEP_1) | instskip(SKIP_1) | instid1(VALU_DEP_2)
	v_dual_add_f32 v25, v27, v25 :: v_dual_sub_f32 v24, v24, v26
	v_sub_f32_e32 v27, v27, v26
	v_add_f32_e32 v29, v28, v25
	s_delay_alu instid0(VALU_DEP_1) | instskip(NEXT) | instid1(VALU_DEP_1)
	v_dual_sub_f32 v23, v23, v27 :: v_dual_sub_f32 v26, v29, v28
	v_dual_add_f32 v23, v24, v23 :: v_dual_sub_f32 v24, v25, v26
	s_delay_alu instid0(VALU_DEP_1) | instskip(NEXT) | instid1(VALU_DEP_1)
	v_add_f32_e32 v23, v23, v24
	v_add_f32_e32 v23, v29, v23
	s_wait_alu 0xf1ff
	s_delay_alu instid0(VALU_DEP_1) | instskip(SKIP_2) | instid1(VALU_DEP_1)
	v_cndmask_b32_e64 v23, 0x7f800000, v23, s14
	v_cmp_gt_f32_e64 s14, 0x33800000, |v18|
	s_wait_alu 0xf1ff
	v_cndmask_b32_e64 v18, v23, v18, s14
	s_delay_alu instid0(VALU_DEP_1) | instskip(NEXT) | instid1(VALU_DEP_1)
	v_add_f32_e32 v18, v22, v18
	v_cvt_f16_f32_e32 v23, v18
	s_delay_alu instid0(VALU_DEP_1)
	v_cvt_f32_f16_e32 v18, v23
.LBB356_235:
	s_or_b32 exec_lo, exec_lo, s16
	ds_load_u16 v22, v14 offset:12
	v_max_num_f32_e32 v24, v18, v18
	v_cmp_u_f16_e64 s14, v23, v23
	s_wait_dscnt 0x0
	v_cvt_f32_f16_e32 v25, v22
	s_delay_alu instid0(VALU_DEP_1) | instskip(SKIP_2) | instid1(VALU_DEP_2)
	v_min_num_f32_e32 v26, v24, v25
	v_max_num_f32_e32 v24, v24, v25
	s_wait_alu 0xf1ff
	v_cndmask_b32_e64 v26, v26, v18, s14
	s_delay_alu instid0(VALU_DEP_2) | instskip(SKIP_2) | instid1(VALU_DEP_1)
	v_cndmask_b32_e64 v27, v24, v18, s14
	v_cmp_u_f16_e64 s14, v22, v22
	s_wait_alu 0xf1ff
	v_cndmask_b32_e64 v24, v26, v25, s14
	s_delay_alu instid0(VALU_DEP_3) | instskip(NEXT) | instid1(VALU_DEP_2)
	v_cndmask_b32_e64 v22, v27, v25, s14
	v_cmp_class_f32_e64 s16, v24, 0x1f8
	s_delay_alu instid0(VALU_DEP_2)
	v_cmp_neq_f32_e64 s14, v24, v22
	s_or_b32 s14, s14, s16
	s_wait_alu 0xfffe
	s_and_saveexec_b32 s16, s14
	s_cbranch_execz .LBB356_237
; %bb.236:
	v_sub_f32_e32 v18, v24, v22
	s_delay_alu instid0(VALU_DEP_1) | instskip(NEXT) | instid1(VALU_DEP_1)
	v_mul_f32_e32 v23, 0x3fb8aa3b, v18
	v_fma_f32 v24, 0x3fb8aa3b, v18, -v23
	v_rndne_f32_e32 v25, v23
	s_delay_alu instid0(VALU_DEP_1) | instskip(SKIP_1) | instid1(VALU_DEP_2)
	v_dual_sub_f32 v23, v23, v25 :: v_dual_fmamk_f32 v24, v18, 0x32a5705f, v24
	v_cmp_ngt_f32_e64 s14, 0xc2ce8ed0, v18
	v_add_f32_e32 v23, v23, v24
	v_cvt_i32_f32_e32 v24, v25
	s_delay_alu instid0(VALU_DEP_2) | instskip(NEXT) | instid1(TRANS32_DEP_1)
	v_exp_f32_e32 v23, v23
	v_ldexp_f32 v23, v23, v24
	s_wait_alu 0xf1ff
	s_delay_alu instid0(VALU_DEP_1) | instskip(SKIP_2) | instid1(VALU_DEP_1)
	v_cndmask_b32_e64 v23, 0, v23, s14
	v_cmp_nlt_f32_e64 s14, 0x42b17218, v18
	s_wait_alu 0xf1ff
	v_cndmask_b32_e64 v18, 0x7f800000, v23, s14
	s_delay_alu instid0(VALU_DEP_1) | instskip(NEXT) | instid1(VALU_DEP_1)
	v_add_f32_e32 v25, 1.0, v18
	v_cvt_f64_f32_e32 v[23:24], v25
	s_delay_alu instid0(VALU_DEP_1) | instskip(SKIP_1) | instid1(VALU_DEP_1)
	v_frexp_exp_i32_f64_e32 v23, v[23:24]
	v_frexp_mant_f32_e32 v24, v25
	v_cmp_gt_f32_e64 s14, 0x3f2aaaab, v24
	v_add_f32_e32 v24, -1.0, v25
	s_delay_alu instid0(VALU_DEP_1) | instskip(SKIP_1) | instid1(VALU_DEP_3)
	v_dual_sub_f32 v27, v24, v25 :: v_dual_sub_f32 v24, v18, v24
	s_wait_alu 0xf1ff
	v_subrev_co_ci_u32_e64 v23, null, 0, v23, s14
	s_mov_b32 s14, 0x3e9b6dac
	v_sub_nc_u32_e32 v26, 0, v23
	v_cvt_f32_i32_e32 v23, v23
	s_delay_alu instid0(VALU_DEP_2) | instskip(NEXT) | instid1(VALU_DEP_1)
	v_ldexp_f32 v25, v25, v26
	v_dual_add_f32 v27, 1.0, v27 :: v_dual_add_f32 v28, 1.0, v25
	s_delay_alu instid0(VALU_DEP_1) | instskip(NEXT) | instid1(VALU_DEP_1)
	v_dual_add_f32 v24, v24, v27 :: v_dual_add_f32 v27, -1.0, v28
	v_ldexp_f32 v24, v24, v26
	s_delay_alu instid0(VALU_DEP_2) | instskip(NEXT) | instid1(VALU_DEP_1)
	v_dual_add_f32 v26, -1.0, v25 :: v_dual_sub_f32 v27, v25, v27
	v_add_f32_e32 v29, 1.0, v26
	s_delay_alu instid0(VALU_DEP_2) | instskip(NEXT) | instid1(VALU_DEP_2)
	v_add_f32_e32 v27, v24, v27
	v_sub_f32_e32 v25, v25, v29
	s_delay_alu instid0(VALU_DEP_1) | instskip(NEXT) | instid1(VALU_DEP_1)
	v_add_f32_e32 v24, v24, v25
	v_dual_add_f32 v30, v26, v24 :: v_dual_add_f32 v29, v28, v27
	s_delay_alu instid0(VALU_DEP_1) | instskip(NEXT) | instid1(VALU_DEP_2)
	v_sub_f32_e32 v26, v26, v30
	v_rcp_f32_e32 v25, v29
	v_sub_f32_e32 v28, v28, v29
	s_delay_alu instid0(VALU_DEP_1) | instskip(NEXT) | instid1(TRANS32_DEP_1)
	v_dual_add_f32 v24, v24, v26 :: v_dual_add_f32 v27, v27, v28
	v_mul_f32_e32 v31, v30, v25
	s_delay_alu instid0(VALU_DEP_1) | instskip(NEXT) | instid1(VALU_DEP_1)
	v_mul_f32_e32 v32, v29, v31
	v_fma_f32 v28, v31, v29, -v32
	s_delay_alu instid0(VALU_DEP_1) | instskip(NEXT) | instid1(VALU_DEP_1)
	v_fmac_f32_e32 v28, v31, v27
	v_add_f32_e32 v33, v32, v28
	s_delay_alu instid0(VALU_DEP_1) | instskip(NEXT) | instid1(VALU_DEP_1)
	v_sub_f32_e32 v34, v30, v33
	v_sub_f32_e32 v30, v30, v34
	;; [unrolled: 1-line block ×3, first 2 shown]
	s_delay_alu instid0(VALU_DEP_2) | instskip(NEXT) | instid1(VALU_DEP_2)
	v_sub_f32_e32 v30, v30, v33
	v_sub_f32_e32 v26, v26, v28
	s_delay_alu instid0(VALU_DEP_2) | instskip(NEXT) | instid1(VALU_DEP_1)
	v_add_f32_e32 v24, v24, v30
	v_add_f32_e32 v24, v26, v24
	s_delay_alu instid0(VALU_DEP_1) | instskip(NEXT) | instid1(VALU_DEP_1)
	v_add_f32_e32 v26, v34, v24
	v_mul_f32_e32 v28, v25, v26
	s_delay_alu instid0(VALU_DEP_1) | instskip(NEXT) | instid1(VALU_DEP_1)
	v_dual_sub_f32 v33, v34, v26 :: v_dual_mul_f32 v30, v29, v28
	v_add_f32_e32 v24, v24, v33
	s_delay_alu instid0(VALU_DEP_2) | instskip(NEXT) | instid1(VALU_DEP_1)
	v_fma_f32 v29, v28, v29, -v30
	v_fmac_f32_e32 v29, v28, v27
	s_delay_alu instid0(VALU_DEP_1) | instskip(NEXT) | instid1(VALU_DEP_1)
	v_add_f32_e32 v27, v30, v29
	v_sub_f32_e32 v32, v26, v27
	v_sub_f32_e32 v30, v27, v30
	s_delay_alu instid0(VALU_DEP_2) | instskip(NEXT) | instid1(VALU_DEP_1)
	v_sub_f32_e32 v26, v26, v32
	v_sub_f32_e32 v26, v26, v27
	s_delay_alu instid0(VALU_DEP_1) | instskip(SKIP_1) | instid1(VALU_DEP_1)
	v_dual_sub_f32 v27, v30, v29 :: v_dual_add_f32 v24, v24, v26
	v_add_f32_e32 v26, v31, v28
	v_dual_add_f32 v24, v27, v24 :: v_dual_sub_f32 v27, v26, v31
	s_delay_alu instid0(VALU_DEP_1) | instskip(NEXT) | instid1(VALU_DEP_1)
	v_add_f32_e32 v24, v32, v24
	v_dual_sub_f32 v27, v28, v27 :: v_dual_mul_f32 v24, v25, v24
	s_delay_alu instid0(VALU_DEP_1) | instskip(NEXT) | instid1(VALU_DEP_1)
	v_add_f32_e32 v24, v27, v24
	v_add_f32_e32 v25, v26, v24
	s_delay_alu instid0(VALU_DEP_1) | instskip(SKIP_1) | instid1(VALU_DEP_1)
	v_mul_f32_e32 v27, v25, v25
	s_wait_alu 0xfffe
	v_fmaak_f32 v28, s14, v27, 0x3ecc95a3
	v_mul_f32_e32 v29, v25, v27
	v_cmp_neq_f32_e64 s14, 0x7f800000, v18
	s_delay_alu instid0(VALU_DEP_3) | instskip(SKIP_2) | instid1(VALU_DEP_3)
	v_fmaak_f32 v27, v27, v28, 0x3f2aaada
	v_ldexp_f32 v28, v25, 1
	v_sub_f32_e32 v25, v25, v26
	v_mul_f32_e32 v27, v29, v27
	s_delay_alu instid0(VALU_DEP_2) | instskip(NEXT) | instid1(VALU_DEP_2)
	v_dual_mul_f32 v29, 0x3f317218, v23 :: v_dual_sub_f32 v24, v24, v25
	v_add_f32_e32 v26, v28, v27
	s_delay_alu instid0(VALU_DEP_2) | instskip(NEXT) | instid1(VALU_DEP_2)
	v_ldexp_f32 v24, v24, 1
	v_sub_f32_e32 v25, v26, v28
	s_delay_alu instid0(VALU_DEP_4) | instskip(NEXT) | instid1(VALU_DEP_2)
	v_fma_f32 v28, 0x3f317218, v23, -v29
	v_sub_f32_e32 v25, v27, v25
	s_delay_alu instid0(VALU_DEP_1) | instskip(NEXT) | instid1(VALU_DEP_1)
	v_dual_fmamk_f32 v23, v23, 0xb102e308, v28 :: v_dual_add_f32 v24, v24, v25
	v_add_f32_e32 v25, v29, v23
	s_delay_alu instid0(VALU_DEP_1) | instskip(NEXT) | instid1(VALU_DEP_1)
	v_sub_f32_e32 v29, v25, v29
	v_sub_f32_e32 v23, v23, v29
	s_delay_alu instid0(VALU_DEP_4) | instskip(NEXT) | instid1(VALU_DEP_1)
	v_add_f32_e32 v27, v26, v24
	v_sub_f32_e32 v26, v27, v26
	s_delay_alu instid0(VALU_DEP_1) | instskip(SKIP_1) | instid1(VALU_DEP_1)
	v_sub_f32_e32 v24, v24, v26
	v_add_f32_e32 v28, v25, v27
	v_sub_f32_e32 v30, v28, v25
	s_delay_alu instid0(VALU_DEP_1) | instskip(NEXT) | instid1(VALU_DEP_4)
	v_sub_f32_e32 v26, v27, v30
	v_add_f32_e32 v27, v23, v24
	v_sub_f32_e32 v31, v28, v30
	s_delay_alu instid0(VALU_DEP_1) | instskip(NEXT) | instid1(VALU_DEP_1)
	v_sub_f32_e32 v25, v25, v31
	v_dual_add_f32 v25, v26, v25 :: v_dual_sub_f32 v26, v27, v23
	s_delay_alu instid0(VALU_DEP_1) | instskip(SKIP_1) | instid1(VALU_DEP_2)
	v_dual_add_f32 v25, v27, v25 :: v_dual_sub_f32 v24, v24, v26
	v_sub_f32_e32 v27, v27, v26
	v_add_f32_e32 v29, v28, v25
	s_delay_alu instid0(VALU_DEP_1) | instskip(NEXT) | instid1(VALU_DEP_1)
	v_dual_sub_f32 v23, v23, v27 :: v_dual_sub_f32 v26, v29, v28
	v_dual_add_f32 v23, v24, v23 :: v_dual_sub_f32 v24, v25, v26
	s_delay_alu instid0(VALU_DEP_1) | instskip(NEXT) | instid1(VALU_DEP_1)
	v_add_f32_e32 v23, v23, v24
	v_add_f32_e32 v23, v29, v23
	s_wait_alu 0xf1ff
	s_delay_alu instid0(VALU_DEP_1) | instskip(SKIP_2) | instid1(VALU_DEP_1)
	v_cndmask_b32_e64 v23, 0x7f800000, v23, s14
	v_cmp_gt_f32_e64 s14, 0x33800000, |v18|
	s_wait_alu 0xf1ff
	v_cndmask_b32_e64 v18, v23, v18, s14
	s_delay_alu instid0(VALU_DEP_1) | instskip(NEXT) | instid1(VALU_DEP_1)
	v_add_f32_e32 v18, v22, v18
	v_cvt_f16_f32_e32 v23, v18
	s_delay_alu instid0(VALU_DEP_1)
	v_cvt_f32_f16_e32 v18, v23
.LBB356_237:
	s_or_b32 exec_lo, exec_lo, s16
	ds_load_u16 v22, v14 offset:14
	v_max_num_f32_e32 v24, v18, v18
	v_cmp_u_f16_e64 s14, v23, v23
	s_wait_dscnt 0x0
	v_cvt_f32_f16_e32 v25, v22
	s_delay_alu instid0(VALU_DEP_1) | instskip(SKIP_2) | instid1(VALU_DEP_2)
	v_min_num_f32_e32 v26, v24, v25
	v_max_num_f32_e32 v24, v24, v25
	s_wait_alu 0xf1ff
	v_cndmask_b32_e64 v26, v26, v18, s14
	s_delay_alu instid0(VALU_DEP_2) | instskip(SKIP_2) | instid1(VALU_DEP_1)
	v_cndmask_b32_e64 v18, v24, v18, s14
	v_cmp_u_f16_e64 s14, v22, v22
	s_wait_alu 0xf1ff
	v_cndmask_b32_e64 v22, v26, v25, s14
	s_delay_alu instid0(VALU_DEP_3) | instskip(NEXT) | instid1(VALU_DEP_2)
	v_cndmask_b32_e64 v18, v18, v25, s14
	v_cmp_class_f32_e64 s16, v22, 0x1f8
	s_delay_alu instid0(VALU_DEP_2)
	v_cmp_neq_f32_e64 s14, v22, v18
	s_or_b32 s14, s14, s16
	s_wait_alu 0xfffe
	s_and_saveexec_b32 s16, s14
	s_cbranch_execz .LBB356_239
; %bb.238:
	v_sub_f32_e32 v22, v22, v18
	s_delay_alu instid0(VALU_DEP_1) | instskip(NEXT) | instid1(VALU_DEP_1)
	v_mul_f32_e32 v23, 0x3fb8aa3b, v22
	v_fma_f32 v24, 0x3fb8aa3b, v22, -v23
	v_rndne_f32_e32 v25, v23
	s_delay_alu instid0(VALU_DEP_1) | instskip(SKIP_1) | instid1(VALU_DEP_2)
	v_dual_sub_f32 v23, v23, v25 :: v_dual_fmamk_f32 v24, v22, 0x32a5705f, v24
	v_cmp_ngt_f32_e64 s14, 0xc2ce8ed0, v22
	v_add_f32_e32 v23, v23, v24
	v_cvt_i32_f32_e32 v24, v25
	s_delay_alu instid0(VALU_DEP_2) | instskip(NEXT) | instid1(TRANS32_DEP_1)
	v_exp_f32_e32 v23, v23
	v_ldexp_f32 v23, v23, v24
	s_wait_alu 0xf1ff
	s_delay_alu instid0(VALU_DEP_1) | instskip(SKIP_2) | instid1(VALU_DEP_1)
	v_cndmask_b32_e64 v23, 0, v23, s14
	v_cmp_nlt_f32_e64 s14, 0x42b17218, v22
	s_wait_alu 0xf1ff
	v_cndmask_b32_e64 v24, 0x7f800000, v23, s14
	s_delay_alu instid0(VALU_DEP_1) | instskip(NEXT) | instid1(VALU_DEP_1)
	v_add_f32_e32 v25, 1.0, v24
	v_cvt_f64_f32_e32 v[22:23], v25
	s_delay_alu instid0(VALU_DEP_1) | instskip(SKIP_1) | instid1(VALU_DEP_1)
	v_frexp_exp_i32_f64_e32 v22, v[22:23]
	v_frexp_mant_f32_e32 v23, v25
	v_cmp_gt_f32_e64 s14, 0x3f2aaaab, v23
	v_add_f32_e32 v23, -1.0, v25
	s_delay_alu instid0(VALU_DEP_1)
	v_sub_f32_e32 v27, v23, v25
	v_sub_f32_e32 v23, v24, v23
	s_wait_alu 0xf1ff
	v_subrev_co_ci_u32_e64 v22, null, 0, v22, s14
	s_mov_b32 s14, 0x3e9b6dac
	v_sub_nc_u32_e32 v26, 0, v22
	v_cvt_f32_i32_e32 v22, v22
	s_delay_alu instid0(VALU_DEP_2) | instskip(NEXT) | instid1(VALU_DEP_1)
	v_ldexp_f32 v25, v25, v26
	v_dual_add_f32 v28, 1.0, v25 :: v_dual_add_f32 v27, 1.0, v27
	s_delay_alu instid0(VALU_DEP_1) | instskip(NEXT) | instid1(VALU_DEP_2)
	v_add_f32_e32 v23, v23, v27
	v_add_f32_e32 v27, -1.0, v28
	s_delay_alu instid0(VALU_DEP_2) | instskip(NEXT) | instid1(VALU_DEP_2)
	v_ldexp_f32 v23, v23, v26
	v_dual_add_f32 v26, -1.0, v25 :: v_dual_sub_f32 v27, v25, v27
	s_delay_alu instid0(VALU_DEP_1) | instskip(NEXT) | instid1(VALU_DEP_2)
	v_add_f32_e32 v29, 1.0, v26
	v_add_f32_e32 v27, v23, v27
	s_delay_alu instid0(VALU_DEP_2) | instskip(NEXT) | instid1(VALU_DEP_2)
	v_sub_f32_e32 v25, v25, v29
	v_add_f32_e32 v29, v28, v27
	s_delay_alu instid0(VALU_DEP_2) | instskip(NEXT) | instid1(VALU_DEP_2)
	v_add_f32_e32 v23, v23, v25
	v_rcp_f32_e32 v25, v29
	v_sub_f32_e32 v28, v28, v29
	s_delay_alu instid0(VALU_DEP_1) | instskip(NEXT) | instid1(VALU_DEP_1)
	v_dual_add_f32 v30, v26, v23 :: v_dual_add_f32 v27, v27, v28
	v_sub_f32_e32 v26, v26, v30
	s_delay_alu instid0(TRANS32_DEP_1) | instskip(NEXT) | instid1(VALU_DEP_1)
	v_mul_f32_e32 v31, v30, v25
	v_dual_add_f32 v23, v23, v26 :: v_dual_mul_f32 v32, v29, v31
	s_delay_alu instid0(VALU_DEP_1) | instskip(NEXT) | instid1(VALU_DEP_1)
	v_fma_f32 v28, v31, v29, -v32
	v_fmac_f32_e32 v28, v31, v27
	s_delay_alu instid0(VALU_DEP_1) | instskip(NEXT) | instid1(VALU_DEP_1)
	v_add_f32_e32 v33, v32, v28
	v_sub_f32_e32 v34, v30, v33
	v_sub_f32_e32 v26, v33, v32
	s_delay_alu instid0(VALU_DEP_2) | instskip(NEXT) | instid1(VALU_DEP_2)
	v_sub_f32_e32 v30, v30, v34
	v_sub_f32_e32 v26, v26, v28
	s_delay_alu instid0(VALU_DEP_2) | instskip(NEXT) | instid1(VALU_DEP_1)
	v_sub_f32_e32 v30, v30, v33
	v_add_f32_e32 v23, v23, v30
	s_delay_alu instid0(VALU_DEP_1) | instskip(NEXT) | instid1(VALU_DEP_1)
	v_add_f32_e32 v23, v26, v23
	v_add_f32_e32 v26, v34, v23
	s_delay_alu instid0(VALU_DEP_1) | instskip(NEXT) | instid1(VALU_DEP_1)
	v_mul_f32_e32 v28, v25, v26
	v_dual_sub_f32 v33, v34, v26 :: v_dual_mul_f32 v30, v29, v28
	s_delay_alu instid0(VALU_DEP_1) | instskip(NEXT) | instid1(VALU_DEP_2)
	v_add_f32_e32 v23, v23, v33
	v_fma_f32 v29, v28, v29, -v30
	s_delay_alu instid0(VALU_DEP_1) | instskip(NEXT) | instid1(VALU_DEP_1)
	v_fmac_f32_e32 v29, v28, v27
	v_add_f32_e32 v27, v30, v29
	s_delay_alu instid0(VALU_DEP_1) | instskip(SKIP_1) | instid1(VALU_DEP_2)
	v_sub_f32_e32 v32, v26, v27
	v_sub_f32_e32 v30, v27, v30
	;; [unrolled: 1-line block ×3, first 2 shown]
	s_delay_alu instid0(VALU_DEP_1) | instskip(NEXT) | instid1(VALU_DEP_3)
	v_sub_f32_e32 v26, v26, v27
	v_sub_f32_e32 v27, v30, v29
	s_delay_alu instid0(VALU_DEP_2) | instskip(SKIP_1) | instid1(VALU_DEP_2)
	v_add_f32_e32 v23, v23, v26
	v_add_f32_e32 v26, v31, v28
	;; [unrolled: 1-line block ×3, first 2 shown]
	s_delay_alu instid0(VALU_DEP_2) | instskip(NEXT) | instid1(VALU_DEP_2)
	v_sub_f32_e32 v27, v26, v31
	v_add_f32_e32 v23, v32, v23
	s_delay_alu instid0(VALU_DEP_2) | instskip(NEXT) | instid1(VALU_DEP_2)
	v_sub_f32_e32 v27, v28, v27
	v_mul_f32_e32 v23, v25, v23
	s_delay_alu instid0(VALU_DEP_1) | instskip(NEXT) | instid1(VALU_DEP_1)
	v_add_f32_e32 v23, v27, v23
	v_add_f32_e32 v25, v26, v23
	s_delay_alu instid0(VALU_DEP_1) | instskip(SKIP_1) | instid1(VALU_DEP_1)
	v_mul_f32_e32 v27, v25, v25
	s_wait_alu 0xfffe
	v_fmaak_f32 v28, s14, v27, 0x3ecc95a3
	v_mul_f32_e32 v29, v25, v27
	v_cmp_neq_f32_e64 s14, 0x7f800000, v24
	s_delay_alu instid0(VALU_DEP_3) | instskip(SKIP_2) | instid1(VALU_DEP_3)
	v_fmaak_f32 v27, v27, v28, 0x3f2aaada
	v_ldexp_f32 v28, v25, 1
	v_sub_f32_e32 v25, v25, v26
	v_mul_f32_e32 v27, v29, v27
	v_mul_f32_e32 v29, 0x3f317218, v22
	s_delay_alu instid0(VALU_DEP_2) | instskip(NEXT) | instid1(VALU_DEP_1)
	v_dual_sub_f32 v23, v23, v25 :: v_dual_add_f32 v26, v28, v27
	v_ldexp_f32 v23, v23, 1
	s_delay_alu instid0(VALU_DEP_2) | instskip(NEXT) | instid1(VALU_DEP_4)
	v_sub_f32_e32 v25, v26, v28
	v_fma_f32 v28, 0x3f317218, v22, -v29
	s_delay_alu instid0(VALU_DEP_1) | instskip(NEXT) | instid1(VALU_DEP_1)
	v_dual_sub_f32 v25, v27, v25 :: v_dual_fmamk_f32 v22, v22, 0xb102e308, v28
	v_add_f32_e32 v23, v23, v25
	s_delay_alu instid0(VALU_DEP_2) | instskip(NEXT) | instid1(VALU_DEP_2)
	v_add_f32_e32 v25, v29, v22
	v_add_f32_e32 v27, v26, v23
	s_delay_alu instid0(VALU_DEP_2) | instskip(NEXT) | instid1(VALU_DEP_2)
	v_sub_f32_e32 v29, v25, v29
	v_add_f32_e32 v28, v25, v27
	v_sub_f32_e32 v26, v27, v26
	s_delay_alu instid0(VALU_DEP_3) | instskip(NEXT) | instid1(VALU_DEP_2)
	v_sub_f32_e32 v22, v22, v29
	v_dual_sub_f32 v30, v28, v25 :: v_dual_sub_f32 v23, v23, v26
	s_delay_alu instid0(VALU_DEP_1) | instskip(NEXT) | instid1(VALU_DEP_2)
	v_sub_f32_e32 v31, v28, v30
	v_dual_sub_f32 v26, v27, v30 :: v_dual_add_f32 v27, v22, v23
	s_delay_alu instid0(VALU_DEP_2) | instskip(NEXT) | instid1(VALU_DEP_1)
	v_sub_f32_e32 v25, v25, v31
	v_dual_add_f32 v25, v26, v25 :: v_dual_sub_f32 v26, v27, v22
	s_delay_alu instid0(VALU_DEP_1) | instskip(NEXT) | instid1(VALU_DEP_2)
	v_add_f32_e32 v25, v27, v25
	v_sub_f32_e32 v27, v27, v26
	v_sub_f32_e32 v23, v23, v26
	s_delay_alu instid0(VALU_DEP_2) | instskip(NEXT) | instid1(VALU_DEP_1)
	v_dual_add_f32 v29, v28, v25 :: v_dual_sub_f32 v22, v22, v27
	v_sub_f32_e32 v26, v29, v28
	s_delay_alu instid0(VALU_DEP_2) | instskip(NEXT) | instid1(VALU_DEP_2)
	v_add_f32_e32 v22, v23, v22
	v_sub_f32_e32 v23, v25, v26
	s_delay_alu instid0(VALU_DEP_1) | instskip(NEXT) | instid1(VALU_DEP_1)
	v_add_f32_e32 v22, v22, v23
	v_add_f32_e32 v22, v29, v22
	s_wait_alu 0xf1ff
	s_delay_alu instid0(VALU_DEP_1) | instskip(SKIP_2) | instid1(VALU_DEP_1)
	v_cndmask_b32_e64 v22, 0x7f800000, v22, s14
	v_cmp_gt_f32_e64 s14, 0x33800000, |v24|
	s_wait_alu 0xf1ff
	v_cndmask_b32_e64 v22, v22, v24, s14
	s_delay_alu instid0(VALU_DEP_1) | instskip(NEXT) | instid1(VALU_DEP_1)
	v_add_f32_e32 v18, v18, v22
	v_cvt_f16_f32_e32 v23, v18
.LBB356_239:
	s_or_b32 exec_lo, exec_lo, s16
	v_mbcnt_lo_u32_b32 v18, -1, 0
	s_delay_alu instid0(VALU_DEP_2) | instskip(SKIP_1) | instid1(VALU_DEP_2)
	v_and_b32_e32 v24, 0xffff, v23
	s_mov_b32 s16, exec_lo
	v_and_b32_e32 v22, 15, v18
	s_delay_alu instid0(VALU_DEP_2) | instskip(NEXT) | instid1(VALU_DEP_2)
	v_mov_b32_dpp v25, v24 row_shr:1 row_mask:0xf bank_mask:0xf
	v_cmpx_ne_u32_e32 0, v22
	s_xor_b32 s16, exec_lo, s16
	s_cbranch_execz .LBB356_243
; %bb.240:
	s_delay_alu instid0(VALU_DEP_2) | instskip(SKIP_2) | instid1(VALU_DEP_2)
	v_cvt_f32_f16_e32 v24, v25
	v_cvt_f32_f16_e32 v26, v23
	v_cmp_u_f16_e64 s14, v25, v25
	v_min_num_f32_e32 v27, v24, v26
	v_max_num_f32_e32 v28, v24, v26
	s_wait_alu 0xf1ff
	s_delay_alu instid0(VALU_DEP_2) | instskip(NEXT) | instid1(VALU_DEP_2)
	v_cndmask_b32_e64 v27, v27, v24, s14
	v_cndmask_b32_e64 v28, v28, v24, s14
	v_cmp_u_f16_e64 s14, v23, v23
	s_wait_alu 0xf1ff
	s_delay_alu instid0(VALU_DEP_1) | instskip(NEXT) | instid1(VALU_DEP_3)
	v_cndmask_b32_e64 v24, v27, v26, s14
	v_cndmask_b32_e64 v23, v28, v26, s14
	s_delay_alu instid0(VALU_DEP_2) | instskip(NEXT) | instid1(VALU_DEP_2)
	v_cmp_class_f32_e64 s22, v24, 0x1f8
	v_cmp_neq_f32_e64 s14, v24, v23
	s_or_b32 s14, s14, s22
	s_wait_alu 0xfffe
	s_and_saveexec_b32 s22, s14
	s_cbranch_execz .LBB356_242
; %bb.241:
	v_sub_f32_e32 v24, v24, v23
	s_delay_alu instid0(VALU_DEP_1) | instskip(NEXT) | instid1(VALU_DEP_1)
	v_mul_f32_e32 v25, 0x3fb8aa3b, v24
	v_fma_f32 v26, 0x3fb8aa3b, v24, -v25
	v_rndne_f32_e32 v27, v25
	s_delay_alu instid0(VALU_DEP_1) | instskip(NEXT) | instid1(VALU_DEP_1)
	v_dual_fmamk_f32 v26, v24, 0x32a5705f, v26 :: v_dual_sub_f32 v25, v25, v27
	v_add_f32_e32 v25, v25, v26
	v_cvt_i32_f32_e32 v26, v27
	v_cmp_ngt_f32_e64 s14, 0xc2ce8ed0, v24
	s_delay_alu instid0(VALU_DEP_3) | instskip(NEXT) | instid1(TRANS32_DEP_1)
	v_exp_f32_e32 v25, v25
	v_ldexp_f32 v25, v25, v26
	s_wait_alu 0xf1ff
	s_delay_alu instid0(VALU_DEP_1) | instskip(SKIP_2) | instid1(VALU_DEP_1)
	v_cndmask_b32_e64 v25, 0, v25, s14
	v_cmp_nlt_f32_e64 s14, 0x42b17218, v24
	s_wait_alu 0xf1ff
	v_cndmask_b32_e64 v26, 0x7f800000, v25, s14
	s_delay_alu instid0(VALU_DEP_1) | instskip(NEXT) | instid1(VALU_DEP_1)
	v_add_f32_e32 v27, 1.0, v26
	v_cvt_f64_f32_e32 v[24:25], v27
	s_delay_alu instid0(VALU_DEP_1) | instskip(SKIP_1) | instid1(VALU_DEP_1)
	v_frexp_exp_i32_f64_e32 v24, v[24:25]
	v_frexp_mant_f32_e32 v25, v27
	v_cmp_gt_f32_e64 s14, 0x3f2aaaab, v25
	v_add_f32_e32 v25, -1.0, v27
	s_delay_alu instid0(VALU_DEP_1) | instskip(SKIP_1) | instid1(VALU_DEP_3)
	v_sub_f32_e32 v29, v25, v27
	s_wait_alu 0xf1ff
	v_subrev_co_ci_u32_e64 v24, null, 0, v24, s14
	s_mov_b32 s14, 0x3e9b6dac
	v_sub_nc_u32_e32 v28, 0, v24
	v_cvt_f32_i32_e32 v24, v24
	s_delay_alu instid0(VALU_DEP_2) | instskip(NEXT) | instid1(VALU_DEP_1)
	v_ldexp_f32 v27, v27, v28
	v_dual_sub_f32 v25, v26, v25 :: v_dual_add_f32 v30, 1.0, v27
	v_add_f32_e32 v29, 1.0, v29
	s_delay_alu instid0(VALU_DEP_1) | instskip(NEXT) | instid1(VALU_DEP_3)
	v_add_f32_e32 v25, v25, v29
	v_add_f32_e32 v29, -1.0, v30
	s_delay_alu instid0(VALU_DEP_2) | instskip(NEXT) | instid1(VALU_DEP_2)
	v_ldexp_f32 v25, v25, v28
	v_dual_add_f32 v28, -1.0, v27 :: v_dual_sub_f32 v29, v27, v29
	s_delay_alu instid0(VALU_DEP_1) | instskip(NEXT) | instid1(VALU_DEP_2)
	v_add_f32_e32 v31, 1.0, v28
	v_add_f32_e32 v29, v25, v29
	s_delay_alu instid0(VALU_DEP_2) | instskip(NEXT) | instid1(VALU_DEP_2)
	v_sub_f32_e32 v27, v27, v31
	v_add_f32_e32 v31, v30, v29
	s_delay_alu instid0(VALU_DEP_2) | instskip(NEXT) | instid1(VALU_DEP_2)
	v_add_f32_e32 v25, v25, v27
	v_rcp_f32_e32 v27, v31
	v_sub_f32_e32 v30, v30, v31
	s_delay_alu instid0(VALU_DEP_1) | instskip(NEXT) | instid1(VALU_DEP_1)
	v_dual_add_f32 v32, v28, v25 :: v_dual_add_f32 v29, v29, v30
	v_sub_f32_e32 v28, v28, v32
	s_delay_alu instid0(TRANS32_DEP_1) | instskip(NEXT) | instid1(VALU_DEP_1)
	v_mul_f32_e32 v33, v32, v27
	v_dual_add_f32 v25, v25, v28 :: v_dual_mul_f32 v34, v31, v33
	s_delay_alu instid0(VALU_DEP_1) | instskip(NEXT) | instid1(VALU_DEP_1)
	v_fma_f32 v30, v33, v31, -v34
	v_fmac_f32_e32 v30, v33, v29
	s_delay_alu instid0(VALU_DEP_1) | instskip(NEXT) | instid1(VALU_DEP_1)
	v_add_f32_e32 v35, v34, v30
	v_sub_f32_e32 v36, v32, v35
	v_sub_f32_e32 v28, v35, v34
	s_delay_alu instid0(VALU_DEP_2) | instskip(NEXT) | instid1(VALU_DEP_2)
	v_sub_f32_e32 v32, v32, v36
	v_sub_f32_e32 v28, v28, v30
	s_delay_alu instid0(VALU_DEP_2) | instskip(NEXT) | instid1(VALU_DEP_1)
	v_sub_f32_e32 v32, v32, v35
	v_add_f32_e32 v25, v25, v32
	s_delay_alu instid0(VALU_DEP_1) | instskip(NEXT) | instid1(VALU_DEP_1)
	v_add_f32_e32 v25, v28, v25
	v_add_f32_e32 v28, v36, v25
	s_delay_alu instid0(VALU_DEP_1) | instskip(NEXT) | instid1(VALU_DEP_1)
	v_mul_f32_e32 v30, v27, v28
	v_dual_sub_f32 v35, v36, v28 :: v_dual_mul_f32 v32, v31, v30
	s_delay_alu instid0(VALU_DEP_1) | instskip(NEXT) | instid1(VALU_DEP_2)
	v_add_f32_e32 v25, v25, v35
	v_fma_f32 v31, v30, v31, -v32
	s_delay_alu instid0(VALU_DEP_1) | instskip(NEXT) | instid1(VALU_DEP_1)
	v_fmac_f32_e32 v31, v30, v29
	v_add_f32_e32 v29, v32, v31
	s_delay_alu instid0(VALU_DEP_1) | instskip(SKIP_1) | instid1(VALU_DEP_2)
	v_sub_f32_e32 v34, v28, v29
	v_sub_f32_e32 v32, v29, v32
	;; [unrolled: 1-line block ×3, first 2 shown]
	s_delay_alu instid0(VALU_DEP_1) | instskip(NEXT) | instid1(VALU_DEP_3)
	v_sub_f32_e32 v28, v28, v29
	v_sub_f32_e32 v29, v32, v31
	s_delay_alu instid0(VALU_DEP_2) | instskip(SKIP_1) | instid1(VALU_DEP_2)
	v_add_f32_e32 v25, v25, v28
	v_add_f32_e32 v28, v33, v30
	;; [unrolled: 1-line block ×3, first 2 shown]
	s_delay_alu instid0(VALU_DEP_2) | instskip(NEXT) | instid1(VALU_DEP_2)
	v_sub_f32_e32 v29, v28, v33
	v_add_f32_e32 v25, v34, v25
	s_delay_alu instid0(VALU_DEP_2) | instskip(NEXT) | instid1(VALU_DEP_2)
	v_sub_f32_e32 v29, v30, v29
	v_mul_f32_e32 v25, v27, v25
	s_delay_alu instid0(VALU_DEP_1) | instskip(NEXT) | instid1(VALU_DEP_1)
	v_add_f32_e32 v25, v29, v25
	v_add_f32_e32 v27, v28, v25
	s_delay_alu instid0(VALU_DEP_1) | instskip(SKIP_1) | instid1(VALU_DEP_1)
	v_mul_f32_e32 v29, v27, v27
	s_wait_alu 0xfffe
	v_fmaak_f32 v30, s14, v29, 0x3ecc95a3
	v_mul_f32_e32 v31, v27, v29
	v_cmp_neq_f32_e64 s14, 0x7f800000, v26
	s_delay_alu instid0(VALU_DEP_3) | instskip(SKIP_2) | instid1(VALU_DEP_3)
	v_fmaak_f32 v29, v29, v30, 0x3f2aaada
	v_ldexp_f32 v30, v27, 1
	v_sub_f32_e32 v27, v27, v28
	v_mul_f32_e32 v29, v31, v29
	v_mul_f32_e32 v31, 0x3f317218, v24
	s_delay_alu instid0(VALU_DEP_2) | instskip(NEXT) | instid1(VALU_DEP_1)
	v_dual_sub_f32 v25, v25, v27 :: v_dual_add_f32 v28, v30, v29
	v_ldexp_f32 v25, v25, 1
	s_delay_alu instid0(VALU_DEP_2) | instskip(NEXT) | instid1(VALU_DEP_4)
	v_sub_f32_e32 v27, v28, v30
	v_fma_f32 v30, 0x3f317218, v24, -v31
	s_delay_alu instid0(VALU_DEP_1) | instskip(NEXT) | instid1(VALU_DEP_1)
	v_dual_sub_f32 v27, v29, v27 :: v_dual_fmamk_f32 v24, v24, 0xb102e308, v30
	v_add_f32_e32 v25, v25, v27
	s_delay_alu instid0(VALU_DEP_2) | instskip(NEXT) | instid1(VALU_DEP_2)
	v_add_f32_e32 v27, v31, v24
	v_add_f32_e32 v29, v28, v25
	s_delay_alu instid0(VALU_DEP_2) | instskip(NEXT) | instid1(VALU_DEP_2)
	v_sub_f32_e32 v31, v27, v31
	v_add_f32_e32 v30, v27, v29
	v_sub_f32_e32 v28, v29, v28
	s_delay_alu instid0(VALU_DEP_3) | instskip(NEXT) | instid1(VALU_DEP_2)
	v_sub_f32_e32 v24, v24, v31
	v_dual_sub_f32 v32, v30, v27 :: v_dual_sub_f32 v25, v25, v28
	s_delay_alu instid0(VALU_DEP_1) | instskip(NEXT) | instid1(VALU_DEP_2)
	v_sub_f32_e32 v33, v30, v32
	v_dual_sub_f32 v28, v29, v32 :: v_dual_add_f32 v29, v24, v25
	s_delay_alu instid0(VALU_DEP_2) | instskip(NEXT) | instid1(VALU_DEP_1)
	v_sub_f32_e32 v27, v27, v33
	v_dual_add_f32 v27, v28, v27 :: v_dual_sub_f32 v28, v29, v24
	s_delay_alu instid0(VALU_DEP_1) | instskip(NEXT) | instid1(VALU_DEP_2)
	v_add_f32_e32 v27, v29, v27
	v_sub_f32_e32 v29, v29, v28
	v_sub_f32_e32 v25, v25, v28
	s_delay_alu instid0(VALU_DEP_2) | instskip(NEXT) | instid1(VALU_DEP_1)
	v_dual_add_f32 v31, v30, v27 :: v_dual_sub_f32 v24, v24, v29
	v_sub_f32_e32 v28, v31, v30
	s_delay_alu instid0(VALU_DEP_2) | instskip(NEXT) | instid1(VALU_DEP_2)
	v_add_f32_e32 v24, v25, v24
	v_sub_f32_e32 v25, v27, v28
	s_delay_alu instid0(VALU_DEP_1) | instskip(NEXT) | instid1(VALU_DEP_1)
	v_add_f32_e32 v24, v24, v25
	v_add_f32_e32 v24, v31, v24
	s_wait_alu 0xf1ff
	s_delay_alu instid0(VALU_DEP_1) | instskip(SKIP_2) | instid1(VALU_DEP_1)
	v_cndmask_b32_e64 v24, 0x7f800000, v24, s14
	v_cmp_gt_f32_e64 s14, 0x33800000, |v26|
	s_wait_alu 0xf1ff
	v_cndmask_b32_e64 v24, v24, v26, s14
	s_delay_alu instid0(VALU_DEP_1) | instskip(NEXT) | instid1(VALU_DEP_1)
	v_add_f32_e32 v23, v23, v24
	v_cvt_f16_f32_e32 v25, v23
.LBB356_242:
	s_or_b32 exec_lo, exec_lo, s22
	s_delay_alu instid0(VALU_DEP_1)
	v_dual_mov_b32 v23, v25 :: v_dual_and_b32 v24, 0xffff, v25
.LBB356_243:
	s_or_b32 exec_lo, exec_lo, s16
	s_delay_alu instid0(VALU_DEP_1)
	v_mov_b32_dpp v25, v24 row_shr:2 row_mask:0xf bank_mask:0xf
	s_mov_b32 s16, exec_lo
	v_cmpx_lt_u32_e32 1, v22
	s_cbranch_execz .LBB356_247
; %bb.244:
	s_delay_alu instid0(VALU_DEP_2) | instskip(SKIP_2) | instid1(VALU_DEP_2)
	v_cvt_f32_f16_e32 v24, v25
	v_cvt_f32_f16_e32 v26, v23
	v_cmp_u_f16_e64 s14, v25, v25
	v_min_num_f32_e32 v27, v24, v26
	v_max_num_f32_e32 v28, v24, v26
	s_wait_alu 0xf1ff
	s_delay_alu instid0(VALU_DEP_2) | instskip(NEXT) | instid1(VALU_DEP_2)
	v_cndmask_b32_e64 v27, v27, v24, s14
	v_cndmask_b32_e64 v28, v28, v24, s14
	v_cmp_u_f16_e64 s14, v23, v23
	s_wait_alu 0xf1ff
	s_delay_alu instid0(VALU_DEP_1) | instskip(NEXT) | instid1(VALU_DEP_3)
	v_cndmask_b32_e64 v24, v27, v26, s14
	v_cndmask_b32_e64 v23, v28, v26, s14
	s_delay_alu instid0(VALU_DEP_2) | instskip(NEXT) | instid1(VALU_DEP_2)
	v_cmp_class_f32_e64 s22, v24, 0x1f8
	v_cmp_neq_f32_e64 s14, v24, v23
	s_or_b32 s14, s14, s22
	s_wait_alu 0xfffe
	s_and_saveexec_b32 s22, s14
	s_cbranch_execz .LBB356_246
; %bb.245:
	v_sub_f32_e32 v24, v24, v23
	s_delay_alu instid0(VALU_DEP_1) | instskip(NEXT) | instid1(VALU_DEP_1)
	v_mul_f32_e32 v25, 0x3fb8aa3b, v24
	v_fma_f32 v26, 0x3fb8aa3b, v24, -v25
	v_rndne_f32_e32 v27, v25
	s_delay_alu instid0(VALU_DEP_1) | instskip(NEXT) | instid1(VALU_DEP_1)
	v_dual_fmamk_f32 v26, v24, 0x32a5705f, v26 :: v_dual_sub_f32 v25, v25, v27
	v_add_f32_e32 v25, v25, v26
	v_cvt_i32_f32_e32 v26, v27
	v_cmp_ngt_f32_e64 s14, 0xc2ce8ed0, v24
	s_delay_alu instid0(VALU_DEP_3) | instskip(NEXT) | instid1(TRANS32_DEP_1)
	v_exp_f32_e32 v25, v25
	v_ldexp_f32 v25, v25, v26
	s_wait_alu 0xf1ff
	s_delay_alu instid0(VALU_DEP_1) | instskip(SKIP_2) | instid1(VALU_DEP_1)
	v_cndmask_b32_e64 v25, 0, v25, s14
	v_cmp_nlt_f32_e64 s14, 0x42b17218, v24
	s_wait_alu 0xf1ff
	v_cndmask_b32_e64 v26, 0x7f800000, v25, s14
	s_delay_alu instid0(VALU_DEP_1) | instskip(NEXT) | instid1(VALU_DEP_1)
	v_add_f32_e32 v27, 1.0, v26
	v_cvt_f64_f32_e32 v[24:25], v27
	s_delay_alu instid0(VALU_DEP_1) | instskip(SKIP_1) | instid1(VALU_DEP_1)
	v_frexp_exp_i32_f64_e32 v24, v[24:25]
	v_frexp_mant_f32_e32 v25, v27
	v_cmp_gt_f32_e64 s14, 0x3f2aaaab, v25
	v_add_f32_e32 v25, -1.0, v27
	s_delay_alu instid0(VALU_DEP_1) | instskip(SKIP_1) | instid1(VALU_DEP_3)
	v_sub_f32_e32 v29, v25, v27
	s_wait_alu 0xf1ff
	v_subrev_co_ci_u32_e64 v24, null, 0, v24, s14
	s_mov_b32 s14, 0x3e9b6dac
	v_sub_nc_u32_e32 v28, 0, v24
	v_cvt_f32_i32_e32 v24, v24
	s_delay_alu instid0(VALU_DEP_2) | instskip(NEXT) | instid1(VALU_DEP_1)
	v_ldexp_f32 v27, v27, v28
	v_dual_sub_f32 v25, v26, v25 :: v_dual_add_f32 v30, 1.0, v27
	v_add_f32_e32 v29, 1.0, v29
	s_delay_alu instid0(VALU_DEP_1) | instskip(NEXT) | instid1(VALU_DEP_3)
	v_add_f32_e32 v25, v25, v29
	v_add_f32_e32 v29, -1.0, v30
	s_delay_alu instid0(VALU_DEP_2) | instskip(NEXT) | instid1(VALU_DEP_2)
	v_ldexp_f32 v25, v25, v28
	v_dual_add_f32 v28, -1.0, v27 :: v_dual_sub_f32 v29, v27, v29
	s_delay_alu instid0(VALU_DEP_1) | instskip(NEXT) | instid1(VALU_DEP_2)
	v_add_f32_e32 v31, 1.0, v28
	v_add_f32_e32 v29, v25, v29
	s_delay_alu instid0(VALU_DEP_2) | instskip(NEXT) | instid1(VALU_DEP_2)
	v_sub_f32_e32 v27, v27, v31
	v_add_f32_e32 v31, v30, v29
	s_delay_alu instid0(VALU_DEP_2) | instskip(NEXT) | instid1(VALU_DEP_2)
	v_add_f32_e32 v25, v25, v27
	v_rcp_f32_e32 v27, v31
	v_sub_f32_e32 v30, v30, v31
	s_delay_alu instid0(VALU_DEP_1) | instskip(NEXT) | instid1(VALU_DEP_1)
	v_dual_add_f32 v32, v28, v25 :: v_dual_add_f32 v29, v29, v30
	v_sub_f32_e32 v28, v28, v32
	s_delay_alu instid0(TRANS32_DEP_1) | instskip(NEXT) | instid1(VALU_DEP_1)
	v_mul_f32_e32 v33, v32, v27
	v_dual_add_f32 v25, v25, v28 :: v_dual_mul_f32 v34, v31, v33
	s_delay_alu instid0(VALU_DEP_1) | instskip(NEXT) | instid1(VALU_DEP_1)
	v_fma_f32 v30, v33, v31, -v34
	v_fmac_f32_e32 v30, v33, v29
	s_delay_alu instid0(VALU_DEP_1) | instskip(NEXT) | instid1(VALU_DEP_1)
	v_add_f32_e32 v35, v34, v30
	v_sub_f32_e32 v36, v32, v35
	v_sub_f32_e32 v28, v35, v34
	s_delay_alu instid0(VALU_DEP_2) | instskip(NEXT) | instid1(VALU_DEP_2)
	v_sub_f32_e32 v32, v32, v36
	v_sub_f32_e32 v28, v28, v30
	s_delay_alu instid0(VALU_DEP_2) | instskip(NEXT) | instid1(VALU_DEP_1)
	v_sub_f32_e32 v32, v32, v35
	v_add_f32_e32 v25, v25, v32
	s_delay_alu instid0(VALU_DEP_1) | instskip(NEXT) | instid1(VALU_DEP_1)
	v_add_f32_e32 v25, v28, v25
	v_add_f32_e32 v28, v36, v25
	s_delay_alu instid0(VALU_DEP_1) | instskip(NEXT) | instid1(VALU_DEP_1)
	v_mul_f32_e32 v30, v27, v28
	v_dual_sub_f32 v35, v36, v28 :: v_dual_mul_f32 v32, v31, v30
	s_delay_alu instid0(VALU_DEP_1) | instskip(NEXT) | instid1(VALU_DEP_2)
	v_add_f32_e32 v25, v25, v35
	v_fma_f32 v31, v30, v31, -v32
	s_delay_alu instid0(VALU_DEP_1) | instskip(NEXT) | instid1(VALU_DEP_1)
	v_fmac_f32_e32 v31, v30, v29
	v_add_f32_e32 v29, v32, v31
	s_delay_alu instid0(VALU_DEP_1) | instskip(SKIP_1) | instid1(VALU_DEP_2)
	v_sub_f32_e32 v34, v28, v29
	v_sub_f32_e32 v32, v29, v32
	;; [unrolled: 1-line block ×3, first 2 shown]
	s_delay_alu instid0(VALU_DEP_1) | instskip(NEXT) | instid1(VALU_DEP_3)
	v_sub_f32_e32 v28, v28, v29
	v_sub_f32_e32 v29, v32, v31
	s_delay_alu instid0(VALU_DEP_2) | instskip(SKIP_1) | instid1(VALU_DEP_2)
	v_add_f32_e32 v25, v25, v28
	v_add_f32_e32 v28, v33, v30
	;; [unrolled: 1-line block ×3, first 2 shown]
	s_delay_alu instid0(VALU_DEP_2) | instskip(NEXT) | instid1(VALU_DEP_2)
	v_sub_f32_e32 v29, v28, v33
	v_add_f32_e32 v25, v34, v25
	s_delay_alu instid0(VALU_DEP_2) | instskip(NEXT) | instid1(VALU_DEP_2)
	v_sub_f32_e32 v29, v30, v29
	v_mul_f32_e32 v25, v27, v25
	s_delay_alu instid0(VALU_DEP_1) | instskip(NEXT) | instid1(VALU_DEP_1)
	v_add_f32_e32 v25, v29, v25
	v_add_f32_e32 v27, v28, v25
	s_delay_alu instid0(VALU_DEP_1) | instskip(SKIP_1) | instid1(VALU_DEP_1)
	v_mul_f32_e32 v29, v27, v27
	s_wait_alu 0xfffe
	v_fmaak_f32 v30, s14, v29, 0x3ecc95a3
	v_mul_f32_e32 v31, v27, v29
	v_cmp_neq_f32_e64 s14, 0x7f800000, v26
	s_delay_alu instid0(VALU_DEP_3) | instskip(SKIP_2) | instid1(VALU_DEP_3)
	v_fmaak_f32 v29, v29, v30, 0x3f2aaada
	v_ldexp_f32 v30, v27, 1
	v_sub_f32_e32 v27, v27, v28
	v_mul_f32_e32 v29, v31, v29
	v_mul_f32_e32 v31, 0x3f317218, v24
	s_delay_alu instid0(VALU_DEP_2) | instskip(NEXT) | instid1(VALU_DEP_1)
	v_dual_sub_f32 v25, v25, v27 :: v_dual_add_f32 v28, v30, v29
	v_ldexp_f32 v25, v25, 1
	s_delay_alu instid0(VALU_DEP_2) | instskip(NEXT) | instid1(VALU_DEP_4)
	v_sub_f32_e32 v27, v28, v30
	v_fma_f32 v30, 0x3f317218, v24, -v31
	s_delay_alu instid0(VALU_DEP_1) | instskip(NEXT) | instid1(VALU_DEP_1)
	v_dual_sub_f32 v27, v29, v27 :: v_dual_fmamk_f32 v24, v24, 0xb102e308, v30
	v_add_f32_e32 v25, v25, v27
	s_delay_alu instid0(VALU_DEP_2) | instskip(NEXT) | instid1(VALU_DEP_2)
	v_add_f32_e32 v27, v31, v24
	v_add_f32_e32 v29, v28, v25
	s_delay_alu instid0(VALU_DEP_2) | instskip(NEXT) | instid1(VALU_DEP_2)
	v_sub_f32_e32 v31, v27, v31
	v_add_f32_e32 v30, v27, v29
	v_sub_f32_e32 v28, v29, v28
	s_delay_alu instid0(VALU_DEP_3) | instskip(NEXT) | instid1(VALU_DEP_2)
	v_sub_f32_e32 v24, v24, v31
	v_dual_sub_f32 v32, v30, v27 :: v_dual_sub_f32 v25, v25, v28
	s_delay_alu instid0(VALU_DEP_1) | instskip(NEXT) | instid1(VALU_DEP_2)
	v_sub_f32_e32 v33, v30, v32
	v_dual_sub_f32 v28, v29, v32 :: v_dual_add_f32 v29, v24, v25
	s_delay_alu instid0(VALU_DEP_2) | instskip(NEXT) | instid1(VALU_DEP_1)
	v_sub_f32_e32 v27, v27, v33
	v_dual_add_f32 v27, v28, v27 :: v_dual_sub_f32 v28, v29, v24
	s_delay_alu instid0(VALU_DEP_1) | instskip(NEXT) | instid1(VALU_DEP_2)
	v_add_f32_e32 v27, v29, v27
	v_sub_f32_e32 v29, v29, v28
	v_sub_f32_e32 v25, v25, v28
	s_delay_alu instid0(VALU_DEP_2) | instskip(NEXT) | instid1(VALU_DEP_1)
	v_dual_add_f32 v31, v30, v27 :: v_dual_sub_f32 v24, v24, v29
	v_sub_f32_e32 v28, v31, v30
	s_delay_alu instid0(VALU_DEP_2) | instskip(NEXT) | instid1(VALU_DEP_2)
	v_add_f32_e32 v24, v25, v24
	v_sub_f32_e32 v25, v27, v28
	s_delay_alu instid0(VALU_DEP_1) | instskip(NEXT) | instid1(VALU_DEP_1)
	v_add_f32_e32 v24, v24, v25
	v_add_f32_e32 v24, v31, v24
	s_wait_alu 0xf1ff
	s_delay_alu instid0(VALU_DEP_1) | instskip(SKIP_2) | instid1(VALU_DEP_1)
	v_cndmask_b32_e64 v24, 0x7f800000, v24, s14
	v_cmp_gt_f32_e64 s14, 0x33800000, |v26|
	s_wait_alu 0xf1ff
	v_cndmask_b32_e64 v24, v24, v26, s14
	s_delay_alu instid0(VALU_DEP_1) | instskip(NEXT) | instid1(VALU_DEP_1)
	v_add_f32_e32 v23, v23, v24
	v_cvt_f16_f32_e32 v25, v23
.LBB356_246:
	s_or_b32 exec_lo, exec_lo, s22
	s_delay_alu instid0(VALU_DEP_1)
	v_dual_mov_b32 v23, v25 :: v_dual_and_b32 v24, 0xffff, v25
.LBB356_247:
	s_or_b32 exec_lo, exec_lo, s16
	s_delay_alu instid0(VALU_DEP_1)
	v_mov_b32_dpp v25, v24 row_shr:4 row_mask:0xf bank_mask:0xf
	s_mov_b32 s16, exec_lo
	v_cmpx_lt_u32_e32 3, v22
	s_cbranch_execz .LBB356_251
; %bb.248:
	s_delay_alu instid0(VALU_DEP_2) | instskip(SKIP_2) | instid1(VALU_DEP_2)
	v_cvt_f32_f16_e32 v24, v25
	v_cvt_f32_f16_e32 v26, v23
	v_cmp_u_f16_e64 s14, v25, v25
	v_min_num_f32_e32 v27, v24, v26
	v_max_num_f32_e32 v28, v24, v26
	s_wait_alu 0xf1ff
	s_delay_alu instid0(VALU_DEP_2) | instskip(NEXT) | instid1(VALU_DEP_2)
	v_cndmask_b32_e64 v27, v27, v24, s14
	v_cndmask_b32_e64 v28, v28, v24, s14
	v_cmp_u_f16_e64 s14, v23, v23
	s_wait_alu 0xf1ff
	s_delay_alu instid0(VALU_DEP_1) | instskip(NEXT) | instid1(VALU_DEP_3)
	v_cndmask_b32_e64 v24, v27, v26, s14
	v_cndmask_b32_e64 v23, v28, v26, s14
	s_delay_alu instid0(VALU_DEP_2) | instskip(NEXT) | instid1(VALU_DEP_2)
	v_cmp_class_f32_e64 s22, v24, 0x1f8
	v_cmp_neq_f32_e64 s14, v24, v23
	s_or_b32 s14, s14, s22
	s_wait_alu 0xfffe
	s_and_saveexec_b32 s22, s14
	s_cbranch_execz .LBB356_250
; %bb.249:
	v_sub_f32_e32 v24, v24, v23
	s_delay_alu instid0(VALU_DEP_1) | instskip(NEXT) | instid1(VALU_DEP_1)
	v_mul_f32_e32 v25, 0x3fb8aa3b, v24
	v_fma_f32 v26, 0x3fb8aa3b, v24, -v25
	v_rndne_f32_e32 v27, v25
	s_delay_alu instid0(VALU_DEP_1) | instskip(NEXT) | instid1(VALU_DEP_1)
	v_dual_fmamk_f32 v26, v24, 0x32a5705f, v26 :: v_dual_sub_f32 v25, v25, v27
	v_add_f32_e32 v25, v25, v26
	v_cvt_i32_f32_e32 v26, v27
	v_cmp_ngt_f32_e64 s14, 0xc2ce8ed0, v24
	s_delay_alu instid0(VALU_DEP_3) | instskip(NEXT) | instid1(TRANS32_DEP_1)
	v_exp_f32_e32 v25, v25
	v_ldexp_f32 v25, v25, v26
	s_wait_alu 0xf1ff
	s_delay_alu instid0(VALU_DEP_1) | instskip(SKIP_2) | instid1(VALU_DEP_1)
	v_cndmask_b32_e64 v25, 0, v25, s14
	v_cmp_nlt_f32_e64 s14, 0x42b17218, v24
	s_wait_alu 0xf1ff
	v_cndmask_b32_e64 v26, 0x7f800000, v25, s14
	s_delay_alu instid0(VALU_DEP_1) | instskip(NEXT) | instid1(VALU_DEP_1)
	v_add_f32_e32 v27, 1.0, v26
	v_cvt_f64_f32_e32 v[24:25], v27
	s_delay_alu instid0(VALU_DEP_1) | instskip(SKIP_1) | instid1(VALU_DEP_1)
	v_frexp_exp_i32_f64_e32 v24, v[24:25]
	v_frexp_mant_f32_e32 v25, v27
	v_cmp_gt_f32_e64 s14, 0x3f2aaaab, v25
	v_add_f32_e32 v25, -1.0, v27
	s_delay_alu instid0(VALU_DEP_1) | instskip(SKIP_1) | instid1(VALU_DEP_3)
	v_sub_f32_e32 v29, v25, v27
	s_wait_alu 0xf1ff
	v_subrev_co_ci_u32_e64 v24, null, 0, v24, s14
	s_mov_b32 s14, 0x3e9b6dac
	v_sub_nc_u32_e32 v28, 0, v24
	v_cvt_f32_i32_e32 v24, v24
	s_delay_alu instid0(VALU_DEP_2) | instskip(NEXT) | instid1(VALU_DEP_1)
	v_ldexp_f32 v27, v27, v28
	v_dual_sub_f32 v25, v26, v25 :: v_dual_add_f32 v30, 1.0, v27
	v_add_f32_e32 v29, 1.0, v29
	s_delay_alu instid0(VALU_DEP_1) | instskip(NEXT) | instid1(VALU_DEP_3)
	v_add_f32_e32 v25, v25, v29
	v_add_f32_e32 v29, -1.0, v30
	s_delay_alu instid0(VALU_DEP_2) | instskip(NEXT) | instid1(VALU_DEP_2)
	v_ldexp_f32 v25, v25, v28
	v_dual_add_f32 v28, -1.0, v27 :: v_dual_sub_f32 v29, v27, v29
	s_delay_alu instid0(VALU_DEP_1) | instskip(NEXT) | instid1(VALU_DEP_2)
	v_add_f32_e32 v31, 1.0, v28
	v_add_f32_e32 v29, v25, v29
	s_delay_alu instid0(VALU_DEP_2) | instskip(NEXT) | instid1(VALU_DEP_2)
	v_sub_f32_e32 v27, v27, v31
	v_add_f32_e32 v31, v30, v29
	s_delay_alu instid0(VALU_DEP_2) | instskip(NEXT) | instid1(VALU_DEP_2)
	v_add_f32_e32 v25, v25, v27
	v_rcp_f32_e32 v27, v31
	v_sub_f32_e32 v30, v30, v31
	s_delay_alu instid0(VALU_DEP_1) | instskip(NEXT) | instid1(VALU_DEP_1)
	v_dual_add_f32 v32, v28, v25 :: v_dual_add_f32 v29, v29, v30
	v_sub_f32_e32 v28, v28, v32
	s_delay_alu instid0(TRANS32_DEP_1) | instskip(NEXT) | instid1(VALU_DEP_1)
	v_mul_f32_e32 v33, v32, v27
	v_dual_add_f32 v25, v25, v28 :: v_dual_mul_f32 v34, v31, v33
	s_delay_alu instid0(VALU_DEP_1) | instskip(NEXT) | instid1(VALU_DEP_1)
	v_fma_f32 v30, v33, v31, -v34
	v_fmac_f32_e32 v30, v33, v29
	s_delay_alu instid0(VALU_DEP_1) | instskip(NEXT) | instid1(VALU_DEP_1)
	v_add_f32_e32 v35, v34, v30
	v_sub_f32_e32 v36, v32, v35
	v_sub_f32_e32 v28, v35, v34
	s_delay_alu instid0(VALU_DEP_2) | instskip(NEXT) | instid1(VALU_DEP_2)
	v_sub_f32_e32 v32, v32, v36
	v_sub_f32_e32 v28, v28, v30
	s_delay_alu instid0(VALU_DEP_2) | instskip(NEXT) | instid1(VALU_DEP_1)
	v_sub_f32_e32 v32, v32, v35
	v_add_f32_e32 v25, v25, v32
	s_delay_alu instid0(VALU_DEP_1) | instskip(NEXT) | instid1(VALU_DEP_1)
	v_add_f32_e32 v25, v28, v25
	v_add_f32_e32 v28, v36, v25
	s_delay_alu instid0(VALU_DEP_1) | instskip(NEXT) | instid1(VALU_DEP_1)
	v_mul_f32_e32 v30, v27, v28
	v_dual_sub_f32 v35, v36, v28 :: v_dual_mul_f32 v32, v31, v30
	s_delay_alu instid0(VALU_DEP_1) | instskip(NEXT) | instid1(VALU_DEP_2)
	v_add_f32_e32 v25, v25, v35
	v_fma_f32 v31, v30, v31, -v32
	s_delay_alu instid0(VALU_DEP_1) | instskip(NEXT) | instid1(VALU_DEP_1)
	v_fmac_f32_e32 v31, v30, v29
	v_add_f32_e32 v29, v32, v31
	s_delay_alu instid0(VALU_DEP_1) | instskip(SKIP_1) | instid1(VALU_DEP_2)
	v_sub_f32_e32 v34, v28, v29
	v_sub_f32_e32 v32, v29, v32
	;; [unrolled: 1-line block ×3, first 2 shown]
	s_delay_alu instid0(VALU_DEP_1) | instskip(NEXT) | instid1(VALU_DEP_3)
	v_sub_f32_e32 v28, v28, v29
	v_sub_f32_e32 v29, v32, v31
	s_delay_alu instid0(VALU_DEP_2) | instskip(SKIP_1) | instid1(VALU_DEP_2)
	v_add_f32_e32 v25, v25, v28
	v_add_f32_e32 v28, v33, v30
	;; [unrolled: 1-line block ×3, first 2 shown]
	s_delay_alu instid0(VALU_DEP_2) | instskip(NEXT) | instid1(VALU_DEP_2)
	v_sub_f32_e32 v29, v28, v33
	v_add_f32_e32 v25, v34, v25
	s_delay_alu instid0(VALU_DEP_2) | instskip(NEXT) | instid1(VALU_DEP_2)
	v_sub_f32_e32 v29, v30, v29
	v_mul_f32_e32 v25, v27, v25
	s_delay_alu instid0(VALU_DEP_1) | instskip(NEXT) | instid1(VALU_DEP_1)
	v_add_f32_e32 v25, v29, v25
	v_add_f32_e32 v27, v28, v25
	s_delay_alu instid0(VALU_DEP_1) | instskip(SKIP_1) | instid1(VALU_DEP_1)
	v_mul_f32_e32 v29, v27, v27
	s_wait_alu 0xfffe
	v_fmaak_f32 v30, s14, v29, 0x3ecc95a3
	v_mul_f32_e32 v31, v27, v29
	v_cmp_neq_f32_e64 s14, 0x7f800000, v26
	s_delay_alu instid0(VALU_DEP_3) | instskip(SKIP_2) | instid1(VALU_DEP_3)
	v_fmaak_f32 v29, v29, v30, 0x3f2aaada
	v_ldexp_f32 v30, v27, 1
	v_sub_f32_e32 v27, v27, v28
	v_mul_f32_e32 v29, v31, v29
	v_mul_f32_e32 v31, 0x3f317218, v24
	s_delay_alu instid0(VALU_DEP_2) | instskip(NEXT) | instid1(VALU_DEP_1)
	v_dual_sub_f32 v25, v25, v27 :: v_dual_add_f32 v28, v30, v29
	v_ldexp_f32 v25, v25, 1
	s_delay_alu instid0(VALU_DEP_2) | instskip(NEXT) | instid1(VALU_DEP_4)
	v_sub_f32_e32 v27, v28, v30
	v_fma_f32 v30, 0x3f317218, v24, -v31
	s_delay_alu instid0(VALU_DEP_1) | instskip(NEXT) | instid1(VALU_DEP_1)
	v_dual_sub_f32 v27, v29, v27 :: v_dual_fmamk_f32 v24, v24, 0xb102e308, v30
	v_add_f32_e32 v25, v25, v27
	s_delay_alu instid0(VALU_DEP_2) | instskip(NEXT) | instid1(VALU_DEP_2)
	v_add_f32_e32 v27, v31, v24
	v_add_f32_e32 v29, v28, v25
	s_delay_alu instid0(VALU_DEP_2) | instskip(NEXT) | instid1(VALU_DEP_2)
	v_sub_f32_e32 v31, v27, v31
	v_add_f32_e32 v30, v27, v29
	v_sub_f32_e32 v28, v29, v28
	s_delay_alu instid0(VALU_DEP_3) | instskip(NEXT) | instid1(VALU_DEP_2)
	v_sub_f32_e32 v24, v24, v31
	v_dual_sub_f32 v32, v30, v27 :: v_dual_sub_f32 v25, v25, v28
	s_delay_alu instid0(VALU_DEP_1) | instskip(NEXT) | instid1(VALU_DEP_2)
	v_sub_f32_e32 v33, v30, v32
	v_dual_sub_f32 v28, v29, v32 :: v_dual_add_f32 v29, v24, v25
	s_delay_alu instid0(VALU_DEP_2) | instskip(NEXT) | instid1(VALU_DEP_1)
	v_sub_f32_e32 v27, v27, v33
	v_dual_add_f32 v27, v28, v27 :: v_dual_sub_f32 v28, v29, v24
	s_delay_alu instid0(VALU_DEP_1) | instskip(NEXT) | instid1(VALU_DEP_2)
	v_add_f32_e32 v27, v29, v27
	v_sub_f32_e32 v29, v29, v28
	v_sub_f32_e32 v25, v25, v28
	s_delay_alu instid0(VALU_DEP_2) | instskip(NEXT) | instid1(VALU_DEP_1)
	v_dual_add_f32 v31, v30, v27 :: v_dual_sub_f32 v24, v24, v29
	v_sub_f32_e32 v28, v31, v30
	s_delay_alu instid0(VALU_DEP_2) | instskip(NEXT) | instid1(VALU_DEP_2)
	v_add_f32_e32 v24, v25, v24
	v_sub_f32_e32 v25, v27, v28
	s_delay_alu instid0(VALU_DEP_1) | instskip(NEXT) | instid1(VALU_DEP_1)
	v_add_f32_e32 v24, v24, v25
	v_add_f32_e32 v24, v31, v24
	s_wait_alu 0xf1ff
	s_delay_alu instid0(VALU_DEP_1) | instskip(SKIP_2) | instid1(VALU_DEP_1)
	v_cndmask_b32_e64 v24, 0x7f800000, v24, s14
	v_cmp_gt_f32_e64 s14, 0x33800000, |v26|
	s_wait_alu 0xf1ff
	v_cndmask_b32_e64 v24, v24, v26, s14
	s_delay_alu instid0(VALU_DEP_1) | instskip(NEXT) | instid1(VALU_DEP_1)
	v_add_f32_e32 v23, v23, v24
	v_cvt_f16_f32_e32 v25, v23
.LBB356_250:
	s_or_b32 exec_lo, exec_lo, s22
	s_delay_alu instid0(VALU_DEP_1)
	v_dual_mov_b32 v23, v25 :: v_dual_and_b32 v24, 0xffff, v25
.LBB356_251:
	s_or_b32 exec_lo, exec_lo, s16
	s_delay_alu instid0(VALU_DEP_1)
	v_mov_b32_dpp v25, v24 row_shr:8 row_mask:0xf bank_mask:0xf
	s_mov_b32 s16, exec_lo
	v_cmpx_lt_u32_e32 7, v22
	s_cbranch_execz .LBB356_255
; %bb.252:
	s_delay_alu instid0(VALU_DEP_2) | instskip(SKIP_2) | instid1(VALU_DEP_2)
	v_cvt_f32_f16_e32 v22, v25
	v_cvt_f32_f16_e32 v24, v23
	v_cmp_u_f16_e64 s14, v25, v25
	v_min_num_f32_e32 v26, v22, v24
	v_max_num_f32_e32 v27, v22, v24
	s_wait_alu 0xf1ff
	s_delay_alu instid0(VALU_DEP_2) | instskip(NEXT) | instid1(VALU_DEP_2)
	v_cndmask_b32_e64 v26, v26, v22, s14
	v_cndmask_b32_e64 v22, v27, v22, s14
	v_cmp_u_f16_e64 s14, v23, v23
	s_wait_alu 0xf1ff
	s_delay_alu instid0(VALU_DEP_1) | instskip(NEXT) | instid1(VALU_DEP_3)
	v_cndmask_b32_e64 v23, v26, v24, s14
	v_cndmask_b32_e64 v22, v22, v24, s14
	s_delay_alu instid0(VALU_DEP_2) | instskip(NEXT) | instid1(VALU_DEP_2)
	v_cmp_class_f32_e64 s22, v23, 0x1f8
	v_cmp_neq_f32_e64 s14, v23, v22
	s_or_b32 s14, s14, s22
	s_wait_alu 0xfffe
	s_and_saveexec_b32 s22, s14
	s_cbranch_execz .LBB356_254
; %bb.253:
	v_sub_f32_e32 v23, v23, v22
	s_delay_alu instid0(VALU_DEP_1) | instskip(NEXT) | instid1(VALU_DEP_1)
	v_mul_f32_e32 v24, 0x3fb8aa3b, v23
	v_fma_f32 v25, 0x3fb8aa3b, v23, -v24
	v_rndne_f32_e32 v26, v24
	s_delay_alu instid0(VALU_DEP_1) | instskip(NEXT) | instid1(VALU_DEP_1)
	v_dual_fmamk_f32 v25, v23, 0x32a5705f, v25 :: v_dual_sub_f32 v24, v24, v26
	v_add_f32_e32 v24, v24, v25
	v_cvt_i32_f32_e32 v25, v26
	v_cmp_ngt_f32_e64 s14, 0xc2ce8ed0, v23
	s_delay_alu instid0(VALU_DEP_3) | instskip(NEXT) | instid1(TRANS32_DEP_1)
	v_exp_f32_e32 v24, v24
	v_ldexp_f32 v24, v24, v25
	s_wait_alu 0xf1ff
	s_delay_alu instid0(VALU_DEP_1) | instskip(SKIP_2) | instid1(VALU_DEP_1)
	v_cndmask_b32_e64 v24, 0, v24, s14
	v_cmp_nlt_f32_e64 s14, 0x42b17218, v23
	s_wait_alu 0xf1ff
	v_cndmask_b32_e64 v25, 0x7f800000, v24, s14
	s_delay_alu instid0(VALU_DEP_1) | instskip(NEXT) | instid1(VALU_DEP_1)
	v_add_f32_e32 v26, 1.0, v25
	v_cvt_f64_f32_e32 v[23:24], v26
	s_delay_alu instid0(VALU_DEP_1) | instskip(SKIP_1) | instid1(VALU_DEP_1)
	v_frexp_exp_i32_f64_e32 v23, v[23:24]
	v_frexp_mant_f32_e32 v24, v26
	v_cmp_gt_f32_e64 s14, 0x3f2aaaab, v24
	v_add_f32_e32 v24, -1.0, v26
	s_delay_alu instid0(VALU_DEP_1) | instskip(SKIP_1) | instid1(VALU_DEP_3)
	v_sub_f32_e32 v28, v24, v26
	s_wait_alu 0xf1ff
	v_subrev_co_ci_u32_e64 v23, null, 0, v23, s14
	s_mov_b32 s14, 0x3e9b6dac
	v_sub_nc_u32_e32 v27, 0, v23
	v_cvt_f32_i32_e32 v23, v23
	s_delay_alu instid0(VALU_DEP_2) | instskip(NEXT) | instid1(VALU_DEP_1)
	v_ldexp_f32 v26, v26, v27
	v_dual_sub_f32 v24, v25, v24 :: v_dual_add_f32 v29, 1.0, v26
	v_add_f32_e32 v28, 1.0, v28
	s_delay_alu instid0(VALU_DEP_1) | instskip(NEXT) | instid1(VALU_DEP_3)
	v_add_f32_e32 v24, v24, v28
	v_add_f32_e32 v28, -1.0, v29
	s_delay_alu instid0(VALU_DEP_2) | instskip(NEXT) | instid1(VALU_DEP_2)
	v_ldexp_f32 v24, v24, v27
	v_dual_add_f32 v27, -1.0, v26 :: v_dual_sub_f32 v28, v26, v28
	s_delay_alu instid0(VALU_DEP_1) | instskip(NEXT) | instid1(VALU_DEP_2)
	v_add_f32_e32 v30, 1.0, v27
	v_add_f32_e32 v28, v24, v28
	s_delay_alu instid0(VALU_DEP_2) | instskip(NEXT) | instid1(VALU_DEP_2)
	v_sub_f32_e32 v26, v26, v30
	v_add_f32_e32 v30, v29, v28
	s_delay_alu instid0(VALU_DEP_2) | instskip(NEXT) | instid1(VALU_DEP_2)
	v_add_f32_e32 v24, v24, v26
	v_rcp_f32_e32 v26, v30
	v_sub_f32_e32 v29, v29, v30
	s_delay_alu instid0(VALU_DEP_1) | instskip(NEXT) | instid1(VALU_DEP_1)
	v_dual_add_f32 v31, v27, v24 :: v_dual_add_f32 v28, v28, v29
	v_sub_f32_e32 v27, v27, v31
	s_delay_alu instid0(TRANS32_DEP_1) | instskip(NEXT) | instid1(VALU_DEP_1)
	v_mul_f32_e32 v32, v31, v26
	v_dual_add_f32 v24, v24, v27 :: v_dual_mul_f32 v33, v30, v32
	s_delay_alu instid0(VALU_DEP_1) | instskip(NEXT) | instid1(VALU_DEP_1)
	v_fma_f32 v29, v32, v30, -v33
	v_fmac_f32_e32 v29, v32, v28
	s_delay_alu instid0(VALU_DEP_1) | instskip(NEXT) | instid1(VALU_DEP_1)
	v_add_f32_e32 v34, v33, v29
	v_sub_f32_e32 v35, v31, v34
	v_sub_f32_e32 v27, v34, v33
	s_delay_alu instid0(VALU_DEP_2) | instskip(NEXT) | instid1(VALU_DEP_2)
	v_sub_f32_e32 v31, v31, v35
	v_sub_f32_e32 v27, v27, v29
	s_delay_alu instid0(VALU_DEP_2) | instskip(NEXT) | instid1(VALU_DEP_1)
	v_sub_f32_e32 v31, v31, v34
	v_add_f32_e32 v24, v24, v31
	s_delay_alu instid0(VALU_DEP_1) | instskip(NEXT) | instid1(VALU_DEP_1)
	v_add_f32_e32 v24, v27, v24
	v_add_f32_e32 v27, v35, v24
	s_delay_alu instid0(VALU_DEP_1) | instskip(NEXT) | instid1(VALU_DEP_1)
	v_mul_f32_e32 v29, v26, v27
	v_dual_sub_f32 v34, v35, v27 :: v_dual_mul_f32 v31, v30, v29
	s_delay_alu instid0(VALU_DEP_1) | instskip(NEXT) | instid1(VALU_DEP_2)
	v_add_f32_e32 v24, v24, v34
	v_fma_f32 v30, v29, v30, -v31
	s_delay_alu instid0(VALU_DEP_1) | instskip(NEXT) | instid1(VALU_DEP_1)
	v_fmac_f32_e32 v30, v29, v28
	v_add_f32_e32 v28, v31, v30
	s_delay_alu instid0(VALU_DEP_1) | instskip(SKIP_1) | instid1(VALU_DEP_2)
	v_sub_f32_e32 v33, v27, v28
	v_sub_f32_e32 v31, v28, v31
	;; [unrolled: 1-line block ×3, first 2 shown]
	s_delay_alu instid0(VALU_DEP_1) | instskip(NEXT) | instid1(VALU_DEP_3)
	v_sub_f32_e32 v27, v27, v28
	v_sub_f32_e32 v28, v31, v30
	s_delay_alu instid0(VALU_DEP_2) | instskip(SKIP_1) | instid1(VALU_DEP_2)
	v_add_f32_e32 v24, v24, v27
	v_add_f32_e32 v27, v32, v29
	;; [unrolled: 1-line block ×3, first 2 shown]
	s_delay_alu instid0(VALU_DEP_2) | instskip(NEXT) | instid1(VALU_DEP_2)
	v_sub_f32_e32 v28, v27, v32
	v_add_f32_e32 v24, v33, v24
	s_delay_alu instid0(VALU_DEP_2) | instskip(NEXT) | instid1(VALU_DEP_2)
	v_sub_f32_e32 v28, v29, v28
	v_mul_f32_e32 v24, v26, v24
	s_delay_alu instid0(VALU_DEP_1) | instskip(NEXT) | instid1(VALU_DEP_1)
	v_add_f32_e32 v24, v28, v24
	v_add_f32_e32 v26, v27, v24
	s_delay_alu instid0(VALU_DEP_1) | instskip(SKIP_1) | instid1(VALU_DEP_1)
	v_mul_f32_e32 v28, v26, v26
	s_wait_alu 0xfffe
	v_fmaak_f32 v29, s14, v28, 0x3ecc95a3
	v_mul_f32_e32 v30, v26, v28
	v_cmp_neq_f32_e64 s14, 0x7f800000, v25
	s_delay_alu instid0(VALU_DEP_3) | instskip(SKIP_2) | instid1(VALU_DEP_3)
	v_fmaak_f32 v28, v28, v29, 0x3f2aaada
	v_ldexp_f32 v29, v26, 1
	v_sub_f32_e32 v26, v26, v27
	v_mul_f32_e32 v28, v30, v28
	v_mul_f32_e32 v30, 0x3f317218, v23
	s_delay_alu instid0(VALU_DEP_2) | instskip(NEXT) | instid1(VALU_DEP_1)
	v_dual_sub_f32 v24, v24, v26 :: v_dual_add_f32 v27, v29, v28
	v_ldexp_f32 v24, v24, 1
	s_delay_alu instid0(VALU_DEP_2) | instskip(NEXT) | instid1(VALU_DEP_4)
	v_sub_f32_e32 v26, v27, v29
	v_fma_f32 v29, 0x3f317218, v23, -v30
	s_delay_alu instid0(VALU_DEP_1) | instskip(NEXT) | instid1(VALU_DEP_1)
	v_dual_sub_f32 v26, v28, v26 :: v_dual_fmamk_f32 v23, v23, 0xb102e308, v29
	v_add_f32_e32 v24, v24, v26
	s_delay_alu instid0(VALU_DEP_2) | instskip(NEXT) | instid1(VALU_DEP_2)
	v_add_f32_e32 v26, v30, v23
	v_add_f32_e32 v28, v27, v24
	s_delay_alu instid0(VALU_DEP_2) | instskip(NEXT) | instid1(VALU_DEP_2)
	v_sub_f32_e32 v30, v26, v30
	v_add_f32_e32 v29, v26, v28
	v_sub_f32_e32 v27, v28, v27
	s_delay_alu instid0(VALU_DEP_3) | instskip(NEXT) | instid1(VALU_DEP_2)
	v_sub_f32_e32 v23, v23, v30
	v_dual_sub_f32 v31, v29, v26 :: v_dual_sub_f32 v24, v24, v27
	s_delay_alu instid0(VALU_DEP_1) | instskip(NEXT) | instid1(VALU_DEP_2)
	v_sub_f32_e32 v32, v29, v31
	v_dual_sub_f32 v27, v28, v31 :: v_dual_add_f32 v28, v23, v24
	s_delay_alu instid0(VALU_DEP_2) | instskip(NEXT) | instid1(VALU_DEP_1)
	v_sub_f32_e32 v26, v26, v32
	v_dual_add_f32 v26, v27, v26 :: v_dual_sub_f32 v27, v28, v23
	s_delay_alu instid0(VALU_DEP_1) | instskip(NEXT) | instid1(VALU_DEP_2)
	v_add_f32_e32 v26, v28, v26
	v_sub_f32_e32 v28, v28, v27
	v_sub_f32_e32 v24, v24, v27
	s_delay_alu instid0(VALU_DEP_2) | instskip(NEXT) | instid1(VALU_DEP_1)
	v_dual_add_f32 v30, v29, v26 :: v_dual_sub_f32 v23, v23, v28
	v_sub_f32_e32 v27, v30, v29
	s_delay_alu instid0(VALU_DEP_2) | instskip(NEXT) | instid1(VALU_DEP_2)
	v_add_f32_e32 v23, v24, v23
	v_sub_f32_e32 v24, v26, v27
	s_delay_alu instid0(VALU_DEP_1) | instskip(NEXT) | instid1(VALU_DEP_1)
	v_add_f32_e32 v23, v23, v24
	v_add_f32_e32 v23, v30, v23
	s_wait_alu 0xf1ff
	s_delay_alu instid0(VALU_DEP_1) | instskip(SKIP_2) | instid1(VALU_DEP_1)
	v_cndmask_b32_e64 v23, 0x7f800000, v23, s14
	v_cmp_gt_f32_e64 s14, 0x33800000, |v25|
	s_wait_alu 0xf1ff
	v_cndmask_b32_e64 v23, v23, v25, s14
	s_delay_alu instid0(VALU_DEP_1) | instskip(NEXT) | instid1(VALU_DEP_1)
	v_add_f32_e32 v22, v22, v23
	v_cvt_f16_f32_e32 v25, v22
.LBB356_254:
	s_or_b32 exec_lo, exec_lo, s22
	s_delay_alu instid0(VALU_DEP_1)
	v_dual_mov_b32 v23, v25 :: v_dual_and_b32 v24, 0xffff, v25
.LBB356_255:
	s_or_b32 exec_lo, exec_lo, s16
	ds_swizzle_b32 v24, v24 offset:swizzle(BROADCAST,32,15)
	v_and_b32_e32 v22, 16, v18
	s_mov_b32 s16, exec_lo
	s_delay_alu instid0(VALU_DEP_1)
	v_cmpx_ne_u32_e32 0, v22
	s_cbranch_execz .LBB356_259
; %bb.256:
	s_wait_dscnt 0x0
	v_cvt_f32_f16_e32 v22, v24
	v_cvt_f32_f16_e32 v25, v23
	v_cmp_u_f16_e64 s14, v24, v24
	s_delay_alu instid0(VALU_DEP_2) | instskip(SKIP_2) | instid1(VALU_DEP_2)
	v_min_num_f32_e32 v26, v22, v25
	v_max_num_f32_e32 v27, v22, v25
	s_wait_alu 0xf1ff
	v_cndmask_b32_e64 v26, v26, v22, s14
	s_delay_alu instid0(VALU_DEP_2) | instskip(SKIP_2) | instid1(VALU_DEP_1)
	v_cndmask_b32_e64 v22, v27, v22, s14
	v_cmp_u_f16_e64 s14, v23, v23
	s_wait_alu 0xf1ff
	v_cndmask_b32_e64 v23, v26, v25, s14
	s_delay_alu instid0(VALU_DEP_3) | instskip(NEXT) | instid1(VALU_DEP_2)
	v_cndmask_b32_e64 v22, v22, v25, s14
	v_cmp_class_f32_e64 s22, v23, 0x1f8
	s_delay_alu instid0(VALU_DEP_2)
	v_cmp_neq_f32_e64 s14, v23, v22
	s_or_b32 s14, s14, s22
	s_wait_alu 0xfffe
	s_and_saveexec_b32 s22, s14
	s_cbranch_execz .LBB356_258
; %bb.257:
	v_sub_f32_e32 v23, v23, v22
	s_delay_alu instid0(VALU_DEP_1) | instskip(NEXT) | instid1(VALU_DEP_1)
	v_mul_f32_e32 v24, 0x3fb8aa3b, v23
	v_fma_f32 v25, 0x3fb8aa3b, v23, -v24
	v_rndne_f32_e32 v26, v24
	s_delay_alu instid0(VALU_DEP_1) | instskip(NEXT) | instid1(VALU_DEP_1)
	v_dual_fmamk_f32 v25, v23, 0x32a5705f, v25 :: v_dual_sub_f32 v24, v24, v26
	v_add_f32_e32 v24, v24, v25
	v_cvt_i32_f32_e32 v25, v26
	v_cmp_ngt_f32_e64 s14, 0xc2ce8ed0, v23
	s_delay_alu instid0(VALU_DEP_3) | instskip(NEXT) | instid1(TRANS32_DEP_1)
	v_exp_f32_e32 v24, v24
	v_ldexp_f32 v24, v24, v25
	s_wait_alu 0xf1ff
	s_delay_alu instid0(VALU_DEP_1) | instskip(SKIP_2) | instid1(VALU_DEP_1)
	v_cndmask_b32_e64 v24, 0, v24, s14
	v_cmp_nlt_f32_e64 s14, 0x42b17218, v23
	s_wait_alu 0xf1ff
	v_cndmask_b32_e64 v25, 0x7f800000, v24, s14
	s_delay_alu instid0(VALU_DEP_1) | instskip(NEXT) | instid1(VALU_DEP_1)
	v_add_f32_e32 v26, 1.0, v25
	v_cvt_f64_f32_e32 v[23:24], v26
	s_delay_alu instid0(VALU_DEP_1) | instskip(SKIP_1) | instid1(VALU_DEP_1)
	v_frexp_exp_i32_f64_e32 v23, v[23:24]
	v_frexp_mant_f32_e32 v24, v26
	v_cmp_gt_f32_e64 s14, 0x3f2aaaab, v24
	v_add_f32_e32 v24, -1.0, v26
	s_delay_alu instid0(VALU_DEP_1) | instskip(SKIP_1) | instid1(VALU_DEP_3)
	v_sub_f32_e32 v28, v24, v26
	s_wait_alu 0xf1ff
	v_subrev_co_ci_u32_e64 v23, null, 0, v23, s14
	s_mov_b32 s14, 0x3e9b6dac
	v_sub_nc_u32_e32 v27, 0, v23
	v_cvt_f32_i32_e32 v23, v23
	s_delay_alu instid0(VALU_DEP_2) | instskip(NEXT) | instid1(VALU_DEP_1)
	v_ldexp_f32 v26, v26, v27
	v_dual_sub_f32 v24, v25, v24 :: v_dual_add_f32 v29, 1.0, v26
	v_add_f32_e32 v28, 1.0, v28
	s_delay_alu instid0(VALU_DEP_1) | instskip(NEXT) | instid1(VALU_DEP_3)
	v_add_f32_e32 v24, v24, v28
	v_add_f32_e32 v28, -1.0, v29
	s_delay_alu instid0(VALU_DEP_2) | instskip(NEXT) | instid1(VALU_DEP_2)
	v_ldexp_f32 v24, v24, v27
	v_dual_add_f32 v27, -1.0, v26 :: v_dual_sub_f32 v28, v26, v28
	s_delay_alu instid0(VALU_DEP_1) | instskip(NEXT) | instid1(VALU_DEP_2)
	v_add_f32_e32 v30, 1.0, v27
	v_add_f32_e32 v28, v24, v28
	s_delay_alu instid0(VALU_DEP_2) | instskip(NEXT) | instid1(VALU_DEP_2)
	v_sub_f32_e32 v26, v26, v30
	v_add_f32_e32 v30, v29, v28
	s_delay_alu instid0(VALU_DEP_2) | instskip(NEXT) | instid1(VALU_DEP_2)
	v_add_f32_e32 v24, v24, v26
	v_rcp_f32_e32 v26, v30
	v_sub_f32_e32 v29, v29, v30
	s_delay_alu instid0(VALU_DEP_1) | instskip(NEXT) | instid1(VALU_DEP_1)
	v_dual_add_f32 v31, v27, v24 :: v_dual_add_f32 v28, v28, v29
	v_sub_f32_e32 v27, v27, v31
	s_delay_alu instid0(TRANS32_DEP_1) | instskip(NEXT) | instid1(VALU_DEP_1)
	v_mul_f32_e32 v32, v31, v26
	v_dual_add_f32 v24, v24, v27 :: v_dual_mul_f32 v33, v30, v32
	s_delay_alu instid0(VALU_DEP_1) | instskip(NEXT) | instid1(VALU_DEP_1)
	v_fma_f32 v29, v32, v30, -v33
	v_fmac_f32_e32 v29, v32, v28
	s_delay_alu instid0(VALU_DEP_1) | instskip(NEXT) | instid1(VALU_DEP_1)
	v_add_f32_e32 v34, v33, v29
	v_sub_f32_e32 v35, v31, v34
	v_sub_f32_e32 v27, v34, v33
	s_delay_alu instid0(VALU_DEP_2) | instskip(NEXT) | instid1(VALU_DEP_2)
	v_sub_f32_e32 v31, v31, v35
	v_sub_f32_e32 v27, v27, v29
	s_delay_alu instid0(VALU_DEP_2) | instskip(NEXT) | instid1(VALU_DEP_1)
	v_sub_f32_e32 v31, v31, v34
	v_add_f32_e32 v24, v24, v31
	s_delay_alu instid0(VALU_DEP_1) | instskip(NEXT) | instid1(VALU_DEP_1)
	v_add_f32_e32 v24, v27, v24
	v_add_f32_e32 v27, v35, v24
	s_delay_alu instid0(VALU_DEP_1) | instskip(NEXT) | instid1(VALU_DEP_1)
	v_mul_f32_e32 v29, v26, v27
	v_dual_sub_f32 v34, v35, v27 :: v_dual_mul_f32 v31, v30, v29
	s_delay_alu instid0(VALU_DEP_1) | instskip(NEXT) | instid1(VALU_DEP_2)
	v_add_f32_e32 v24, v24, v34
	v_fma_f32 v30, v29, v30, -v31
	s_delay_alu instid0(VALU_DEP_1) | instskip(NEXT) | instid1(VALU_DEP_1)
	v_fmac_f32_e32 v30, v29, v28
	v_add_f32_e32 v28, v31, v30
	s_delay_alu instid0(VALU_DEP_1) | instskip(SKIP_1) | instid1(VALU_DEP_2)
	v_sub_f32_e32 v33, v27, v28
	v_sub_f32_e32 v31, v28, v31
	;; [unrolled: 1-line block ×3, first 2 shown]
	s_delay_alu instid0(VALU_DEP_1) | instskip(NEXT) | instid1(VALU_DEP_3)
	v_sub_f32_e32 v27, v27, v28
	v_sub_f32_e32 v28, v31, v30
	s_delay_alu instid0(VALU_DEP_2) | instskip(SKIP_1) | instid1(VALU_DEP_2)
	v_add_f32_e32 v24, v24, v27
	v_add_f32_e32 v27, v32, v29
	;; [unrolled: 1-line block ×3, first 2 shown]
	s_delay_alu instid0(VALU_DEP_2) | instskip(NEXT) | instid1(VALU_DEP_2)
	v_sub_f32_e32 v28, v27, v32
	v_add_f32_e32 v24, v33, v24
	s_delay_alu instid0(VALU_DEP_2) | instskip(NEXT) | instid1(VALU_DEP_2)
	v_sub_f32_e32 v28, v29, v28
	v_mul_f32_e32 v24, v26, v24
	s_delay_alu instid0(VALU_DEP_1) | instskip(NEXT) | instid1(VALU_DEP_1)
	v_add_f32_e32 v24, v28, v24
	v_add_f32_e32 v26, v27, v24
	s_delay_alu instid0(VALU_DEP_1) | instskip(SKIP_1) | instid1(VALU_DEP_1)
	v_mul_f32_e32 v28, v26, v26
	s_wait_alu 0xfffe
	v_fmaak_f32 v29, s14, v28, 0x3ecc95a3
	v_mul_f32_e32 v30, v26, v28
	v_cmp_neq_f32_e64 s14, 0x7f800000, v25
	s_delay_alu instid0(VALU_DEP_3) | instskip(SKIP_2) | instid1(VALU_DEP_3)
	v_fmaak_f32 v28, v28, v29, 0x3f2aaada
	v_ldexp_f32 v29, v26, 1
	v_sub_f32_e32 v26, v26, v27
	v_mul_f32_e32 v28, v30, v28
	v_mul_f32_e32 v30, 0x3f317218, v23
	s_delay_alu instid0(VALU_DEP_2) | instskip(NEXT) | instid1(VALU_DEP_1)
	v_dual_sub_f32 v24, v24, v26 :: v_dual_add_f32 v27, v29, v28
	v_ldexp_f32 v24, v24, 1
	s_delay_alu instid0(VALU_DEP_2) | instskip(NEXT) | instid1(VALU_DEP_4)
	v_sub_f32_e32 v26, v27, v29
	v_fma_f32 v29, 0x3f317218, v23, -v30
	s_delay_alu instid0(VALU_DEP_1) | instskip(NEXT) | instid1(VALU_DEP_1)
	v_dual_sub_f32 v26, v28, v26 :: v_dual_fmamk_f32 v23, v23, 0xb102e308, v29
	v_add_f32_e32 v24, v24, v26
	s_delay_alu instid0(VALU_DEP_2) | instskip(NEXT) | instid1(VALU_DEP_2)
	v_add_f32_e32 v26, v30, v23
	v_add_f32_e32 v28, v27, v24
	s_delay_alu instid0(VALU_DEP_2) | instskip(NEXT) | instid1(VALU_DEP_2)
	v_sub_f32_e32 v30, v26, v30
	v_add_f32_e32 v29, v26, v28
	v_sub_f32_e32 v27, v28, v27
	s_delay_alu instid0(VALU_DEP_3) | instskip(NEXT) | instid1(VALU_DEP_2)
	v_sub_f32_e32 v23, v23, v30
	v_dual_sub_f32 v31, v29, v26 :: v_dual_sub_f32 v24, v24, v27
	s_delay_alu instid0(VALU_DEP_1) | instskip(NEXT) | instid1(VALU_DEP_2)
	v_sub_f32_e32 v32, v29, v31
	v_dual_sub_f32 v27, v28, v31 :: v_dual_add_f32 v28, v23, v24
	s_delay_alu instid0(VALU_DEP_2) | instskip(NEXT) | instid1(VALU_DEP_1)
	v_sub_f32_e32 v26, v26, v32
	v_dual_add_f32 v26, v27, v26 :: v_dual_sub_f32 v27, v28, v23
	s_delay_alu instid0(VALU_DEP_1) | instskip(NEXT) | instid1(VALU_DEP_2)
	v_add_f32_e32 v26, v28, v26
	v_sub_f32_e32 v28, v28, v27
	v_sub_f32_e32 v24, v24, v27
	s_delay_alu instid0(VALU_DEP_2) | instskip(NEXT) | instid1(VALU_DEP_1)
	v_dual_add_f32 v30, v29, v26 :: v_dual_sub_f32 v23, v23, v28
	v_sub_f32_e32 v27, v30, v29
	s_delay_alu instid0(VALU_DEP_2) | instskip(NEXT) | instid1(VALU_DEP_2)
	v_add_f32_e32 v23, v24, v23
	v_sub_f32_e32 v24, v26, v27
	s_delay_alu instid0(VALU_DEP_1) | instskip(NEXT) | instid1(VALU_DEP_1)
	v_add_f32_e32 v23, v23, v24
	v_add_f32_e32 v23, v30, v23
	s_wait_alu 0xf1ff
	s_delay_alu instid0(VALU_DEP_1) | instskip(SKIP_2) | instid1(VALU_DEP_1)
	v_cndmask_b32_e64 v23, 0x7f800000, v23, s14
	v_cmp_gt_f32_e64 s14, 0x33800000, |v25|
	s_wait_alu 0xf1ff
	v_cndmask_b32_e64 v23, v23, v25, s14
	s_delay_alu instid0(VALU_DEP_1) | instskip(NEXT) | instid1(VALU_DEP_1)
	v_add_f32_e32 v22, v22, v23
	v_cvt_f16_f32_e32 v24, v22
.LBB356_258:
	s_or_b32 exec_lo, exec_lo, s22
	s_delay_alu instid0(VALU_DEP_1)
	v_mov_b32_e32 v23, v24
.LBB356_259:
	s_or_b32 exec_lo, exec_lo, s16
	v_add_nc_u32_e32 v22, -1, v18
	s_delay_alu instid0(VALU_DEP_1) | instskip(SKIP_1) | instid1(VALU_DEP_1)
	v_cmp_gt_i32_e64 s14, 0, v22
	s_wait_alu 0xf1ff
	v_cndmask_b32_e64 v18, v22, v18, s14
	v_and_b32_e32 v22, 0xffff, v23
	s_delay_alu instid0(VALU_DEP_2)
	v_lshlrev_b32_e32 v18, 2, v18
	ds_bpermute_b32 v18, v18, v22
	v_max_num_f32_e32 v22, v17, v17
	s_wait_dscnt 0x0
	v_cvt_f32_f16_e32 v23, v18
	v_cmp_u_f16_e64 s14, v18, v18
	s_delay_alu instid0(VALU_DEP_2) | instskip(SKIP_2) | instid1(VALU_DEP_2)
	v_min_num_f32_e32 v24, v23, v22
	v_max_num_f32_e32 v22, v23, v22
	s_wait_alu 0xf1ff
	v_cndmask_b32_e64 v24, v24, v23, s14
	s_delay_alu instid0(VALU_DEP_2) | instskip(NEXT) | instid1(VALU_DEP_2)
	v_cndmask_b32_e64 v23, v22, v23, s14
	v_cndmask_b32_e64 v22, v24, v17, s13
	s_delay_alu instid0(VALU_DEP_2) | instskip(NEXT) | instid1(VALU_DEP_2)
	v_cndmask_b32_e64 v17, v23, v17, s13
	v_cmp_class_f32_e64 s14, v22, 0x1f8
	s_delay_alu instid0(VALU_DEP_2)
	v_cmp_neq_f32_e64 s13, v22, v17
	s_or_b32 s13, s13, s14
	s_wait_alu 0xfffe
	s_and_saveexec_b32 s14, s13
	s_cbranch_execz .LBB356_261
; %bb.260:
	v_sub_f32_e32 v18, v22, v17
	s_delay_alu instid0(VALU_DEP_1) | instskip(SKIP_1) | instid1(VALU_DEP_2)
	v_mul_f32_e32 v22, 0x3fb8aa3b, v18
	v_cmp_ngt_f32_e64 s13, 0xc2ce8ed0, v18
	v_fma_f32 v23, 0x3fb8aa3b, v18, -v22
	v_rndne_f32_e32 v24, v22
	s_delay_alu instid0(VALU_DEP_2) | instskip(NEXT) | instid1(VALU_DEP_2)
	v_fmamk_f32 v23, v18, 0x32a5705f, v23
	v_sub_f32_e32 v22, v22, v24
	s_delay_alu instid0(VALU_DEP_1) | instskip(SKIP_1) | instid1(VALU_DEP_2)
	v_add_f32_e32 v22, v22, v23
	v_cvt_i32_f32_e32 v23, v24
	v_exp_f32_e32 v22, v22
	s_delay_alu instid0(TRANS32_DEP_1) | instskip(SKIP_1) | instid1(VALU_DEP_1)
	v_ldexp_f32 v22, v22, v23
	s_wait_alu 0xf1ff
	v_cndmask_b32_e64 v22, 0, v22, s13
	v_cmp_nlt_f32_e64 s13, 0x42b17218, v18
	s_wait_alu 0xf1ff
	s_delay_alu instid0(VALU_DEP_1) | instskip(NEXT) | instid1(VALU_DEP_1)
	v_cndmask_b32_e64 v18, 0x7f800000, v22, s13
	v_add_f32_e32 v24, 1.0, v18
	s_delay_alu instid0(VALU_DEP_1) | instskip(NEXT) | instid1(VALU_DEP_1)
	v_cvt_f64_f32_e32 v[22:23], v24
	v_frexp_exp_i32_f64_e32 v22, v[22:23]
	v_frexp_mant_f32_e32 v23, v24
	s_delay_alu instid0(VALU_DEP_1) | instskip(SKIP_1) | instid1(VALU_DEP_1)
	v_cmp_gt_f32_e64 s13, 0x3f2aaaab, v23
	v_add_f32_e32 v23, -1.0, v24
	v_dual_sub_f32 v26, v23, v24 :: v_dual_sub_f32 v23, v18, v23
	s_wait_alu 0xf1ff
	s_delay_alu instid0(VALU_DEP_3) | instskip(SKIP_3) | instid1(VALU_DEP_2)
	v_subrev_co_ci_u32_e64 v22, null, 0, v22, s13
	s_mov_b32 s13, 0x3e9b6dac
	v_sub_nc_u32_e32 v25, 0, v22
	v_cvt_f32_i32_e32 v22, v22
	v_ldexp_f32 v24, v24, v25
	s_delay_alu instid0(VALU_DEP_1) | instskip(NEXT) | instid1(VALU_DEP_1)
	v_dual_add_f32 v26, 1.0, v26 :: v_dual_add_f32 v27, 1.0, v24
	v_add_f32_e32 v23, v23, v26
	s_delay_alu instid0(VALU_DEP_1) | instskip(NEXT) | instid1(VALU_DEP_3)
	v_ldexp_f32 v23, v23, v25
	v_dual_add_f32 v25, -1.0, v24 :: v_dual_add_f32 v26, -1.0, v27
	s_delay_alu instid0(VALU_DEP_1) | instskip(NEXT) | instid1(VALU_DEP_2)
	v_add_f32_e32 v28, 1.0, v25
	v_sub_f32_e32 v26, v24, v26
	s_delay_alu instid0(VALU_DEP_2) | instskip(NEXT) | instid1(VALU_DEP_2)
	v_sub_f32_e32 v24, v24, v28
	v_add_f32_e32 v26, v23, v26
	s_delay_alu instid0(VALU_DEP_2) | instskip(NEXT) | instid1(VALU_DEP_1)
	v_add_f32_e32 v23, v23, v24
	v_dual_add_f32 v29, v25, v23 :: v_dual_add_f32 v28, v27, v26
	s_delay_alu instid0(VALU_DEP_1) | instskip(NEXT) | instid1(VALU_DEP_2)
	v_sub_f32_e32 v25, v25, v29
	v_rcp_f32_e32 v24, v28
	v_sub_f32_e32 v27, v27, v28
	s_delay_alu instid0(VALU_DEP_1) | instskip(NEXT) | instid1(TRANS32_DEP_1)
	v_dual_add_f32 v23, v23, v25 :: v_dual_add_f32 v26, v26, v27
	v_mul_f32_e32 v30, v29, v24
	s_delay_alu instid0(VALU_DEP_1) | instskip(NEXT) | instid1(VALU_DEP_1)
	v_mul_f32_e32 v31, v28, v30
	v_fma_f32 v27, v30, v28, -v31
	s_delay_alu instid0(VALU_DEP_1) | instskip(NEXT) | instid1(VALU_DEP_1)
	v_fmac_f32_e32 v27, v30, v26
	v_add_f32_e32 v32, v31, v27
	s_delay_alu instid0(VALU_DEP_1) | instskip(SKIP_1) | instid1(VALU_DEP_2)
	v_sub_f32_e32 v33, v29, v32
	v_sub_f32_e32 v25, v32, v31
	;; [unrolled: 1-line block ×3, first 2 shown]
	s_delay_alu instid0(VALU_DEP_2) | instskip(NEXT) | instid1(VALU_DEP_2)
	v_sub_f32_e32 v25, v25, v27
	v_sub_f32_e32 v29, v29, v32
	s_delay_alu instid0(VALU_DEP_1) | instskip(NEXT) | instid1(VALU_DEP_1)
	v_add_f32_e32 v23, v23, v29
	v_add_f32_e32 v23, v25, v23
	s_delay_alu instid0(VALU_DEP_1) | instskip(NEXT) | instid1(VALU_DEP_1)
	v_add_f32_e32 v25, v33, v23
	v_mul_f32_e32 v27, v24, v25
	s_delay_alu instid0(VALU_DEP_1) | instskip(NEXT) | instid1(VALU_DEP_1)
	v_dual_sub_f32 v32, v33, v25 :: v_dual_mul_f32 v29, v28, v27
	v_add_f32_e32 v23, v23, v32
	s_delay_alu instid0(VALU_DEP_2) | instskip(NEXT) | instid1(VALU_DEP_1)
	v_fma_f32 v28, v27, v28, -v29
	v_fmac_f32_e32 v28, v27, v26
	s_delay_alu instid0(VALU_DEP_1) | instskip(NEXT) | instid1(VALU_DEP_1)
	v_add_f32_e32 v26, v29, v28
	v_sub_f32_e32 v31, v25, v26
	s_delay_alu instid0(VALU_DEP_1) | instskip(NEXT) | instid1(VALU_DEP_1)
	v_sub_f32_e32 v25, v25, v31
	v_sub_f32_e32 v25, v25, v26
	s_delay_alu instid0(VALU_DEP_1) | instskip(SKIP_2) | instid1(VALU_DEP_1)
	v_add_f32_e32 v23, v23, v25
	v_add_f32_e32 v25, v30, v27
	v_sub_f32_e32 v29, v26, v29
	v_sub_f32_e32 v26, v29, v28
	s_delay_alu instid0(VALU_DEP_1) | instskip(NEXT) | instid1(VALU_DEP_1)
	v_dual_add_f32 v23, v26, v23 :: v_dual_sub_f32 v26, v25, v30
	v_add_f32_e32 v23, v31, v23
	s_delay_alu instid0(VALU_DEP_1) | instskip(NEXT) | instid1(VALU_DEP_1)
	v_dual_sub_f32 v26, v27, v26 :: v_dual_mul_f32 v23, v24, v23
	v_add_f32_e32 v23, v26, v23
	s_delay_alu instid0(VALU_DEP_1) | instskip(NEXT) | instid1(VALU_DEP_1)
	v_add_f32_e32 v24, v25, v23
	v_mul_f32_e32 v26, v24, v24
	s_wait_alu 0xfffe
	s_delay_alu instid0(VALU_DEP_1) | instskip(SKIP_2) | instid1(VALU_DEP_3)
	v_fmaak_f32 v27, s13, v26, 0x3ecc95a3
	v_mul_f32_e32 v28, v24, v26
	v_cmp_neq_f32_e64 s13, 0x7f800000, v18
	v_fmaak_f32 v26, v26, v27, 0x3f2aaada
	v_ldexp_f32 v27, v24, 1
	v_sub_f32_e32 v24, v24, v25
	s_delay_alu instid0(VALU_DEP_3) | instskip(NEXT) | instid1(VALU_DEP_2)
	v_mul_f32_e32 v26, v28, v26
	v_dual_mul_f32 v28, 0x3f317218, v22 :: v_dual_sub_f32 v23, v23, v24
	s_delay_alu instid0(VALU_DEP_2) | instskip(NEXT) | instid1(VALU_DEP_2)
	v_add_f32_e32 v25, v27, v26
	v_ldexp_f32 v23, v23, 1
	s_delay_alu instid0(VALU_DEP_2) | instskip(NEXT) | instid1(VALU_DEP_4)
	v_sub_f32_e32 v24, v25, v27
	v_fma_f32 v27, 0x3f317218, v22, -v28
	s_delay_alu instid0(VALU_DEP_2) | instskip(NEXT) | instid1(VALU_DEP_1)
	v_sub_f32_e32 v24, v26, v24
	v_dual_fmamk_f32 v22, v22, 0xb102e308, v27 :: v_dual_add_f32 v23, v23, v24
	s_delay_alu instid0(VALU_DEP_1) | instskip(NEXT) | instid1(VALU_DEP_1)
	v_add_f32_e32 v24, v28, v22
	v_sub_f32_e32 v28, v24, v28
	s_delay_alu instid0(VALU_DEP_1) | instskip(NEXT) | instid1(VALU_DEP_4)
	v_sub_f32_e32 v22, v22, v28
	v_add_f32_e32 v26, v25, v23
	s_delay_alu instid0(VALU_DEP_1) | instskip(NEXT) | instid1(VALU_DEP_1)
	v_sub_f32_e32 v25, v26, v25
	v_sub_f32_e32 v23, v23, v25
	v_add_f32_e32 v27, v24, v26
	s_delay_alu instid0(VALU_DEP_1) | instskip(NEXT) | instid1(VALU_DEP_1)
	v_sub_f32_e32 v29, v27, v24
	v_sub_f32_e32 v25, v26, v29
	s_delay_alu instid0(VALU_DEP_4) | instskip(SKIP_1) | instid1(VALU_DEP_1)
	v_add_f32_e32 v26, v22, v23
	v_sub_f32_e32 v30, v27, v29
	v_sub_f32_e32 v24, v24, v30
	s_delay_alu instid0(VALU_DEP_1) | instskip(NEXT) | instid1(VALU_DEP_1)
	v_dual_add_f32 v24, v25, v24 :: v_dual_sub_f32 v25, v26, v22
	v_dual_add_f32 v24, v26, v24 :: v_dual_sub_f32 v23, v23, v25
	v_sub_f32_e32 v26, v26, v25
	s_delay_alu instid0(VALU_DEP_2) | instskip(NEXT) | instid1(VALU_DEP_1)
	v_add_f32_e32 v28, v27, v24
	v_dual_sub_f32 v22, v22, v26 :: v_dual_sub_f32 v25, v28, v27
	s_delay_alu instid0(VALU_DEP_1) | instskip(NEXT) | instid1(VALU_DEP_1)
	v_dual_add_f32 v22, v23, v22 :: v_dual_sub_f32 v23, v24, v25
	v_add_f32_e32 v22, v22, v23
	s_delay_alu instid0(VALU_DEP_1) | instskip(SKIP_1) | instid1(VALU_DEP_1)
	v_add_f32_e32 v22, v28, v22
	s_wait_alu 0xf1ff
	v_cndmask_b32_e64 v22, 0x7f800000, v22, s13
	v_cmp_gt_f32_e64 s13, 0x33800000, |v18|
	s_wait_alu 0xf1ff
	s_delay_alu instid0(VALU_DEP_1) | instskip(NEXT) | instid1(VALU_DEP_1)
	v_cndmask_b32_e64 v18, v22, v18, s13
	v_add_f32_e32 v17, v17, v18
	s_delay_alu instid0(VALU_DEP_1)
	v_cvt_f16_f32_e32 v18, v17
.LBB356_261:
	s_wait_alu 0xfffe
	s_or_b32 exec_lo, exec_lo, s14
	s_delay_alu instid0(VALU_DEP_1)
	v_cndmask_b32_e64 v17, v18, v19, s12
	; wave barrier
	ds_store_b16 v14, v17
	; wave barrier
	ds_load_u16 v19, v14 offset:2
	v_cvt_f32_f16_e32 v18, v17
	v_cmp_u_f16_e64 s12, v17, v17
	s_wait_dscnt 0x0
	v_cvt_f32_f16_e32 v23, v19
	s_delay_alu instid0(VALU_DEP_1) | instskip(SKIP_2) | instid1(VALU_DEP_2)
	v_min_num_f32_e32 v22, v18, v23
	v_max_num_f32_e32 v24, v18, v23
	s_wait_alu 0xf1ff
	v_cndmask_b32_e64 v22, v22, v18, s12
	s_delay_alu instid0(VALU_DEP_2) | instskip(SKIP_2) | instid1(VALU_DEP_1)
	v_cndmask_b32_e64 v24, v24, v18, s12
	v_cmp_u_f16_e64 s12, v19, v19
	s_wait_alu 0xf1ff
	v_cndmask_b32_e64 v22, v22, v23, s12
	s_delay_alu instid0(VALU_DEP_3) | instskip(NEXT) | instid1(VALU_DEP_2)
	v_cndmask_b32_e64 v19, v24, v23, s12
	v_cmp_class_f32_e64 s13, v22, 0x1f8
	s_delay_alu instid0(VALU_DEP_2)
	v_cmp_neq_f32_e64 s12, v22, v19
	s_or_b32 s12, s12, s13
	s_wait_alu 0xfffe
	s_and_saveexec_b32 s13, s12
	s_cbranch_execz .LBB356_263
; %bb.262:
	v_sub_f32_e32 v17, v22, v19
	s_delay_alu instid0(VALU_DEP_1) | instskip(SKIP_1) | instid1(VALU_DEP_2)
	v_mul_f32_e32 v18, 0x3fb8aa3b, v17
	v_cmp_ngt_f32_e64 s12, 0xc2ce8ed0, v17
	v_fma_f32 v22, 0x3fb8aa3b, v17, -v18
	v_rndne_f32_e32 v23, v18
	s_delay_alu instid0(VALU_DEP_2) | instskip(NEXT) | instid1(VALU_DEP_2)
	v_fmamk_f32 v22, v17, 0x32a5705f, v22
	v_sub_f32_e32 v18, v18, v23
	s_delay_alu instid0(VALU_DEP_1) | instskip(SKIP_1) | instid1(VALU_DEP_2)
	v_add_f32_e32 v18, v18, v22
	v_cvt_i32_f32_e32 v22, v23
	v_exp_f32_e32 v18, v18
	s_delay_alu instid0(TRANS32_DEP_1) | instskip(SKIP_1) | instid1(VALU_DEP_1)
	v_ldexp_f32 v18, v18, v22
	s_wait_alu 0xf1ff
	v_cndmask_b32_e64 v18, 0, v18, s12
	v_cmp_nlt_f32_e64 s12, 0x42b17218, v17
	s_wait_alu 0xf1ff
	s_delay_alu instid0(VALU_DEP_1) | instskip(NEXT) | instid1(VALU_DEP_1)
	v_cndmask_b32_e64 v22, 0x7f800000, v18, s12
	v_add_f32_e32 v23, 1.0, v22
	s_delay_alu instid0(VALU_DEP_1) | instskip(NEXT) | instid1(VALU_DEP_1)
	v_cvt_f64_f32_e32 v[17:18], v23
	v_frexp_exp_i32_f64_e32 v17, v[17:18]
	v_frexp_mant_f32_e32 v18, v23
	s_delay_alu instid0(VALU_DEP_1) | instskip(SKIP_1) | instid1(VALU_DEP_1)
	v_cmp_gt_f32_e64 s12, 0x3f2aaaab, v18
	v_add_f32_e32 v18, -1.0, v23
	v_sub_f32_e32 v25, v18, v23
	s_delay_alu instid0(VALU_DEP_1)
	v_dual_sub_f32 v18, v22, v18 :: v_dual_add_f32 v25, 1.0, v25
	s_wait_alu 0xf1ff
	v_subrev_co_ci_u32_e64 v17, null, 0, v17, s12
	s_mov_b32 s12, 0x3e9b6dac
	v_sub_nc_u32_e32 v24, 0, v17
	v_cvt_f32_i32_e32 v17, v17
	s_delay_alu instid0(VALU_DEP_2) | instskip(SKIP_1) | instid1(VALU_DEP_1)
	v_ldexp_f32 v23, v23, v24
	v_add_f32_e32 v18, v18, v25
	v_ldexp_f32 v18, v18, v24
	s_delay_alu instid0(VALU_DEP_3) | instskip(NEXT) | instid1(VALU_DEP_1)
	v_add_f32_e32 v26, 1.0, v23
	v_add_f32_e32 v25, -1.0, v26
	s_delay_alu instid0(VALU_DEP_1) | instskip(NEXT) | instid1(VALU_DEP_1)
	v_sub_f32_e32 v25, v23, v25
	v_dual_add_f32 v25, v18, v25 :: v_dual_add_f32 v24, -1.0, v23
	s_delay_alu instid0(VALU_DEP_1) | instskip(NEXT) | instid1(VALU_DEP_1)
	v_add_f32_e32 v27, 1.0, v24
	v_sub_f32_e32 v23, v23, v27
	s_delay_alu instid0(VALU_DEP_3) | instskip(NEXT) | instid1(VALU_DEP_1)
	v_add_f32_e32 v27, v26, v25
	v_sub_f32_e32 v26, v26, v27
	s_delay_alu instid0(VALU_DEP_3) | instskip(SKIP_1) | instid1(VALU_DEP_2)
	v_add_f32_e32 v18, v18, v23
	v_rcp_f32_e32 v23, v27
	v_add_f32_e32 v25, v25, v26
	s_delay_alu instid0(VALU_DEP_2) | instskip(NEXT) | instid1(VALU_DEP_1)
	v_add_f32_e32 v28, v24, v18
	v_sub_f32_e32 v24, v24, v28
	s_delay_alu instid0(TRANS32_DEP_1) | instid1(VALU_DEP_1)
	v_dual_mul_f32 v29, v28, v23 :: v_dual_add_f32 v18, v18, v24
	s_delay_alu instid0(VALU_DEP_1) | instskip(NEXT) | instid1(VALU_DEP_1)
	v_mul_f32_e32 v30, v27, v29
	v_fma_f32 v26, v29, v27, -v30
	s_delay_alu instid0(VALU_DEP_1) | instskip(NEXT) | instid1(VALU_DEP_1)
	v_fmac_f32_e32 v26, v29, v25
	v_add_f32_e32 v31, v30, v26
	s_delay_alu instid0(VALU_DEP_1) | instskip(NEXT) | instid1(VALU_DEP_1)
	v_sub_f32_e32 v32, v28, v31
	v_sub_f32_e32 v28, v28, v32
	;; [unrolled: 1-line block ×3, first 2 shown]
	s_delay_alu instid0(VALU_DEP_2) | instskip(NEXT) | instid1(VALU_DEP_2)
	v_sub_f32_e32 v28, v28, v31
	v_sub_f32_e32 v24, v24, v26
	s_delay_alu instid0(VALU_DEP_2) | instskip(NEXT) | instid1(VALU_DEP_1)
	v_add_f32_e32 v18, v18, v28
	v_add_f32_e32 v18, v24, v18
	s_delay_alu instid0(VALU_DEP_1) | instskip(NEXT) | instid1(VALU_DEP_1)
	v_add_f32_e32 v24, v32, v18
	v_mul_f32_e32 v26, v23, v24
	s_delay_alu instid0(VALU_DEP_1) | instskip(NEXT) | instid1(VALU_DEP_1)
	v_mul_f32_e32 v28, v27, v26
	v_fma_f32 v27, v26, v27, -v28
	s_delay_alu instid0(VALU_DEP_1) | instskip(SKIP_1) | instid1(VALU_DEP_2)
	v_fmac_f32_e32 v27, v26, v25
	v_sub_f32_e32 v31, v32, v24
	v_add_f32_e32 v25, v28, v27
	s_delay_alu instid0(VALU_DEP_2) | instskip(NEXT) | instid1(VALU_DEP_2)
	v_add_f32_e32 v18, v18, v31
	v_sub_f32_e32 v30, v24, v25
	v_sub_f32_e32 v28, v25, v28
	s_delay_alu instid0(VALU_DEP_2) | instskip(NEXT) | instid1(VALU_DEP_1)
	v_sub_f32_e32 v24, v24, v30
	v_sub_f32_e32 v24, v24, v25
	s_delay_alu instid0(VALU_DEP_1) | instskip(SKIP_1) | instid1(VALU_DEP_1)
	v_dual_sub_f32 v25, v28, v27 :: v_dual_add_f32 v18, v18, v24
	v_add_f32_e32 v24, v29, v26
	v_dual_add_f32 v18, v25, v18 :: v_dual_sub_f32 v25, v24, v29
	s_delay_alu instid0(VALU_DEP_1) | instskip(NEXT) | instid1(VALU_DEP_1)
	v_add_f32_e32 v18, v30, v18
	v_dual_sub_f32 v25, v26, v25 :: v_dual_mul_f32 v18, v23, v18
	s_delay_alu instid0(VALU_DEP_1) | instskip(NEXT) | instid1(VALU_DEP_1)
	v_add_f32_e32 v18, v25, v18
	v_add_f32_e32 v23, v24, v18
	s_delay_alu instid0(VALU_DEP_1) | instskip(SKIP_1) | instid1(VALU_DEP_1)
	v_mul_f32_e32 v25, v23, v23
	s_wait_alu 0xfffe
	v_fmaak_f32 v26, s12, v25, 0x3ecc95a3
	v_mul_f32_e32 v27, v23, v25
	v_cmp_neq_f32_e64 s12, 0x7f800000, v22
	s_delay_alu instid0(VALU_DEP_3) | instskip(SKIP_2) | instid1(VALU_DEP_3)
	v_fmaak_f32 v25, v25, v26, 0x3f2aaada
	v_ldexp_f32 v26, v23, 1
	v_sub_f32_e32 v23, v23, v24
	v_mul_f32_e32 v25, v27, v25
	s_delay_alu instid0(VALU_DEP_2) | instskip(NEXT) | instid1(VALU_DEP_2)
	v_dual_mul_f32 v27, 0x3f317218, v17 :: v_dual_sub_f32 v18, v18, v23
	v_add_f32_e32 v24, v26, v25
	s_delay_alu instid0(VALU_DEP_2) | instskip(NEXT) | instid1(VALU_DEP_2)
	v_ldexp_f32 v18, v18, 1
	v_sub_f32_e32 v23, v24, v26
	s_delay_alu instid0(VALU_DEP_4) | instskip(NEXT) | instid1(VALU_DEP_2)
	v_fma_f32 v26, 0x3f317218, v17, -v27
	v_sub_f32_e32 v23, v25, v23
	s_delay_alu instid0(VALU_DEP_1) | instskip(NEXT) | instid1(VALU_DEP_1)
	v_dual_fmamk_f32 v17, v17, 0xb102e308, v26 :: v_dual_add_f32 v18, v18, v23
	v_add_f32_e32 v23, v27, v17
	s_delay_alu instid0(VALU_DEP_2) | instskip(NEXT) | instid1(VALU_DEP_2)
	v_add_f32_e32 v25, v24, v18
	v_sub_f32_e32 v27, v23, v27
	s_delay_alu instid0(VALU_DEP_2) | instskip(SKIP_1) | instid1(VALU_DEP_3)
	v_add_f32_e32 v26, v23, v25
	v_sub_f32_e32 v24, v25, v24
	v_sub_f32_e32 v17, v17, v27
	s_delay_alu instid0(VALU_DEP_3) | instskip(NEXT) | instid1(VALU_DEP_3)
	v_sub_f32_e32 v28, v26, v23
	v_sub_f32_e32 v18, v18, v24
	s_delay_alu instid0(VALU_DEP_2) | instskip(SKIP_1) | instid1(VALU_DEP_3)
	v_sub_f32_e32 v29, v26, v28
	v_sub_f32_e32 v24, v25, v28
	v_add_f32_e32 v25, v17, v18
	s_delay_alu instid0(VALU_DEP_3) | instskip(NEXT) | instid1(VALU_DEP_1)
	v_sub_f32_e32 v23, v23, v29
	v_dual_add_f32 v23, v24, v23 :: v_dual_sub_f32 v24, v25, v17
	s_delay_alu instid0(VALU_DEP_1) | instskip(NEXT) | instid1(VALU_DEP_2)
	v_add_f32_e32 v23, v25, v23
	v_sub_f32_e32 v25, v25, v24
	v_sub_f32_e32 v18, v18, v24
	s_delay_alu instid0(VALU_DEP_3) | instskip(NEXT) | instid1(VALU_DEP_1)
	v_add_f32_e32 v27, v26, v23
	v_dual_sub_f32 v17, v17, v25 :: v_dual_sub_f32 v24, v27, v26
	s_delay_alu instid0(VALU_DEP_1) | instskip(NEXT) | instid1(VALU_DEP_1)
	v_dual_add_f32 v17, v18, v17 :: v_dual_sub_f32 v18, v23, v24
	v_add_f32_e32 v17, v17, v18
	s_delay_alu instid0(VALU_DEP_1) | instskip(SKIP_1) | instid1(VALU_DEP_1)
	v_add_f32_e32 v17, v27, v17
	s_wait_alu 0xf1ff
	v_cndmask_b32_e64 v17, 0x7f800000, v17, s12
	v_cmp_gt_f32_e64 s12, 0x33800000, |v22|
	s_wait_alu 0xf1ff
	s_delay_alu instid0(VALU_DEP_1) | instskip(NEXT) | instid1(VALU_DEP_1)
	v_cndmask_b32_e64 v17, v17, v22, s12
	v_add_f32_e32 v17, v19, v17
	s_delay_alu instid0(VALU_DEP_1) | instskip(NEXT) | instid1(VALU_DEP_1)
	v_cvt_f16_f32_e32 v17, v17
	v_cvt_f32_f16_e32 v18, v17
.LBB356_263:
	s_wait_alu 0xfffe
	s_or_b32 exec_lo, exec_lo, s13
	ds_load_u16 v19, v14 offset:4
	v_max_num_f32_e32 v22, v18, v18
	v_cmp_u_f16_e64 s12, v17, v17
	ds_store_b16 v14, v17 offset:2
	s_wait_dscnt 0x1
	v_cvt_f32_f16_e32 v23, v19
	s_delay_alu instid0(VALU_DEP_1) | instskip(SKIP_2) | instid1(VALU_DEP_2)
	v_min_num_f32_e32 v24, v22, v23
	v_max_num_f32_e32 v22, v22, v23
	s_wait_alu 0xf1ff
	v_cndmask_b32_e64 v24, v24, v18, s12
	s_delay_alu instid0(VALU_DEP_2) | instskip(SKIP_2) | instid1(VALU_DEP_1)
	v_cndmask_b32_e64 v25, v22, v18, s12
	v_cmp_u_f16_e64 s12, v19, v19
	s_wait_alu 0xf1ff
	v_cndmask_b32_e64 v22, v24, v23, s12
	s_delay_alu instid0(VALU_DEP_3) | instskip(NEXT) | instid1(VALU_DEP_2)
	v_cndmask_b32_e64 v19, v25, v23, s12
	v_cmp_class_f32_e64 s13, v22, 0x1f8
	s_delay_alu instid0(VALU_DEP_2)
	v_cmp_neq_f32_e64 s12, v22, v19
	s_or_b32 s12, s12, s13
	s_wait_alu 0xfffe
	s_and_saveexec_b32 s13, s12
	s_cbranch_execz .LBB356_265
; %bb.264:
	v_sub_f32_e32 v17, v22, v19
	s_delay_alu instid0(VALU_DEP_1) | instskip(SKIP_1) | instid1(VALU_DEP_2)
	v_mul_f32_e32 v18, 0x3fb8aa3b, v17
	v_cmp_ngt_f32_e64 s12, 0xc2ce8ed0, v17
	v_fma_f32 v22, 0x3fb8aa3b, v17, -v18
	v_rndne_f32_e32 v23, v18
	s_delay_alu instid0(VALU_DEP_2) | instskip(NEXT) | instid1(VALU_DEP_2)
	v_fmamk_f32 v22, v17, 0x32a5705f, v22
	v_sub_f32_e32 v18, v18, v23
	s_delay_alu instid0(VALU_DEP_1) | instskip(SKIP_1) | instid1(VALU_DEP_2)
	v_add_f32_e32 v18, v18, v22
	v_cvt_i32_f32_e32 v22, v23
	v_exp_f32_e32 v18, v18
	s_delay_alu instid0(TRANS32_DEP_1) | instskip(SKIP_1) | instid1(VALU_DEP_1)
	v_ldexp_f32 v18, v18, v22
	s_wait_alu 0xf1ff
	v_cndmask_b32_e64 v18, 0, v18, s12
	v_cmp_nlt_f32_e64 s12, 0x42b17218, v17
	s_wait_alu 0xf1ff
	s_delay_alu instid0(VALU_DEP_1) | instskip(NEXT) | instid1(VALU_DEP_1)
	v_cndmask_b32_e64 v22, 0x7f800000, v18, s12
	v_add_f32_e32 v23, 1.0, v22
	s_delay_alu instid0(VALU_DEP_1) | instskip(NEXT) | instid1(VALU_DEP_1)
	v_cvt_f64_f32_e32 v[17:18], v23
	v_frexp_exp_i32_f64_e32 v17, v[17:18]
	v_frexp_mant_f32_e32 v18, v23
	s_delay_alu instid0(VALU_DEP_1) | instskip(SKIP_1) | instid1(VALU_DEP_1)
	v_cmp_gt_f32_e64 s12, 0x3f2aaaab, v18
	v_add_f32_e32 v18, -1.0, v23
	v_sub_f32_e32 v25, v18, v23
	s_delay_alu instid0(VALU_DEP_1)
	v_dual_sub_f32 v18, v22, v18 :: v_dual_add_f32 v25, 1.0, v25
	s_wait_alu 0xf1ff
	v_subrev_co_ci_u32_e64 v17, null, 0, v17, s12
	s_mov_b32 s12, 0x3e9b6dac
	v_sub_nc_u32_e32 v24, 0, v17
	v_cvt_f32_i32_e32 v17, v17
	s_delay_alu instid0(VALU_DEP_2) | instskip(SKIP_1) | instid1(VALU_DEP_1)
	v_ldexp_f32 v23, v23, v24
	v_add_f32_e32 v18, v18, v25
	v_ldexp_f32 v18, v18, v24
	s_delay_alu instid0(VALU_DEP_3) | instskip(NEXT) | instid1(VALU_DEP_1)
	v_add_f32_e32 v26, 1.0, v23
	v_add_f32_e32 v25, -1.0, v26
	s_delay_alu instid0(VALU_DEP_1) | instskip(NEXT) | instid1(VALU_DEP_1)
	v_sub_f32_e32 v25, v23, v25
	v_dual_add_f32 v25, v18, v25 :: v_dual_add_f32 v24, -1.0, v23
	s_delay_alu instid0(VALU_DEP_1) | instskip(NEXT) | instid1(VALU_DEP_1)
	v_add_f32_e32 v27, 1.0, v24
	v_sub_f32_e32 v23, v23, v27
	s_delay_alu instid0(VALU_DEP_3) | instskip(NEXT) | instid1(VALU_DEP_1)
	v_add_f32_e32 v27, v26, v25
	v_sub_f32_e32 v26, v26, v27
	s_delay_alu instid0(VALU_DEP_3) | instskip(SKIP_1) | instid1(VALU_DEP_2)
	v_add_f32_e32 v18, v18, v23
	v_rcp_f32_e32 v23, v27
	v_add_f32_e32 v25, v25, v26
	s_delay_alu instid0(VALU_DEP_2) | instskip(NEXT) | instid1(VALU_DEP_1)
	v_add_f32_e32 v28, v24, v18
	v_sub_f32_e32 v24, v24, v28
	s_delay_alu instid0(TRANS32_DEP_1) | instid1(VALU_DEP_1)
	v_dual_mul_f32 v29, v28, v23 :: v_dual_add_f32 v18, v18, v24
	s_delay_alu instid0(VALU_DEP_1) | instskip(NEXT) | instid1(VALU_DEP_1)
	v_mul_f32_e32 v30, v27, v29
	v_fma_f32 v26, v29, v27, -v30
	s_delay_alu instid0(VALU_DEP_1) | instskip(NEXT) | instid1(VALU_DEP_1)
	v_fmac_f32_e32 v26, v29, v25
	v_add_f32_e32 v31, v30, v26
	s_delay_alu instid0(VALU_DEP_1) | instskip(NEXT) | instid1(VALU_DEP_1)
	v_sub_f32_e32 v32, v28, v31
	v_sub_f32_e32 v28, v28, v32
	;; [unrolled: 1-line block ×3, first 2 shown]
	s_delay_alu instid0(VALU_DEP_2) | instskip(NEXT) | instid1(VALU_DEP_2)
	v_sub_f32_e32 v28, v28, v31
	v_sub_f32_e32 v24, v24, v26
	s_delay_alu instid0(VALU_DEP_2) | instskip(NEXT) | instid1(VALU_DEP_1)
	v_add_f32_e32 v18, v18, v28
	v_add_f32_e32 v18, v24, v18
	s_delay_alu instid0(VALU_DEP_1) | instskip(NEXT) | instid1(VALU_DEP_1)
	v_add_f32_e32 v24, v32, v18
	v_mul_f32_e32 v26, v23, v24
	s_delay_alu instid0(VALU_DEP_1) | instskip(NEXT) | instid1(VALU_DEP_1)
	v_mul_f32_e32 v28, v27, v26
	v_fma_f32 v27, v26, v27, -v28
	s_delay_alu instid0(VALU_DEP_1) | instskip(SKIP_1) | instid1(VALU_DEP_2)
	v_fmac_f32_e32 v27, v26, v25
	v_sub_f32_e32 v31, v32, v24
	v_add_f32_e32 v25, v28, v27
	s_delay_alu instid0(VALU_DEP_2) | instskip(NEXT) | instid1(VALU_DEP_2)
	v_add_f32_e32 v18, v18, v31
	v_sub_f32_e32 v30, v24, v25
	v_sub_f32_e32 v28, v25, v28
	s_delay_alu instid0(VALU_DEP_2) | instskip(NEXT) | instid1(VALU_DEP_1)
	v_sub_f32_e32 v24, v24, v30
	v_sub_f32_e32 v24, v24, v25
	s_delay_alu instid0(VALU_DEP_1) | instskip(SKIP_1) | instid1(VALU_DEP_1)
	v_dual_sub_f32 v25, v28, v27 :: v_dual_add_f32 v18, v18, v24
	v_add_f32_e32 v24, v29, v26
	v_dual_add_f32 v18, v25, v18 :: v_dual_sub_f32 v25, v24, v29
	s_delay_alu instid0(VALU_DEP_1) | instskip(NEXT) | instid1(VALU_DEP_1)
	v_add_f32_e32 v18, v30, v18
	v_dual_sub_f32 v25, v26, v25 :: v_dual_mul_f32 v18, v23, v18
	s_delay_alu instid0(VALU_DEP_1) | instskip(NEXT) | instid1(VALU_DEP_1)
	v_add_f32_e32 v18, v25, v18
	v_add_f32_e32 v23, v24, v18
	s_delay_alu instid0(VALU_DEP_1) | instskip(SKIP_1) | instid1(VALU_DEP_1)
	v_mul_f32_e32 v25, v23, v23
	s_wait_alu 0xfffe
	v_fmaak_f32 v26, s12, v25, 0x3ecc95a3
	v_mul_f32_e32 v27, v23, v25
	v_cmp_neq_f32_e64 s12, 0x7f800000, v22
	s_delay_alu instid0(VALU_DEP_3) | instskip(SKIP_2) | instid1(VALU_DEP_3)
	v_fmaak_f32 v25, v25, v26, 0x3f2aaada
	v_ldexp_f32 v26, v23, 1
	v_sub_f32_e32 v23, v23, v24
	v_mul_f32_e32 v25, v27, v25
	s_delay_alu instid0(VALU_DEP_2) | instskip(NEXT) | instid1(VALU_DEP_2)
	v_dual_mul_f32 v27, 0x3f317218, v17 :: v_dual_sub_f32 v18, v18, v23
	v_add_f32_e32 v24, v26, v25
	s_delay_alu instid0(VALU_DEP_2) | instskip(NEXT) | instid1(VALU_DEP_2)
	v_ldexp_f32 v18, v18, 1
	v_sub_f32_e32 v23, v24, v26
	s_delay_alu instid0(VALU_DEP_4) | instskip(NEXT) | instid1(VALU_DEP_2)
	v_fma_f32 v26, 0x3f317218, v17, -v27
	v_sub_f32_e32 v23, v25, v23
	s_delay_alu instid0(VALU_DEP_1) | instskip(NEXT) | instid1(VALU_DEP_1)
	v_dual_fmamk_f32 v17, v17, 0xb102e308, v26 :: v_dual_add_f32 v18, v18, v23
	v_add_f32_e32 v23, v27, v17
	s_delay_alu instid0(VALU_DEP_2) | instskip(NEXT) | instid1(VALU_DEP_2)
	v_add_f32_e32 v25, v24, v18
	v_sub_f32_e32 v27, v23, v27
	s_delay_alu instid0(VALU_DEP_2) | instskip(SKIP_1) | instid1(VALU_DEP_3)
	v_add_f32_e32 v26, v23, v25
	v_sub_f32_e32 v24, v25, v24
	v_sub_f32_e32 v17, v17, v27
	s_delay_alu instid0(VALU_DEP_3) | instskip(NEXT) | instid1(VALU_DEP_3)
	v_sub_f32_e32 v28, v26, v23
	v_sub_f32_e32 v18, v18, v24
	s_delay_alu instid0(VALU_DEP_2) | instskip(SKIP_1) | instid1(VALU_DEP_3)
	v_sub_f32_e32 v29, v26, v28
	v_sub_f32_e32 v24, v25, v28
	v_add_f32_e32 v25, v17, v18
	s_delay_alu instid0(VALU_DEP_3) | instskip(NEXT) | instid1(VALU_DEP_1)
	v_sub_f32_e32 v23, v23, v29
	v_dual_add_f32 v23, v24, v23 :: v_dual_sub_f32 v24, v25, v17
	s_delay_alu instid0(VALU_DEP_1) | instskip(NEXT) | instid1(VALU_DEP_2)
	v_add_f32_e32 v23, v25, v23
	v_sub_f32_e32 v25, v25, v24
	v_sub_f32_e32 v18, v18, v24
	s_delay_alu instid0(VALU_DEP_3) | instskip(NEXT) | instid1(VALU_DEP_1)
	v_add_f32_e32 v27, v26, v23
	v_dual_sub_f32 v17, v17, v25 :: v_dual_sub_f32 v24, v27, v26
	s_delay_alu instid0(VALU_DEP_1) | instskip(NEXT) | instid1(VALU_DEP_1)
	v_dual_add_f32 v17, v18, v17 :: v_dual_sub_f32 v18, v23, v24
	v_add_f32_e32 v17, v17, v18
	s_delay_alu instid0(VALU_DEP_1) | instskip(SKIP_1) | instid1(VALU_DEP_1)
	v_add_f32_e32 v17, v27, v17
	s_wait_alu 0xf1ff
	v_cndmask_b32_e64 v17, 0x7f800000, v17, s12
	v_cmp_gt_f32_e64 s12, 0x33800000, |v22|
	s_wait_alu 0xf1ff
	s_delay_alu instid0(VALU_DEP_1) | instskip(NEXT) | instid1(VALU_DEP_1)
	v_cndmask_b32_e64 v17, v17, v22, s12
	v_add_f32_e32 v17, v19, v17
	s_delay_alu instid0(VALU_DEP_1) | instskip(NEXT) | instid1(VALU_DEP_1)
	v_cvt_f16_f32_e32 v17, v17
	v_cvt_f32_f16_e32 v18, v17
.LBB356_265:
	s_wait_alu 0xfffe
	s_or_b32 exec_lo, exec_lo, s13
	ds_load_u16 v19, v14 offset:6
	v_max_num_f32_e32 v22, v18, v18
	v_cmp_u_f16_e64 s12, v17, v17
	ds_store_b16 v14, v17 offset:4
	s_wait_dscnt 0x1
	v_cvt_f32_f16_e32 v23, v19
	s_delay_alu instid0(VALU_DEP_1) | instskip(SKIP_2) | instid1(VALU_DEP_2)
	v_min_num_f32_e32 v24, v22, v23
	v_max_num_f32_e32 v22, v22, v23
	s_wait_alu 0xf1ff
	v_cndmask_b32_e64 v24, v24, v18, s12
	s_delay_alu instid0(VALU_DEP_2) | instskip(SKIP_2) | instid1(VALU_DEP_1)
	v_cndmask_b32_e64 v25, v22, v18, s12
	v_cmp_u_f16_e64 s12, v19, v19
	s_wait_alu 0xf1ff
	v_cndmask_b32_e64 v22, v24, v23, s12
	s_delay_alu instid0(VALU_DEP_3) | instskip(NEXT) | instid1(VALU_DEP_2)
	v_cndmask_b32_e64 v19, v25, v23, s12
	v_cmp_class_f32_e64 s13, v22, 0x1f8
	s_delay_alu instid0(VALU_DEP_2)
	v_cmp_neq_f32_e64 s12, v22, v19
	s_or_b32 s12, s12, s13
	s_wait_alu 0xfffe
	s_and_saveexec_b32 s13, s12
	s_cbranch_execz .LBB356_267
; %bb.266:
	v_sub_f32_e32 v17, v22, v19
	s_delay_alu instid0(VALU_DEP_1) | instskip(SKIP_1) | instid1(VALU_DEP_2)
	v_mul_f32_e32 v18, 0x3fb8aa3b, v17
	v_cmp_ngt_f32_e64 s12, 0xc2ce8ed0, v17
	v_fma_f32 v22, 0x3fb8aa3b, v17, -v18
	v_rndne_f32_e32 v23, v18
	s_delay_alu instid0(VALU_DEP_2) | instskip(NEXT) | instid1(VALU_DEP_2)
	v_fmamk_f32 v22, v17, 0x32a5705f, v22
	v_sub_f32_e32 v18, v18, v23
	s_delay_alu instid0(VALU_DEP_1) | instskip(SKIP_1) | instid1(VALU_DEP_2)
	v_add_f32_e32 v18, v18, v22
	v_cvt_i32_f32_e32 v22, v23
	v_exp_f32_e32 v18, v18
	s_delay_alu instid0(TRANS32_DEP_1) | instskip(SKIP_1) | instid1(VALU_DEP_1)
	v_ldexp_f32 v18, v18, v22
	s_wait_alu 0xf1ff
	v_cndmask_b32_e64 v18, 0, v18, s12
	v_cmp_nlt_f32_e64 s12, 0x42b17218, v17
	s_wait_alu 0xf1ff
	s_delay_alu instid0(VALU_DEP_1) | instskip(NEXT) | instid1(VALU_DEP_1)
	v_cndmask_b32_e64 v22, 0x7f800000, v18, s12
	v_add_f32_e32 v23, 1.0, v22
	s_delay_alu instid0(VALU_DEP_1) | instskip(NEXT) | instid1(VALU_DEP_1)
	v_cvt_f64_f32_e32 v[17:18], v23
	v_frexp_exp_i32_f64_e32 v17, v[17:18]
	v_frexp_mant_f32_e32 v18, v23
	s_delay_alu instid0(VALU_DEP_1) | instskip(SKIP_1) | instid1(VALU_DEP_1)
	v_cmp_gt_f32_e64 s12, 0x3f2aaaab, v18
	v_add_f32_e32 v18, -1.0, v23
	v_sub_f32_e32 v25, v18, v23
	s_delay_alu instid0(VALU_DEP_1)
	v_dual_sub_f32 v18, v22, v18 :: v_dual_add_f32 v25, 1.0, v25
	s_wait_alu 0xf1ff
	v_subrev_co_ci_u32_e64 v17, null, 0, v17, s12
	s_mov_b32 s12, 0x3e9b6dac
	v_sub_nc_u32_e32 v24, 0, v17
	v_cvt_f32_i32_e32 v17, v17
	s_delay_alu instid0(VALU_DEP_2) | instskip(SKIP_1) | instid1(VALU_DEP_1)
	v_ldexp_f32 v23, v23, v24
	v_add_f32_e32 v18, v18, v25
	v_ldexp_f32 v18, v18, v24
	s_delay_alu instid0(VALU_DEP_3) | instskip(NEXT) | instid1(VALU_DEP_1)
	v_add_f32_e32 v26, 1.0, v23
	v_add_f32_e32 v25, -1.0, v26
	s_delay_alu instid0(VALU_DEP_1) | instskip(NEXT) | instid1(VALU_DEP_1)
	v_sub_f32_e32 v25, v23, v25
	v_dual_add_f32 v25, v18, v25 :: v_dual_add_f32 v24, -1.0, v23
	s_delay_alu instid0(VALU_DEP_1) | instskip(NEXT) | instid1(VALU_DEP_1)
	v_add_f32_e32 v27, 1.0, v24
	v_sub_f32_e32 v23, v23, v27
	s_delay_alu instid0(VALU_DEP_3) | instskip(NEXT) | instid1(VALU_DEP_1)
	v_add_f32_e32 v27, v26, v25
	v_sub_f32_e32 v26, v26, v27
	s_delay_alu instid0(VALU_DEP_3) | instskip(SKIP_1) | instid1(VALU_DEP_2)
	v_add_f32_e32 v18, v18, v23
	v_rcp_f32_e32 v23, v27
	v_add_f32_e32 v25, v25, v26
	s_delay_alu instid0(VALU_DEP_2) | instskip(NEXT) | instid1(VALU_DEP_1)
	v_add_f32_e32 v28, v24, v18
	v_sub_f32_e32 v24, v24, v28
	s_delay_alu instid0(TRANS32_DEP_1) | instid1(VALU_DEP_1)
	v_dual_mul_f32 v29, v28, v23 :: v_dual_add_f32 v18, v18, v24
	s_delay_alu instid0(VALU_DEP_1) | instskip(NEXT) | instid1(VALU_DEP_1)
	v_mul_f32_e32 v30, v27, v29
	v_fma_f32 v26, v29, v27, -v30
	s_delay_alu instid0(VALU_DEP_1) | instskip(NEXT) | instid1(VALU_DEP_1)
	v_fmac_f32_e32 v26, v29, v25
	v_add_f32_e32 v31, v30, v26
	s_delay_alu instid0(VALU_DEP_1) | instskip(NEXT) | instid1(VALU_DEP_1)
	v_sub_f32_e32 v32, v28, v31
	v_sub_f32_e32 v28, v28, v32
	v_sub_f32_e32 v24, v31, v30
	s_delay_alu instid0(VALU_DEP_2) | instskip(NEXT) | instid1(VALU_DEP_2)
	v_sub_f32_e32 v28, v28, v31
	v_sub_f32_e32 v24, v24, v26
	s_delay_alu instid0(VALU_DEP_2) | instskip(NEXT) | instid1(VALU_DEP_1)
	v_add_f32_e32 v18, v18, v28
	v_add_f32_e32 v18, v24, v18
	s_delay_alu instid0(VALU_DEP_1) | instskip(NEXT) | instid1(VALU_DEP_1)
	v_add_f32_e32 v24, v32, v18
	v_mul_f32_e32 v26, v23, v24
	s_delay_alu instid0(VALU_DEP_1) | instskip(NEXT) | instid1(VALU_DEP_1)
	v_mul_f32_e32 v28, v27, v26
	v_fma_f32 v27, v26, v27, -v28
	s_delay_alu instid0(VALU_DEP_1) | instskip(SKIP_1) | instid1(VALU_DEP_2)
	v_fmac_f32_e32 v27, v26, v25
	v_sub_f32_e32 v31, v32, v24
	v_add_f32_e32 v25, v28, v27
	s_delay_alu instid0(VALU_DEP_2) | instskip(NEXT) | instid1(VALU_DEP_2)
	v_add_f32_e32 v18, v18, v31
	v_sub_f32_e32 v30, v24, v25
	v_sub_f32_e32 v28, v25, v28
	s_delay_alu instid0(VALU_DEP_2) | instskip(NEXT) | instid1(VALU_DEP_1)
	v_sub_f32_e32 v24, v24, v30
	v_sub_f32_e32 v24, v24, v25
	s_delay_alu instid0(VALU_DEP_1) | instskip(SKIP_1) | instid1(VALU_DEP_1)
	v_dual_sub_f32 v25, v28, v27 :: v_dual_add_f32 v18, v18, v24
	v_add_f32_e32 v24, v29, v26
	v_dual_add_f32 v18, v25, v18 :: v_dual_sub_f32 v25, v24, v29
	s_delay_alu instid0(VALU_DEP_1) | instskip(NEXT) | instid1(VALU_DEP_1)
	v_add_f32_e32 v18, v30, v18
	v_dual_sub_f32 v25, v26, v25 :: v_dual_mul_f32 v18, v23, v18
	s_delay_alu instid0(VALU_DEP_1) | instskip(NEXT) | instid1(VALU_DEP_1)
	v_add_f32_e32 v18, v25, v18
	v_add_f32_e32 v23, v24, v18
	s_delay_alu instid0(VALU_DEP_1) | instskip(SKIP_1) | instid1(VALU_DEP_1)
	v_mul_f32_e32 v25, v23, v23
	s_wait_alu 0xfffe
	v_fmaak_f32 v26, s12, v25, 0x3ecc95a3
	v_mul_f32_e32 v27, v23, v25
	v_cmp_neq_f32_e64 s12, 0x7f800000, v22
	s_delay_alu instid0(VALU_DEP_3) | instskip(SKIP_2) | instid1(VALU_DEP_3)
	v_fmaak_f32 v25, v25, v26, 0x3f2aaada
	v_ldexp_f32 v26, v23, 1
	v_sub_f32_e32 v23, v23, v24
	v_mul_f32_e32 v25, v27, v25
	s_delay_alu instid0(VALU_DEP_2) | instskip(NEXT) | instid1(VALU_DEP_2)
	v_dual_mul_f32 v27, 0x3f317218, v17 :: v_dual_sub_f32 v18, v18, v23
	v_add_f32_e32 v24, v26, v25
	s_delay_alu instid0(VALU_DEP_2) | instskip(NEXT) | instid1(VALU_DEP_2)
	v_ldexp_f32 v18, v18, 1
	v_sub_f32_e32 v23, v24, v26
	s_delay_alu instid0(VALU_DEP_4) | instskip(NEXT) | instid1(VALU_DEP_2)
	v_fma_f32 v26, 0x3f317218, v17, -v27
	v_sub_f32_e32 v23, v25, v23
	s_delay_alu instid0(VALU_DEP_1) | instskip(NEXT) | instid1(VALU_DEP_1)
	v_dual_fmamk_f32 v17, v17, 0xb102e308, v26 :: v_dual_add_f32 v18, v18, v23
	v_add_f32_e32 v23, v27, v17
	s_delay_alu instid0(VALU_DEP_2) | instskip(NEXT) | instid1(VALU_DEP_2)
	v_add_f32_e32 v25, v24, v18
	v_sub_f32_e32 v27, v23, v27
	s_delay_alu instid0(VALU_DEP_2) | instskip(SKIP_1) | instid1(VALU_DEP_3)
	v_add_f32_e32 v26, v23, v25
	v_sub_f32_e32 v24, v25, v24
	v_sub_f32_e32 v17, v17, v27
	s_delay_alu instid0(VALU_DEP_3) | instskip(NEXT) | instid1(VALU_DEP_3)
	v_sub_f32_e32 v28, v26, v23
	v_sub_f32_e32 v18, v18, v24
	s_delay_alu instid0(VALU_DEP_2) | instskip(SKIP_1) | instid1(VALU_DEP_3)
	v_sub_f32_e32 v29, v26, v28
	v_sub_f32_e32 v24, v25, v28
	v_add_f32_e32 v25, v17, v18
	s_delay_alu instid0(VALU_DEP_3) | instskip(NEXT) | instid1(VALU_DEP_1)
	v_sub_f32_e32 v23, v23, v29
	v_dual_add_f32 v23, v24, v23 :: v_dual_sub_f32 v24, v25, v17
	s_delay_alu instid0(VALU_DEP_1) | instskip(NEXT) | instid1(VALU_DEP_2)
	v_add_f32_e32 v23, v25, v23
	v_sub_f32_e32 v25, v25, v24
	v_sub_f32_e32 v18, v18, v24
	s_delay_alu instid0(VALU_DEP_3) | instskip(NEXT) | instid1(VALU_DEP_1)
	v_add_f32_e32 v27, v26, v23
	v_dual_sub_f32 v17, v17, v25 :: v_dual_sub_f32 v24, v27, v26
	s_delay_alu instid0(VALU_DEP_1) | instskip(NEXT) | instid1(VALU_DEP_1)
	v_dual_add_f32 v17, v18, v17 :: v_dual_sub_f32 v18, v23, v24
	v_add_f32_e32 v17, v17, v18
	s_delay_alu instid0(VALU_DEP_1) | instskip(SKIP_1) | instid1(VALU_DEP_1)
	v_add_f32_e32 v17, v27, v17
	s_wait_alu 0xf1ff
	v_cndmask_b32_e64 v17, 0x7f800000, v17, s12
	v_cmp_gt_f32_e64 s12, 0x33800000, |v22|
	s_wait_alu 0xf1ff
	s_delay_alu instid0(VALU_DEP_1) | instskip(NEXT) | instid1(VALU_DEP_1)
	v_cndmask_b32_e64 v17, v17, v22, s12
	v_add_f32_e32 v17, v19, v17
	s_delay_alu instid0(VALU_DEP_1) | instskip(NEXT) | instid1(VALU_DEP_1)
	v_cvt_f16_f32_e32 v17, v17
	v_cvt_f32_f16_e32 v18, v17
.LBB356_267:
	s_wait_alu 0xfffe
	s_or_b32 exec_lo, exec_lo, s13
	ds_load_u16 v19, v14 offset:8
	v_max_num_f32_e32 v22, v18, v18
	v_cmp_u_f16_e64 s12, v17, v17
	ds_store_b16 v14, v17 offset:6
	s_wait_dscnt 0x1
	v_cvt_f32_f16_e32 v23, v19
	s_delay_alu instid0(VALU_DEP_1) | instskip(SKIP_2) | instid1(VALU_DEP_2)
	v_min_num_f32_e32 v24, v22, v23
	v_max_num_f32_e32 v22, v22, v23
	s_wait_alu 0xf1ff
	v_cndmask_b32_e64 v24, v24, v18, s12
	s_delay_alu instid0(VALU_DEP_2) | instskip(SKIP_2) | instid1(VALU_DEP_1)
	v_cndmask_b32_e64 v25, v22, v18, s12
	v_cmp_u_f16_e64 s12, v19, v19
	s_wait_alu 0xf1ff
	v_cndmask_b32_e64 v22, v24, v23, s12
	s_delay_alu instid0(VALU_DEP_3) | instskip(NEXT) | instid1(VALU_DEP_2)
	v_cndmask_b32_e64 v19, v25, v23, s12
	v_cmp_class_f32_e64 s13, v22, 0x1f8
	s_delay_alu instid0(VALU_DEP_2)
	v_cmp_neq_f32_e64 s12, v22, v19
	s_or_b32 s12, s12, s13
	s_wait_alu 0xfffe
	s_and_saveexec_b32 s13, s12
	s_cbranch_execz .LBB356_269
; %bb.268:
	v_sub_f32_e32 v17, v22, v19
	s_delay_alu instid0(VALU_DEP_1) | instskip(SKIP_1) | instid1(VALU_DEP_2)
	v_mul_f32_e32 v18, 0x3fb8aa3b, v17
	v_cmp_ngt_f32_e64 s12, 0xc2ce8ed0, v17
	v_fma_f32 v22, 0x3fb8aa3b, v17, -v18
	v_rndne_f32_e32 v23, v18
	s_delay_alu instid0(VALU_DEP_2) | instskip(NEXT) | instid1(VALU_DEP_2)
	v_fmamk_f32 v22, v17, 0x32a5705f, v22
	v_sub_f32_e32 v18, v18, v23
	s_delay_alu instid0(VALU_DEP_1) | instskip(SKIP_1) | instid1(VALU_DEP_2)
	v_add_f32_e32 v18, v18, v22
	v_cvt_i32_f32_e32 v22, v23
	v_exp_f32_e32 v18, v18
	s_delay_alu instid0(TRANS32_DEP_1) | instskip(SKIP_1) | instid1(VALU_DEP_1)
	v_ldexp_f32 v18, v18, v22
	s_wait_alu 0xf1ff
	v_cndmask_b32_e64 v18, 0, v18, s12
	v_cmp_nlt_f32_e64 s12, 0x42b17218, v17
	s_wait_alu 0xf1ff
	s_delay_alu instid0(VALU_DEP_1) | instskip(NEXT) | instid1(VALU_DEP_1)
	v_cndmask_b32_e64 v22, 0x7f800000, v18, s12
	v_add_f32_e32 v23, 1.0, v22
	s_delay_alu instid0(VALU_DEP_1) | instskip(NEXT) | instid1(VALU_DEP_1)
	v_cvt_f64_f32_e32 v[17:18], v23
	v_frexp_exp_i32_f64_e32 v17, v[17:18]
	v_frexp_mant_f32_e32 v18, v23
	s_delay_alu instid0(VALU_DEP_1) | instskip(SKIP_1) | instid1(VALU_DEP_1)
	v_cmp_gt_f32_e64 s12, 0x3f2aaaab, v18
	v_add_f32_e32 v18, -1.0, v23
	v_sub_f32_e32 v25, v18, v23
	s_delay_alu instid0(VALU_DEP_1)
	v_dual_sub_f32 v18, v22, v18 :: v_dual_add_f32 v25, 1.0, v25
	s_wait_alu 0xf1ff
	v_subrev_co_ci_u32_e64 v17, null, 0, v17, s12
	s_mov_b32 s12, 0x3e9b6dac
	v_sub_nc_u32_e32 v24, 0, v17
	v_cvt_f32_i32_e32 v17, v17
	s_delay_alu instid0(VALU_DEP_2) | instskip(SKIP_1) | instid1(VALU_DEP_1)
	v_ldexp_f32 v23, v23, v24
	v_add_f32_e32 v18, v18, v25
	v_ldexp_f32 v18, v18, v24
	s_delay_alu instid0(VALU_DEP_3) | instskip(NEXT) | instid1(VALU_DEP_1)
	v_add_f32_e32 v26, 1.0, v23
	v_add_f32_e32 v25, -1.0, v26
	s_delay_alu instid0(VALU_DEP_1) | instskip(NEXT) | instid1(VALU_DEP_1)
	v_sub_f32_e32 v25, v23, v25
	v_dual_add_f32 v25, v18, v25 :: v_dual_add_f32 v24, -1.0, v23
	s_delay_alu instid0(VALU_DEP_1) | instskip(NEXT) | instid1(VALU_DEP_1)
	v_add_f32_e32 v27, 1.0, v24
	v_sub_f32_e32 v23, v23, v27
	s_delay_alu instid0(VALU_DEP_3) | instskip(NEXT) | instid1(VALU_DEP_1)
	v_add_f32_e32 v27, v26, v25
	v_sub_f32_e32 v26, v26, v27
	s_delay_alu instid0(VALU_DEP_3) | instskip(SKIP_1) | instid1(VALU_DEP_2)
	v_add_f32_e32 v18, v18, v23
	v_rcp_f32_e32 v23, v27
	v_add_f32_e32 v25, v25, v26
	s_delay_alu instid0(VALU_DEP_2) | instskip(NEXT) | instid1(VALU_DEP_1)
	v_add_f32_e32 v28, v24, v18
	v_sub_f32_e32 v24, v24, v28
	s_delay_alu instid0(TRANS32_DEP_1) | instid1(VALU_DEP_1)
	v_dual_mul_f32 v29, v28, v23 :: v_dual_add_f32 v18, v18, v24
	s_delay_alu instid0(VALU_DEP_1) | instskip(NEXT) | instid1(VALU_DEP_1)
	v_mul_f32_e32 v30, v27, v29
	v_fma_f32 v26, v29, v27, -v30
	s_delay_alu instid0(VALU_DEP_1) | instskip(NEXT) | instid1(VALU_DEP_1)
	v_fmac_f32_e32 v26, v29, v25
	v_add_f32_e32 v31, v30, v26
	s_delay_alu instid0(VALU_DEP_1) | instskip(NEXT) | instid1(VALU_DEP_1)
	v_sub_f32_e32 v32, v28, v31
	v_sub_f32_e32 v28, v28, v32
	v_sub_f32_e32 v24, v31, v30
	s_delay_alu instid0(VALU_DEP_2) | instskip(NEXT) | instid1(VALU_DEP_2)
	v_sub_f32_e32 v28, v28, v31
	v_sub_f32_e32 v24, v24, v26
	s_delay_alu instid0(VALU_DEP_2) | instskip(NEXT) | instid1(VALU_DEP_1)
	v_add_f32_e32 v18, v18, v28
	v_add_f32_e32 v18, v24, v18
	s_delay_alu instid0(VALU_DEP_1) | instskip(NEXT) | instid1(VALU_DEP_1)
	v_add_f32_e32 v24, v32, v18
	v_mul_f32_e32 v26, v23, v24
	s_delay_alu instid0(VALU_DEP_1) | instskip(NEXT) | instid1(VALU_DEP_1)
	v_mul_f32_e32 v28, v27, v26
	v_fma_f32 v27, v26, v27, -v28
	s_delay_alu instid0(VALU_DEP_1) | instskip(SKIP_1) | instid1(VALU_DEP_2)
	v_fmac_f32_e32 v27, v26, v25
	v_sub_f32_e32 v31, v32, v24
	v_add_f32_e32 v25, v28, v27
	s_delay_alu instid0(VALU_DEP_2) | instskip(NEXT) | instid1(VALU_DEP_2)
	v_add_f32_e32 v18, v18, v31
	v_sub_f32_e32 v30, v24, v25
	v_sub_f32_e32 v28, v25, v28
	s_delay_alu instid0(VALU_DEP_2) | instskip(NEXT) | instid1(VALU_DEP_1)
	v_sub_f32_e32 v24, v24, v30
	v_sub_f32_e32 v24, v24, v25
	s_delay_alu instid0(VALU_DEP_1) | instskip(SKIP_1) | instid1(VALU_DEP_1)
	v_dual_sub_f32 v25, v28, v27 :: v_dual_add_f32 v18, v18, v24
	v_add_f32_e32 v24, v29, v26
	v_dual_add_f32 v18, v25, v18 :: v_dual_sub_f32 v25, v24, v29
	s_delay_alu instid0(VALU_DEP_1) | instskip(NEXT) | instid1(VALU_DEP_1)
	v_add_f32_e32 v18, v30, v18
	v_dual_sub_f32 v25, v26, v25 :: v_dual_mul_f32 v18, v23, v18
	s_delay_alu instid0(VALU_DEP_1) | instskip(NEXT) | instid1(VALU_DEP_1)
	v_add_f32_e32 v18, v25, v18
	v_add_f32_e32 v23, v24, v18
	s_delay_alu instid0(VALU_DEP_1) | instskip(SKIP_1) | instid1(VALU_DEP_1)
	v_mul_f32_e32 v25, v23, v23
	s_wait_alu 0xfffe
	v_fmaak_f32 v26, s12, v25, 0x3ecc95a3
	v_mul_f32_e32 v27, v23, v25
	v_cmp_neq_f32_e64 s12, 0x7f800000, v22
	s_delay_alu instid0(VALU_DEP_3) | instskip(SKIP_2) | instid1(VALU_DEP_3)
	v_fmaak_f32 v25, v25, v26, 0x3f2aaada
	v_ldexp_f32 v26, v23, 1
	v_sub_f32_e32 v23, v23, v24
	v_mul_f32_e32 v25, v27, v25
	s_delay_alu instid0(VALU_DEP_2) | instskip(NEXT) | instid1(VALU_DEP_2)
	v_dual_mul_f32 v27, 0x3f317218, v17 :: v_dual_sub_f32 v18, v18, v23
	v_add_f32_e32 v24, v26, v25
	s_delay_alu instid0(VALU_DEP_2) | instskip(NEXT) | instid1(VALU_DEP_2)
	v_ldexp_f32 v18, v18, 1
	v_sub_f32_e32 v23, v24, v26
	s_delay_alu instid0(VALU_DEP_4) | instskip(NEXT) | instid1(VALU_DEP_2)
	v_fma_f32 v26, 0x3f317218, v17, -v27
	v_sub_f32_e32 v23, v25, v23
	s_delay_alu instid0(VALU_DEP_1) | instskip(NEXT) | instid1(VALU_DEP_1)
	v_dual_fmamk_f32 v17, v17, 0xb102e308, v26 :: v_dual_add_f32 v18, v18, v23
	v_add_f32_e32 v23, v27, v17
	s_delay_alu instid0(VALU_DEP_2) | instskip(NEXT) | instid1(VALU_DEP_2)
	v_add_f32_e32 v25, v24, v18
	v_sub_f32_e32 v27, v23, v27
	s_delay_alu instid0(VALU_DEP_2) | instskip(SKIP_1) | instid1(VALU_DEP_3)
	v_add_f32_e32 v26, v23, v25
	v_sub_f32_e32 v24, v25, v24
	v_sub_f32_e32 v17, v17, v27
	s_delay_alu instid0(VALU_DEP_3) | instskip(NEXT) | instid1(VALU_DEP_3)
	v_sub_f32_e32 v28, v26, v23
	v_sub_f32_e32 v18, v18, v24
	s_delay_alu instid0(VALU_DEP_2) | instskip(SKIP_1) | instid1(VALU_DEP_3)
	v_sub_f32_e32 v29, v26, v28
	v_sub_f32_e32 v24, v25, v28
	v_add_f32_e32 v25, v17, v18
	s_delay_alu instid0(VALU_DEP_3) | instskip(NEXT) | instid1(VALU_DEP_1)
	v_sub_f32_e32 v23, v23, v29
	v_dual_add_f32 v23, v24, v23 :: v_dual_sub_f32 v24, v25, v17
	s_delay_alu instid0(VALU_DEP_1) | instskip(NEXT) | instid1(VALU_DEP_2)
	v_add_f32_e32 v23, v25, v23
	v_sub_f32_e32 v25, v25, v24
	v_sub_f32_e32 v18, v18, v24
	s_delay_alu instid0(VALU_DEP_3) | instskip(NEXT) | instid1(VALU_DEP_1)
	v_add_f32_e32 v27, v26, v23
	v_dual_sub_f32 v17, v17, v25 :: v_dual_sub_f32 v24, v27, v26
	s_delay_alu instid0(VALU_DEP_1) | instskip(NEXT) | instid1(VALU_DEP_1)
	v_dual_add_f32 v17, v18, v17 :: v_dual_sub_f32 v18, v23, v24
	v_add_f32_e32 v17, v17, v18
	s_delay_alu instid0(VALU_DEP_1) | instskip(SKIP_1) | instid1(VALU_DEP_1)
	v_add_f32_e32 v17, v27, v17
	s_wait_alu 0xf1ff
	v_cndmask_b32_e64 v17, 0x7f800000, v17, s12
	v_cmp_gt_f32_e64 s12, 0x33800000, |v22|
	s_wait_alu 0xf1ff
	s_delay_alu instid0(VALU_DEP_1) | instskip(NEXT) | instid1(VALU_DEP_1)
	v_cndmask_b32_e64 v17, v17, v22, s12
	v_add_f32_e32 v17, v19, v17
	s_delay_alu instid0(VALU_DEP_1) | instskip(NEXT) | instid1(VALU_DEP_1)
	v_cvt_f16_f32_e32 v17, v17
	v_cvt_f32_f16_e32 v18, v17
.LBB356_269:
	s_wait_alu 0xfffe
	s_or_b32 exec_lo, exec_lo, s13
	ds_load_u16 v19, v14 offset:10
	v_max_num_f32_e32 v22, v18, v18
	v_cmp_u_f16_e64 s12, v17, v17
	ds_store_b16 v14, v17 offset:8
	s_wait_dscnt 0x1
	v_cvt_f32_f16_e32 v23, v19
	s_delay_alu instid0(VALU_DEP_1) | instskip(SKIP_2) | instid1(VALU_DEP_2)
	v_min_num_f32_e32 v24, v22, v23
	v_max_num_f32_e32 v22, v22, v23
	s_wait_alu 0xf1ff
	v_cndmask_b32_e64 v24, v24, v18, s12
	s_delay_alu instid0(VALU_DEP_2) | instskip(SKIP_2) | instid1(VALU_DEP_1)
	v_cndmask_b32_e64 v25, v22, v18, s12
	v_cmp_u_f16_e64 s12, v19, v19
	s_wait_alu 0xf1ff
	v_cndmask_b32_e64 v22, v24, v23, s12
	s_delay_alu instid0(VALU_DEP_3) | instskip(NEXT) | instid1(VALU_DEP_2)
	v_cndmask_b32_e64 v19, v25, v23, s12
	v_cmp_class_f32_e64 s13, v22, 0x1f8
	s_delay_alu instid0(VALU_DEP_2)
	v_cmp_neq_f32_e64 s12, v22, v19
	s_or_b32 s12, s12, s13
	s_wait_alu 0xfffe
	s_and_saveexec_b32 s13, s12
	s_cbranch_execz .LBB356_271
; %bb.270:
	v_sub_f32_e32 v17, v22, v19
	s_delay_alu instid0(VALU_DEP_1) | instskip(SKIP_1) | instid1(VALU_DEP_2)
	v_mul_f32_e32 v18, 0x3fb8aa3b, v17
	v_cmp_ngt_f32_e64 s12, 0xc2ce8ed0, v17
	v_fma_f32 v22, 0x3fb8aa3b, v17, -v18
	v_rndne_f32_e32 v23, v18
	s_delay_alu instid0(VALU_DEP_2) | instskip(NEXT) | instid1(VALU_DEP_2)
	v_fmamk_f32 v22, v17, 0x32a5705f, v22
	v_sub_f32_e32 v18, v18, v23
	s_delay_alu instid0(VALU_DEP_1) | instskip(SKIP_1) | instid1(VALU_DEP_2)
	v_add_f32_e32 v18, v18, v22
	v_cvt_i32_f32_e32 v22, v23
	v_exp_f32_e32 v18, v18
	s_delay_alu instid0(TRANS32_DEP_1) | instskip(SKIP_1) | instid1(VALU_DEP_1)
	v_ldexp_f32 v18, v18, v22
	s_wait_alu 0xf1ff
	v_cndmask_b32_e64 v18, 0, v18, s12
	v_cmp_nlt_f32_e64 s12, 0x42b17218, v17
	s_wait_alu 0xf1ff
	s_delay_alu instid0(VALU_DEP_1) | instskip(NEXT) | instid1(VALU_DEP_1)
	v_cndmask_b32_e64 v22, 0x7f800000, v18, s12
	v_add_f32_e32 v23, 1.0, v22
	s_delay_alu instid0(VALU_DEP_1) | instskip(NEXT) | instid1(VALU_DEP_1)
	v_cvt_f64_f32_e32 v[17:18], v23
	v_frexp_exp_i32_f64_e32 v17, v[17:18]
	v_frexp_mant_f32_e32 v18, v23
	s_delay_alu instid0(VALU_DEP_1) | instskip(SKIP_1) | instid1(VALU_DEP_1)
	v_cmp_gt_f32_e64 s12, 0x3f2aaaab, v18
	v_add_f32_e32 v18, -1.0, v23
	v_sub_f32_e32 v25, v18, v23
	s_delay_alu instid0(VALU_DEP_1)
	v_dual_sub_f32 v18, v22, v18 :: v_dual_add_f32 v25, 1.0, v25
	s_wait_alu 0xf1ff
	v_subrev_co_ci_u32_e64 v17, null, 0, v17, s12
	s_mov_b32 s12, 0x3e9b6dac
	v_sub_nc_u32_e32 v24, 0, v17
	v_cvt_f32_i32_e32 v17, v17
	s_delay_alu instid0(VALU_DEP_2) | instskip(SKIP_1) | instid1(VALU_DEP_1)
	v_ldexp_f32 v23, v23, v24
	v_add_f32_e32 v18, v18, v25
	v_ldexp_f32 v18, v18, v24
	s_delay_alu instid0(VALU_DEP_3) | instskip(NEXT) | instid1(VALU_DEP_1)
	v_add_f32_e32 v26, 1.0, v23
	v_add_f32_e32 v25, -1.0, v26
	s_delay_alu instid0(VALU_DEP_1) | instskip(NEXT) | instid1(VALU_DEP_1)
	v_sub_f32_e32 v25, v23, v25
	v_dual_add_f32 v25, v18, v25 :: v_dual_add_f32 v24, -1.0, v23
	s_delay_alu instid0(VALU_DEP_1) | instskip(NEXT) | instid1(VALU_DEP_1)
	v_add_f32_e32 v27, 1.0, v24
	v_sub_f32_e32 v23, v23, v27
	s_delay_alu instid0(VALU_DEP_3) | instskip(NEXT) | instid1(VALU_DEP_1)
	v_add_f32_e32 v27, v26, v25
	v_sub_f32_e32 v26, v26, v27
	s_delay_alu instid0(VALU_DEP_3) | instskip(SKIP_1) | instid1(VALU_DEP_2)
	v_add_f32_e32 v18, v18, v23
	v_rcp_f32_e32 v23, v27
	v_add_f32_e32 v25, v25, v26
	s_delay_alu instid0(VALU_DEP_2) | instskip(NEXT) | instid1(VALU_DEP_1)
	v_add_f32_e32 v28, v24, v18
	v_sub_f32_e32 v24, v24, v28
	s_delay_alu instid0(TRANS32_DEP_1) | instid1(VALU_DEP_1)
	v_dual_mul_f32 v29, v28, v23 :: v_dual_add_f32 v18, v18, v24
	s_delay_alu instid0(VALU_DEP_1) | instskip(NEXT) | instid1(VALU_DEP_1)
	v_mul_f32_e32 v30, v27, v29
	v_fma_f32 v26, v29, v27, -v30
	s_delay_alu instid0(VALU_DEP_1) | instskip(NEXT) | instid1(VALU_DEP_1)
	v_fmac_f32_e32 v26, v29, v25
	v_add_f32_e32 v31, v30, v26
	s_delay_alu instid0(VALU_DEP_1) | instskip(NEXT) | instid1(VALU_DEP_1)
	v_sub_f32_e32 v32, v28, v31
	v_sub_f32_e32 v28, v28, v32
	;; [unrolled: 1-line block ×3, first 2 shown]
	s_delay_alu instid0(VALU_DEP_2) | instskip(NEXT) | instid1(VALU_DEP_2)
	v_sub_f32_e32 v28, v28, v31
	v_sub_f32_e32 v24, v24, v26
	s_delay_alu instid0(VALU_DEP_2) | instskip(NEXT) | instid1(VALU_DEP_1)
	v_add_f32_e32 v18, v18, v28
	v_add_f32_e32 v18, v24, v18
	s_delay_alu instid0(VALU_DEP_1) | instskip(NEXT) | instid1(VALU_DEP_1)
	v_add_f32_e32 v24, v32, v18
	v_mul_f32_e32 v26, v23, v24
	s_delay_alu instid0(VALU_DEP_1) | instskip(NEXT) | instid1(VALU_DEP_1)
	v_mul_f32_e32 v28, v27, v26
	v_fma_f32 v27, v26, v27, -v28
	s_delay_alu instid0(VALU_DEP_1) | instskip(SKIP_1) | instid1(VALU_DEP_2)
	v_fmac_f32_e32 v27, v26, v25
	v_sub_f32_e32 v31, v32, v24
	v_add_f32_e32 v25, v28, v27
	s_delay_alu instid0(VALU_DEP_2) | instskip(NEXT) | instid1(VALU_DEP_2)
	v_add_f32_e32 v18, v18, v31
	v_sub_f32_e32 v30, v24, v25
	v_sub_f32_e32 v28, v25, v28
	s_delay_alu instid0(VALU_DEP_2) | instskip(NEXT) | instid1(VALU_DEP_1)
	v_sub_f32_e32 v24, v24, v30
	v_sub_f32_e32 v24, v24, v25
	s_delay_alu instid0(VALU_DEP_1) | instskip(SKIP_1) | instid1(VALU_DEP_1)
	v_dual_sub_f32 v25, v28, v27 :: v_dual_add_f32 v18, v18, v24
	v_add_f32_e32 v24, v29, v26
	v_dual_add_f32 v18, v25, v18 :: v_dual_sub_f32 v25, v24, v29
	s_delay_alu instid0(VALU_DEP_1) | instskip(NEXT) | instid1(VALU_DEP_1)
	v_add_f32_e32 v18, v30, v18
	v_dual_sub_f32 v25, v26, v25 :: v_dual_mul_f32 v18, v23, v18
	s_delay_alu instid0(VALU_DEP_1) | instskip(NEXT) | instid1(VALU_DEP_1)
	v_add_f32_e32 v18, v25, v18
	v_add_f32_e32 v23, v24, v18
	s_delay_alu instid0(VALU_DEP_1) | instskip(SKIP_1) | instid1(VALU_DEP_1)
	v_mul_f32_e32 v25, v23, v23
	s_wait_alu 0xfffe
	v_fmaak_f32 v26, s12, v25, 0x3ecc95a3
	v_mul_f32_e32 v27, v23, v25
	v_cmp_neq_f32_e64 s12, 0x7f800000, v22
	s_delay_alu instid0(VALU_DEP_3) | instskip(SKIP_2) | instid1(VALU_DEP_3)
	v_fmaak_f32 v25, v25, v26, 0x3f2aaada
	v_ldexp_f32 v26, v23, 1
	v_sub_f32_e32 v23, v23, v24
	v_mul_f32_e32 v25, v27, v25
	s_delay_alu instid0(VALU_DEP_2) | instskip(NEXT) | instid1(VALU_DEP_2)
	v_dual_mul_f32 v27, 0x3f317218, v17 :: v_dual_sub_f32 v18, v18, v23
	v_add_f32_e32 v24, v26, v25
	s_delay_alu instid0(VALU_DEP_2) | instskip(NEXT) | instid1(VALU_DEP_2)
	v_ldexp_f32 v18, v18, 1
	v_sub_f32_e32 v23, v24, v26
	s_delay_alu instid0(VALU_DEP_4) | instskip(NEXT) | instid1(VALU_DEP_2)
	v_fma_f32 v26, 0x3f317218, v17, -v27
	v_sub_f32_e32 v23, v25, v23
	s_delay_alu instid0(VALU_DEP_1) | instskip(NEXT) | instid1(VALU_DEP_1)
	v_dual_fmamk_f32 v17, v17, 0xb102e308, v26 :: v_dual_add_f32 v18, v18, v23
	v_add_f32_e32 v23, v27, v17
	s_delay_alu instid0(VALU_DEP_2) | instskip(NEXT) | instid1(VALU_DEP_2)
	v_add_f32_e32 v25, v24, v18
	v_sub_f32_e32 v27, v23, v27
	s_delay_alu instid0(VALU_DEP_2) | instskip(SKIP_1) | instid1(VALU_DEP_3)
	v_add_f32_e32 v26, v23, v25
	v_sub_f32_e32 v24, v25, v24
	v_sub_f32_e32 v17, v17, v27
	s_delay_alu instid0(VALU_DEP_3) | instskip(NEXT) | instid1(VALU_DEP_3)
	v_sub_f32_e32 v28, v26, v23
	v_sub_f32_e32 v18, v18, v24
	s_delay_alu instid0(VALU_DEP_2) | instskip(SKIP_1) | instid1(VALU_DEP_3)
	v_sub_f32_e32 v29, v26, v28
	v_sub_f32_e32 v24, v25, v28
	v_add_f32_e32 v25, v17, v18
	s_delay_alu instid0(VALU_DEP_3) | instskip(NEXT) | instid1(VALU_DEP_1)
	v_sub_f32_e32 v23, v23, v29
	v_dual_add_f32 v23, v24, v23 :: v_dual_sub_f32 v24, v25, v17
	s_delay_alu instid0(VALU_DEP_1) | instskip(NEXT) | instid1(VALU_DEP_2)
	v_add_f32_e32 v23, v25, v23
	v_sub_f32_e32 v25, v25, v24
	v_sub_f32_e32 v18, v18, v24
	s_delay_alu instid0(VALU_DEP_3) | instskip(NEXT) | instid1(VALU_DEP_1)
	v_add_f32_e32 v27, v26, v23
	v_dual_sub_f32 v17, v17, v25 :: v_dual_sub_f32 v24, v27, v26
	s_delay_alu instid0(VALU_DEP_1) | instskip(NEXT) | instid1(VALU_DEP_1)
	v_dual_add_f32 v17, v18, v17 :: v_dual_sub_f32 v18, v23, v24
	v_add_f32_e32 v17, v17, v18
	s_delay_alu instid0(VALU_DEP_1) | instskip(SKIP_1) | instid1(VALU_DEP_1)
	v_add_f32_e32 v17, v27, v17
	s_wait_alu 0xf1ff
	v_cndmask_b32_e64 v17, 0x7f800000, v17, s12
	v_cmp_gt_f32_e64 s12, 0x33800000, |v22|
	s_wait_alu 0xf1ff
	s_delay_alu instid0(VALU_DEP_1) | instskip(NEXT) | instid1(VALU_DEP_1)
	v_cndmask_b32_e64 v17, v17, v22, s12
	v_add_f32_e32 v17, v19, v17
	s_delay_alu instid0(VALU_DEP_1) | instskip(NEXT) | instid1(VALU_DEP_1)
	v_cvt_f16_f32_e32 v17, v17
	v_cvt_f32_f16_e32 v18, v17
.LBB356_271:
	s_wait_alu 0xfffe
	s_or_b32 exec_lo, exec_lo, s13
	ds_load_u16 v19, v14 offset:12
	v_max_num_f32_e32 v22, v18, v18
	v_cmp_u_f16_e64 s12, v17, v17
	ds_store_b16 v14, v17 offset:10
	s_wait_dscnt 0x1
	v_cvt_f32_f16_e32 v23, v19
	s_delay_alu instid0(VALU_DEP_1) | instskip(SKIP_2) | instid1(VALU_DEP_2)
	v_min_num_f32_e32 v24, v22, v23
	v_max_num_f32_e32 v22, v22, v23
	s_wait_alu 0xf1ff
	v_cndmask_b32_e64 v24, v24, v18, s12
	s_delay_alu instid0(VALU_DEP_2) | instskip(SKIP_2) | instid1(VALU_DEP_1)
	v_cndmask_b32_e64 v25, v22, v18, s12
	v_cmp_u_f16_e64 s12, v19, v19
	s_wait_alu 0xf1ff
	v_cndmask_b32_e64 v22, v24, v23, s12
	s_delay_alu instid0(VALU_DEP_3) | instskip(NEXT) | instid1(VALU_DEP_2)
	v_cndmask_b32_e64 v19, v25, v23, s12
	v_cmp_class_f32_e64 s13, v22, 0x1f8
	s_delay_alu instid0(VALU_DEP_2)
	v_cmp_neq_f32_e64 s12, v22, v19
	s_or_b32 s12, s12, s13
	s_wait_alu 0xfffe
	s_and_saveexec_b32 s13, s12
	s_cbranch_execz .LBB356_273
; %bb.272:
	v_sub_f32_e32 v17, v22, v19
	s_delay_alu instid0(VALU_DEP_1) | instskip(SKIP_1) | instid1(VALU_DEP_2)
	v_mul_f32_e32 v18, 0x3fb8aa3b, v17
	v_cmp_ngt_f32_e64 s12, 0xc2ce8ed0, v17
	v_fma_f32 v22, 0x3fb8aa3b, v17, -v18
	v_rndne_f32_e32 v23, v18
	s_delay_alu instid0(VALU_DEP_2) | instskip(NEXT) | instid1(VALU_DEP_2)
	v_fmamk_f32 v22, v17, 0x32a5705f, v22
	v_sub_f32_e32 v18, v18, v23
	s_delay_alu instid0(VALU_DEP_1) | instskip(SKIP_1) | instid1(VALU_DEP_2)
	v_add_f32_e32 v18, v18, v22
	v_cvt_i32_f32_e32 v22, v23
	v_exp_f32_e32 v18, v18
	s_delay_alu instid0(TRANS32_DEP_1) | instskip(SKIP_1) | instid1(VALU_DEP_1)
	v_ldexp_f32 v18, v18, v22
	s_wait_alu 0xf1ff
	v_cndmask_b32_e64 v18, 0, v18, s12
	v_cmp_nlt_f32_e64 s12, 0x42b17218, v17
	s_wait_alu 0xf1ff
	s_delay_alu instid0(VALU_DEP_1) | instskip(NEXT) | instid1(VALU_DEP_1)
	v_cndmask_b32_e64 v22, 0x7f800000, v18, s12
	v_add_f32_e32 v23, 1.0, v22
	s_delay_alu instid0(VALU_DEP_1) | instskip(NEXT) | instid1(VALU_DEP_1)
	v_cvt_f64_f32_e32 v[17:18], v23
	v_frexp_exp_i32_f64_e32 v17, v[17:18]
	v_frexp_mant_f32_e32 v18, v23
	s_delay_alu instid0(VALU_DEP_1) | instskip(SKIP_1) | instid1(VALU_DEP_1)
	v_cmp_gt_f32_e64 s12, 0x3f2aaaab, v18
	v_add_f32_e32 v18, -1.0, v23
	v_sub_f32_e32 v25, v18, v23
	s_delay_alu instid0(VALU_DEP_1)
	v_dual_sub_f32 v18, v22, v18 :: v_dual_add_f32 v25, 1.0, v25
	s_wait_alu 0xf1ff
	v_subrev_co_ci_u32_e64 v17, null, 0, v17, s12
	s_mov_b32 s12, 0x3e9b6dac
	v_sub_nc_u32_e32 v24, 0, v17
	v_cvt_f32_i32_e32 v17, v17
	s_delay_alu instid0(VALU_DEP_2) | instskip(SKIP_1) | instid1(VALU_DEP_1)
	v_ldexp_f32 v23, v23, v24
	v_add_f32_e32 v18, v18, v25
	v_ldexp_f32 v18, v18, v24
	s_delay_alu instid0(VALU_DEP_3) | instskip(NEXT) | instid1(VALU_DEP_1)
	v_add_f32_e32 v26, 1.0, v23
	v_add_f32_e32 v25, -1.0, v26
	s_delay_alu instid0(VALU_DEP_1) | instskip(NEXT) | instid1(VALU_DEP_1)
	v_sub_f32_e32 v25, v23, v25
	v_dual_add_f32 v25, v18, v25 :: v_dual_add_f32 v24, -1.0, v23
	s_delay_alu instid0(VALU_DEP_1) | instskip(NEXT) | instid1(VALU_DEP_1)
	v_add_f32_e32 v27, 1.0, v24
	v_sub_f32_e32 v23, v23, v27
	s_delay_alu instid0(VALU_DEP_3) | instskip(NEXT) | instid1(VALU_DEP_1)
	v_add_f32_e32 v27, v26, v25
	v_sub_f32_e32 v26, v26, v27
	s_delay_alu instid0(VALU_DEP_3) | instskip(SKIP_1) | instid1(VALU_DEP_2)
	v_add_f32_e32 v18, v18, v23
	v_rcp_f32_e32 v23, v27
	v_add_f32_e32 v25, v25, v26
	s_delay_alu instid0(VALU_DEP_2) | instskip(NEXT) | instid1(VALU_DEP_1)
	v_add_f32_e32 v28, v24, v18
	v_sub_f32_e32 v24, v24, v28
	s_delay_alu instid0(TRANS32_DEP_1) | instid1(VALU_DEP_1)
	v_dual_mul_f32 v29, v28, v23 :: v_dual_add_f32 v18, v18, v24
	s_delay_alu instid0(VALU_DEP_1) | instskip(NEXT) | instid1(VALU_DEP_1)
	v_mul_f32_e32 v30, v27, v29
	v_fma_f32 v26, v29, v27, -v30
	s_delay_alu instid0(VALU_DEP_1) | instskip(NEXT) | instid1(VALU_DEP_1)
	v_fmac_f32_e32 v26, v29, v25
	v_add_f32_e32 v31, v30, v26
	s_delay_alu instid0(VALU_DEP_1) | instskip(NEXT) | instid1(VALU_DEP_1)
	v_sub_f32_e32 v32, v28, v31
	v_sub_f32_e32 v28, v28, v32
	;; [unrolled: 1-line block ×3, first 2 shown]
	s_delay_alu instid0(VALU_DEP_2) | instskip(NEXT) | instid1(VALU_DEP_2)
	v_sub_f32_e32 v28, v28, v31
	v_sub_f32_e32 v24, v24, v26
	s_delay_alu instid0(VALU_DEP_2) | instskip(NEXT) | instid1(VALU_DEP_1)
	v_add_f32_e32 v18, v18, v28
	v_add_f32_e32 v18, v24, v18
	s_delay_alu instid0(VALU_DEP_1) | instskip(NEXT) | instid1(VALU_DEP_1)
	v_add_f32_e32 v24, v32, v18
	v_mul_f32_e32 v26, v23, v24
	s_delay_alu instid0(VALU_DEP_1) | instskip(NEXT) | instid1(VALU_DEP_1)
	v_mul_f32_e32 v28, v27, v26
	v_fma_f32 v27, v26, v27, -v28
	s_delay_alu instid0(VALU_DEP_1) | instskip(SKIP_1) | instid1(VALU_DEP_2)
	v_fmac_f32_e32 v27, v26, v25
	v_sub_f32_e32 v31, v32, v24
	v_add_f32_e32 v25, v28, v27
	s_delay_alu instid0(VALU_DEP_2) | instskip(NEXT) | instid1(VALU_DEP_2)
	v_add_f32_e32 v18, v18, v31
	v_sub_f32_e32 v30, v24, v25
	v_sub_f32_e32 v28, v25, v28
	s_delay_alu instid0(VALU_DEP_2) | instskip(NEXT) | instid1(VALU_DEP_1)
	v_sub_f32_e32 v24, v24, v30
	v_sub_f32_e32 v24, v24, v25
	s_delay_alu instid0(VALU_DEP_1) | instskip(SKIP_1) | instid1(VALU_DEP_1)
	v_dual_sub_f32 v25, v28, v27 :: v_dual_add_f32 v18, v18, v24
	v_add_f32_e32 v24, v29, v26
	v_dual_add_f32 v18, v25, v18 :: v_dual_sub_f32 v25, v24, v29
	s_delay_alu instid0(VALU_DEP_1) | instskip(NEXT) | instid1(VALU_DEP_1)
	v_add_f32_e32 v18, v30, v18
	v_dual_sub_f32 v25, v26, v25 :: v_dual_mul_f32 v18, v23, v18
	s_delay_alu instid0(VALU_DEP_1) | instskip(NEXT) | instid1(VALU_DEP_1)
	v_add_f32_e32 v18, v25, v18
	v_add_f32_e32 v23, v24, v18
	s_delay_alu instid0(VALU_DEP_1) | instskip(SKIP_1) | instid1(VALU_DEP_1)
	v_mul_f32_e32 v25, v23, v23
	s_wait_alu 0xfffe
	v_fmaak_f32 v26, s12, v25, 0x3ecc95a3
	v_mul_f32_e32 v27, v23, v25
	v_cmp_neq_f32_e64 s12, 0x7f800000, v22
	s_delay_alu instid0(VALU_DEP_3) | instskip(SKIP_2) | instid1(VALU_DEP_3)
	v_fmaak_f32 v25, v25, v26, 0x3f2aaada
	v_ldexp_f32 v26, v23, 1
	v_sub_f32_e32 v23, v23, v24
	v_mul_f32_e32 v25, v27, v25
	s_delay_alu instid0(VALU_DEP_2) | instskip(NEXT) | instid1(VALU_DEP_2)
	v_dual_mul_f32 v27, 0x3f317218, v17 :: v_dual_sub_f32 v18, v18, v23
	v_add_f32_e32 v24, v26, v25
	s_delay_alu instid0(VALU_DEP_2) | instskip(NEXT) | instid1(VALU_DEP_2)
	v_ldexp_f32 v18, v18, 1
	v_sub_f32_e32 v23, v24, v26
	s_delay_alu instid0(VALU_DEP_4) | instskip(NEXT) | instid1(VALU_DEP_2)
	v_fma_f32 v26, 0x3f317218, v17, -v27
	v_sub_f32_e32 v23, v25, v23
	s_delay_alu instid0(VALU_DEP_1) | instskip(NEXT) | instid1(VALU_DEP_1)
	v_dual_fmamk_f32 v17, v17, 0xb102e308, v26 :: v_dual_add_f32 v18, v18, v23
	v_add_f32_e32 v23, v27, v17
	s_delay_alu instid0(VALU_DEP_2) | instskip(NEXT) | instid1(VALU_DEP_2)
	v_add_f32_e32 v25, v24, v18
	v_sub_f32_e32 v27, v23, v27
	s_delay_alu instid0(VALU_DEP_2) | instskip(SKIP_1) | instid1(VALU_DEP_3)
	v_add_f32_e32 v26, v23, v25
	v_sub_f32_e32 v24, v25, v24
	v_sub_f32_e32 v17, v17, v27
	s_delay_alu instid0(VALU_DEP_3) | instskip(NEXT) | instid1(VALU_DEP_3)
	v_sub_f32_e32 v28, v26, v23
	v_sub_f32_e32 v18, v18, v24
	s_delay_alu instid0(VALU_DEP_2) | instskip(SKIP_1) | instid1(VALU_DEP_3)
	v_sub_f32_e32 v29, v26, v28
	v_sub_f32_e32 v24, v25, v28
	v_add_f32_e32 v25, v17, v18
	s_delay_alu instid0(VALU_DEP_3) | instskip(NEXT) | instid1(VALU_DEP_1)
	v_sub_f32_e32 v23, v23, v29
	v_dual_add_f32 v23, v24, v23 :: v_dual_sub_f32 v24, v25, v17
	s_delay_alu instid0(VALU_DEP_1) | instskip(NEXT) | instid1(VALU_DEP_2)
	v_add_f32_e32 v23, v25, v23
	v_sub_f32_e32 v25, v25, v24
	v_sub_f32_e32 v18, v18, v24
	s_delay_alu instid0(VALU_DEP_3) | instskip(NEXT) | instid1(VALU_DEP_1)
	v_add_f32_e32 v27, v26, v23
	v_dual_sub_f32 v17, v17, v25 :: v_dual_sub_f32 v24, v27, v26
	s_delay_alu instid0(VALU_DEP_1) | instskip(NEXT) | instid1(VALU_DEP_1)
	v_dual_add_f32 v17, v18, v17 :: v_dual_sub_f32 v18, v23, v24
	v_add_f32_e32 v17, v17, v18
	s_delay_alu instid0(VALU_DEP_1) | instskip(SKIP_1) | instid1(VALU_DEP_1)
	v_add_f32_e32 v17, v27, v17
	s_wait_alu 0xf1ff
	v_cndmask_b32_e64 v17, 0x7f800000, v17, s12
	v_cmp_gt_f32_e64 s12, 0x33800000, |v22|
	s_wait_alu 0xf1ff
	s_delay_alu instid0(VALU_DEP_1) | instskip(NEXT) | instid1(VALU_DEP_1)
	v_cndmask_b32_e64 v17, v17, v22, s12
	v_add_f32_e32 v17, v19, v17
	s_delay_alu instid0(VALU_DEP_1) | instskip(NEXT) | instid1(VALU_DEP_1)
	v_cvt_f16_f32_e32 v17, v17
	v_cvt_f32_f16_e32 v18, v17
.LBB356_273:
	s_wait_alu 0xfffe
	s_or_b32 exec_lo, exec_lo, s13
	ds_load_u16 v19, v14 offset:14
	v_max_num_f32_e32 v22, v18, v18
	v_cmp_u_f16_e64 s12, v17, v17
	ds_store_b16 v14, v17 offset:12
	s_wait_dscnt 0x1
	v_cvt_f32_f16_e32 v23, v19
	s_delay_alu instid0(VALU_DEP_1) | instskip(SKIP_2) | instid1(VALU_DEP_2)
	v_min_num_f32_e32 v24, v22, v23
	v_max_num_f32_e32 v22, v22, v23
	s_wait_alu 0xf1ff
	v_cndmask_b32_e64 v24, v24, v18, s12
	s_delay_alu instid0(VALU_DEP_2) | instskip(SKIP_2) | instid1(VALU_DEP_1)
	v_cndmask_b32_e64 v18, v22, v18, s12
	v_cmp_u_f16_e64 s12, v19, v19
	s_wait_alu 0xf1ff
	v_cndmask_b32_e64 v19, v24, v23, s12
	s_delay_alu instid0(VALU_DEP_3) | instskip(NEXT) | instid1(VALU_DEP_2)
	v_cndmask_b32_e64 v18, v18, v23, s12
	v_cmp_class_f32_e64 s13, v19, 0x1f8
	s_delay_alu instid0(VALU_DEP_2)
	v_cmp_neq_f32_e64 s12, v19, v18
	s_or_b32 s12, s12, s13
	s_wait_alu 0xfffe
	s_and_saveexec_b32 s13, s12
	s_cbranch_execz .LBB356_275
; %bb.274:
	v_sub_f32_e32 v17, v19, v18
	s_delay_alu instid0(VALU_DEP_1) | instskip(SKIP_1) | instid1(VALU_DEP_2)
	v_mul_f32_e32 v19, 0x3fb8aa3b, v17
	v_cmp_ngt_f32_e64 s12, 0xc2ce8ed0, v17
	v_fma_f32 v22, 0x3fb8aa3b, v17, -v19
	v_rndne_f32_e32 v23, v19
	s_delay_alu instid0(VALU_DEP_1) | instskip(NEXT) | instid1(VALU_DEP_1)
	v_dual_fmamk_f32 v22, v17, 0x32a5705f, v22 :: v_dual_sub_f32 v19, v19, v23
	v_add_f32_e32 v19, v19, v22
	v_cvt_i32_f32_e32 v22, v23
	s_delay_alu instid0(VALU_DEP_2) | instskip(NEXT) | instid1(TRANS32_DEP_1)
	v_exp_f32_e32 v19, v19
	v_ldexp_f32 v19, v19, v22
	s_wait_alu 0xf1ff
	s_delay_alu instid0(VALU_DEP_1) | instskip(SKIP_2) | instid1(VALU_DEP_1)
	v_cndmask_b32_e64 v19, 0, v19, s12
	v_cmp_nlt_f32_e64 s12, 0x42b17218, v17
	s_wait_alu 0xf1ff
	v_cndmask_b32_e64 v17, 0x7f800000, v19, s12
	s_delay_alu instid0(VALU_DEP_1) | instskip(NEXT) | instid1(VALU_DEP_1)
	v_add_f32_e32 v19, 1.0, v17
	v_cvt_f64_f32_e32 v[22:23], v19
	s_delay_alu instid0(VALU_DEP_1) | instskip(SKIP_1) | instid1(VALU_DEP_1)
	v_frexp_exp_i32_f64_e32 v22, v[22:23]
	v_frexp_mant_f32_e32 v23, v19
	v_cmp_gt_f32_e64 s12, 0x3f2aaaab, v23
	v_add_f32_e32 v23, -1.0, v19
	s_delay_alu instid0(VALU_DEP_1)
	v_sub_f32_e32 v25, v23, v19
	v_sub_f32_e32 v23, v17, v23
	s_wait_alu 0xf1ff
	v_subrev_co_ci_u32_e64 v22, null, 0, v22, s12
	s_mov_b32 s12, 0x3e9b6dac
	v_sub_nc_u32_e32 v24, 0, v22
	v_cvt_f32_i32_e32 v22, v22
	s_delay_alu instid0(VALU_DEP_2) | instskip(NEXT) | instid1(VALU_DEP_1)
	v_ldexp_f32 v19, v19, v24
	v_dual_add_f32 v25, 1.0, v25 :: v_dual_add_f32 v26, 1.0, v19
	s_delay_alu instid0(VALU_DEP_1) | instskip(NEXT) | instid1(VALU_DEP_2)
	v_add_f32_e32 v23, v23, v25
	v_add_f32_e32 v25, -1.0, v26
	s_delay_alu instid0(VALU_DEP_2) | instskip(NEXT) | instid1(VALU_DEP_2)
	v_ldexp_f32 v23, v23, v24
	v_dual_add_f32 v24, -1.0, v19 :: v_dual_sub_f32 v25, v19, v25
	s_delay_alu instid0(VALU_DEP_1) | instskip(NEXT) | instid1(VALU_DEP_2)
	v_add_f32_e32 v27, 1.0, v24
	v_add_f32_e32 v25, v23, v25
	s_delay_alu instid0(VALU_DEP_2) | instskip(NEXT) | instid1(VALU_DEP_2)
	v_sub_f32_e32 v19, v19, v27
	v_add_f32_e32 v27, v26, v25
	s_delay_alu instid0(VALU_DEP_2) | instskip(NEXT) | instid1(VALU_DEP_2)
	v_add_f32_e32 v19, v23, v19
	v_rcp_f32_e32 v23, v27
	v_sub_f32_e32 v26, v26, v27
	s_delay_alu instid0(VALU_DEP_1) | instskip(NEXT) | instid1(VALU_DEP_1)
	v_dual_add_f32 v28, v24, v19 :: v_dual_add_f32 v25, v25, v26
	v_sub_f32_e32 v24, v24, v28
	s_delay_alu instid0(TRANS32_DEP_1) | instskip(NEXT) | instid1(VALU_DEP_2)
	v_mul_f32_e32 v29, v28, v23
	v_add_f32_e32 v19, v19, v24
	s_delay_alu instid0(VALU_DEP_2) | instskip(NEXT) | instid1(VALU_DEP_1)
	v_mul_f32_e32 v30, v27, v29
	v_fma_f32 v26, v29, v27, -v30
	s_delay_alu instid0(VALU_DEP_1) | instskip(NEXT) | instid1(VALU_DEP_1)
	v_fmac_f32_e32 v26, v29, v25
	v_add_f32_e32 v31, v30, v26
	s_delay_alu instid0(VALU_DEP_1) | instskip(SKIP_1) | instid1(VALU_DEP_2)
	v_sub_f32_e32 v32, v28, v31
	v_sub_f32_e32 v24, v31, v30
	;; [unrolled: 1-line block ×3, first 2 shown]
	s_delay_alu instid0(VALU_DEP_2) | instskip(NEXT) | instid1(VALU_DEP_2)
	v_sub_f32_e32 v24, v24, v26
	v_sub_f32_e32 v28, v28, v31
	s_delay_alu instid0(VALU_DEP_1) | instskip(NEXT) | instid1(VALU_DEP_1)
	v_add_f32_e32 v19, v19, v28
	v_add_f32_e32 v19, v24, v19
	s_delay_alu instid0(VALU_DEP_1) | instskip(NEXT) | instid1(VALU_DEP_1)
	v_add_f32_e32 v24, v32, v19
	v_mul_f32_e32 v26, v23, v24
	s_delay_alu instid0(VALU_DEP_1) | instskip(NEXT) | instid1(VALU_DEP_1)
	v_dual_sub_f32 v31, v32, v24 :: v_dual_mul_f32 v28, v27, v26
	v_add_f32_e32 v19, v19, v31
	s_delay_alu instid0(VALU_DEP_2) | instskip(NEXT) | instid1(VALU_DEP_1)
	v_fma_f32 v27, v26, v27, -v28
	v_fmac_f32_e32 v27, v26, v25
	s_delay_alu instid0(VALU_DEP_1) | instskip(NEXT) | instid1(VALU_DEP_1)
	v_add_f32_e32 v25, v28, v27
	v_sub_f32_e32 v30, v24, v25
	v_sub_f32_e32 v28, v25, v28
	s_delay_alu instid0(VALU_DEP_2) | instskip(NEXT) | instid1(VALU_DEP_1)
	v_sub_f32_e32 v24, v24, v30
	v_sub_f32_e32 v24, v24, v25
	s_delay_alu instid0(VALU_DEP_3) | instskip(NEXT) | instid1(VALU_DEP_2)
	v_sub_f32_e32 v25, v28, v27
	v_dual_add_f32 v19, v19, v24 :: v_dual_add_f32 v24, v29, v26
	s_delay_alu instid0(VALU_DEP_1) | instskip(NEXT) | instid1(VALU_DEP_2)
	v_add_f32_e32 v19, v25, v19
	v_sub_f32_e32 v25, v24, v29
	s_delay_alu instid0(VALU_DEP_2) | instskip(NEXT) | instid1(VALU_DEP_2)
	v_add_f32_e32 v19, v30, v19
	v_sub_f32_e32 v25, v26, v25
	s_delay_alu instid0(VALU_DEP_2) | instskip(NEXT) | instid1(VALU_DEP_1)
	v_mul_f32_e32 v19, v23, v19
	v_add_f32_e32 v19, v25, v19
	s_delay_alu instid0(VALU_DEP_1) | instskip(NEXT) | instid1(VALU_DEP_1)
	v_add_f32_e32 v23, v24, v19
	v_mul_f32_e32 v25, v23, v23
	s_wait_alu 0xfffe
	s_delay_alu instid0(VALU_DEP_1) | instskip(SKIP_2) | instid1(VALU_DEP_3)
	v_fmaak_f32 v26, s12, v25, 0x3ecc95a3
	v_mul_f32_e32 v27, v23, v25
	v_cmp_neq_f32_e64 s12, 0x7f800000, v17
	v_fmaak_f32 v25, v25, v26, 0x3f2aaada
	v_ldexp_f32 v26, v23, 1
	v_sub_f32_e32 v23, v23, v24
	s_delay_alu instid0(VALU_DEP_3) | instskip(SKIP_1) | instid1(VALU_DEP_2)
	v_mul_f32_e32 v25, v27, v25
	v_mul_f32_e32 v27, 0x3f317218, v22
	v_dual_sub_f32 v19, v19, v23 :: v_dual_add_f32 v24, v26, v25
	s_delay_alu instid0(VALU_DEP_1) | instskip(NEXT) | instid1(VALU_DEP_2)
	v_ldexp_f32 v19, v19, 1
	v_sub_f32_e32 v23, v24, v26
	s_delay_alu instid0(VALU_DEP_4) | instskip(NEXT) | instid1(VALU_DEP_1)
	v_fma_f32 v26, 0x3f317218, v22, -v27
	v_dual_sub_f32 v23, v25, v23 :: v_dual_fmamk_f32 v22, v22, 0xb102e308, v26
	s_delay_alu instid0(VALU_DEP_1) | instskip(NEXT) | instid1(VALU_DEP_2)
	v_add_f32_e32 v19, v19, v23
	v_add_f32_e32 v23, v27, v22
	s_delay_alu instid0(VALU_DEP_2) | instskip(NEXT) | instid1(VALU_DEP_2)
	v_add_f32_e32 v25, v24, v19
	v_sub_f32_e32 v27, v23, v27
	s_delay_alu instid0(VALU_DEP_2) | instskip(SKIP_1) | instid1(VALU_DEP_3)
	v_add_f32_e32 v26, v23, v25
	v_sub_f32_e32 v24, v25, v24
	v_sub_f32_e32 v22, v22, v27
	s_delay_alu instid0(VALU_DEP_2) | instskip(NEXT) | instid1(VALU_DEP_1)
	v_dual_sub_f32 v28, v26, v23 :: v_dual_sub_f32 v19, v19, v24
	v_sub_f32_e32 v29, v26, v28
	s_delay_alu instid0(VALU_DEP_2) | instskip(NEXT) | instid1(VALU_DEP_2)
	v_dual_sub_f32 v24, v25, v28 :: v_dual_add_f32 v25, v22, v19
	v_sub_f32_e32 v23, v23, v29
	s_delay_alu instid0(VALU_DEP_1) | instskip(NEXT) | instid1(VALU_DEP_1)
	v_dual_add_f32 v23, v24, v23 :: v_dual_sub_f32 v24, v25, v22
	v_add_f32_e32 v23, v25, v23
	s_delay_alu instid0(VALU_DEP_2) | instskip(SKIP_1) | instid1(VALU_DEP_3)
	v_sub_f32_e32 v25, v25, v24
	v_sub_f32_e32 v19, v19, v24
	v_add_f32_e32 v27, v26, v23
	s_delay_alu instid0(VALU_DEP_3) | instskip(NEXT) | instid1(VALU_DEP_2)
	v_sub_f32_e32 v22, v22, v25
	v_sub_f32_e32 v24, v27, v26
	s_delay_alu instid0(VALU_DEP_2) | instskip(NEXT) | instid1(VALU_DEP_2)
	v_add_f32_e32 v19, v19, v22
	v_sub_f32_e32 v22, v23, v24
	s_delay_alu instid0(VALU_DEP_1) | instskip(NEXT) | instid1(VALU_DEP_1)
	v_add_f32_e32 v19, v19, v22
	v_add_f32_e32 v19, v27, v19
	s_wait_alu 0xf1ff
	s_delay_alu instid0(VALU_DEP_1) | instskip(SKIP_2) | instid1(VALU_DEP_1)
	v_cndmask_b32_e64 v19, 0x7f800000, v19, s12
	v_cmp_gt_f32_e64 s12, 0x33800000, |v17|
	s_wait_alu 0xf1ff
	v_cndmask_b32_e64 v17, v19, v17, s12
	s_delay_alu instid0(VALU_DEP_1) | instskip(NEXT) | instid1(VALU_DEP_1)
	v_add_f32_e32 v17, v18, v17
	v_cvt_f16_f32_e32 v17, v17
.LBB356_275:
	s_wait_alu 0xfffe
	s_or_b32 exec_lo, exec_lo, s13
	ds_store_b16 v14, v17 offset:14
.LBB356_276:
	s_or_b32 exec_lo, exec_lo, s15
	v_mov_b32_e32 v14, v1
	s_wait_loadcnt_dscnt 0x0
	s_barrier_signal -1
	s_barrier_wait -1
	global_inv scope:SCOPE_SE
	s_and_saveexec_b32 s12, s10
	s_cbranch_execz .LBB356_280
; %bb.277:
	v_add_nc_u32_e32 v1, -1, v0
	s_delay_alu instid0(VALU_DEP_1) | instskip(NEXT) | instid1(VALU_DEP_1)
	v_lshrrev_b32_e32 v14, 4, v1
	v_and_b32_e32 v14, 0xffffffe, v14
	s_delay_alu instid0(VALU_DEP_1)
	v_lshl_add_u32 v1, v1, 1, v14
	v_max_num_f32_e32 v14, v7, v7
	ds_load_u16 v1, v1
	s_wait_dscnt 0x0
	v_cvt_f32_f16_e32 v17, v1
	v_cmp_u_f16_e64 s10, v1, v1
	s_delay_alu instid0(VALU_DEP_2) | instskip(SKIP_2) | instid1(VALU_DEP_2)
	v_min_num_f32_e32 v18, v17, v14
	v_max_num_f32_e32 v14, v17, v14
	s_wait_alu 0xf1ff
	v_cndmask_b32_e64 v18, v18, v17, s10
	s_delay_alu instid0(VALU_DEP_2) | instskip(NEXT) | instid1(VALU_DEP_2)
	v_cndmask_b32_e64 v19, v14, v17, s10
	v_cndmask_b32_e64 v14, v18, v7, s11
	s_delay_alu instid0(VALU_DEP_2) | instskip(NEXT) | instid1(VALU_DEP_2)
	v_cndmask_b32_e64 v7, v19, v7, s11
	v_cmp_class_f32_e64 s11, v14, 0x1f8
	s_delay_alu instid0(VALU_DEP_2)
	v_cmp_neq_f32_e64 s10, v14, v7
	s_or_b32 s10, s10, s11
	s_wait_alu 0xfffe
	s_and_saveexec_b32 s11, s10
	s_cbranch_execz .LBB356_279
; %bb.278:
	v_sub_f32_e32 v1, v14, v7
	s_delay_alu instid0(VALU_DEP_1) | instskip(SKIP_1) | instid1(VALU_DEP_2)
	v_mul_f32_e32 v14, 0x3fb8aa3b, v1
	v_cmp_ngt_f32_e64 s10, 0xc2ce8ed0, v1
	v_fma_f32 v17, 0x3fb8aa3b, v1, -v14
	v_rndne_f32_e32 v18, v14
	s_delay_alu instid0(VALU_DEP_1) | instskip(NEXT) | instid1(VALU_DEP_1)
	v_dual_fmamk_f32 v17, v1, 0x32a5705f, v17 :: v_dual_sub_f32 v14, v14, v18
	v_add_f32_e32 v14, v14, v17
	v_cvt_i32_f32_e32 v17, v18
	s_delay_alu instid0(VALU_DEP_2) | instskip(NEXT) | instid1(TRANS32_DEP_1)
	v_exp_f32_e32 v14, v14
	v_ldexp_f32 v14, v14, v17
	s_wait_alu 0xf1ff
	s_delay_alu instid0(VALU_DEP_1) | instskip(SKIP_2) | instid1(VALU_DEP_1)
	v_cndmask_b32_e64 v14, 0, v14, s10
	v_cmp_nlt_f32_e64 s10, 0x42b17218, v1
	s_wait_alu 0xf1ff
	v_cndmask_b32_e64 v1, 0x7f800000, v14, s10
	s_delay_alu instid0(VALU_DEP_1) | instskip(NEXT) | instid1(VALU_DEP_1)
	v_add_f32_e32 v14, 1.0, v1
	v_cvt_f64_f32_e32 v[17:18], v14
	s_delay_alu instid0(VALU_DEP_1) | instskip(SKIP_1) | instid1(VALU_DEP_1)
	v_frexp_exp_i32_f64_e32 v17, v[17:18]
	v_frexp_mant_f32_e32 v18, v14
	v_cmp_gt_f32_e64 s10, 0x3f2aaaab, v18
	v_add_f32_e32 v18, -1.0, v14
	s_delay_alu instid0(VALU_DEP_1)
	v_sub_f32_e32 v20, v18, v14
	v_sub_f32_e32 v18, v1, v18
	s_wait_alu 0xf1ff
	v_subrev_co_ci_u32_e64 v17, null, 0, v17, s10
	s_mov_b32 s10, 0x3e9b6dac
	v_sub_nc_u32_e32 v19, 0, v17
	v_cvt_f32_i32_e32 v17, v17
	s_delay_alu instid0(VALU_DEP_2) | instskip(NEXT) | instid1(VALU_DEP_1)
	v_ldexp_f32 v14, v14, v19
	v_dual_add_f32 v20, 1.0, v20 :: v_dual_add_f32 v21, 1.0, v14
	s_delay_alu instid0(VALU_DEP_1) | instskip(NEXT) | instid1(VALU_DEP_1)
	v_add_f32_e32 v18, v18, v20
	v_ldexp_f32 v18, v18, v19
	s_delay_alu instid0(VALU_DEP_3) | instskip(NEXT) | instid1(VALU_DEP_1)
	v_dual_add_f32 v19, -1.0, v14 :: v_dual_add_f32 v20, -1.0, v21
	v_add_f32_e32 v22, 1.0, v19
	s_delay_alu instid0(VALU_DEP_2) | instskip(NEXT) | instid1(VALU_DEP_2)
	v_sub_f32_e32 v20, v14, v20
	v_sub_f32_e32 v14, v14, v22
	s_delay_alu instid0(VALU_DEP_2) | instskip(NEXT) | instid1(VALU_DEP_2)
	v_add_f32_e32 v20, v18, v20
	v_add_f32_e32 v14, v18, v14
	s_delay_alu instid0(VALU_DEP_1) | instskip(NEXT) | instid1(VALU_DEP_1)
	v_dual_add_f32 v22, v21, v20 :: v_dual_add_f32 v23, v19, v14
	v_rcp_f32_e32 v18, v22
	v_sub_f32_e32 v21, v21, v22
	s_delay_alu instid0(VALU_DEP_1) | instskip(NEXT) | instid1(VALU_DEP_1)
	v_dual_sub_f32 v19, v19, v23 :: v_dual_add_f32 v20, v20, v21
	v_add_f32_e32 v14, v14, v19
	s_delay_alu instid0(TRANS32_DEP_1) | instskip(NEXT) | instid1(VALU_DEP_1)
	v_mul_f32_e32 v24, v23, v18
	v_mul_f32_e32 v25, v22, v24
	s_delay_alu instid0(VALU_DEP_1) | instskip(NEXT) | instid1(VALU_DEP_1)
	v_fma_f32 v21, v24, v22, -v25
	v_fmac_f32_e32 v21, v24, v20
	s_delay_alu instid0(VALU_DEP_1) | instskip(NEXT) | instid1(VALU_DEP_1)
	v_add_f32_e32 v26, v25, v21
	v_sub_f32_e32 v27, v23, v26
	v_sub_f32_e32 v19, v26, v25
	s_delay_alu instid0(VALU_DEP_2) | instskip(NEXT) | instid1(VALU_DEP_2)
	v_sub_f32_e32 v23, v23, v27
	v_sub_f32_e32 v19, v19, v21
	s_delay_alu instid0(VALU_DEP_2) | instskip(NEXT) | instid1(VALU_DEP_1)
	v_sub_f32_e32 v23, v23, v26
	v_add_f32_e32 v14, v14, v23
	s_delay_alu instid0(VALU_DEP_1) | instskip(NEXT) | instid1(VALU_DEP_1)
	v_add_f32_e32 v14, v19, v14
	v_add_f32_e32 v19, v27, v14
	s_delay_alu instid0(VALU_DEP_1) | instskip(NEXT) | instid1(VALU_DEP_1)
	v_mul_f32_e32 v21, v18, v19
	v_dual_sub_f32 v26, v27, v19 :: v_dual_mul_f32 v23, v22, v21
	s_delay_alu instid0(VALU_DEP_1) | instskip(NEXT) | instid1(VALU_DEP_2)
	v_add_f32_e32 v14, v14, v26
	v_fma_f32 v22, v21, v22, -v23
	s_delay_alu instid0(VALU_DEP_1) | instskip(NEXT) | instid1(VALU_DEP_1)
	v_fmac_f32_e32 v22, v21, v20
	v_add_f32_e32 v20, v23, v22
	s_delay_alu instid0(VALU_DEP_1) | instskip(SKIP_1) | instid1(VALU_DEP_2)
	v_sub_f32_e32 v25, v19, v20
	v_sub_f32_e32 v23, v20, v23
	v_sub_f32_e32 v19, v19, v25
	s_delay_alu instid0(VALU_DEP_1) | instskip(NEXT) | instid1(VALU_DEP_1)
	v_sub_f32_e32 v19, v19, v20
	v_dual_add_f32 v14, v14, v19 :: v_dual_add_f32 v19, v24, v21
	s_delay_alu instid0(VALU_DEP_4) | instskip(NEXT) | instid1(VALU_DEP_1)
	v_sub_f32_e32 v20, v23, v22
	v_add_f32_e32 v14, v20, v14
	s_delay_alu instid0(VALU_DEP_3) | instskip(NEXT) | instid1(VALU_DEP_2)
	v_sub_f32_e32 v20, v19, v24
	v_add_f32_e32 v14, v25, v14
	s_delay_alu instid0(VALU_DEP_2) | instskip(NEXT) | instid1(VALU_DEP_2)
	v_sub_f32_e32 v20, v21, v20
	v_mul_f32_e32 v14, v18, v14
	s_delay_alu instid0(VALU_DEP_1) | instskip(NEXT) | instid1(VALU_DEP_1)
	v_add_f32_e32 v14, v20, v14
	v_add_f32_e32 v18, v19, v14
	s_delay_alu instid0(VALU_DEP_1) | instskip(SKIP_1) | instid1(VALU_DEP_1)
	v_mul_f32_e32 v20, v18, v18
	s_wait_alu 0xfffe
	v_fmaak_f32 v21, s10, v20, 0x3ecc95a3
	v_mul_f32_e32 v22, v18, v20
	v_cmp_neq_f32_e64 s10, 0x7f800000, v1
	s_delay_alu instid0(VALU_DEP_3) | instskip(SKIP_2) | instid1(VALU_DEP_3)
	v_fmaak_f32 v20, v20, v21, 0x3f2aaada
	v_ldexp_f32 v21, v18, 1
	v_sub_f32_e32 v18, v18, v19
	v_mul_f32_e32 v20, v22, v20
	v_mul_f32_e32 v22, 0x3f317218, v17
	s_delay_alu instid0(VALU_DEP_2) | instskip(NEXT) | instid1(VALU_DEP_1)
	v_dual_sub_f32 v14, v14, v18 :: v_dual_add_f32 v19, v21, v20
	v_ldexp_f32 v14, v14, 1
	s_delay_alu instid0(VALU_DEP_2) | instskip(NEXT) | instid1(VALU_DEP_4)
	v_sub_f32_e32 v18, v19, v21
	v_fma_f32 v21, 0x3f317218, v17, -v22
	s_delay_alu instid0(VALU_DEP_1) | instskip(NEXT) | instid1(VALU_DEP_1)
	v_dual_sub_f32 v18, v20, v18 :: v_dual_fmamk_f32 v17, v17, 0xb102e308, v21
	v_add_f32_e32 v14, v14, v18
	s_delay_alu instid0(VALU_DEP_2) | instskip(NEXT) | instid1(VALU_DEP_2)
	v_add_f32_e32 v18, v22, v17
	v_add_f32_e32 v20, v19, v14
	s_delay_alu instid0(VALU_DEP_2) | instskip(NEXT) | instid1(VALU_DEP_2)
	v_sub_f32_e32 v22, v18, v22
	v_add_f32_e32 v21, v18, v20
	v_sub_f32_e32 v19, v20, v19
	s_delay_alu instid0(VALU_DEP_3) | instskip(NEXT) | instid1(VALU_DEP_2)
	v_sub_f32_e32 v17, v17, v22
	v_dual_sub_f32 v23, v21, v18 :: v_dual_sub_f32 v14, v14, v19
	s_delay_alu instid0(VALU_DEP_1) | instskip(NEXT) | instid1(VALU_DEP_2)
	v_sub_f32_e32 v24, v21, v23
	v_dual_sub_f32 v19, v20, v23 :: v_dual_add_f32 v20, v17, v14
	s_delay_alu instid0(VALU_DEP_2) | instskip(NEXT) | instid1(VALU_DEP_1)
	v_sub_f32_e32 v18, v18, v24
	v_dual_add_f32 v18, v19, v18 :: v_dual_sub_f32 v19, v20, v17
	s_delay_alu instid0(VALU_DEP_1) | instskip(NEXT) | instid1(VALU_DEP_2)
	v_add_f32_e32 v18, v20, v18
	v_sub_f32_e32 v20, v20, v19
	v_sub_f32_e32 v14, v14, v19
	s_delay_alu instid0(VALU_DEP_3) | instskip(NEXT) | instid1(VALU_DEP_3)
	v_add_f32_e32 v22, v21, v18
	v_sub_f32_e32 v17, v17, v20
	s_delay_alu instid0(VALU_DEP_2) | instskip(NEXT) | instid1(VALU_DEP_2)
	v_sub_f32_e32 v19, v22, v21
	v_add_f32_e32 v14, v14, v17
	s_delay_alu instid0(VALU_DEP_2) | instskip(NEXT) | instid1(VALU_DEP_1)
	v_sub_f32_e32 v17, v18, v19
	v_add_f32_e32 v14, v14, v17
	s_delay_alu instid0(VALU_DEP_1) | instskip(SKIP_1) | instid1(VALU_DEP_1)
	v_add_f32_e32 v14, v22, v14
	s_wait_alu 0xf1ff
	v_cndmask_b32_e64 v14, 0x7f800000, v14, s10
	v_cmp_gt_f32_e64 s10, 0x33800000, |v1|
	s_wait_alu 0xf1ff
	s_delay_alu instid0(VALU_DEP_1) | instskip(NEXT) | instid1(VALU_DEP_1)
	v_cndmask_b32_e64 v1, v14, v1, s10
	v_add_f32_e32 v1, v7, v1
	s_delay_alu instid0(VALU_DEP_1) | instskip(NEXT) | instid1(VALU_DEP_1)
	v_cvt_f16_f32_e32 v1, v1
	v_cvt_f32_f16_e32 v17, v1
.LBB356_279:
	s_wait_alu 0xfffe
	s_or_b32 exec_lo, exec_lo, s11
	v_max_num_f32_e32 v7, v13, v13
	s_delay_alu instid0(VALU_DEP_2) | instskip(SKIP_2) | instid1(VALU_DEP_2)
	v_max_num_f32_e32 v18, v17, v17
	v_mov_b32_e32 v14, v1
	;;#ASMSTART
	;;#ASMEND
	v_min_num_f32_e32 v20, v18, v7
	v_max_num_f32_e32 v21, v18, v7
	v_mov_b32_e32 v7, v17
.LBB356_280:
	s_wait_alu 0xfffe
	s_or_b32 exec_lo, exec_lo, s12
	v_cmp_u_f16_e64 s10, v14, v14
	v_mov_b32_e32 v30, v1
	s_wait_alu 0xf1ff
	s_delay_alu instid0(VALU_DEP_2) | instskip(SKIP_1) | instid1(VALU_DEP_2)
	v_cndmask_b32_e64 v17, v20, v7, s10
	v_cndmask_b32_e64 v18, v21, v7, s10
	v_cndmask_b32_e32 v17, v17, v13, vcc_lo
	s_delay_alu instid0(VALU_DEP_2) | instskip(NEXT) | instid1(VALU_DEP_2)
	v_cndmask_b32_e32 v13, v18, v13, vcc_lo
	v_cmp_class_f32_e64 s10, v17, 0x1f8
	s_delay_alu instid0(VALU_DEP_2)
	v_cmp_neq_f32_e32 vcc_lo, v17, v13
	s_or_b32 s11, vcc_lo, s10
	s_wait_alu 0xfffe
	s_and_saveexec_b32 s10, s11
	s_cbranch_execz .LBB356_282
; %bb.281:
	v_sub_f32_e32 v7, v17, v13
	s_mov_b32 s11, 0x3e9b6dac
	s_delay_alu instid0(VALU_DEP_1) | instskip(NEXT) | instid1(VALU_DEP_1)
	v_mul_f32_e32 v14, 0x3fb8aa3b, v7
	v_fma_f32 v17, 0x3fb8aa3b, v7, -v14
	v_rndne_f32_e32 v18, v14
	s_delay_alu instid0(VALU_DEP_1) | instskip(SKIP_1) | instid1(VALU_DEP_4)
	v_sub_f32_e32 v14, v14, v18
	v_cmp_ngt_f32_e32 vcc_lo, 0xc2ce8ed0, v7
	v_fmamk_f32 v17, v7, 0x32a5705f, v17
	s_delay_alu instid0(VALU_DEP_1) | instskip(SKIP_1) | instid1(VALU_DEP_2)
	v_add_f32_e32 v14, v14, v17
	v_cvt_i32_f32_e32 v17, v18
	v_exp_f32_e32 v14, v14
	s_delay_alu instid0(TRANS32_DEP_1) | instskip(SKIP_1) | instid1(VALU_DEP_1)
	v_ldexp_f32 v14, v14, v17
	s_wait_alu 0xfffd
	v_cndmask_b32_e32 v14, 0, v14, vcc_lo
	v_cmp_nlt_f32_e32 vcc_lo, 0x42b17218, v7
	s_wait_alu 0xfffd
	s_delay_alu instid0(VALU_DEP_2) | instskip(NEXT) | instid1(VALU_DEP_1)
	v_cndmask_b32_e32 v7, 0x7f800000, v14, vcc_lo
	v_add_f32_e32 v14, 1.0, v7
	s_delay_alu instid0(VALU_DEP_1) | instskip(NEXT) | instid1(VALU_DEP_1)
	v_cvt_f64_f32_e32 v[17:18], v14
	v_frexp_exp_i32_f64_e32 v17, v[17:18]
	v_frexp_mant_f32_e32 v18, v14
	s_delay_alu instid0(VALU_DEP_1) | instskip(SKIP_1) | instid1(VALU_DEP_1)
	v_cmp_gt_f32_e32 vcc_lo, 0x3f2aaaab, v18
	v_add_f32_e32 v18, -1.0, v14
	v_sub_f32_e32 v20, v18, v14
	s_delay_alu instid0(VALU_DEP_1) | instskip(SKIP_1) | instid1(VALU_DEP_1)
	v_add_f32_e32 v20, 1.0, v20
	v_sub_f32_e32 v18, v7, v18
	v_add_f32_e32 v18, v18, v20
	s_wait_alu 0xfffd
	v_subrev_co_ci_u32_e64 v17, null, 0, v17, vcc_lo
	v_cmp_neq_f32_e32 vcc_lo, 0x7f800000, v7
	s_delay_alu instid0(VALU_DEP_2) | instskip(SKIP_1) | instid1(VALU_DEP_2)
	v_sub_nc_u32_e32 v19, 0, v17
	v_cvt_f32_i32_e32 v17, v17
	v_ldexp_f32 v14, v14, v19
	v_ldexp_f32 v18, v18, v19
	s_delay_alu instid0(VALU_DEP_2) | instskip(NEXT) | instid1(VALU_DEP_1)
	v_add_f32_e32 v21, 1.0, v14
	v_dual_add_f32 v19, -1.0, v14 :: v_dual_add_f32 v20, -1.0, v21
	s_delay_alu instid0(VALU_DEP_1) | instskip(NEXT) | instid1(VALU_DEP_2)
	v_add_f32_e32 v22, 1.0, v19
	v_sub_f32_e32 v20, v14, v20
	s_delay_alu instid0(VALU_DEP_2) | instskip(NEXT) | instid1(VALU_DEP_1)
	v_sub_f32_e32 v14, v14, v22
	v_add_f32_e32 v14, v18, v14
	s_delay_alu instid0(VALU_DEP_1) | instskip(NEXT) | instid1(VALU_DEP_1)
	v_dual_add_f32 v23, v19, v14 :: v_dual_add_f32 v20, v18, v20
	v_dual_sub_f32 v19, v19, v23 :: v_dual_add_f32 v22, v21, v20
	s_delay_alu instid0(VALU_DEP_1) | instskip(NEXT) | instid1(VALU_DEP_2)
	v_add_f32_e32 v14, v14, v19
	v_rcp_f32_e32 v18, v22
	v_sub_f32_e32 v21, v21, v22
	s_delay_alu instid0(VALU_DEP_1) | instskip(NEXT) | instid1(TRANS32_DEP_1)
	v_add_f32_e32 v20, v20, v21
	v_mul_f32_e32 v24, v23, v18
	s_delay_alu instid0(VALU_DEP_1) | instskip(NEXT) | instid1(VALU_DEP_1)
	v_mul_f32_e32 v25, v22, v24
	v_fma_f32 v21, v24, v22, -v25
	s_delay_alu instid0(VALU_DEP_1) | instskip(NEXT) | instid1(VALU_DEP_1)
	v_fmac_f32_e32 v21, v24, v20
	v_add_f32_e32 v26, v25, v21
	s_delay_alu instid0(VALU_DEP_1) | instskip(SKIP_1) | instid1(VALU_DEP_2)
	v_sub_f32_e32 v27, v23, v26
	v_sub_f32_e32 v19, v26, v25
	;; [unrolled: 1-line block ×3, first 2 shown]
	s_delay_alu instid0(VALU_DEP_2) | instskip(NEXT) | instid1(VALU_DEP_2)
	v_sub_f32_e32 v19, v19, v21
	v_sub_f32_e32 v23, v23, v26
	s_delay_alu instid0(VALU_DEP_1) | instskip(NEXT) | instid1(VALU_DEP_1)
	v_add_f32_e32 v14, v14, v23
	v_add_f32_e32 v14, v19, v14
	s_delay_alu instid0(VALU_DEP_1) | instskip(NEXT) | instid1(VALU_DEP_1)
	v_add_f32_e32 v19, v27, v14
	v_mul_f32_e32 v21, v18, v19
	s_delay_alu instid0(VALU_DEP_1) | instskip(NEXT) | instid1(VALU_DEP_1)
	v_dual_sub_f32 v26, v27, v19 :: v_dual_mul_f32 v23, v22, v21
	v_add_f32_e32 v14, v14, v26
	s_delay_alu instid0(VALU_DEP_2) | instskip(NEXT) | instid1(VALU_DEP_1)
	v_fma_f32 v22, v21, v22, -v23
	v_fmac_f32_e32 v22, v21, v20
	s_delay_alu instid0(VALU_DEP_1) | instskip(NEXT) | instid1(VALU_DEP_1)
	v_add_f32_e32 v20, v23, v22
	v_sub_f32_e32 v25, v19, v20
	v_sub_f32_e32 v23, v20, v23
	s_delay_alu instid0(VALU_DEP_2) | instskip(NEXT) | instid1(VALU_DEP_1)
	v_sub_f32_e32 v19, v19, v25
	v_sub_f32_e32 v19, v19, v20
	s_delay_alu instid0(VALU_DEP_1) | instskip(NEXT) | instid1(VALU_DEP_4)
	v_dual_add_f32 v14, v14, v19 :: v_dual_add_f32 v19, v24, v21
	v_sub_f32_e32 v20, v23, v22
	s_delay_alu instid0(VALU_DEP_1) | instskip(NEXT) | instid1(VALU_DEP_3)
	v_add_f32_e32 v14, v20, v14
	v_sub_f32_e32 v20, v19, v24
	s_delay_alu instid0(VALU_DEP_2) | instskip(NEXT) | instid1(VALU_DEP_2)
	v_add_f32_e32 v14, v25, v14
	v_sub_f32_e32 v20, v21, v20
	s_delay_alu instid0(VALU_DEP_2) | instskip(NEXT) | instid1(VALU_DEP_1)
	v_mul_f32_e32 v14, v18, v14
	v_add_f32_e32 v14, v20, v14
	s_delay_alu instid0(VALU_DEP_1) | instskip(NEXT) | instid1(VALU_DEP_1)
	v_add_f32_e32 v18, v19, v14
	v_mul_f32_e32 v20, v18, v18
	s_wait_alu 0xfffe
	s_delay_alu instid0(VALU_DEP_1) | instskip(SKIP_1) | instid1(VALU_DEP_2)
	v_fmaak_f32 v21, s11, v20, 0x3ecc95a3
	v_mul_f32_e32 v22, v18, v20
	v_fmaak_f32 v20, v20, v21, 0x3f2aaada
	v_ldexp_f32 v21, v18, 1
	v_sub_f32_e32 v18, v18, v19
	s_delay_alu instid0(VALU_DEP_3) | instskip(SKIP_1) | instid1(VALU_DEP_2)
	v_mul_f32_e32 v20, v22, v20
	v_mul_f32_e32 v22, 0x3f317218, v17
	v_dual_sub_f32 v14, v14, v18 :: v_dual_add_f32 v19, v21, v20
	s_delay_alu instid0(VALU_DEP_1) | instskip(NEXT) | instid1(VALU_DEP_2)
	v_ldexp_f32 v14, v14, 1
	v_sub_f32_e32 v18, v19, v21
	s_delay_alu instid0(VALU_DEP_4) | instskip(NEXT) | instid1(VALU_DEP_1)
	v_fma_f32 v21, 0x3f317218, v17, -v22
	v_dual_sub_f32 v18, v20, v18 :: v_dual_fmamk_f32 v17, v17, 0xb102e308, v21
	s_delay_alu instid0(VALU_DEP_1) | instskip(NEXT) | instid1(VALU_DEP_2)
	v_add_f32_e32 v14, v14, v18
	v_add_f32_e32 v18, v22, v17
	s_delay_alu instid0(VALU_DEP_2) | instskip(NEXT) | instid1(VALU_DEP_2)
	v_add_f32_e32 v20, v19, v14
	v_sub_f32_e32 v22, v18, v22
	s_delay_alu instid0(VALU_DEP_2) | instskip(SKIP_1) | instid1(VALU_DEP_3)
	v_add_f32_e32 v21, v18, v20
	v_sub_f32_e32 v19, v20, v19
	v_sub_f32_e32 v17, v17, v22
	s_delay_alu instid0(VALU_DEP_2) | instskip(NEXT) | instid1(VALU_DEP_1)
	v_dual_sub_f32 v23, v21, v18 :: v_dual_sub_f32 v14, v14, v19
	v_sub_f32_e32 v24, v21, v23
	s_delay_alu instid0(VALU_DEP_2) | instskip(NEXT) | instid1(VALU_DEP_2)
	v_dual_sub_f32 v19, v20, v23 :: v_dual_add_f32 v20, v17, v14
	v_sub_f32_e32 v18, v18, v24
	s_delay_alu instid0(VALU_DEP_1) | instskip(NEXT) | instid1(VALU_DEP_1)
	v_dual_add_f32 v18, v19, v18 :: v_dual_sub_f32 v19, v20, v17
	v_add_f32_e32 v18, v20, v18
	s_delay_alu instid0(VALU_DEP_2) | instskip(SKIP_1) | instid1(VALU_DEP_3)
	v_sub_f32_e32 v20, v20, v19
	v_sub_f32_e32 v14, v14, v19
	v_add_f32_e32 v22, v21, v18
	s_delay_alu instid0(VALU_DEP_3) | instskip(NEXT) | instid1(VALU_DEP_2)
	v_sub_f32_e32 v17, v17, v20
	v_sub_f32_e32 v19, v22, v21
	s_delay_alu instid0(VALU_DEP_2) | instskip(NEXT) | instid1(VALU_DEP_2)
	v_add_f32_e32 v14, v14, v17
	v_sub_f32_e32 v17, v18, v19
	s_delay_alu instid0(VALU_DEP_1) | instskip(NEXT) | instid1(VALU_DEP_1)
	v_add_f32_e32 v14, v14, v17
	v_add_f32_e32 v14, v22, v14
	s_wait_alu 0xfffd
	s_delay_alu instid0(VALU_DEP_1) | instskip(SKIP_2) | instid1(VALU_DEP_2)
	v_cndmask_b32_e32 v14, 0x7f800000, v14, vcc_lo
	v_cmp_gt_f32_e64 vcc_lo, 0x33800000, |v7|
	s_wait_alu 0xfffd
	v_cndmask_b32_e32 v7, v14, v7, vcc_lo
	s_delay_alu instid0(VALU_DEP_1) | instskip(NEXT) | instid1(VALU_DEP_1)
	v_add_f32_e32 v7, v13, v7
	v_cvt_f16_f32_e32 v14, v7
	s_delay_alu instid0(VALU_DEP_1)
	v_cvt_f32_f16_e32 v7, v14
	v_mov_b32_e32 v30, v14
.LBB356_282:
	s_wait_alu 0xfffe
	s_or_b32 exec_lo, exec_lo, s10
	v_max_num_f32_e32 v13, v8, v8
	v_max_num_f32_e32 v17, v7, v7
	v_cmp_u_f16_e32 vcc_lo, v14, v14
	s_delay_alu instid0(VALU_DEP_2) | instskip(SKIP_2) | instid1(VALU_DEP_2)
	v_min_num_f32_e32 v18, v17, v13
	v_max_num_f32_e32 v13, v17, v13
	s_wait_alu 0xfffd
	v_cndmask_b32_e32 v17, v18, v7, vcc_lo
	s_delay_alu instid0(VALU_DEP_2) | instskip(NEXT) | instid1(VALU_DEP_2)
	v_cndmask_b32_e32 v13, v13, v7, vcc_lo
	v_cndmask_b32_e64 v17, v17, v8, s0
	s_delay_alu instid0(VALU_DEP_2) | instskip(SKIP_1) | instid1(VALU_DEP_3)
	v_cndmask_b32_e64 v13, v13, v8, s0
	v_mov_b32_e32 v8, v30
	v_cmp_class_f32_e64 s0, v17, 0x1f8
	s_delay_alu instid0(VALU_DEP_3)
	v_cmp_neq_f32_e32 vcc_lo, v17, v13
	s_or_b32 s10, vcc_lo, s0
	s_wait_alu 0xfffe
	s_and_saveexec_b32 s0, s10
	s_cbranch_execz .LBB356_284
; %bb.283:
	v_sub_f32_e32 v7, v17, v13
	s_mov_b32 s10, 0x3e9b6dac
	s_delay_alu instid0(VALU_DEP_1) | instskip(NEXT) | instid1(VALU_DEP_1)
	v_mul_f32_e32 v8, 0x3fb8aa3b, v7
	v_fma_f32 v14, 0x3fb8aa3b, v7, -v8
	v_rndne_f32_e32 v17, v8
	s_delay_alu instid0(VALU_DEP_2) | instskip(NEXT) | instid1(VALU_DEP_2)
	v_fmamk_f32 v14, v7, 0x32a5705f, v14
	v_sub_f32_e32 v8, v8, v17
	s_delay_alu instid0(VALU_DEP_1) | instskip(SKIP_2) | instid1(VALU_DEP_3)
	v_add_f32_e32 v8, v8, v14
	v_cvt_i32_f32_e32 v14, v17
	v_cmp_ngt_f32_e32 vcc_lo, 0xc2ce8ed0, v7
	v_exp_f32_e32 v8, v8
	s_delay_alu instid0(TRANS32_DEP_1) | instskip(SKIP_1) | instid1(VALU_DEP_1)
	v_ldexp_f32 v8, v8, v14
	s_wait_alu 0xfffd
	v_cndmask_b32_e32 v8, 0, v8, vcc_lo
	v_cmp_nlt_f32_e32 vcc_lo, 0x42b17218, v7
	s_wait_alu 0xfffd
	s_delay_alu instid0(VALU_DEP_2) | instskip(NEXT) | instid1(VALU_DEP_1)
	v_cndmask_b32_e32 v14, 0x7f800000, v8, vcc_lo
	v_add_f32_e32 v17, 1.0, v14
	s_delay_alu instid0(VALU_DEP_1) | instskip(NEXT) | instid1(VALU_DEP_1)
	v_cvt_f64_f32_e32 v[7:8], v17
	v_frexp_exp_i32_f64_e32 v7, v[7:8]
	v_frexp_mant_f32_e32 v8, v17
	s_delay_alu instid0(VALU_DEP_1) | instskip(SKIP_1) | instid1(VALU_DEP_1)
	v_cmp_gt_f32_e32 vcc_lo, 0x3f2aaaab, v8
	v_add_f32_e32 v8, -1.0, v17
	v_sub_f32_e32 v19, v8, v17
	s_delay_alu instid0(VALU_DEP_1) | instskip(SKIP_2) | instid1(VALU_DEP_1)
	v_add_f32_e32 v19, 1.0, v19
	s_wait_alu 0xfffd
	v_subrev_co_ci_u32_e64 v7, null, 0, v7, vcc_lo
	v_sub_nc_u32_e32 v18, 0, v7
	v_cvt_f32_i32_e32 v7, v7
	s_delay_alu instid0(VALU_DEP_2) | instskip(SKIP_1) | instid1(VALU_DEP_1)
	v_ldexp_f32 v17, v17, v18
	v_sub_f32_e32 v8, v14, v8
	v_add_f32_e32 v8, v8, v19
	s_delay_alu instid0(VALU_DEP_1) | instskip(NEXT) | instid1(VALU_DEP_4)
	v_ldexp_f32 v8, v8, v18
	v_add_f32_e32 v20, 1.0, v17
	s_delay_alu instid0(VALU_DEP_1) | instskip(NEXT) | instid1(VALU_DEP_1)
	v_add_f32_e32 v19, -1.0, v20
	v_sub_f32_e32 v19, v17, v19
	s_delay_alu instid0(VALU_DEP_1) | instskip(NEXT) | instid1(VALU_DEP_1)
	v_dual_add_f32 v19, v8, v19 :: v_dual_add_f32 v18, -1.0, v17
	v_add_f32_e32 v21, 1.0, v18
	v_cmp_neq_f32_e32 vcc_lo, 0x7f800000, v14
	s_delay_alu instid0(VALU_DEP_2) | instskip(NEXT) | instid1(VALU_DEP_4)
	v_sub_f32_e32 v17, v17, v21
	v_add_f32_e32 v21, v20, v19
	s_delay_alu instid0(VALU_DEP_1) | instskip(NEXT) | instid1(VALU_DEP_3)
	v_sub_f32_e32 v20, v20, v21
	v_add_f32_e32 v8, v8, v17
	v_rcp_f32_e32 v17, v21
	s_delay_alu instid0(VALU_DEP_2) | instskip(NEXT) | instid1(VALU_DEP_2)
	v_add_f32_e32 v19, v19, v20
	v_add_f32_e32 v22, v18, v8
	s_delay_alu instid0(VALU_DEP_1)
	v_sub_f32_e32 v18, v18, v22
	s_delay_alu instid0(TRANS32_DEP_1) | instid1(VALU_DEP_1)
	v_dual_mul_f32 v23, v22, v17 :: v_dual_add_f32 v8, v8, v18
	s_delay_alu instid0(VALU_DEP_1) | instskip(NEXT) | instid1(VALU_DEP_1)
	v_mul_f32_e32 v24, v21, v23
	v_fma_f32 v20, v23, v21, -v24
	s_delay_alu instid0(VALU_DEP_1) | instskip(NEXT) | instid1(VALU_DEP_1)
	v_fmac_f32_e32 v20, v23, v19
	v_add_f32_e32 v25, v24, v20
	s_delay_alu instid0(VALU_DEP_1) | instskip(SKIP_1) | instid1(VALU_DEP_2)
	v_sub_f32_e32 v26, v22, v25
	v_sub_f32_e32 v18, v25, v24
	v_sub_f32_e32 v22, v22, v26
	s_delay_alu instid0(VALU_DEP_2) | instskip(NEXT) | instid1(VALU_DEP_2)
	v_sub_f32_e32 v18, v18, v20
	v_sub_f32_e32 v22, v22, v25
	s_delay_alu instid0(VALU_DEP_1) | instskip(NEXT) | instid1(VALU_DEP_1)
	v_add_f32_e32 v8, v8, v22
	v_add_f32_e32 v8, v18, v8
	s_delay_alu instid0(VALU_DEP_1) | instskip(NEXT) | instid1(VALU_DEP_1)
	v_add_f32_e32 v18, v26, v8
	v_mul_f32_e32 v20, v17, v18
	s_delay_alu instid0(VALU_DEP_1) | instskip(NEXT) | instid1(VALU_DEP_1)
	v_dual_sub_f32 v25, v26, v18 :: v_dual_mul_f32 v22, v21, v20
	v_add_f32_e32 v8, v8, v25
	s_delay_alu instid0(VALU_DEP_2) | instskip(NEXT) | instid1(VALU_DEP_1)
	v_fma_f32 v21, v20, v21, -v22
	v_fmac_f32_e32 v21, v20, v19
	s_delay_alu instid0(VALU_DEP_1) | instskip(NEXT) | instid1(VALU_DEP_1)
	v_add_f32_e32 v19, v22, v21
	v_sub_f32_e32 v24, v18, v19
	v_sub_f32_e32 v22, v19, v22
	s_delay_alu instid0(VALU_DEP_2) | instskip(NEXT) | instid1(VALU_DEP_1)
	v_sub_f32_e32 v18, v18, v24
	v_sub_f32_e32 v18, v18, v19
	s_delay_alu instid0(VALU_DEP_1) | instskip(SKIP_1) | instid1(VALU_DEP_1)
	v_dual_sub_f32 v19, v22, v21 :: v_dual_add_f32 v8, v8, v18
	v_add_f32_e32 v18, v23, v20
	v_dual_add_f32 v8, v19, v8 :: v_dual_sub_f32 v19, v18, v23
	s_delay_alu instid0(VALU_DEP_1) | instskip(NEXT) | instid1(VALU_DEP_1)
	v_add_f32_e32 v8, v24, v8
	v_dual_sub_f32 v19, v20, v19 :: v_dual_mul_f32 v8, v17, v8
	s_delay_alu instid0(VALU_DEP_1) | instskip(NEXT) | instid1(VALU_DEP_1)
	v_add_f32_e32 v8, v19, v8
	v_add_f32_e32 v17, v18, v8
	s_delay_alu instid0(VALU_DEP_1) | instskip(SKIP_1) | instid1(VALU_DEP_1)
	v_mul_f32_e32 v19, v17, v17
	s_wait_alu 0xfffe
	v_fmaak_f32 v20, s10, v19, 0x3ecc95a3
	v_mul_f32_e32 v21, v17, v19
	s_delay_alu instid0(VALU_DEP_2) | instskip(SKIP_2) | instid1(VALU_DEP_3)
	v_fmaak_f32 v19, v19, v20, 0x3f2aaada
	v_ldexp_f32 v20, v17, 1
	v_sub_f32_e32 v17, v17, v18
	v_mul_f32_e32 v19, v21, v19
	s_delay_alu instid0(VALU_DEP_2) | instskip(NEXT) | instid1(VALU_DEP_2)
	v_dual_mul_f32 v21, 0x3f317218, v7 :: v_dual_sub_f32 v8, v8, v17
	v_add_f32_e32 v18, v20, v19
	s_delay_alu instid0(VALU_DEP_2) | instskip(NEXT) | instid1(VALU_DEP_2)
	v_ldexp_f32 v8, v8, 1
	v_sub_f32_e32 v17, v18, v20
	s_delay_alu instid0(VALU_DEP_4) | instskip(NEXT) | instid1(VALU_DEP_2)
	v_fma_f32 v20, 0x3f317218, v7, -v21
	v_sub_f32_e32 v17, v19, v17
	s_delay_alu instid0(VALU_DEP_1) | instskip(NEXT) | instid1(VALU_DEP_1)
	v_dual_fmamk_f32 v7, v7, 0xb102e308, v20 :: v_dual_add_f32 v8, v8, v17
	v_add_f32_e32 v17, v21, v7
	s_delay_alu instid0(VALU_DEP_2) | instskip(NEXT) | instid1(VALU_DEP_2)
	v_add_f32_e32 v19, v18, v8
	v_sub_f32_e32 v21, v17, v21
	s_delay_alu instid0(VALU_DEP_2) | instskip(SKIP_1) | instid1(VALU_DEP_3)
	v_add_f32_e32 v20, v17, v19
	v_sub_f32_e32 v18, v19, v18
	v_sub_f32_e32 v7, v7, v21
	s_delay_alu instid0(VALU_DEP_3) | instskip(NEXT) | instid1(VALU_DEP_3)
	v_sub_f32_e32 v22, v20, v17
	v_sub_f32_e32 v8, v8, v18
	s_delay_alu instid0(VALU_DEP_2) | instskip(SKIP_1) | instid1(VALU_DEP_3)
	v_sub_f32_e32 v23, v20, v22
	v_sub_f32_e32 v18, v19, v22
	v_add_f32_e32 v19, v7, v8
	s_delay_alu instid0(VALU_DEP_3) | instskip(NEXT) | instid1(VALU_DEP_1)
	v_sub_f32_e32 v17, v17, v23
	v_dual_add_f32 v17, v18, v17 :: v_dual_sub_f32 v18, v19, v7
	s_delay_alu instid0(VALU_DEP_1) | instskip(NEXT) | instid1(VALU_DEP_2)
	v_add_f32_e32 v17, v19, v17
	v_sub_f32_e32 v19, v19, v18
	v_sub_f32_e32 v8, v8, v18
	s_delay_alu instid0(VALU_DEP_3) | instskip(NEXT) | instid1(VALU_DEP_1)
	v_add_f32_e32 v21, v20, v17
	v_dual_sub_f32 v7, v7, v19 :: v_dual_sub_f32 v18, v21, v20
	s_delay_alu instid0(VALU_DEP_1) | instskip(NEXT) | instid1(VALU_DEP_1)
	v_dual_add_f32 v7, v8, v7 :: v_dual_sub_f32 v8, v17, v18
	v_add_f32_e32 v7, v7, v8
	s_delay_alu instid0(VALU_DEP_1) | instskip(SKIP_1) | instid1(VALU_DEP_1)
	v_add_f32_e32 v7, v21, v7
	s_wait_alu 0xfffd
	v_cndmask_b32_e32 v7, 0x7f800000, v7, vcc_lo
	v_cmp_gt_f32_e64 vcc_lo, 0x33800000, |v14|
	s_wait_alu 0xfffd
	s_delay_alu instid0(VALU_DEP_2) | instskip(NEXT) | instid1(VALU_DEP_1)
	v_cndmask_b32_e32 v7, v7, v14, vcc_lo
	v_add_f32_e32 v7, v13, v7
	s_delay_alu instid0(VALU_DEP_1) | instskip(NEXT) | instid1(VALU_DEP_1)
	v_cvt_f16_f32_e32 v14, v7
	v_cvt_f32_f16_e32 v7, v14
	v_mov_b32_e32 v8, v14
.LBB356_284:
	s_wait_alu 0xfffe
	s_or_b32 exec_lo, exec_lo, s0
	s_delay_alu instid0(VALU_DEP_1) | instskip(SKIP_2) | instid1(VALU_DEP_2)
	v_dual_max_num_f32 v13, v2, v2 :: v_dual_mov_b32 v20, v8
	v_max_num_f32_e32 v17, v7, v7
	v_cmp_u_f16_e32 vcc_lo, v14, v14
	v_min_num_f32_e32 v18, v17, v13
	v_max_num_f32_e32 v13, v17, v13
	s_wait_alu 0xfffd
	s_delay_alu instid0(VALU_DEP_2) | instskip(NEXT) | instid1(VALU_DEP_2)
	v_cndmask_b32_e32 v17, v18, v7, vcc_lo
	v_cndmask_b32_e32 v18, v13, v7, vcc_lo
	s_delay_alu instid0(VALU_DEP_2) | instskip(NEXT) | instid1(VALU_DEP_2)
	v_cndmask_b32_e64 v13, v17, v2, s1
	v_cndmask_b32_e64 v2, v18, v2, s1
	s_delay_alu instid0(VALU_DEP_2) | instskip(NEXT) | instid1(VALU_DEP_2)
	v_cmp_class_f32_e64 s0, v13, 0x1f8
	v_cmp_neq_f32_e32 vcc_lo, v13, v2
	s_or_b32 s1, vcc_lo, s0
	s_wait_alu 0xfffe
	s_and_saveexec_b32 s0, s1
	s_cbranch_execz .LBB356_286
; %bb.285:
	v_sub_f32_e32 v7, v13, v2
	s_mov_b32 s1, 0x3e9b6dac
	s_delay_alu instid0(VALU_DEP_1) | instskip(SKIP_1) | instid1(VALU_DEP_2)
	v_mul_f32_e32 v13, 0x3fb8aa3b, v7
	v_cmp_ngt_f32_e32 vcc_lo, 0xc2ce8ed0, v7
	v_fma_f32 v14, 0x3fb8aa3b, v7, -v13
	v_rndne_f32_e32 v17, v13
	s_delay_alu instid0(VALU_DEP_1) | instskip(NEXT) | instid1(VALU_DEP_1)
	v_dual_fmamk_f32 v14, v7, 0x32a5705f, v14 :: v_dual_sub_f32 v13, v13, v17
	v_add_f32_e32 v13, v13, v14
	v_cvt_i32_f32_e32 v14, v17
	s_delay_alu instid0(VALU_DEP_2) | instskip(NEXT) | instid1(TRANS32_DEP_1)
	v_exp_f32_e32 v13, v13
	v_ldexp_f32 v13, v13, v14
	s_wait_alu 0xfffd
	s_delay_alu instid0(VALU_DEP_1) | instskip(SKIP_2) | instid1(VALU_DEP_2)
	v_cndmask_b32_e32 v13, 0, v13, vcc_lo
	v_cmp_nlt_f32_e32 vcc_lo, 0x42b17218, v7
	s_wait_alu 0xfffd
	v_cndmask_b32_e32 v7, 0x7f800000, v13, vcc_lo
	s_delay_alu instid0(VALU_DEP_1) | instskip(NEXT) | instid1(VALU_DEP_1)
	v_add_f32_e32 v17, 1.0, v7
	v_cvt_f64_f32_e32 v[13:14], v17
	s_delay_alu instid0(VALU_DEP_1) | instskip(SKIP_1) | instid1(VALU_DEP_1)
	v_frexp_exp_i32_f64_e32 v13, v[13:14]
	v_frexp_mant_f32_e32 v14, v17
	v_cmp_gt_f32_e32 vcc_lo, 0x3f2aaaab, v14
	v_add_f32_e32 v14, -1.0, v17
	s_delay_alu instid0(VALU_DEP_1) | instskip(SKIP_2) | instid1(VALU_DEP_1)
	v_dual_sub_f32 v19, v14, v17 :: v_dual_sub_f32 v14, v7, v14
	s_wait_alu 0xfffd
	v_subrev_co_ci_u32_e64 v13, null, 0, v13, vcc_lo
	v_sub_nc_u32_e32 v18, 0, v13
	v_cvt_f32_i32_e32 v13, v13
	s_delay_alu instid0(VALU_DEP_2) | instskip(NEXT) | instid1(VALU_DEP_1)
	v_ldexp_f32 v17, v17, v18
	v_dual_add_f32 v19, 1.0, v19 :: v_dual_add_f32 v20, 1.0, v17
	s_delay_alu instid0(VALU_DEP_1) | instskip(NEXT) | instid1(VALU_DEP_1)
	v_add_f32_e32 v14, v14, v19
	v_ldexp_f32 v14, v14, v18
	s_delay_alu instid0(VALU_DEP_3) | instskip(NEXT) | instid1(VALU_DEP_1)
	v_dual_add_f32 v18, -1.0, v17 :: v_dual_add_f32 v19, -1.0, v20
	v_add_f32_e32 v21, 1.0, v18
	s_delay_alu instid0(VALU_DEP_2) | instskip(NEXT) | instid1(VALU_DEP_2)
	v_sub_f32_e32 v19, v17, v19
	v_sub_f32_e32 v17, v17, v21
	s_delay_alu instid0(VALU_DEP_2) | instskip(NEXT) | instid1(VALU_DEP_2)
	v_add_f32_e32 v19, v14, v19
	v_add_f32_e32 v14, v14, v17
	s_delay_alu instid0(VALU_DEP_1) | instskip(SKIP_1) | instid1(VALU_DEP_2)
	v_dual_add_f32 v22, v18, v14 :: v_dual_add_f32 v21, v20, v19
	v_cmp_neq_f32_e32 vcc_lo, 0x7f800000, v7
	v_sub_f32_e32 v18, v18, v22
	s_delay_alu instid0(VALU_DEP_3) | instskip(SKIP_1) | instid1(VALU_DEP_1)
	v_rcp_f32_e32 v17, v21
	v_sub_f32_e32 v20, v20, v21
	v_dual_add_f32 v14, v14, v18 :: v_dual_add_f32 v19, v19, v20
	s_delay_alu instid0(TRANS32_DEP_1) | instskip(NEXT) | instid1(VALU_DEP_1)
	v_mul_f32_e32 v23, v22, v17
	v_mul_f32_e32 v24, v21, v23
	s_delay_alu instid0(VALU_DEP_1) | instskip(NEXT) | instid1(VALU_DEP_1)
	v_fma_f32 v20, v23, v21, -v24
	v_fmac_f32_e32 v20, v23, v19
	s_delay_alu instid0(VALU_DEP_1) | instskip(NEXT) | instid1(VALU_DEP_1)
	v_add_f32_e32 v25, v24, v20
	v_sub_f32_e32 v26, v22, v25
	s_delay_alu instid0(VALU_DEP_1) | instskip(NEXT) | instid1(VALU_DEP_1)
	v_sub_f32_e32 v22, v22, v26
	v_sub_f32_e32 v22, v22, v25
	s_delay_alu instid0(VALU_DEP_1) | instskip(SKIP_1) | instid1(VALU_DEP_1)
	v_add_f32_e32 v14, v14, v22
	v_sub_f32_e32 v18, v25, v24
	v_sub_f32_e32 v18, v18, v20
	s_delay_alu instid0(VALU_DEP_1) | instskip(NEXT) | instid1(VALU_DEP_1)
	v_add_f32_e32 v14, v18, v14
	v_add_f32_e32 v18, v26, v14
	s_delay_alu instid0(VALU_DEP_1) | instskip(NEXT) | instid1(VALU_DEP_1)
	v_mul_f32_e32 v20, v17, v18
	v_dual_sub_f32 v25, v26, v18 :: v_dual_mul_f32 v22, v21, v20
	s_delay_alu instid0(VALU_DEP_1) | instskip(NEXT) | instid1(VALU_DEP_2)
	v_add_f32_e32 v14, v14, v25
	v_fma_f32 v21, v20, v21, -v22
	s_delay_alu instid0(VALU_DEP_1) | instskip(NEXT) | instid1(VALU_DEP_1)
	v_fmac_f32_e32 v21, v20, v19
	v_add_f32_e32 v19, v22, v21
	s_delay_alu instid0(VALU_DEP_1) | instskip(NEXT) | instid1(VALU_DEP_1)
	v_sub_f32_e32 v24, v18, v19
	v_sub_f32_e32 v18, v18, v24
	s_delay_alu instid0(VALU_DEP_1) | instskip(NEXT) | instid1(VALU_DEP_1)
	v_sub_f32_e32 v18, v18, v19
	v_add_f32_e32 v14, v14, v18
	v_add_f32_e32 v18, v23, v20
	v_sub_f32_e32 v22, v19, v22
	s_delay_alu instid0(VALU_DEP_1) | instskip(NEXT) | instid1(VALU_DEP_1)
	v_sub_f32_e32 v19, v22, v21
	v_dual_add_f32 v14, v19, v14 :: v_dual_sub_f32 v19, v18, v23
	s_delay_alu instid0(VALU_DEP_1) | instskip(NEXT) | instid1(VALU_DEP_1)
	v_add_f32_e32 v14, v24, v14
	v_dual_sub_f32 v19, v20, v19 :: v_dual_mul_f32 v14, v17, v14
	s_delay_alu instid0(VALU_DEP_1) | instskip(NEXT) | instid1(VALU_DEP_1)
	v_add_f32_e32 v14, v19, v14
	v_add_f32_e32 v17, v18, v14
	s_delay_alu instid0(VALU_DEP_1) | instskip(SKIP_1) | instid1(VALU_DEP_1)
	v_mul_f32_e32 v19, v17, v17
	s_wait_alu 0xfffe
	v_fmaak_f32 v20, s1, v19, 0x3ecc95a3
	v_mul_f32_e32 v21, v17, v19
	s_delay_alu instid0(VALU_DEP_2) | instskip(SKIP_2) | instid1(VALU_DEP_3)
	v_fmaak_f32 v19, v19, v20, 0x3f2aaada
	v_ldexp_f32 v20, v17, 1
	v_sub_f32_e32 v17, v17, v18
	v_mul_f32_e32 v19, v21, v19
	v_mul_f32_e32 v21, 0x3f317218, v13
	s_delay_alu instid0(VALU_DEP_3) | instskip(NEXT) | instid1(VALU_DEP_3)
	v_sub_f32_e32 v14, v14, v17
	v_add_f32_e32 v18, v20, v19
	s_delay_alu instid0(VALU_DEP_2) | instskip(NEXT) | instid1(VALU_DEP_2)
	v_ldexp_f32 v14, v14, 1
	v_sub_f32_e32 v17, v18, v20
	v_fma_f32 v20, 0x3f317218, v13, -v21
	s_delay_alu instid0(VALU_DEP_2) | instskip(NEXT) | instid1(VALU_DEP_1)
	v_sub_f32_e32 v17, v19, v17
	v_dual_fmamk_f32 v13, v13, 0xb102e308, v20 :: v_dual_add_f32 v14, v14, v17
	s_delay_alu instid0(VALU_DEP_1) | instskip(NEXT) | instid1(VALU_DEP_2)
	v_add_f32_e32 v17, v21, v13
	v_add_f32_e32 v19, v18, v14
	s_delay_alu instid0(VALU_DEP_1) | instskip(NEXT) | instid1(VALU_DEP_1)
	v_add_f32_e32 v20, v17, v19
	v_sub_f32_e32 v22, v20, v17
	v_dual_sub_f32 v21, v17, v21 :: v_dual_sub_f32 v18, v19, v18
	s_delay_alu instid0(VALU_DEP_2) | instskip(NEXT) | instid1(VALU_DEP_1)
	v_sub_f32_e32 v23, v20, v22
	v_sub_f32_e32 v17, v17, v23
	s_delay_alu instid0(VALU_DEP_3) | instskip(SKIP_1) | instid1(VALU_DEP_2)
	v_dual_sub_f32 v13, v13, v21 :: v_dual_sub_f32 v14, v14, v18
	v_sub_f32_e32 v18, v19, v22
	v_add_f32_e32 v19, v13, v14
	s_delay_alu instid0(VALU_DEP_2) | instskip(NEXT) | instid1(VALU_DEP_2)
	v_add_f32_e32 v17, v18, v17
	v_sub_f32_e32 v18, v19, v13
	s_delay_alu instid0(VALU_DEP_2) | instskip(NEXT) | instid1(VALU_DEP_1)
	v_add_f32_e32 v17, v19, v17
	v_add_f32_e32 v21, v20, v17
	s_delay_alu instid0(VALU_DEP_3) | instskip(NEXT) | instid1(VALU_DEP_1)
	v_sub_f32_e32 v19, v19, v18
	v_dual_sub_f32 v13, v13, v19 :: v_dual_sub_f32 v14, v14, v18
	s_delay_alu instid0(VALU_DEP_1) | instskip(NEXT) | instid1(VALU_DEP_1)
	v_dual_sub_f32 v18, v21, v20 :: v_dual_add_f32 v13, v14, v13
	v_sub_f32_e32 v14, v17, v18
	s_delay_alu instid0(VALU_DEP_1) | instskip(NEXT) | instid1(VALU_DEP_1)
	v_add_f32_e32 v13, v13, v14
	v_add_f32_e32 v13, v21, v13
	s_wait_alu 0xfffd
	s_delay_alu instid0(VALU_DEP_1) | instskip(SKIP_2) | instid1(VALU_DEP_2)
	v_cndmask_b32_e32 v13, 0x7f800000, v13, vcc_lo
	v_cmp_gt_f32_e64 vcc_lo, 0x33800000, |v7|
	s_wait_alu 0xfffd
	v_cndmask_b32_e32 v7, v13, v7, vcc_lo
	s_delay_alu instid0(VALU_DEP_1) | instskip(NEXT) | instid1(VALU_DEP_1)
	v_add_f32_e32 v2, v2, v7
	v_cvt_f16_f32_e32 v14, v2
	s_delay_alu instid0(VALU_DEP_1)
	v_cvt_f32_f16_e32 v7, v14
	v_mov_b32_e32 v20, v14
.LBB356_286:
	s_wait_alu 0xfffe
	s_or_b32 exec_lo, exec_lo, s0
	s_delay_alu instid0(VALU_DEP_2) | instskip(SKIP_1) | instid1(VALU_DEP_2)
	v_dual_max_num_f32 v2, v9, v9 :: v_dual_max_num_f32 v13, v7, v7
	v_cmp_u_f16_e32 vcc_lo, v14, v14
	v_min_num_f32_e32 v17, v13, v2
	v_max_num_f32_e32 v2, v13, v2
	s_wait_alu 0xfffd
	s_delay_alu instid0(VALU_DEP_1) | instskip(NEXT) | instid1(VALU_DEP_3)
	v_cndmask_b32_e32 v2, v2, v7, vcc_lo
	v_cndmask_b32_e32 v13, v17, v7, vcc_lo
	s_delay_alu instid0(VALU_DEP_2) | instskip(NEXT) | instid1(VALU_DEP_2)
	v_cndmask_b32_e64 v2, v2, v9, s2
	v_cndmask_b32_e64 v13, v13, v9, s2
	v_mov_b32_e32 v9, v20
	s_delay_alu instid0(VALU_DEP_2)
	v_cmp_neq_f32_e32 vcc_lo, v13, v2
	v_cmp_class_f32_e64 s0, v13, 0x1f8
	s_or_b32 s1, vcc_lo, s0
	s_wait_alu 0xfffe
	s_and_saveexec_b32 s0, s1
	s_cbranch_execz .LBB356_288
; %bb.287:
	v_sub_f32_e32 v7, v13, v2
	s_mov_b32 s1, 0x3e9b6dac
	s_delay_alu instid0(VALU_DEP_1) | instskip(SKIP_1) | instid1(VALU_DEP_2)
	v_mul_f32_e32 v9, 0x3fb8aa3b, v7
	v_cmp_ngt_f32_e32 vcc_lo, 0xc2ce8ed0, v7
	v_fma_f32 v13, 0x3fb8aa3b, v7, -v9
	v_rndne_f32_e32 v14, v9
	s_delay_alu instid0(VALU_DEP_2) | instskip(NEXT) | instid1(VALU_DEP_2)
	v_fmamk_f32 v13, v7, 0x32a5705f, v13
	v_sub_f32_e32 v9, v9, v14
	s_delay_alu instid0(VALU_DEP_1) | instskip(SKIP_1) | instid1(VALU_DEP_2)
	v_add_f32_e32 v9, v9, v13
	v_cvt_i32_f32_e32 v13, v14
	v_exp_f32_e32 v9, v9
	s_delay_alu instid0(TRANS32_DEP_1) | instskip(SKIP_1) | instid1(VALU_DEP_1)
	v_ldexp_f32 v9, v9, v13
	s_wait_alu 0xfffd
	v_cndmask_b32_e32 v9, 0, v9, vcc_lo
	v_cmp_nlt_f32_e32 vcc_lo, 0x42b17218, v7
	s_wait_alu 0xfffd
	s_delay_alu instid0(VALU_DEP_2) | instskip(NEXT) | instid1(VALU_DEP_1)
	v_cndmask_b32_e32 v7, 0x7f800000, v9, vcc_lo
	v_add_f32_e32 v9, 1.0, v7
	s_delay_alu instid0(VALU_DEP_1) | instskip(NEXT) | instid1(VALU_DEP_1)
	v_cvt_f64_f32_e32 v[13:14], v9
	v_frexp_exp_i32_f64_e32 v13, v[13:14]
	v_frexp_mant_f32_e32 v14, v9
	s_delay_alu instid0(VALU_DEP_1) | instskip(SKIP_1) | instid1(VALU_DEP_1)
	v_cmp_gt_f32_e32 vcc_lo, 0x3f2aaaab, v14
	v_add_f32_e32 v14, -1.0, v9
	v_sub_f32_e32 v18, v14, v9
	v_sub_f32_e32 v14, v7, v14
	s_delay_alu instid0(VALU_DEP_2) | instskip(NEXT) | instid1(VALU_DEP_1)
	v_add_f32_e32 v18, 1.0, v18
	v_add_f32_e32 v14, v14, v18
	s_wait_alu 0xfffd
	v_subrev_co_ci_u32_e64 v13, null, 0, v13, vcc_lo
	s_delay_alu instid0(VALU_DEP_1) | instskip(SKIP_1) | instid1(VALU_DEP_2)
	v_sub_nc_u32_e32 v17, 0, v13
	v_cvt_f32_i32_e32 v13, v13
	v_ldexp_f32 v9, v9, v17
	v_ldexp_f32 v14, v14, v17
	s_delay_alu instid0(VALU_DEP_2) | instskip(NEXT) | instid1(VALU_DEP_1)
	v_add_f32_e32 v19, 1.0, v9
	v_add_f32_e32 v18, -1.0, v19
	s_delay_alu instid0(VALU_DEP_1) | instskip(SKIP_1) | instid1(VALU_DEP_2)
	v_sub_f32_e32 v18, v9, v18
	v_cmp_neq_f32_e32 vcc_lo, 0x7f800000, v7
	v_dual_add_f32 v18, v14, v18 :: v_dual_add_f32 v17, -1.0, v9
	s_delay_alu instid0(VALU_DEP_1) | instskip(NEXT) | instid1(VALU_DEP_1)
	v_add_f32_e32 v21, 1.0, v17
	v_sub_f32_e32 v9, v9, v21
	s_delay_alu instid0(VALU_DEP_1) | instskip(NEXT) | instid1(VALU_DEP_1)
	v_add_f32_e32 v9, v14, v9
	v_dual_add_f32 v21, v19, v18 :: v_dual_add_f32 v22, v17, v9
	s_delay_alu instid0(VALU_DEP_1) | instskip(NEXT) | instid1(TRANS32_DEP_1)
	v_rcp_f32_e32 v14, v21
	v_mul_f32_e32 v23, v22, v14
	s_delay_alu instid0(VALU_DEP_1) | instskip(NEXT) | instid1(VALU_DEP_1)
	v_dual_mul_f32 v24, v21, v23 :: v_dual_sub_f32 v19, v19, v21
	v_add_f32_e32 v18, v18, v19
	s_delay_alu instid0(VALU_DEP_2) | instskip(NEXT) | instid1(VALU_DEP_1)
	v_fma_f32 v19, v23, v21, -v24
	v_fmac_f32_e32 v19, v23, v18
	s_delay_alu instid0(VALU_DEP_1) | instskip(NEXT) | instid1(VALU_DEP_1)
	v_add_f32_e32 v25, v24, v19
	v_dual_sub_f32 v17, v17, v22 :: v_dual_sub_f32 v26, v22, v25
	s_delay_alu instid0(VALU_DEP_1) | instskip(NEXT) | instid1(VALU_DEP_1)
	v_sub_f32_e32 v22, v22, v26
	v_sub_f32_e32 v22, v22, v25
	s_delay_alu instid0(VALU_DEP_3) | instskip(SKIP_1) | instid1(VALU_DEP_2)
	v_add_f32_e32 v9, v9, v17
	v_sub_f32_e32 v17, v25, v24
	v_add_f32_e32 v9, v9, v22
	s_delay_alu instid0(VALU_DEP_2) | instskip(NEXT) | instid1(VALU_DEP_1)
	v_sub_f32_e32 v17, v17, v19
	v_add_f32_e32 v9, v17, v9
	s_delay_alu instid0(VALU_DEP_1) | instskip(NEXT) | instid1(VALU_DEP_1)
	v_add_f32_e32 v17, v26, v9
	v_mul_f32_e32 v19, v14, v17
	s_delay_alu instid0(VALU_DEP_1) | instskip(NEXT) | instid1(VALU_DEP_1)
	v_dual_sub_f32 v25, v26, v17 :: v_dual_mul_f32 v22, v21, v19
	v_add_f32_e32 v9, v9, v25
	s_delay_alu instid0(VALU_DEP_2) | instskip(NEXT) | instid1(VALU_DEP_1)
	v_fma_f32 v21, v19, v21, -v22
	v_fmac_f32_e32 v21, v19, v18
	s_delay_alu instid0(VALU_DEP_1) | instskip(NEXT) | instid1(VALU_DEP_1)
	v_add_f32_e32 v18, v22, v21
	v_sub_f32_e32 v24, v17, v18
	s_delay_alu instid0(VALU_DEP_1) | instskip(NEXT) | instid1(VALU_DEP_1)
	v_dual_sub_f32 v22, v18, v22 :: v_dual_sub_f32 v17, v17, v24
	v_dual_sub_f32 v17, v17, v18 :: v_dual_sub_f32 v18, v22, v21
	s_delay_alu instid0(VALU_DEP_1) | instskip(SKIP_1) | instid1(VALU_DEP_1)
	v_add_f32_e32 v9, v9, v17
	v_add_f32_e32 v17, v23, v19
	v_dual_add_f32 v9, v18, v9 :: v_dual_sub_f32 v18, v17, v23
	s_delay_alu instid0(VALU_DEP_1) | instskip(NEXT) | instid1(VALU_DEP_1)
	v_dual_add_f32 v9, v24, v9 :: v_dual_sub_f32 v18, v19, v18
	v_mul_f32_e32 v9, v14, v9
	s_delay_alu instid0(VALU_DEP_1) | instskip(NEXT) | instid1(VALU_DEP_1)
	v_add_f32_e32 v9, v18, v9
	v_add_f32_e32 v14, v17, v9
	s_delay_alu instid0(VALU_DEP_1) | instskip(SKIP_1) | instid1(VALU_DEP_1)
	v_mul_f32_e32 v18, v14, v14
	s_wait_alu 0xfffe
	v_fmaak_f32 v19, s1, v18, 0x3ecc95a3
	v_mul_f32_e32 v21, v14, v18
	s_delay_alu instid0(VALU_DEP_2) | instskip(SKIP_2) | instid1(VALU_DEP_3)
	v_fmaak_f32 v18, v18, v19, 0x3f2aaada
	v_ldexp_f32 v19, v14, 1
	v_sub_f32_e32 v14, v14, v17
	v_dual_mul_f32 v18, v21, v18 :: v_dual_mul_f32 v21, 0x3f317218, v13
	s_delay_alu instid0(VALU_DEP_2) | instskip(NEXT) | instid1(VALU_DEP_2)
	v_sub_f32_e32 v9, v9, v14
	v_add_f32_e32 v17, v19, v18
	s_delay_alu instid0(VALU_DEP_2) | instskip(NEXT) | instid1(VALU_DEP_2)
	v_ldexp_f32 v9, v9, 1
	v_sub_f32_e32 v14, v17, v19
	v_fma_f32 v19, 0x3f317218, v13, -v21
	s_delay_alu instid0(VALU_DEP_1) | instskip(NEXT) | instid1(VALU_DEP_1)
	v_dual_sub_f32 v14, v18, v14 :: v_dual_fmamk_f32 v13, v13, 0xb102e308, v19
	v_add_f32_e32 v9, v9, v14
	s_delay_alu instid0(VALU_DEP_2) | instskip(NEXT) | instid1(VALU_DEP_2)
	v_add_f32_e32 v14, v21, v13
	v_add_f32_e32 v18, v17, v9
	s_delay_alu instid0(VALU_DEP_2) | instskip(NEXT) | instid1(VALU_DEP_2)
	v_sub_f32_e32 v21, v14, v21
	v_add_f32_e32 v19, v14, v18
	v_sub_f32_e32 v17, v18, v17
	s_delay_alu instid0(VALU_DEP_2) | instskip(NEXT) | instid1(VALU_DEP_2)
	v_dual_sub_f32 v13, v13, v21 :: v_dual_sub_f32 v22, v19, v14
	v_sub_f32_e32 v9, v9, v17
	s_delay_alu instid0(VALU_DEP_2) | instskip(NEXT) | instid1(VALU_DEP_2)
	v_sub_f32_e32 v23, v19, v22
	v_dual_sub_f32 v17, v18, v22 :: v_dual_add_f32 v18, v13, v9
	s_delay_alu instid0(VALU_DEP_2) | instskip(NEXT) | instid1(VALU_DEP_1)
	v_sub_f32_e32 v14, v14, v23
	v_dual_add_f32 v14, v17, v14 :: v_dual_sub_f32 v17, v18, v13
	s_delay_alu instid0(VALU_DEP_1) | instskip(NEXT) | instid1(VALU_DEP_2)
	v_add_f32_e32 v14, v18, v14
	v_sub_f32_e32 v18, v18, v17
	v_sub_f32_e32 v9, v9, v17
	s_delay_alu instid0(VALU_DEP_3) | instskip(NEXT) | instid1(VALU_DEP_3)
	v_add_f32_e32 v21, v19, v14
	v_sub_f32_e32 v13, v13, v18
	s_delay_alu instid0(VALU_DEP_2) | instskip(NEXT) | instid1(VALU_DEP_2)
	v_sub_f32_e32 v17, v21, v19
	v_add_f32_e32 v9, v9, v13
	s_delay_alu instid0(VALU_DEP_2) | instskip(NEXT) | instid1(VALU_DEP_1)
	v_sub_f32_e32 v13, v14, v17
	v_add_f32_e32 v9, v9, v13
	s_delay_alu instid0(VALU_DEP_1) | instskip(SKIP_1) | instid1(VALU_DEP_1)
	v_add_f32_e32 v9, v21, v9
	s_wait_alu 0xfffd
	v_cndmask_b32_e32 v9, 0x7f800000, v9, vcc_lo
	v_cmp_gt_f32_e64 vcc_lo, 0x33800000, |v7|
	s_wait_alu 0xfffd
	s_delay_alu instid0(VALU_DEP_2) | instskip(NEXT) | instid1(VALU_DEP_1)
	v_cndmask_b32_e32 v7, v9, v7, vcc_lo
	v_add_f32_e32 v2, v2, v7
	s_delay_alu instid0(VALU_DEP_1) | instskip(NEXT) | instid1(VALU_DEP_1)
	v_cvt_f16_f32_e32 v14, v2
	v_cvt_f32_f16_e32 v7, v14
	v_mov_b32_e32 v9, v14
.LBB356_288:
	s_wait_alu 0xfffe
	s_or_b32 exec_lo, exec_lo, s0
	s_delay_alu instid0(VALU_DEP_1) | instskip(SKIP_2) | instid1(VALU_DEP_2)
	v_dual_max_num_f32 v2, v3, v3 :: v_dual_mov_b32 v21, v9
	v_max_num_f32_e32 v13, v7, v7
	v_cmp_u_f16_e32 vcc_lo, v14, v14
	v_min_num_f32_e32 v17, v13, v2
	v_max_num_f32_e32 v2, v13, v2
	s_wait_alu 0xfffd
	s_delay_alu instid0(VALU_DEP_1) | instskip(NEXT) | instid1(VALU_DEP_3)
	v_cndmask_b32_e32 v2, v2, v7, vcc_lo
	v_cndmask_b32_e32 v13, v17, v7, vcc_lo
	s_delay_alu instid0(VALU_DEP_2) | instskip(NEXT) | instid1(VALU_DEP_2)
	v_cndmask_b32_e64 v2, v2, v3, s3
	v_cndmask_b32_e64 v13, v13, v3, s3
	s_delay_alu instid0(VALU_DEP_1)
	v_cmp_neq_f32_e32 vcc_lo, v13, v2
	v_cmp_class_f32_e64 s0, v13, 0x1f8
	s_or_b32 s1, vcc_lo, s0
	s_wait_alu 0xfffe
	s_and_saveexec_b32 s0, s1
	s_cbranch_execz .LBB356_290
; %bb.289:
	v_sub_f32_e32 v3, v13, v2
	s_mov_b32 s1, 0x3e9b6dac
	s_delay_alu instid0(VALU_DEP_1) | instskip(SKIP_1) | instid1(VALU_DEP_2)
	v_mul_f32_e32 v7, 0x3fb8aa3b, v3
	v_cmp_ngt_f32_e32 vcc_lo, 0xc2ce8ed0, v3
	v_fma_f32 v13, 0x3fb8aa3b, v3, -v7
	v_rndne_f32_e32 v14, v7
	s_delay_alu instid0(VALU_DEP_2) | instskip(NEXT) | instid1(VALU_DEP_2)
	v_fmamk_f32 v13, v3, 0x32a5705f, v13
	v_sub_f32_e32 v7, v7, v14
	s_delay_alu instid0(VALU_DEP_1) | instskip(SKIP_1) | instid1(VALU_DEP_2)
	v_add_f32_e32 v7, v7, v13
	v_cvt_i32_f32_e32 v13, v14
	v_exp_f32_e32 v7, v7
	s_delay_alu instid0(TRANS32_DEP_1) | instskip(SKIP_1) | instid1(VALU_DEP_1)
	v_ldexp_f32 v7, v7, v13
	s_wait_alu 0xfffd
	v_cndmask_b32_e32 v7, 0, v7, vcc_lo
	v_cmp_nlt_f32_e32 vcc_lo, 0x42b17218, v3
	s_wait_alu 0xfffd
	s_delay_alu instid0(VALU_DEP_2) | instskip(NEXT) | instid1(VALU_DEP_1)
	v_cndmask_b32_e32 v3, 0x7f800000, v7, vcc_lo
	v_add_f32_e32 v7, 1.0, v3
	s_delay_alu instid0(VALU_DEP_1) | instskip(NEXT) | instid1(VALU_DEP_1)
	v_cvt_f64_f32_e32 v[13:14], v7
	v_frexp_exp_i32_f64_e32 v13, v[13:14]
	v_frexp_mant_f32_e32 v14, v7
	s_delay_alu instid0(VALU_DEP_1) | instskip(SKIP_1) | instid1(VALU_DEP_1)
	v_cmp_gt_f32_e32 vcc_lo, 0x3f2aaaab, v14
	v_add_f32_e32 v14, -1.0, v7
	v_sub_f32_e32 v18, v14, v7
	v_sub_f32_e32 v14, v3, v14
	s_delay_alu instid0(VALU_DEP_2) | instskip(NEXT) | instid1(VALU_DEP_1)
	v_add_f32_e32 v18, 1.0, v18
	v_add_f32_e32 v14, v14, v18
	s_wait_alu 0xfffd
	v_subrev_co_ci_u32_e64 v13, null, 0, v13, vcc_lo
	s_delay_alu instid0(VALU_DEP_1) | instskip(SKIP_1) | instid1(VALU_DEP_2)
	v_sub_nc_u32_e32 v17, 0, v13
	v_cvt_f32_i32_e32 v13, v13
	v_ldexp_f32 v7, v7, v17
	v_ldexp_f32 v14, v14, v17
	s_delay_alu instid0(VALU_DEP_2) | instskip(SKIP_1) | instid1(VALU_DEP_1)
	v_add_f32_e32 v19, 1.0, v7
	v_add_f32_e32 v17, -1.0, v7
	v_dual_add_f32 v18, -1.0, v19 :: v_dual_add_f32 v21, 1.0, v17
	s_delay_alu instid0(VALU_DEP_1) | instskip(NEXT) | instid1(VALU_DEP_2)
	v_sub_f32_e32 v18, v7, v18
	v_sub_f32_e32 v7, v7, v21
	v_cmp_neq_f32_e32 vcc_lo, 0x7f800000, v3
	s_delay_alu instid0(VALU_DEP_3) | instskip(NEXT) | instid1(VALU_DEP_3)
	v_add_f32_e32 v18, v14, v18
	v_add_f32_e32 v7, v14, v7
	s_delay_alu instid0(VALU_DEP_1) | instskip(NEXT) | instid1(VALU_DEP_1)
	v_dual_add_f32 v21, v19, v18 :: v_dual_add_f32 v22, v17, v7
	v_sub_f32_e32 v19, v19, v21
	s_delay_alu instid0(VALU_DEP_1) | instskip(SKIP_1) | instid1(TRANS32_DEP_1)
	v_dual_sub_f32 v17, v17, v22 :: v_dual_add_f32 v18, v18, v19
	v_rcp_f32_e32 v14, v21
	v_mul_f32_e32 v23, v22, v14
	s_delay_alu instid0(VALU_DEP_1) | instskip(NEXT) | instid1(VALU_DEP_1)
	v_dual_add_f32 v7, v7, v17 :: v_dual_mul_f32 v24, v21, v23
	v_fma_f32 v19, v23, v21, -v24
	s_delay_alu instid0(VALU_DEP_1) | instskip(NEXT) | instid1(VALU_DEP_1)
	v_fmac_f32_e32 v19, v23, v18
	v_add_f32_e32 v25, v24, v19
	s_delay_alu instid0(VALU_DEP_1) | instskip(NEXT) | instid1(VALU_DEP_1)
	v_dual_sub_f32 v26, v22, v25 :: v_dual_sub_f32 v17, v25, v24
	v_sub_f32_e32 v22, v22, v26
	s_delay_alu instid0(VALU_DEP_1) | instskip(NEXT) | instid1(VALU_DEP_1)
	v_dual_sub_f32 v22, v22, v25 :: v_dual_sub_f32 v17, v17, v19
	v_add_f32_e32 v7, v7, v22
	s_delay_alu instid0(VALU_DEP_1) | instskip(NEXT) | instid1(VALU_DEP_1)
	v_add_f32_e32 v7, v17, v7
	v_add_f32_e32 v17, v26, v7
	s_delay_alu instid0(VALU_DEP_1) | instskip(NEXT) | instid1(VALU_DEP_1)
	v_mul_f32_e32 v19, v14, v17
	v_dual_sub_f32 v25, v26, v17 :: v_dual_mul_f32 v22, v21, v19
	s_delay_alu instid0(VALU_DEP_1) | instskip(NEXT) | instid1(VALU_DEP_2)
	v_add_f32_e32 v7, v7, v25
	v_fma_f32 v21, v19, v21, -v22
	s_delay_alu instid0(VALU_DEP_1) | instskip(NEXT) | instid1(VALU_DEP_1)
	v_fmac_f32_e32 v21, v19, v18
	v_add_f32_e32 v18, v22, v21
	s_delay_alu instid0(VALU_DEP_1) | instskip(NEXT) | instid1(VALU_DEP_1)
	v_sub_f32_e32 v24, v17, v18
	v_dual_sub_f32 v22, v18, v22 :: v_dual_sub_f32 v17, v17, v24
	s_delay_alu instid0(VALU_DEP_1) | instskip(NEXT) | instid1(VALU_DEP_1)
	v_dual_sub_f32 v17, v17, v18 :: v_dual_sub_f32 v18, v22, v21
	v_add_f32_e32 v7, v7, v17
	v_add_f32_e32 v17, v23, v19
	s_delay_alu instid0(VALU_DEP_2) | instskip(NEXT) | instid1(VALU_DEP_2)
	v_add_f32_e32 v7, v18, v7
	v_sub_f32_e32 v18, v17, v23
	s_delay_alu instid0(VALU_DEP_1) | instskip(NEXT) | instid1(VALU_DEP_1)
	v_dual_add_f32 v7, v24, v7 :: v_dual_sub_f32 v18, v19, v18
	v_mul_f32_e32 v7, v14, v7
	s_delay_alu instid0(VALU_DEP_1) | instskip(NEXT) | instid1(VALU_DEP_1)
	v_add_f32_e32 v7, v18, v7
	v_add_f32_e32 v14, v17, v7
	s_delay_alu instid0(VALU_DEP_1) | instskip(SKIP_1) | instid1(VALU_DEP_1)
	v_mul_f32_e32 v18, v14, v14
	s_wait_alu 0xfffe
	v_fmaak_f32 v19, s1, v18, 0x3ecc95a3
	v_mul_f32_e32 v21, v14, v18
	s_delay_alu instid0(VALU_DEP_2) | instskip(SKIP_2) | instid1(VALU_DEP_3)
	v_fmaak_f32 v18, v18, v19, 0x3f2aaada
	v_ldexp_f32 v19, v14, 1
	v_sub_f32_e32 v14, v14, v17
	v_dual_mul_f32 v18, v21, v18 :: v_dual_mul_f32 v21, 0x3f317218, v13
	s_delay_alu instid0(VALU_DEP_2) | instskip(NEXT) | instid1(VALU_DEP_2)
	v_sub_f32_e32 v7, v7, v14
	v_add_f32_e32 v17, v19, v18
	s_delay_alu instid0(VALU_DEP_2) | instskip(NEXT) | instid1(VALU_DEP_2)
	v_ldexp_f32 v7, v7, 1
	v_sub_f32_e32 v14, v17, v19
	v_fma_f32 v19, 0x3f317218, v13, -v21
	s_delay_alu instid0(VALU_DEP_1) | instskip(NEXT) | instid1(VALU_DEP_1)
	v_dual_sub_f32 v14, v18, v14 :: v_dual_fmamk_f32 v13, v13, 0xb102e308, v19
	v_dual_add_f32 v7, v7, v14 :: v_dual_add_f32 v14, v21, v13
	s_delay_alu instid0(VALU_DEP_1) | instskip(NEXT) | instid1(VALU_DEP_1)
	v_dual_add_f32 v18, v17, v7 :: v_dual_sub_f32 v21, v14, v21
	v_add_f32_e32 v19, v14, v18
	v_sub_f32_e32 v17, v18, v17
	s_delay_alu instid0(VALU_DEP_2) | instskip(NEXT) | instid1(VALU_DEP_2)
	v_dual_sub_f32 v13, v13, v21 :: v_dual_sub_f32 v22, v19, v14
	v_sub_f32_e32 v7, v7, v17
	s_delay_alu instid0(VALU_DEP_2) | instskip(NEXT) | instid1(VALU_DEP_2)
	v_sub_f32_e32 v23, v19, v22
	v_dual_sub_f32 v17, v18, v22 :: v_dual_add_f32 v18, v13, v7
	s_delay_alu instid0(VALU_DEP_2) | instskip(NEXT) | instid1(VALU_DEP_1)
	v_sub_f32_e32 v14, v14, v23
	v_dual_add_f32 v14, v17, v14 :: v_dual_sub_f32 v17, v18, v13
	s_delay_alu instid0(VALU_DEP_1) | instskip(NEXT) | instid1(VALU_DEP_2)
	v_add_f32_e32 v14, v18, v14
	v_sub_f32_e32 v18, v18, v17
	v_sub_f32_e32 v7, v7, v17
	s_delay_alu instid0(VALU_DEP_3) | instskip(NEXT) | instid1(VALU_DEP_3)
	v_add_f32_e32 v21, v19, v14
	v_sub_f32_e32 v13, v13, v18
	s_delay_alu instid0(VALU_DEP_2) | instskip(NEXT) | instid1(VALU_DEP_2)
	v_sub_f32_e32 v17, v21, v19
	v_add_f32_e32 v7, v7, v13
	s_delay_alu instid0(VALU_DEP_2) | instskip(NEXT) | instid1(VALU_DEP_1)
	v_sub_f32_e32 v13, v14, v17
	v_add_f32_e32 v7, v7, v13
	s_delay_alu instid0(VALU_DEP_1) | instskip(SKIP_1) | instid1(VALU_DEP_1)
	v_add_f32_e32 v7, v21, v7
	s_wait_alu 0xfffd
	v_cndmask_b32_e32 v7, 0x7f800000, v7, vcc_lo
	v_cmp_gt_f32_e64 vcc_lo, 0x33800000, |v3|
	s_wait_alu 0xfffd
	s_delay_alu instid0(VALU_DEP_2) | instskip(NEXT) | instid1(VALU_DEP_1)
	v_cndmask_b32_e32 v3, v7, v3, vcc_lo
	v_add_f32_e32 v2, v2, v3
	s_delay_alu instid0(VALU_DEP_1) | instskip(NEXT) | instid1(VALU_DEP_1)
	v_cvt_f16_f32_e32 v14, v2
	v_cvt_f32_f16_e32 v7, v14
	v_mov_b32_e32 v21, v14
.LBB356_290:
	s_wait_alu 0xfffe
	s_or_b32 exec_lo, exec_lo, s0
	s_delay_alu instid0(VALU_DEP_2) | instskip(SKIP_1) | instid1(VALU_DEP_2)
	v_dual_max_num_f32 v2, v10, v10 :: v_dual_max_num_f32 v3, v7, v7
	v_cmp_u_f16_e32 vcc_lo, v14, v14
	v_min_num_f32_e32 v13, v3, v2
	v_max_num_f32_e32 v2, v3, v2
	s_wait_alu 0xfffd
	s_delay_alu instid0(VALU_DEP_1) | instskip(NEXT) | instid1(VALU_DEP_3)
	v_cndmask_b32_e32 v2, v2, v7, vcc_lo
	v_cndmask_b32_e32 v3, v13, v7, vcc_lo
	s_delay_alu instid0(VALU_DEP_2) | instskip(NEXT) | instid1(VALU_DEP_2)
	v_cndmask_b32_e64 v2, v2, v10, s4
	v_cndmask_b32_e64 v3, v3, v10, s4
	v_mov_b32_e32 v10, v21
	s_delay_alu instid0(VALU_DEP_2)
	v_cmp_neq_f32_e32 vcc_lo, v3, v2
	v_cmp_class_f32_e64 s0, v3, 0x1f8
	s_or_b32 s1, vcc_lo, s0
	s_wait_alu 0xfffe
	s_and_saveexec_b32 s0, s1
	s_cbranch_execz .LBB356_292
; %bb.291:
	v_sub_f32_e32 v3, v3, v2
	s_mov_b32 s1, 0x3e9b6dac
	s_delay_alu instid0(VALU_DEP_1) | instskip(SKIP_1) | instid1(VALU_DEP_2)
	v_mul_f32_e32 v7, 0x3fb8aa3b, v3
	v_cmp_ngt_f32_e32 vcc_lo, 0xc2ce8ed0, v3
	v_fma_f32 v10, 0x3fb8aa3b, v3, -v7
	v_rndne_f32_e32 v13, v7
	s_delay_alu instid0(VALU_DEP_2) | instskip(NEXT) | instid1(VALU_DEP_2)
	v_fmamk_f32 v10, v3, 0x32a5705f, v10
	v_sub_f32_e32 v7, v7, v13
	s_delay_alu instid0(VALU_DEP_1) | instskip(SKIP_1) | instid1(VALU_DEP_2)
	v_add_f32_e32 v7, v7, v10
	v_cvt_i32_f32_e32 v10, v13
	v_exp_f32_e32 v7, v7
	s_delay_alu instid0(TRANS32_DEP_1) | instskip(SKIP_1) | instid1(VALU_DEP_1)
	v_ldexp_f32 v7, v7, v10
	s_wait_alu 0xfffd
	v_cndmask_b32_e32 v7, 0, v7, vcc_lo
	v_cmp_nlt_f32_e32 vcc_lo, 0x42b17218, v3
	s_wait_alu 0xfffd
	s_delay_alu instid0(VALU_DEP_2) | instskip(NEXT) | instid1(VALU_DEP_1)
	v_cndmask_b32_e32 v3, 0x7f800000, v7, vcc_lo
	v_add_f32_e32 v7, 1.0, v3
	s_delay_alu instid0(VALU_DEP_1) | instskip(NEXT) | instid1(VALU_DEP_1)
	v_cvt_f64_f32_e32 v[13:14], v7
	v_frexp_exp_i32_f64_e32 v10, v[13:14]
	v_frexp_mant_f32_e32 v13, v7
	s_delay_alu instid0(VALU_DEP_1) | instskip(SKIP_1) | instid1(VALU_DEP_1)
	v_cmp_gt_f32_e32 vcc_lo, 0x3f2aaaab, v13
	v_add_f32_e32 v13, -1.0, v7
	v_sub_f32_e32 v17, v13, v7
	s_delay_alu instid0(VALU_DEP_1) | instskip(SKIP_2) | instid1(VALU_DEP_1)
	v_add_f32_e32 v17, 1.0, v17
	s_wait_alu 0xfffd
	v_subrev_co_ci_u32_e64 v10, null, 0, v10, vcc_lo
	v_sub_nc_u32_e32 v14, 0, v10
	v_cvt_f32_i32_e32 v10, v10
	s_delay_alu instid0(VALU_DEP_2) | instskip(NEXT) | instid1(VALU_DEP_1)
	v_ldexp_f32 v7, v7, v14
	v_dual_sub_f32 v13, v3, v13 :: v_dual_add_f32 v18, 1.0, v7
	s_delay_alu instid0(VALU_DEP_1) | instskip(NEXT) | instid1(VALU_DEP_2)
	v_add_f32_e32 v13, v13, v17
	v_add_f32_e32 v17, -1.0, v18
	s_delay_alu instid0(VALU_DEP_2) | instskip(NEXT) | instid1(VALU_DEP_2)
	v_ldexp_f32 v13, v13, v14
	v_dual_add_f32 v14, -1.0, v7 :: v_dual_sub_f32 v17, v7, v17
	s_delay_alu instid0(VALU_DEP_1) | instskip(NEXT) | instid1(VALU_DEP_2)
	v_add_f32_e32 v19, 1.0, v14
	v_add_f32_e32 v17, v13, v17
	s_delay_alu instid0(VALU_DEP_2) | instskip(NEXT) | instid1(VALU_DEP_2)
	v_sub_f32_e32 v7, v7, v19
	v_add_f32_e32 v19, v18, v17
	s_delay_alu instid0(VALU_DEP_2) | instskip(NEXT) | instid1(VALU_DEP_2)
	v_add_f32_e32 v7, v13, v7
	v_rcp_f32_e32 v13, v19
	v_sub_f32_e32 v18, v18, v19
	s_delay_alu instid0(VALU_DEP_1) | instskip(NEXT) | instid1(VALU_DEP_1)
	v_dual_add_f32 v22, v14, v7 :: v_dual_add_f32 v17, v17, v18
	v_sub_f32_e32 v14, v14, v22
	v_cmp_neq_f32_e32 vcc_lo, 0x7f800000, v3
	s_delay_alu instid0(TRANS32_DEP_1) | instskip(NEXT) | instid1(VALU_DEP_3)
	v_mul_f32_e32 v23, v22, v13
	v_add_f32_e32 v7, v7, v14
	s_delay_alu instid0(VALU_DEP_2) | instskip(NEXT) | instid1(VALU_DEP_1)
	v_mul_f32_e32 v24, v19, v23
	v_fma_f32 v18, v23, v19, -v24
	s_delay_alu instid0(VALU_DEP_1) | instskip(NEXT) | instid1(VALU_DEP_1)
	v_fmac_f32_e32 v18, v23, v17
	v_add_f32_e32 v25, v24, v18
	s_delay_alu instid0(VALU_DEP_1) | instskip(SKIP_1) | instid1(VALU_DEP_2)
	v_sub_f32_e32 v26, v22, v25
	v_sub_f32_e32 v14, v25, v24
	;; [unrolled: 1-line block ×3, first 2 shown]
	s_delay_alu instid0(VALU_DEP_2) | instskip(NEXT) | instid1(VALU_DEP_2)
	v_sub_f32_e32 v14, v14, v18
	v_sub_f32_e32 v22, v22, v25
	s_delay_alu instid0(VALU_DEP_1) | instskip(NEXT) | instid1(VALU_DEP_1)
	v_add_f32_e32 v7, v7, v22
	v_add_f32_e32 v7, v14, v7
	s_delay_alu instid0(VALU_DEP_1) | instskip(NEXT) | instid1(VALU_DEP_1)
	v_add_f32_e32 v14, v26, v7
	v_mul_f32_e32 v18, v13, v14
	v_sub_f32_e32 v25, v26, v14
	s_delay_alu instid0(VALU_DEP_2) | instskip(NEXT) | instid1(VALU_DEP_2)
	v_mul_f32_e32 v22, v19, v18
	v_add_f32_e32 v7, v7, v25
	s_delay_alu instid0(VALU_DEP_2) | instskip(NEXT) | instid1(VALU_DEP_1)
	v_fma_f32 v19, v18, v19, -v22
	v_fmac_f32_e32 v19, v18, v17
	s_delay_alu instid0(VALU_DEP_1) | instskip(NEXT) | instid1(VALU_DEP_1)
	v_add_f32_e32 v17, v22, v19
	v_sub_f32_e32 v24, v14, v17
	v_sub_f32_e32 v22, v17, v22
	s_delay_alu instid0(VALU_DEP_2) | instskip(NEXT) | instid1(VALU_DEP_1)
	v_sub_f32_e32 v14, v14, v24
	v_sub_f32_e32 v14, v14, v17
	s_delay_alu instid0(VALU_DEP_3) | instskip(NEXT) | instid1(VALU_DEP_2)
	v_sub_f32_e32 v17, v22, v19
	v_add_f32_e32 v7, v7, v14
	s_delay_alu instid0(VALU_DEP_1) | instskip(NEXT) | instid1(VALU_DEP_1)
	v_dual_add_f32 v14, v23, v18 :: v_dual_add_f32 v7, v17, v7
	v_sub_f32_e32 v17, v14, v23
	s_delay_alu instid0(VALU_DEP_2) | instskip(NEXT) | instid1(VALU_DEP_2)
	v_add_f32_e32 v7, v24, v7
	v_sub_f32_e32 v17, v18, v17
	s_delay_alu instid0(VALU_DEP_2) | instskip(NEXT) | instid1(VALU_DEP_1)
	v_mul_f32_e32 v7, v13, v7
	v_add_f32_e32 v7, v17, v7
	s_delay_alu instid0(VALU_DEP_1) | instskip(NEXT) | instid1(VALU_DEP_1)
	v_add_f32_e32 v13, v14, v7
	v_mul_f32_e32 v17, v13, v13
	s_wait_alu 0xfffe
	s_delay_alu instid0(VALU_DEP_1) | instskip(SKIP_1) | instid1(VALU_DEP_2)
	v_fmaak_f32 v18, s1, v17, 0x3ecc95a3
	v_mul_f32_e32 v19, v13, v17
	v_fmaak_f32 v17, v17, v18, 0x3f2aaada
	v_ldexp_f32 v18, v13, 1
	v_sub_f32_e32 v13, v13, v14
	s_delay_alu instid0(VALU_DEP_3) | instskip(SKIP_1) | instid1(VALU_DEP_3)
	v_mul_f32_e32 v17, v19, v17
	v_mul_f32_e32 v19, 0x3f317218, v10
	v_sub_f32_e32 v7, v7, v13
	s_delay_alu instid0(VALU_DEP_3) | instskip(NEXT) | instid1(VALU_DEP_2)
	v_add_f32_e32 v14, v18, v17
	v_ldexp_f32 v7, v7, 1
	s_delay_alu instid0(VALU_DEP_2) | instskip(SKIP_1) | instid1(VALU_DEP_1)
	v_sub_f32_e32 v13, v14, v18
	v_fma_f32 v18, 0x3f317218, v10, -v19
	v_dual_sub_f32 v13, v17, v13 :: v_dual_fmamk_f32 v10, v10, 0xb102e308, v18
	s_delay_alu instid0(VALU_DEP_1) | instskip(NEXT) | instid1(VALU_DEP_2)
	v_add_f32_e32 v7, v7, v13
	v_add_f32_e32 v13, v19, v10
	s_delay_alu instid0(VALU_DEP_2) | instskip(NEXT) | instid1(VALU_DEP_2)
	v_add_f32_e32 v17, v14, v7
	v_sub_f32_e32 v19, v13, v19
	s_delay_alu instid0(VALU_DEP_2) | instskip(SKIP_1) | instid1(VALU_DEP_3)
	v_add_f32_e32 v18, v13, v17
	v_sub_f32_e32 v14, v17, v14
	v_sub_f32_e32 v10, v10, v19
	s_delay_alu instid0(VALU_DEP_2) | instskip(NEXT) | instid1(VALU_DEP_1)
	v_dual_sub_f32 v22, v18, v13 :: v_dual_sub_f32 v7, v7, v14
	v_sub_f32_e32 v23, v18, v22
	s_delay_alu instid0(VALU_DEP_2) | instskip(NEXT) | instid1(VALU_DEP_2)
	v_dual_sub_f32 v14, v17, v22 :: v_dual_add_f32 v17, v10, v7
	v_sub_f32_e32 v13, v13, v23
	s_delay_alu instid0(VALU_DEP_1) | instskip(NEXT) | instid1(VALU_DEP_1)
	v_dual_add_f32 v13, v14, v13 :: v_dual_sub_f32 v14, v17, v10
	v_add_f32_e32 v13, v17, v13
	s_delay_alu instid0(VALU_DEP_2) | instskip(SKIP_1) | instid1(VALU_DEP_3)
	v_sub_f32_e32 v17, v17, v14
	v_sub_f32_e32 v7, v7, v14
	v_add_f32_e32 v19, v18, v13
	s_delay_alu instid0(VALU_DEP_3) | instskip(NEXT) | instid1(VALU_DEP_2)
	v_sub_f32_e32 v10, v10, v17
	v_sub_f32_e32 v14, v19, v18
	s_delay_alu instid0(VALU_DEP_2) | instskip(NEXT) | instid1(VALU_DEP_2)
	v_add_f32_e32 v7, v7, v10
	v_sub_f32_e32 v10, v13, v14
	s_delay_alu instid0(VALU_DEP_1) | instskip(NEXT) | instid1(VALU_DEP_1)
	v_add_f32_e32 v7, v7, v10
	v_add_f32_e32 v7, v19, v7
	s_wait_alu 0xfffd
	s_delay_alu instid0(VALU_DEP_1) | instskip(SKIP_2) | instid1(VALU_DEP_2)
	v_cndmask_b32_e32 v7, 0x7f800000, v7, vcc_lo
	v_cmp_gt_f32_e64 vcc_lo, 0x33800000, |v3|
	s_wait_alu 0xfffd
	v_cndmask_b32_e32 v3, v7, v3, vcc_lo
	s_delay_alu instid0(VALU_DEP_1) | instskip(NEXT) | instid1(VALU_DEP_1)
	v_add_f32_e32 v2, v2, v3
	v_cvt_f16_f32_e32 v14, v2
	s_delay_alu instid0(VALU_DEP_1)
	v_cvt_f32_f16_e32 v7, v14
	v_mov_b32_e32 v10, v14
.LBB356_292:
	s_wait_alu 0xfffe
	s_or_b32 exec_lo, exec_lo, s0
	s_delay_alu instid0(VALU_DEP_2) | instskip(SKIP_1) | instid1(VALU_DEP_2)
	v_dual_max_num_f32 v2, v4, v4 :: v_dual_max_num_f32 v3, v7, v7
	v_cmp_u_f16_e32 vcc_lo, v14, v14
	v_dual_mov_b32 v22, v10 :: v_dual_min_num_f32 v13, v3, v2
	v_max_num_f32_e32 v2, v3, v2
	s_wait_alu 0xfffd
	s_delay_alu instid0(VALU_DEP_1) | instskip(NEXT) | instid1(VALU_DEP_3)
	v_cndmask_b32_e32 v2, v2, v7, vcc_lo
	v_cndmask_b32_e32 v3, v13, v7, vcc_lo
	s_delay_alu instid0(VALU_DEP_2) | instskip(NEXT) | instid1(VALU_DEP_2)
	v_cndmask_b32_e64 v2, v2, v4, s5
	v_cndmask_b32_e64 v3, v3, v4, s5
	s_delay_alu instid0(VALU_DEP_1)
	v_cmp_neq_f32_e32 vcc_lo, v3, v2
	v_cmp_class_f32_e64 s0, v3, 0x1f8
	s_or_b32 s1, vcc_lo, s0
	s_wait_alu 0xfffe
	s_and_saveexec_b32 s0, s1
	s_cbranch_execz .LBB356_294
; %bb.293:
	v_sub_f32_e32 v3, v3, v2
	s_mov_b32 s1, 0x3e9b6dac
	s_delay_alu instid0(VALU_DEP_1) | instskip(NEXT) | instid1(VALU_DEP_1)
	v_mul_f32_e32 v4, 0x3fb8aa3b, v3
	v_fma_f32 v7, 0x3fb8aa3b, v3, -v4
	v_rndne_f32_e32 v13, v4
	s_delay_alu instid0(VALU_DEP_1) | instskip(SKIP_1) | instid1(VALU_DEP_4)
	v_sub_f32_e32 v4, v4, v13
	v_cmp_ngt_f32_e32 vcc_lo, 0xc2ce8ed0, v3
	v_fmamk_f32 v7, v3, 0x32a5705f, v7
	s_delay_alu instid0(VALU_DEP_1) | instskip(SKIP_1) | instid1(VALU_DEP_2)
	v_add_f32_e32 v4, v4, v7
	v_cvt_i32_f32_e32 v7, v13
	v_exp_f32_e32 v4, v4
	s_delay_alu instid0(TRANS32_DEP_1) | instskip(SKIP_1) | instid1(VALU_DEP_1)
	v_ldexp_f32 v4, v4, v7
	s_wait_alu 0xfffd
	v_cndmask_b32_e32 v4, 0, v4, vcc_lo
	v_cmp_nlt_f32_e32 vcc_lo, 0x42b17218, v3
	s_wait_alu 0xfffd
	s_delay_alu instid0(VALU_DEP_2) | instskip(NEXT) | instid1(VALU_DEP_1)
	v_cndmask_b32_e32 v7, 0x7f800000, v4, vcc_lo
	v_add_f32_e32 v13, 1.0, v7
	s_delay_alu instid0(VALU_DEP_1) | instskip(NEXT) | instid1(VALU_DEP_1)
	v_cvt_f64_f32_e32 v[3:4], v13
	v_frexp_exp_i32_f64_e32 v3, v[3:4]
	v_frexp_mant_f32_e32 v4, v13
	s_delay_alu instid0(VALU_DEP_1) | instskip(SKIP_1) | instid1(VALU_DEP_1)
	v_cmp_gt_f32_e32 vcc_lo, 0x3f2aaaab, v4
	v_add_f32_e32 v4, -1.0, v13
	v_dual_sub_f32 v17, v4, v13 :: v_dual_sub_f32 v4, v7, v4
	s_delay_alu instid0(VALU_DEP_1) | instskip(SKIP_3) | instid1(VALU_DEP_2)
	v_add_f32_e32 v17, 1.0, v17
	s_wait_alu 0xfffd
	v_subrev_co_ci_u32_e64 v3, null, 0, v3, vcc_lo
	v_cmp_neq_f32_e32 vcc_lo, 0x7f800000, v7
	v_sub_nc_u32_e32 v14, 0, v3
	v_cvt_f32_i32_e32 v3, v3
	s_delay_alu instid0(VALU_DEP_2) | instskip(SKIP_1) | instid1(VALU_DEP_1)
	v_ldexp_f32 v13, v13, v14
	v_add_f32_e32 v4, v4, v17
	v_ldexp_f32 v4, v4, v14
	s_delay_alu instid0(VALU_DEP_3) | instskip(NEXT) | instid1(VALU_DEP_1)
	v_add_f32_e32 v14, -1.0, v13
	v_dual_add_f32 v18, 1.0, v13 :: v_dual_add_f32 v19, 1.0, v14
	s_delay_alu instid0(VALU_DEP_1) | instskip(NEXT) | instid1(VALU_DEP_1)
	v_add_f32_e32 v17, -1.0, v18
	v_sub_f32_e32 v17, v13, v17
	s_delay_alu instid0(VALU_DEP_3) | instskip(NEXT) | instid1(VALU_DEP_2)
	v_sub_f32_e32 v13, v13, v19
	v_add_f32_e32 v17, v4, v17
	s_delay_alu instid0(VALU_DEP_2) | instskip(NEXT) | instid1(VALU_DEP_2)
	v_add_f32_e32 v4, v4, v13
	v_add_f32_e32 v19, v18, v17
	s_delay_alu instid0(VALU_DEP_1) | instskip(NEXT) | instid1(VALU_DEP_1)
	v_sub_f32_e32 v18, v18, v19
	v_dual_add_f32 v17, v17, v18 :: v_dual_add_f32 v22, v14, v4
	s_delay_alu instid0(VALU_DEP_1) | instskip(NEXT) | instid1(VALU_DEP_1)
	v_sub_f32_e32 v14, v14, v22
	v_add_f32_e32 v4, v4, v14
	v_rcp_f32_e32 v13, v19
	s_delay_alu instid0(TRANS32_DEP_1) | instskip(NEXT) | instid1(VALU_DEP_1)
	v_mul_f32_e32 v23, v22, v13
	v_mul_f32_e32 v24, v19, v23
	s_delay_alu instid0(VALU_DEP_1) | instskip(NEXT) | instid1(VALU_DEP_1)
	v_fma_f32 v18, v23, v19, -v24
	v_fmac_f32_e32 v18, v23, v17
	s_delay_alu instid0(VALU_DEP_1) | instskip(NEXT) | instid1(VALU_DEP_1)
	v_add_f32_e32 v25, v24, v18
	v_sub_f32_e32 v26, v22, v25
	v_sub_f32_e32 v14, v25, v24
	s_delay_alu instid0(VALU_DEP_2) | instskip(NEXT) | instid1(VALU_DEP_2)
	v_sub_f32_e32 v22, v22, v26
	v_sub_f32_e32 v14, v14, v18
	s_delay_alu instid0(VALU_DEP_2) | instskip(NEXT) | instid1(VALU_DEP_1)
	v_sub_f32_e32 v22, v22, v25
	v_add_f32_e32 v4, v4, v22
	s_delay_alu instid0(VALU_DEP_1) | instskip(NEXT) | instid1(VALU_DEP_1)
	v_add_f32_e32 v4, v14, v4
	v_add_f32_e32 v14, v26, v4
	s_delay_alu instid0(VALU_DEP_1) | instskip(SKIP_1) | instid1(VALU_DEP_2)
	v_mul_f32_e32 v18, v13, v14
	v_sub_f32_e32 v25, v26, v14
	v_mul_f32_e32 v22, v19, v18
	s_delay_alu instid0(VALU_DEP_2) | instskip(NEXT) | instid1(VALU_DEP_2)
	v_add_f32_e32 v4, v4, v25
	v_fma_f32 v19, v18, v19, -v22
	s_delay_alu instid0(VALU_DEP_1) | instskip(NEXT) | instid1(VALU_DEP_1)
	v_fmac_f32_e32 v19, v18, v17
	v_add_f32_e32 v17, v22, v19
	s_delay_alu instid0(VALU_DEP_1) | instskip(SKIP_1) | instid1(VALU_DEP_2)
	v_sub_f32_e32 v24, v14, v17
	v_sub_f32_e32 v22, v17, v22
	;; [unrolled: 1-line block ×3, first 2 shown]
	s_delay_alu instid0(VALU_DEP_1) | instskip(NEXT) | instid1(VALU_DEP_1)
	v_sub_f32_e32 v14, v14, v17
	v_dual_sub_f32 v17, v22, v19 :: v_dual_add_f32 v4, v4, v14
	v_add_f32_e32 v14, v23, v18
	s_delay_alu instid0(VALU_DEP_1) | instskip(NEXT) | instid1(VALU_DEP_1)
	v_dual_add_f32 v4, v17, v4 :: v_dual_sub_f32 v17, v14, v23
	v_dual_add_f32 v4, v24, v4 :: v_dual_sub_f32 v17, v18, v17
	s_delay_alu instid0(VALU_DEP_1) | instskip(NEXT) | instid1(VALU_DEP_1)
	v_mul_f32_e32 v4, v13, v4
	v_add_f32_e32 v4, v17, v4
	s_delay_alu instid0(VALU_DEP_1) | instskip(NEXT) | instid1(VALU_DEP_1)
	v_add_f32_e32 v13, v14, v4
	v_mul_f32_e32 v17, v13, v13
	s_wait_alu 0xfffe
	s_delay_alu instid0(VALU_DEP_1) | instskip(SKIP_1) | instid1(VALU_DEP_2)
	v_fmaak_f32 v18, s1, v17, 0x3ecc95a3
	v_mul_f32_e32 v19, v13, v17
	v_fmaak_f32 v17, v17, v18, 0x3f2aaada
	v_ldexp_f32 v18, v13, 1
	v_sub_f32_e32 v13, v13, v14
	s_delay_alu instid0(VALU_DEP_3) | instskip(NEXT) | instid1(VALU_DEP_2)
	v_mul_f32_e32 v17, v19, v17
	v_dual_mul_f32 v19, 0x3f317218, v3 :: v_dual_sub_f32 v4, v4, v13
	s_delay_alu instid0(VALU_DEP_2) | instskip(NEXT) | instid1(VALU_DEP_2)
	v_add_f32_e32 v14, v18, v17
	v_ldexp_f32 v4, v4, 1
	s_delay_alu instid0(VALU_DEP_2) | instskip(NEXT) | instid1(VALU_DEP_4)
	v_sub_f32_e32 v13, v14, v18
	v_fma_f32 v18, 0x3f317218, v3, -v19
	s_delay_alu instid0(VALU_DEP_2) | instskip(NEXT) | instid1(VALU_DEP_1)
	v_sub_f32_e32 v13, v17, v13
	v_dual_fmamk_f32 v3, v3, 0xb102e308, v18 :: v_dual_add_f32 v4, v4, v13
	s_delay_alu instid0(VALU_DEP_1) | instskip(NEXT) | instid1(VALU_DEP_2)
	v_add_f32_e32 v13, v19, v3
	v_add_f32_e32 v17, v14, v4
	s_delay_alu instid0(VALU_DEP_2) | instskip(NEXT) | instid1(VALU_DEP_1)
	v_sub_f32_e32 v19, v13, v19
	v_dual_sub_f32 v3, v3, v19 :: v_dual_sub_f32 v14, v17, v14
	s_delay_alu instid0(VALU_DEP_1) | instskip(SKIP_1) | instid1(VALU_DEP_1)
	v_sub_f32_e32 v4, v4, v14
	v_add_f32_e32 v18, v13, v17
	v_sub_f32_e32 v22, v18, v13
	s_delay_alu instid0(VALU_DEP_1) | instskip(NEXT) | instid1(VALU_DEP_4)
	v_sub_f32_e32 v23, v18, v22
	v_dual_sub_f32 v14, v17, v22 :: v_dual_add_f32 v17, v3, v4
	s_delay_alu instid0(VALU_DEP_2) | instskip(NEXT) | instid1(VALU_DEP_1)
	v_sub_f32_e32 v13, v13, v23
	v_dual_add_f32 v13, v14, v13 :: v_dual_sub_f32 v14, v17, v3
	s_delay_alu instid0(VALU_DEP_1) | instskip(SKIP_1) | instid1(VALU_DEP_1)
	v_dual_add_f32 v13, v17, v13 :: v_dual_sub_f32 v4, v4, v14
	v_sub_f32_e32 v17, v17, v14
	v_sub_f32_e32 v3, v3, v17
	s_delay_alu instid0(VALU_DEP_1) | instskip(NEXT) | instid1(VALU_DEP_4)
	v_add_f32_e32 v3, v4, v3
	v_add_f32_e32 v19, v18, v13
	s_delay_alu instid0(VALU_DEP_1) | instskip(NEXT) | instid1(VALU_DEP_1)
	v_sub_f32_e32 v14, v19, v18
	v_sub_f32_e32 v4, v13, v14
	s_delay_alu instid0(VALU_DEP_1) | instskip(NEXT) | instid1(VALU_DEP_1)
	v_add_f32_e32 v3, v3, v4
	v_add_f32_e32 v3, v19, v3
	s_wait_alu 0xfffd
	s_delay_alu instid0(VALU_DEP_1) | instskip(SKIP_2) | instid1(VALU_DEP_2)
	v_cndmask_b32_e32 v3, 0x7f800000, v3, vcc_lo
	v_cmp_gt_f32_e64 vcc_lo, 0x33800000, |v7|
	s_wait_alu 0xfffd
	v_cndmask_b32_e32 v3, v3, v7, vcc_lo
	s_delay_alu instid0(VALU_DEP_1) | instskip(NEXT) | instid1(VALU_DEP_1)
	v_add_f32_e32 v2, v2, v3
	v_cvt_f16_f32_e32 v14, v2
	s_delay_alu instid0(VALU_DEP_1)
	v_cvt_f32_f16_e32 v7, v14
	v_mov_b32_e32 v22, v14
.LBB356_294:
	s_wait_alu 0xfffe
	s_or_b32 exec_lo, exec_lo, s0
	s_delay_alu instid0(VALU_DEP_2) | instskip(SKIP_1) | instid1(VALU_DEP_2)
	v_dual_max_num_f32 v2, v16, v16 :: v_dual_max_num_f32 v3, v7, v7
	v_cmp_u_f16_e32 vcc_lo, v14, v14
	v_dual_mov_b32 v23, v22 :: v_dual_min_num_f32 v4, v3, v2
	s_wait_alu 0xfffd
	s_delay_alu instid0(VALU_DEP_1) | instskip(NEXT) | instid1(VALU_DEP_1)
	v_dual_max_num_f32 v2, v3, v2 :: v_dual_cndmask_b32 v3, v4, v7
	v_cndmask_b32_e32 v2, v2, v7, vcc_lo
	s_delay_alu instid0(VALU_DEP_2) | instskip(NEXT) | instid1(VALU_DEP_2)
	v_cndmask_b32_e64 v3, v3, v16, s6
	v_cndmask_b32_e64 v2, v2, v16, s6
	s_delay_alu instid0(VALU_DEP_2) | instskip(NEXT) | instid1(VALU_DEP_2)
	v_cmp_class_f32_e64 s0, v3, 0x1f8
	v_cmp_neq_f32_e32 vcc_lo, v3, v2
	s_or_b32 s1, vcc_lo, s0
	s_wait_alu 0xfffe
	s_and_saveexec_b32 s0, s1
	s_cbranch_execz .LBB356_296
; %bb.295:
	v_sub_f32_e32 v3, v3, v2
	s_mov_b32 s1, 0x3e9b6dac
	s_delay_alu instid0(VALU_DEP_1) | instskip(NEXT) | instid1(VALU_DEP_1)
	v_mul_f32_e32 v4, 0x3fb8aa3b, v3
	v_fma_f32 v7, 0x3fb8aa3b, v3, -v4
	v_rndne_f32_e32 v13, v4
	s_delay_alu instid0(VALU_DEP_1) | instskip(SKIP_1) | instid1(VALU_DEP_4)
	v_sub_f32_e32 v4, v4, v13
	v_cmp_ngt_f32_e32 vcc_lo, 0xc2ce8ed0, v3
	v_fmamk_f32 v7, v3, 0x32a5705f, v7
	s_delay_alu instid0(VALU_DEP_1) | instskip(SKIP_1) | instid1(VALU_DEP_2)
	v_add_f32_e32 v4, v4, v7
	v_cvt_i32_f32_e32 v7, v13
	v_exp_f32_e32 v4, v4
	s_delay_alu instid0(TRANS32_DEP_1) | instskip(SKIP_1) | instid1(VALU_DEP_1)
	v_ldexp_f32 v4, v4, v7
	s_wait_alu 0xfffd
	v_cndmask_b32_e32 v4, 0, v4, vcc_lo
	v_cmp_nlt_f32_e32 vcc_lo, 0x42b17218, v3
	s_wait_alu 0xfffd
	s_delay_alu instid0(VALU_DEP_2) | instskip(NEXT) | instid1(VALU_DEP_1)
	v_cndmask_b32_e32 v7, 0x7f800000, v4, vcc_lo
	v_add_f32_e32 v13, 1.0, v7
	s_delay_alu instid0(VALU_DEP_1) | instskip(NEXT) | instid1(VALU_DEP_1)
	v_cvt_f64_f32_e32 v[3:4], v13
	v_frexp_exp_i32_f64_e32 v3, v[3:4]
	v_frexp_mant_f32_e32 v4, v13
	s_delay_alu instid0(VALU_DEP_1) | instskip(SKIP_1) | instid1(VALU_DEP_1)
	v_cmp_gt_f32_e32 vcc_lo, 0x3f2aaaab, v4
	v_add_f32_e32 v4, -1.0, v13
	v_sub_f32_e32 v16, v4, v13
	v_sub_f32_e32 v4, v7, v4
	s_delay_alu instid0(VALU_DEP_2) | instskip(SKIP_3) | instid1(VALU_DEP_2)
	v_add_f32_e32 v16, 1.0, v16
	s_wait_alu 0xfffd
	v_subrev_co_ci_u32_e64 v3, null, 0, v3, vcc_lo
	v_cmp_neq_f32_e32 vcc_lo, 0x7f800000, v7
	v_sub_nc_u32_e32 v14, 0, v3
	v_cvt_f32_i32_e32 v3, v3
	s_delay_alu instid0(VALU_DEP_2) | instskip(NEXT) | instid1(VALU_DEP_1)
	v_ldexp_f32 v13, v13, v14
	v_dual_add_f32 v17, 1.0, v13 :: v_dual_add_f32 v4, v4, v16
	s_delay_alu instid0(VALU_DEP_1) | instskip(NEXT) | instid1(VALU_DEP_2)
	v_add_f32_e32 v16, -1.0, v17
	v_ldexp_f32 v4, v4, v14
	v_add_f32_e32 v14, -1.0, v13
	s_delay_alu instid0(VALU_DEP_3) | instskip(NEXT) | instid1(VALU_DEP_2)
	v_sub_f32_e32 v16, v13, v16
	v_add_f32_e32 v18, 1.0, v14
	s_delay_alu instid0(VALU_DEP_1) | instskip(NEXT) | instid1(VALU_DEP_1)
	v_dual_add_f32 v16, v4, v16 :: v_dual_sub_f32 v13, v13, v18
	v_add_f32_e32 v18, v17, v16
	s_delay_alu instid0(VALU_DEP_2) | instskip(NEXT) | instid1(VALU_DEP_2)
	v_add_f32_e32 v4, v4, v13
	v_rcp_f32_e32 v13, v18
	v_sub_f32_e32 v17, v17, v18
	s_delay_alu instid0(VALU_DEP_1)
	v_dual_add_f32 v19, v14, v4 :: v_dual_add_f32 v16, v16, v17
	s_delay_alu instid0(TRANS32_DEP_1) | instid1(VALU_DEP_1)
	v_mul_f32_e32 v23, v19, v13
	s_delay_alu instid0(VALU_DEP_1) | instskip(NEXT) | instid1(VALU_DEP_1)
	v_mul_f32_e32 v24, v18, v23
	v_fma_f32 v17, v23, v18, -v24
	s_delay_alu instid0(VALU_DEP_1) | instskip(NEXT) | instid1(VALU_DEP_1)
	v_dual_fmac_f32 v17, v23, v16 :: v_dual_sub_f32 v14, v14, v19
	v_add_f32_e32 v25, v24, v17
	s_delay_alu instid0(VALU_DEP_2) | instskip(NEXT) | instid1(VALU_DEP_2)
	v_add_f32_e32 v4, v4, v14
	v_sub_f32_e32 v26, v19, v25
	s_delay_alu instid0(VALU_DEP_1) | instskip(NEXT) | instid1(VALU_DEP_1)
	v_dual_sub_f32 v14, v25, v24 :: v_dual_sub_f32 v19, v19, v26
	v_sub_f32_e32 v14, v14, v17
	s_delay_alu instid0(VALU_DEP_2) | instskip(NEXT) | instid1(VALU_DEP_1)
	v_sub_f32_e32 v19, v19, v25
	v_add_f32_e32 v4, v4, v19
	s_delay_alu instid0(VALU_DEP_1) | instskip(NEXT) | instid1(VALU_DEP_1)
	v_add_f32_e32 v4, v14, v4
	v_add_f32_e32 v14, v26, v4
	s_delay_alu instid0(VALU_DEP_1) | instskip(SKIP_1) | instid1(VALU_DEP_2)
	v_mul_f32_e32 v17, v13, v14
	v_sub_f32_e32 v25, v26, v14
	v_mul_f32_e32 v19, v18, v17
	s_delay_alu instid0(VALU_DEP_2) | instskip(NEXT) | instid1(VALU_DEP_2)
	v_add_f32_e32 v4, v4, v25
	v_fma_f32 v18, v17, v18, -v19
	s_delay_alu instid0(VALU_DEP_1) | instskip(NEXT) | instid1(VALU_DEP_1)
	v_fmac_f32_e32 v18, v17, v16
	v_add_f32_e32 v16, v19, v18
	s_delay_alu instid0(VALU_DEP_1) | instskip(NEXT) | instid1(VALU_DEP_1)
	v_dual_sub_f32 v24, v14, v16 :: v_dual_sub_f32 v19, v16, v19
	v_sub_f32_e32 v14, v14, v24
	s_delay_alu instid0(VALU_DEP_1) | instskip(NEXT) | instid1(VALU_DEP_3)
	v_sub_f32_e32 v14, v14, v16
	v_sub_f32_e32 v16, v19, v18
	s_delay_alu instid0(VALU_DEP_2) | instskip(SKIP_1) | instid1(VALU_DEP_2)
	v_add_f32_e32 v4, v4, v14
	v_add_f32_e32 v14, v23, v17
	;; [unrolled: 1-line block ×3, first 2 shown]
	s_delay_alu instid0(VALU_DEP_2) | instskip(NEXT) | instid1(VALU_DEP_2)
	v_sub_f32_e32 v16, v14, v23
	v_add_f32_e32 v4, v24, v4
	s_delay_alu instid0(VALU_DEP_2) | instskip(NEXT) | instid1(VALU_DEP_2)
	v_sub_f32_e32 v16, v17, v16
	v_mul_f32_e32 v4, v13, v4
	s_delay_alu instid0(VALU_DEP_1) | instskip(NEXT) | instid1(VALU_DEP_1)
	v_add_f32_e32 v4, v16, v4
	v_add_f32_e32 v13, v14, v4
	s_delay_alu instid0(VALU_DEP_1) | instskip(SKIP_1) | instid1(VALU_DEP_1)
	v_mul_f32_e32 v16, v13, v13
	s_wait_alu 0xfffe
	v_fmaak_f32 v17, s1, v16, 0x3ecc95a3
	v_mul_f32_e32 v18, v13, v16
	s_delay_alu instid0(VALU_DEP_2) | instskip(SKIP_1) | instid1(VALU_DEP_2)
	v_fmaak_f32 v16, v16, v17, 0x3f2aaada
	v_ldexp_f32 v17, v13, 1
	v_dual_sub_f32 v13, v13, v14 :: v_dual_mul_f32 v16, v18, v16
	v_mul_f32_e32 v18, 0x3f317218, v3
	s_delay_alu instid0(VALU_DEP_2) | instskip(NEXT) | instid1(VALU_DEP_3)
	v_sub_f32_e32 v4, v4, v13
	v_add_f32_e32 v14, v17, v16
	s_delay_alu instid0(VALU_DEP_2) | instskip(NEXT) | instid1(VALU_DEP_2)
	v_ldexp_f32 v4, v4, 1
	v_sub_f32_e32 v13, v14, v17
	v_fma_f32 v17, 0x3f317218, v3, -v18
	s_delay_alu instid0(VALU_DEP_2) | instskip(NEXT) | instid1(VALU_DEP_1)
	v_sub_f32_e32 v13, v16, v13
	v_dual_fmamk_f32 v3, v3, 0xb102e308, v17 :: v_dual_add_f32 v4, v4, v13
	s_delay_alu instid0(VALU_DEP_1) | instskip(NEXT) | instid1(VALU_DEP_2)
	v_add_f32_e32 v13, v18, v3
	v_add_f32_e32 v16, v14, v4
	s_delay_alu instid0(VALU_DEP_2) | instskip(NEXT) | instid1(VALU_DEP_2)
	v_sub_f32_e32 v18, v13, v18
	v_dual_add_f32 v17, v13, v16 :: v_dual_sub_f32 v14, v16, v14
	s_delay_alu instid0(VALU_DEP_2) | instskip(NEXT) | instid1(VALU_DEP_2)
	v_sub_f32_e32 v3, v3, v18
	v_dual_sub_f32 v19, v17, v13 :: v_dual_sub_f32 v4, v4, v14
	s_delay_alu instid0(VALU_DEP_1) | instskip(SKIP_1) | instid1(VALU_DEP_2)
	v_sub_f32_e32 v23, v17, v19
	v_sub_f32_e32 v14, v16, v19
	v_dual_add_f32 v16, v3, v4 :: v_dual_sub_f32 v13, v13, v23
	s_delay_alu instid0(VALU_DEP_1) | instskip(NEXT) | instid1(VALU_DEP_1)
	v_dual_add_f32 v13, v14, v13 :: v_dual_sub_f32 v14, v16, v3
	v_add_f32_e32 v13, v16, v13
	s_delay_alu instid0(VALU_DEP_2) | instskip(SKIP_1) | instid1(VALU_DEP_2)
	v_sub_f32_e32 v16, v16, v14
	v_sub_f32_e32 v4, v4, v14
	v_dual_add_f32 v18, v17, v13 :: v_dual_sub_f32 v3, v3, v16
	s_delay_alu instid0(VALU_DEP_1) | instskip(NEXT) | instid1(VALU_DEP_1)
	v_dual_sub_f32 v14, v18, v17 :: v_dual_add_f32 v3, v4, v3
	v_sub_f32_e32 v4, v13, v14
	s_delay_alu instid0(VALU_DEP_1) | instskip(NEXT) | instid1(VALU_DEP_1)
	v_add_f32_e32 v3, v3, v4
	v_add_f32_e32 v3, v18, v3
	s_wait_alu 0xfffd
	s_delay_alu instid0(VALU_DEP_1) | instskip(SKIP_2) | instid1(VALU_DEP_2)
	v_cndmask_b32_e32 v3, 0x7f800000, v3, vcc_lo
	v_cmp_gt_f32_e64 vcc_lo, 0x33800000, |v7|
	s_wait_alu 0xfffd
	v_cndmask_b32_e32 v3, v3, v7, vcc_lo
	s_delay_alu instid0(VALU_DEP_1) | instskip(NEXT) | instid1(VALU_DEP_1)
	v_add_f32_e32 v2, v2, v3
	v_cvt_f16_f32_e32 v14, v2
	s_delay_alu instid0(VALU_DEP_1)
	v_cvt_f32_f16_e32 v7, v14
	v_mov_b32_e32 v23, v14
.LBB356_296:
	s_wait_alu 0xfffe
	s_or_b32 exec_lo, exec_lo, s0
	s_delay_alu instid0(VALU_DEP_2) | instskip(SKIP_2) | instid1(VALU_DEP_3)
	v_dual_max_num_f32 v2, v5, v5 :: v_dual_max_num_f32 v3, v7, v7
	v_cmp_u_f16_e32 vcc_lo, v14, v14
	v_mov_b32_e32 v24, v23
	v_min_num_f32_e32 v4, v3, v2
	s_wait_alu 0xfffd
	s_delay_alu instid0(VALU_DEP_1) | instskip(NEXT) | instid1(VALU_DEP_1)
	v_dual_max_num_f32 v2, v3, v2 :: v_dual_cndmask_b32 v3, v4, v7
	v_cndmask_b32_e32 v2, v2, v7, vcc_lo
	s_delay_alu instid0(VALU_DEP_2) | instskip(NEXT) | instid1(VALU_DEP_2)
	v_cndmask_b32_e64 v3, v3, v5, s7
	v_cndmask_b32_e64 v2, v2, v5, s7
	s_delay_alu instid0(VALU_DEP_2) | instskip(NEXT) | instid1(VALU_DEP_2)
	v_cmp_class_f32_e64 s0, v3, 0x1f8
	v_cmp_neq_f32_e32 vcc_lo, v3, v2
	s_or_b32 s1, vcc_lo, s0
	s_wait_alu 0xfffe
	s_and_saveexec_b32 s0, s1
	s_cbranch_execz .LBB356_298
; %bb.297:
	v_sub_f32_e32 v3, v3, v2
	s_mov_b32 s1, 0x3e9b6dac
	s_delay_alu instid0(VALU_DEP_1) | instskip(NEXT) | instid1(VALU_DEP_1)
	v_mul_f32_e32 v4, 0x3fb8aa3b, v3
	v_fma_f32 v5, 0x3fb8aa3b, v3, -v4
	v_rndne_f32_e32 v7, v4
	s_delay_alu instid0(VALU_DEP_1) | instskip(SKIP_1) | instid1(VALU_DEP_4)
	v_sub_f32_e32 v4, v4, v7
	v_cmp_ngt_f32_e32 vcc_lo, 0xc2ce8ed0, v3
	v_fmamk_f32 v5, v3, 0x32a5705f, v5
	s_delay_alu instid0(VALU_DEP_1) | instskip(SKIP_1) | instid1(VALU_DEP_2)
	v_add_f32_e32 v4, v4, v5
	v_cvt_i32_f32_e32 v5, v7
	v_exp_f32_e32 v4, v4
	s_delay_alu instid0(TRANS32_DEP_1) | instskip(SKIP_1) | instid1(VALU_DEP_1)
	v_ldexp_f32 v4, v4, v5
	s_wait_alu 0xfffd
	v_cndmask_b32_e32 v4, 0, v4, vcc_lo
	v_cmp_nlt_f32_e32 vcc_lo, 0x42b17218, v3
	s_wait_alu 0xfffd
	s_delay_alu instid0(VALU_DEP_2) | instskip(NEXT) | instid1(VALU_DEP_1)
	v_cndmask_b32_e32 v5, 0x7f800000, v4, vcc_lo
	v_add_f32_e32 v7, 1.0, v5
	s_delay_alu instid0(VALU_DEP_1) | instskip(NEXT) | instid1(VALU_DEP_1)
	v_cvt_f64_f32_e32 v[3:4], v7
	v_frexp_exp_i32_f64_e32 v3, v[3:4]
	v_frexp_mant_f32_e32 v4, v7
	s_delay_alu instid0(VALU_DEP_1) | instskip(SKIP_1) | instid1(VALU_DEP_1)
	v_cmp_gt_f32_e32 vcc_lo, 0x3f2aaaab, v4
	v_add_f32_e32 v4, -1.0, v7
	v_sub_f32_e32 v14, v4, v7
	s_delay_alu instid0(VALU_DEP_1) | instskip(SKIP_3) | instid1(VALU_DEP_2)
	v_add_f32_e32 v14, 1.0, v14
	s_wait_alu 0xfffd
	v_subrev_co_ci_u32_e64 v3, null, 0, v3, vcc_lo
	v_cmp_neq_f32_e32 vcc_lo, 0x7f800000, v5
	v_sub_nc_u32_e32 v13, 0, v3
	v_cvt_f32_i32_e32 v3, v3
	s_delay_alu instid0(VALU_DEP_2) | instskip(SKIP_1) | instid1(VALU_DEP_1)
	v_ldexp_f32 v7, v7, v13
	v_sub_f32_e32 v4, v5, v4
	v_add_f32_e32 v4, v4, v14
	s_delay_alu instid0(VALU_DEP_1) | instskip(NEXT) | instid1(VALU_DEP_4)
	v_ldexp_f32 v4, v4, v13
	v_add_f32_e32 v13, -1.0, v7
	s_delay_alu instid0(VALU_DEP_1) | instskip(NEXT) | instid1(VALU_DEP_1)
	v_dual_add_f32 v16, 1.0, v7 :: v_dual_add_f32 v17, 1.0, v13
	v_add_f32_e32 v14, -1.0, v16
	s_delay_alu instid0(VALU_DEP_1) | instskip(NEXT) | instid1(VALU_DEP_1)
	v_sub_f32_e32 v14, v7, v14
	v_dual_sub_f32 v7, v7, v17 :: v_dual_add_f32 v14, v4, v14
	s_delay_alu instid0(VALU_DEP_1) | instskip(NEXT) | instid1(VALU_DEP_1)
	v_add_f32_e32 v4, v4, v7
	v_add_f32_e32 v18, v13, v4
	s_delay_alu instid0(VALU_DEP_1) | instskip(NEXT) | instid1(VALU_DEP_4)
	v_sub_f32_e32 v13, v13, v18
	v_add_f32_e32 v17, v16, v14
	s_delay_alu instid0(VALU_DEP_2) | instskip(NEXT) | instid1(VALU_DEP_2)
	v_add_f32_e32 v4, v4, v13
	v_sub_f32_e32 v16, v16, v17
	s_delay_alu instid0(VALU_DEP_1) | instskip(SKIP_1) | instid1(TRANS32_DEP_1)
	v_add_f32_e32 v14, v14, v16
	v_rcp_f32_e32 v7, v17
	v_mul_f32_e32 v19, v18, v7
	s_delay_alu instid0(VALU_DEP_1) | instskip(NEXT) | instid1(VALU_DEP_1)
	v_mul_f32_e32 v24, v17, v19
	v_fma_f32 v16, v19, v17, -v24
	s_delay_alu instid0(VALU_DEP_1) | instskip(NEXT) | instid1(VALU_DEP_1)
	v_fmac_f32_e32 v16, v19, v14
	v_add_f32_e32 v25, v24, v16
	s_delay_alu instid0(VALU_DEP_1) | instskip(NEXT) | instid1(VALU_DEP_1)
	v_dual_sub_f32 v26, v18, v25 :: v_dual_sub_f32 v13, v25, v24
	v_dual_sub_f32 v18, v18, v26 :: v_dual_sub_f32 v13, v13, v16
	s_delay_alu instid0(VALU_DEP_1) | instskip(NEXT) | instid1(VALU_DEP_1)
	v_sub_f32_e32 v18, v18, v25
	v_add_f32_e32 v4, v4, v18
	s_delay_alu instid0(VALU_DEP_1) | instskip(NEXT) | instid1(VALU_DEP_1)
	v_add_f32_e32 v4, v13, v4
	v_add_f32_e32 v13, v26, v4
	s_delay_alu instid0(VALU_DEP_1) | instskip(NEXT) | instid1(VALU_DEP_1)
	v_mul_f32_e32 v16, v7, v13
	v_dual_sub_f32 v25, v26, v13 :: v_dual_mul_f32 v18, v17, v16
	s_delay_alu instid0(VALU_DEP_1) | instskip(NEXT) | instid1(VALU_DEP_2)
	v_add_f32_e32 v4, v4, v25
	v_fma_f32 v17, v16, v17, -v18
	s_delay_alu instid0(VALU_DEP_1) | instskip(NEXT) | instid1(VALU_DEP_1)
	v_fmac_f32_e32 v17, v16, v14
	v_add_f32_e32 v14, v18, v17
	s_delay_alu instid0(VALU_DEP_1) | instskip(NEXT) | instid1(VALU_DEP_1)
	v_sub_f32_e32 v24, v13, v14
	v_dual_sub_f32 v18, v14, v18 :: v_dual_sub_f32 v13, v13, v24
	s_delay_alu instid0(VALU_DEP_1) | instskip(NEXT) | instid1(VALU_DEP_1)
	v_dual_sub_f32 v13, v13, v14 :: v_dual_sub_f32 v14, v18, v17
	v_dual_add_f32 v4, v4, v13 :: v_dual_add_f32 v13, v19, v16
	s_delay_alu instid0(VALU_DEP_1) | instskip(NEXT) | instid1(VALU_DEP_2)
	v_add_f32_e32 v4, v14, v4
	v_sub_f32_e32 v14, v13, v19
	s_delay_alu instid0(VALU_DEP_2) | instskip(NEXT) | instid1(VALU_DEP_2)
	v_add_f32_e32 v4, v24, v4
	v_sub_f32_e32 v14, v16, v14
	s_delay_alu instid0(VALU_DEP_2) | instskip(NEXT) | instid1(VALU_DEP_1)
	v_mul_f32_e32 v4, v7, v4
	v_add_f32_e32 v4, v14, v4
	s_delay_alu instid0(VALU_DEP_1) | instskip(NEXT) | instid1(VALU_DEP_1)
	v_add_f32_e32 v7, v13, v4
	v_mul_f32_e32 v14, v7, v7
	s_wait_alu 0xfffe
	s_delay_alu instid0(VALU_DEP_1) | instskip(NEXT) | instid1(VALU_DEP_1)
	v_fmaak_f32 v16, s1, v14, 0x3ecc95a3
	v_dual_mul_f32 v17, v7, v14 :: v_dual_fmaak_f32 v14, v14, v16, 0x3f2aaada
	v_ldexp_f32 v16, v7, 1
	s_delay_alu instid0(VALU_DEP_2) | instskip(SKIP_1) | instid1(VALU_DEP_2)
	v_dual_sub_f32 v7, v7, v13 :: v_dual_mul_f32 v14, v17, v14
	v_mul_f32_e32 v17, 0x3f317218, v3
	v_sub_f32_e32 v4, v4, v7
	s_delay_alu instid0(VALU_DEP_3) | instskip(NEXT) | instid1(VALU_DEP_2)
	v_add_f32_e32 v13, v16, v14
	v_ldexp_f32 v4, v4, 1
	s_delay_alu instid0(VALU_DEP_2) | instskip(SKIP_1) | instid1(VALU_DEP_2)
	v_sub_f32_e32 v7, v13, v16
	v_fma_f32 v16, 0x3f317218, v3, -v17
	v_sub_f32_e32 v7, v14, v7
	s_delay_alu instid0(VALU_DEP_1) | instskip(NEXT) | instid1(VALU_DEP_1)
	v_dual_fmamk_f32 v3, v3, 0xb102e308, v16 :: v_dual_add_f32 v4, v4, v7
	v_add_f32_e32 v7, v17, v3
	s_delay_alu instid0(VALU_DEP_1) | instskip(NEXT) | instid1(VALU_DEP_1)
	v_dual_add_f32 v14, v13, v4 :: v_dual_sub_f32 v17, v7, v17
	v_dual_add_f32 v16, v7, v14 :: v_dual_sub_f32 v13, v14, v13
	s_delay_alu instid0(VALU_DEP_1) | instskip(NEXT) | instid1(VALU_DEP_2)
	v_dual_sub_f32 v3, v3, v17 :: v_dual_sub_f32 v18, v16, v7
	v_sub_f32_e32 v4, v4, v13
	s_delay_alu instid0(VALU_DEP_2) | instskip(NEXT) | instid1(VALU_DEP_2)
	v_sub_f32_e32 v19, v16, v18
	v_dual_sub_f32 v13, v14, v18 :: v_dual_add_f32 v14, v3, v4
	s_delay_alu instid0(VALU_DEP_2) | instskip(NEXT) | instid1(VALU_DEP_1)
	v_sub_f32_e32 v7, v7, v19
	v_add_f32_e32 v7, v13, v7
	s_delay_alu instid0(VALU_DEP_3) | instskip(NEXT) | instid1(VALU_DEP_2)
	v_sub_f32_e32 v13, v14, v3
	v_add_f32_e32 v7, v14, v7
	s_delay_alu instid0(VALU_DEP_2) | instskip(SKIP_1) | instid1(VALU_DEP_3)
	v_sub_f32_e32 v14, v14, v13
	v_sub_f32_e32 v4, v4, v13
	v_add_f32_e32 v17, v16, v7
	s_delay_alu instid0(VALU_DEP_3) | instskip(NEXT) | instid1(VALU_DEP_2)
	v_sub_f32_e32 v3, v3, v14
	v_sub_f32_e32 v13, v17, v16
	s_delay_alu instid0(VALU_DEP_1) | instskip(NEXT) | instid1(VALU_DEP_1)
	v_dual_add_f32 v3, v4, v3 :: v_dual_sub_f32 v4, v7, v13
	v_add_f32_e32 v3, v3, v4
	s_delay_alu instid0(VALU_DEP_1) | instskip(SKIP_1) | instid1(VALU_DEP_1)
	v_add_f32_e32 v3, v17, v3
	s_wait_alu 0xfffd
	v_cndmask_b32_e32 v3, 0x7f800000, v3, vcc_lo
	v_cmp_gt_f32_e64 vcc_lo, 0x33800000, |v5|
	s_wait_alu 0xfffd
	s_delay_alu instid0(VALU_DEP_2) | instskip(NEXT) | instid1(VALU_DEP_1)
	v_cndmask_b32_e32 v3, v3, v5, vcc_lo
	v_add_f32_e32 v2, v2, v3
	s_delay_alu instid0(VALU_DEP_1) | instskip(NEXT) | instid1(VALU_DEP_1)
	v_cvt_f16_f32_e32 v14, v2
	v_cvt_f32_f16_e32 v7, v14
	v_mov_b32_e32 v24, v14
.LBB356_298:
	s_wait_alu 0xfffe
	s_or_b32 exec_lo, exec_lo, s0
	s_delay_alu instid0(VALU_DEP_1) | instskip(SKIP_2) | instid1(VALU_DEP_2)
	v_dual_max_num_f32 v2, v15, v15 :: v_dual_mov_b32 v25, v24
	v_max_num_f32_e32 v3, v7, v7
	v_cmp_u_f16_e32 vcc_lo, v14, v14
	v_min_num_f32_e32 v4, v3, v2
	s_wait_alu 0xfffd
	s_delay_alu instid0(VALU_DEP_1) | instskip(NEXT) | instid1(VALU_DEP_1)
	v_dual_max_num_f32 v2, v3, v2 :: v_dual_cndmask_b32 v3, v4, v7
	v_cndmask_b32_e32 v2, v2, v7, vcc_lo
	s_delay_alu instid0(VALU_DEP_2) | instskip(NEXT) | instid1(VALU_DEP_2)
	v_cndmask_b32_e64 v3, v3, v15, s8
	v_cndmask_b32_e64 v2, v2, v15, s8
	s_delay_alu instid0(VALU_DEP_2) | instskip(NEXT) | instid1(VALU_DEP_2)
	v_cmp_class_f32_e64 s0, v3, 0x1f8
	v_cmp_neq_f32_e32 vcc_lo, v3, v2
	s_or_b32 s1, vcc_lo, s0
	s_wait_alu 0xfffe
	s_and_saveexec_b32 s0, s1
	s_cbranch_execz .LBB356_300
; %bb.299:
	v_sub_f32_e32 v3, v3, v2
	s_mov_b32 s1, 0x3e9b6dac
	s_delay_alu instid0(VALU_DEP_1) | instskip(NEXT) | instid1(VALU_DEP_1)
	v_mul_f32_e32 v4, 0x3fb8aa3b, v3
	v_fma_f32 v5, 0x3fb8aa3b, v3, -v4
	v_rndne_f32_e32 v7, v4
	s_delay_alu instid0(VALU_DEP_1) | instskip(SKIP_1) | instid1(VALU_DEP_4)
	v_sub_f32_e32 v4, v4, v7
	v_cmp_ngt_f32_e32 vcc_lo, 0xc2ce8ed0, v3
	v_fmamk_f32 v5, v3, 0x32a5705f, v5
	s_delay_alu instid0(VALU_DEP_1) | instskip(SKIP_1) | instid1(VALU_DEP_2)
	v_add_f32_e32 v4, v4, v5
	v_cvt_i32_f32_e32 v5, v7
	v_exp_f32_e32 v4, v4
	s_delay_alu instid0(TRANS32_DEP_1) | instskip(SKIP_1) | instid1(VALU_DEP_1)
	v_ldexp_f32 v4, v4, v5
	s_wait_alu 0xfffd
	v_cndmask_b32_e32 v4, 0, v4, vcc_lo
	v_cmp_nlt_f32_e32 vcc_lo, 0x42b17218, v3
	s_wait_alu 0xfffd
	s_delay_alu instid0(VALU_DEP_2) | instskip(NEXT) | instid1(VALU_DEP_1)
	v_cndmask_b32_e32 v5, 0x7f800000, v4, vcc_lo
	v_add_f32_e32 v7, 1.0, v5
	s_delay_alu instid0(VALU_DEP_1) | instskip(NEXT) | instid1(VALU_DEP_1)
	v_cvt_f64_f32_e32 v[3:4], v7
	v_frexp_exp_i32_f64_e32 v3, v[3:4]
	v_frexp_mant_f32_e32 v4, v7
	s_delay_alu instid0(VALU_DEP_1) | instskip(SKIP_1) | instid1(VALU_DEP_1)
	v_cmp_gt_f32_e32 vcc_lo, 0x3f2aaaab, v4
	v_add_f32_e32 v4, -1.0, v7
	v_sub_f32_e32 v14, v4, v7
	s_delay_alu instid0(VALU_DEP_1) | instskip(SKIP_3) | instid1(VALU_DEP_2)
	v_add_f32_e32 v14, 1.0, v14
	s_wait_alu 0xfffd
	v_subrev_co_ci_u32_e64 v3, null, 0, v3, vcc_lo
	v_cmp_neq_f32_e32 vcc_lo, 0x7f800000, v5
	v_sub_nc_u32_e32 v13, 0, v3
	v_cvt_f32_i32_e32 v3, v3
	s_delay_alu instid0(VALU_DEP_2) | instskip(NEXT) | instid1(VALU_DEP_1)
	v_ldexp_f32 v7, v7, v13
	v_dual_sub_f32 v4, v5, v4 :: v_dual_add_f32 v15, 1.0, v7
	s_delay_alu instid0(VALU_DEP_1) | instskip(NEXT) | instid1(VALU_DEP_2)
	v_add_f32_e32 v4, v4, v14
	v_add_f32_e32 v14, -1.0, v15
	s_delay_alu instid0(VALU_DEP_2) | instskip(NEXT) | instid1(VALU_DEP_2)
	v_ldexp_f32 v4, v4, v13
	v_dual_add_f32 v13, -1.0, v7 :: v_dual_sub_f32 v14, v7, v14
	s_delay_alu instid0(VALU_DEP_1) | instskip(NEXT) | instid1(VALU_DEP_1)
	v_add_f32_e32 v16, 1.0, v13
	v_dual_add_f32 v14, v4, v14 :: v_dual_sub_f32 v7, v7, v16
	s_delay_alu instid0(VALU_DEP_1) | instskip(NEXT) | instid1(VALU_DEP_2)
	v_add_f32_e32 v16, v15, v14
	v_add_f32_e32 v4, v4, v7
	s_delay_alu instid0(VALU_DEP_2) | instskip(SKIP_1) | instid1(VALU_DEP_1)
	v_rcp_f32_e32 v7, v16
	v_sub_f32_e32 v15, v15, v16
	v_dual_add_f32 v17, v13, v4 :: v_dual_add_f32 v14, v14, v15
	s_delay_alu instid0(VALU_DEP_1) | instskip(NEXT) | instid1(TRANS32_DEP_1)
	v_sub_f32_e32 v13, v13, v17
	v_mul_f32_e32 v18, v17, v7
	s_delay_alu instid0(VALU_DEP_1) | instskip(NEXT) | instid1(VALU_DEP_1)
	v_mul_f32_e32 v19, v16, v18
	v_fma_f32 v15, v18, v16, -v19
	s_delay_alu instid0(VALU_DEP_1) | instskip(NEXT) | instid1(VALU_DEP_1)
	v_fmac_f32_e32 v15, v18, v14
	v_add_f32_e32 v25, v19, v15
	s_delay_alu instid0(VALU_DEP_1) | instskip(NEXT) | instid1(VALU_DEP_1)
	v_sub_f32_e32 v26, v17, v25
	v_dual_sub_f32 v17, v17, v26 :: v_dual_add_f32 v4, v4, v13
	v_sub_f32_e32 v13, v25, v19
	s_delay_alu instid0(VALU_DEP_2) | instskip(NEXT) | instid1(VALU_DEP_1)
	v_sub_f32_e32 v17, v17, v25
	v_dual_sub_f32 v13, v13, v15 :: v_dual_add_f32 v4, v4, v17
	s_delay_alu instid0(VALU_DEP_1) | instskip(NEXT) | instid1(VALU_DEP_1)
	v_add_f32_e32 v4, v13, v4
	v_add_f32_e32 v13, v26, v4
	s_delay_alu instid0(VALU_DEP_1) | instskip(NEXT) | instid1(VALU_DEP_1)
	v_mul_f32_e32 v15, v7, v13
	v_mul_f32_e32 v17, v16, v15
	v_sub_f32_e32 v25, v26, v13
	s_delay_alu instid0(VALU_DEP_2) | instskip(NEXT) | instid1(VALU_DEP_2)
	v_fma_f32 v16, v15, v16, -v17
	v_add_f32_e32 v4, v4, v25
	s_delay_alu instid0(VALU_DEP_2) | instskip(NEXT) | instid1(VALU_DEP_1)
	v_fmac_f32_e32 v16, v15, v14
	v_add_f32_e32 v14, v17, v16
	s_delay_alu instid0(VALU_DEP_1) | instskip(NEXT) | instid1(VALU_DEP_1)
	v_sub_f32_e32 v19, v13, v14
	v_sub_f32_e32 v13, v13, v19
	s_delay_alu instid0(VALU_DEP_1) | instskip(NEXT) | instid1(VALU_DEP_1)
	v_sub_f32_e32 v13, v13, v14
	v_dual_add_f32 v4, v4, v13 :: v_dual_add_f32 v13, v18, v15
	v_sub_f32_e32 v17, v14, v17
	s_delay_alu instid0(VALU_DEP_1) | instskip(NEXT) | instid1(VALU_DEP_1)
	v_sub_f32_e32 v14, v17, v16
	v_add_f32_e32 v4, v14, v4
	s_delay_alu instid0(VALU_DEP_4) | instskip(NEXT) | instid1(VALU_DEP_2)
	v_sub_f32_e32 v14, v13, v18
	v_add_f32_e32 v4, v19, v4
	s_delay_alu instid0(VALU_DEP_2) | instskip(NEXT) | instid1(VALU_DEP_2)
	v_sub_f32_e32 v14, v15, v14
	v_mul_f32_e32 v4, v7, v4
	s_delay_alu instid0(VALU_DEP_1) | instskip(NEXT) | instid1(VALU_DEP_1)
	v_add_f32_e32 v4, v14, v4
	v_add_f32_e32 v7, v13, v4
	s_delay_alu instid0(VALU_DEP_1) | instskip(SKIP_1) | instid1(VALU_DEP_1)
	v_mul_f32_e32 v14, v7, v7
	s_wait_alu 0xfffe
	v_fmaak_f32 v15, s1, v14, 0x3ecc95a3
	v_mul_f32_e32 v16, v7, v14
	s_delay_alu instid0(VALU_DEP_2) | instskip(SKIP_1) | instid1(VALU_DEP_2)
	v_fmaak_f32 v14, v14, v15, 0x3f2aaada
	v_ldexp_f32 v15, v7, 1
	v_dual_sub_f32 v7, v7, v13 :: v_dual_mul_f32 v14, v16, v14
	s_delay_alu instid0(VALU_DEP_1) | instskip(NEXT) | instid1(VALU_DEP_2)
	v_dual_mul_f32 v16, 0x3f317218, v3 :: v_dual_add_f32 v13, v15, v14
	v_sub_f32_e32 v4, v4, v7
	s_delay_alu instid0(VALU_DEP_2) | instskip(NEXT) | instid1(VALU_DEP_3)
	v_sub_f32_e32 v7, v13, v15
	v_fma_f32 v15, 0x3f317218, v3, -v16
	s_delay_alu instid0(VALU_DEP_3) | instskip(NEXT) | instid1(VALU_DEP_2)
	v_ldexp_f32 v4, v4, 1
	v_fmamk_f32 v3, v3, 0xb102e308, v15
	s_delay_alu instid0(VALU_DEP_4) | instskip(NEXT) | instid1(VALU_DEP_1)
	v_sub_f32_e32 v7, v14, v7
	v_add_f32_e32 v4, v4, v7
	s_delay_alu instid0(VALU_DEP_1) | instskip(NEXT) | instid1(VALU_DEP_1)
	v_dual_add_f32 v7, v16, v3 :: v_dual_add_f32 v14, v13, v4
	v_add_f32_e32 v15, v7, v14
	v_dual_sub_f32 v13, v14, v13 :: v_dual_sub_f32 v16, v7, v16
	s_delay_alu instid0(VALU_DEP_2) | instskip(NEXT) | instid1(VALU_DEP_1)
	v_sub_f32_e32 v17, v15, v7
	v_sub_f32_e32 v18, v15, v17
	s_delay_alu instid0(VALU_DEP_1) | instskip(SKIP_1) | instid1(VALU_DEP_1)
	v_dual_sub_f32 v7, v7, v18 :: v_dual_sub_f32 v4, v4, v13
	v_sub_f32_e32 v13, v14, v17
	v_add_f32_e32 v7, v13, v7
	v_sub_f32_e32 v3, v3, v16
	s_delay_alu instid0(VALU_DEP_1) | instskip(NEXT) | instid1(VALU_DEP_1)
	v_add_f32_e32 v14, v3, v4
	v_sub_f32_e32 v13, v14, v3
	s_delay_alu instid0(VALU_DEP_1) | instskip(SKIP_1) | instid1(VALU_DEP_2)
	v_dual_add_f32 v7, v14, v7 :: v_dual_sub_f32 v4, v4, v13
	v_sub_f32_e32 v14, v14, v13
	v_add_f32_e32 v16, v15, v7
	s_delay_alu instid0(VALU_DEP_2) | instskip(NEXT) | instid1(VALU_DEP_2)
	v_sub_f32_e32 v3, v3, v14
	v_sub_f32_e32 v13, v16, v15
	s_delay_alu instid0(VALU_DEP_1) | instskip(NEXT) | instid1(VALU_DEP_1)
	v_dual_add_f32 v3, v4, v3 :: v_dual_sub_f32 v4, v7, v13
	v_add_f32_e32 v3, v3, v4
	s_delay_alu instid0(VALU_DEP_1) | instskip(SKIP_1) | instid1(VALU_DEP_1)
	v_add_f32_e32 v3, v16, v3
	s_wait_alu 0xfffd
	v_cndmask_b32_e32 v3, 0x7f800000, v3, vcc_lo
	v_cmp_gt_f32_e64 vcc_lo, 0x33800000, |v5|
	s_wait_alu 0xfffd
	s_delay_alu instid0(VALU_DEP_2) | instskip(NEXT) | instid1(VALU_DEP_1)
	v_cndmask_b32_e32 v3, v3, v5, vcc_lo
	v_add_f32_e32 v2, v2, v3
	s_delay_alu instid0(VALU_DEP_1) | instskip(NEXT) | instid1(VALU_DEP_1)
	v_cvt_f16_f32_e32 v14, v2
	v_cvt_f32_f16_e32 v7, v14
	v_mov_b32_e32 v25, v14
.LBB356_300:
	s_wait_alu 0xfffe
	s_or_b32 exec_lo, exec_lo, s0
	s_delay_alu instid0(VALU_DEP_2) | instskip(SKIP_1) | instid1(VALU_DEP_2)
	v_dual_max_num_f32 v2, v6, v6 :: v_dual_max_num_f32 v3, v7, v7
	v_cmp_u_f16_e32 vcc_lo, v14, v14
	v_dual_mov_b32 v27, v25 :: v_dual_min_num_f32 v4, v3, v2
	s_wait_alu 0xfffd
	s_delay_alu instid0(VALU_DEP_1) | instskip(NEXT) | instid1(VALU_DEP_1)
	v_dual_max_num_f32 v2, v3, v2 :: v_dual_cndmask_b32 v3, v4, v7
	v_cndmask_b32_e32 v2, v2, v7, vcc_lo
	s_delay_alu instid0(VALU_DEP_2) | instskip(NEXT) | instid1(VALU_DEP_2)
	v_cndmask_b32_e64 v3, v3, v6, s9
	v_cndmask_b32_e64 v2, v2, v6, s9
	s_delay_alu instid0(VALU_DEP_2) | instskip(NEXT) | instid1(VALU_DEP_2)
	v_cmp_class_f32_e64 s0, v3, 0x1f8
	v_cmp_neq_f32_e32 vcc_lo, v3, v2
	s_or_b32 s1, vcc_lo, s0
	s_wait_alu 0xfffe
	s_and_saveexec_b32 s0, s1
	s_cbranch_execz .LBB356_302
; %bb.301:
	v_sub_f32_e32 v3, v3, v2
	s_mov_b32 s1, 0x3e9b6dac
	s_delay_alu instid0(VALU_DEP_1) | instskip(NEXT) | instid1(VALU_DEP_1)
	v_mul_f32_e32 v4, 0x3fb8aa3b, v3
	v_fma_f32 v5, 0x3fb8aa3b, v3, -v4
	v_rndne_f32_e32 v6, v4
	s_delay_alu instid0(VALU_DEP_1) | instskip(NEXT) | instid1(VALU_DEP_1)
	v_dual_fmamk_f32 v5, v3, 0x32a5705f, v5 :: v_dual_sub_f32 v4, v4, v6
	v_add_f32_e32 v4, v4, v5
	v_cvt_i32_f32_e32 v5, v6
	v_cmp_ngt_f32_e32 vcc_lo, 0xc2ce8ed0, v3
	s_delay_alu instid0(VALU_DEP_3) | instskip(NEXT) | instid1(TRANS32_DEP_1)
	v_exp_f32_e32 v4, v4
	v_ldexp_f32 v4, v4, v5
	s_wait_alu 0xfffd
	s_delay_alu instid0(VALU_DEP_1) | instskip(SKIP_2) | instid1(VALU_DEP_2)
	v_cndmask_b32_e32 v4, 0, v4, vcc_lo
	v_cmp_nlt_f32_e32 vcc_lo, 0x42b17218, v3
	s_wait_alu 0xfffd
	v_cndmask_b32_e32 v5, 0x7f800000, v4, vcc_lo
	s_delay_alu instid0(VALU_DEP_1) | instskip(NEXT) | instid1(VALU_DEP_1)
	v_add_f32_e32 v6, 1.0, v5
	v_cvt_f64_f32_e32 v[3:4], v6
	s_delay_alu instid0(VALU_DEP_1) | instskip(SKIP_1) | instid1(VALU_DEP_1)
	v_frexp_exp_i32_f64_e32 v3, v[3:4]
	v_frexp_mant_f32_e32 v4, v6
	v_cmp_gt_f32_e32 vcc_lo, 0x3f2aaaab, v4
	v_add_f32_e32 v4, -1.0, v6
	s_delay_alu instid0(VALU_DEP_1) | instskip(NEXT) | instid1(VALU_DEP_1)
	v_dual_sub_f32 v13, v4, v6 :: v_dual_sub_f32 v4, v5, v4
	v_add_f32_e32 v13, 1.0, v13
	s_wait_alu 0xfffd
	v_subrev_co_ci_u32_e64 v3, null, 0, v3, vcc_lo
	v_cmp_neq_f32_e32 vcc_lo, 0x7f800000, v5
	s_delay_alu instid0(VALU_DEP_2) | instskip(SKIP_1) | instid1(VALU_DEP_2)
	v_sub_nc_u32_e32 v7, 0, v3
	v_cvt_f32_i32_e32 v3, v3
	v_ldexp_f32 v6, v6, v7
	v_add_f32_e32 v4, v4, v13
	s_delay_alu instid0(VALU_DEP_2) | instskip(NEXT) | instid1(VALU_DEP_2)
	v_add_f32_e32 v14, 1.0, v6
	v_ldexp_f32 v4, v4, v7
	v_add_f32_e32 v7, -1.0, v6
	s_delay_alu instid0(VALU_DEP_3) | instskip(NEXT) | instid1(VALU_DEP_2)
	v_add_f32_e32 v13, -1.0, v14
	v_add_f32_e32 v15, 1.0, v7
	s_delay_alu instid0(VALU_DEP_2) | instskip(NEXT) | instid1(VALU_DEP_1)
	v_sub_f32_e32 v13, v6, v13
	v_dual_sub_f32 v6, v6, v15 :: v_dual_add_f32 v13, v4, v13
	s_delay_alu instid0(VALU_DEP_1) | instskip(NEXT) | instid1(VALU_DEP_1)
	v_dual_add_f32 v4, v4, v6 :: v_dual_add_f32 v15, v14, v13
	v_rcp_f32_e32 v6, v15
	v_sub_f32_e32 v14, v14, v15
	s_delay_alu instid0(VALU_DEP_1) | instskip(NEXT) | instid1(VALU_DEP_1)
	v_dual_add_f32 v16, v7, v4 :: v_dual_add_f32 v13, v13, v14
	v_sub_f32_e32 v7, v7, v16
	s_delay_alu instid0(TRANS32_DEP_1) | instskip(NEXT) | instid1(VALU_DEP_2)
	v_mul_f32_e32 v17, v16, v6
	v_add_f32_e32 v4, v4, v7
	s_delay_alu instid0(VALU_DEP_2) | instskip(NEXT) | instid1(VALU_DEP_1)
	v_mul_f32_e32 v18, v15, v17
	v_fma_f32 v14, v17, v15, -v18
	s_delay_alu instid0(VALU_DEP_1) | instskip(NEXT) | instid1(VALU_DEP_1)
	v_fmac_f32_e32 v14, v17, v13
	v_add_f32_e32 v19, v18, v14
	s_delay_alu instid0(VALU_DEP_1) | instskip(NEXT) | instid1(VALU_DEP_1)
	v_dual_sub_f32 v7, v19, v18 :: v_dual_sub_f32 v26, v16, v19
	v_sub_f32_e32 v7, v7, v14
	s_delay_alu instid0(VALU_DEP_2) | instskip(NEXT) | instid1(VALU_DEP_1)
	v_sub_f32_e32 v16, v16, v26
	v_sub_f32_e32 v16, v16, v19
	s_delay_alu instid0(VALU_DEP_1) | instskip(NEXT) | instid1(VALU_DEP_1)
	v_add_f32_e32 v4, v4, v16
	v_add_f32_e32 v4, v7, v4
	s_delay_alu instid0(VALU_DEP_1) | instskip(NEXT) | instid1(VALU_DEP_1)
	v_add_f32_e32 v7, v26, v4
	v_mul_f32_e32 v14, v6, v7
	s_delay_alu instid0(VALU_DEP_1) | instskip(NEXT) | instid1(VALU_DEP_1)
	v_dual_sub_f32 v19, v26, v7 :: v_dual_mul_f32 v16, v15, v14
	v_add_f32_e32 v4, v4, v19
	s_delay_alu instid0(VALU_DEP_2) | instskip(NEXT) | instid1(VALU_DEP_1)
	v_fma_f32 v15, v14, v15, -v16
	v_fmac_f32_e32 v15, v14, v13
	s_delay_alu instid0(VALU_DEP_1) | instskip(NEXT) | instid1(VALU_DEP_1)
	v_add_f32_e32 v13, v16, v15
	v_sub_f32_e32 v16, v13, v16
	v_sub_f32_e32 v18, v7, v13
	s_delay_alu instid0(VALU_DEP_1) | instskip(NEXT) | instid1(VALU_DEP_1)
	v_sub_f32_e32 v7, v7, v18
	v_sub_f32_e32 v7, v7, v13
	s_delay_alu instid0(VALU_DEP_4) | instskip(NEXT) | instid1(VALU_DEP_2)
	v_sub_f32_e32 v13, v16, v15
	v_dual_add_f32 v4, v4, v7 :: v_dual_add_f32 v7, v17, v14
	s_delay_alu instid0(VALU_DEP_1) | instskip(NEXT) | instid1(VALU_DEP_1)
	v_dual_add_f32 v4, v13, v4 :: v_dual_sub_f32 v13, v7, v17
	v_add_f32_e32 v4, v18, v4
	s_delay_alu instid0(VALU_DEP_2) | instskip(NEXT) | instid1(VALU_DEP_2)
	v_sub_f32_e32 v13, v14, v13
	v_mul_f32_e32 v4, v6, v4
	s_delay_alu instid0(VALU_DEP_1) | instskip(NEXT) | instid1(VALU_DEP_1)
	v_add_f32_e32 v4, v13, v4
	v_add_f32_e32 v6, v7, v4
	s_delay_alu instid0(VALU_DEP_1) | instskip(SKIP_1) | instid1(VALU_DEP_1)
	v_mul_f32_e32 v13, v6, v6
	s_wait_alu 0xfffe
	v_fmaak_f32 v14, s1, v13, 0x3ecc95a3
	v_mul_f32_e32 v15, v6, v13
	s_delay_alu instid0(VALU_DEP_2) | instskip(SKIP_1) | instid1(VALU_DEP_2)
	v_fmaak_f32 v13, v13, v14, 0x3f2aaada
	v_ldexp_f32 v14, v6, 1
	v_dual_sub_f32 v6, v6, v7 :: v_dual_mul_f32 v13, v15, v13
	s_delay_alu instid0(VALU_DEP_1) | instskip(NEXT) | instid1(VALU_DEP_2)
	v_dual_mul_f32 v15, 0x3f317218, v3 :: v_dual_sub_f32 v4, v4, v6
	v_add_f32_e32 v7, v14, v13
	s_delay_alu instid0(VALU_DEP_2) | instskip(NEXT) | instid1(VALU_DEP_2)
	v_ldexp_f32 v4, v4, 1
	v_sub_f32_e32 v6, v7, v14
	s_delay_alu instid0(VALU_DEP_4) | instskip(NEXT) | instid1(VALU_DEP_1)
	v_fma_f32 v14, 0x3f317218, v3, -v15
	v_dual_sub_f32 v6, v13, v6 :: v_dual_fmamk_f32 v3, v3, 0xb102e308, v14
	s_delay_alu instid0(VALU_DEP_1) | instskip(NEXT) | instid1(VALU_DEP_2)
	v_add_f32_e32 v4, v4, v6
	v_add_f32_e32 v6, v15, v3
	s_delay_alu instid0(VALU_DEP_1) | instskip(NEXT) | instid1(VALU_DEP_3)
	v_sub_f32_e32 v15, v6, v15
	v_add_f32_e32 v13, v7, v4
	s_delay_alu instid0(VALU_DEP_1) | instskip(SKIP_1) | instid1(VALU_DEP_1)
	v_dual_sub_f32 v3, v3, v15 :: v_dual_add_f32 v14, v6, v13
	v_sub_f32_e32 v7, v13, v7
	v_sub_f32_e32 v4, v4, v7
	s_delay_alu instid0(VALU_DEP_3) | instskip(NEXT) | instid1(VALU_DEP_1)
	v_sub_f32_e32 v16, v14, v6
	v_sub_f32_e32 v7, v13, v16
	s_delay_alu instid0(VALU_DEP_3) | instskip(SKIP_1) | instid1(VALU_DEP_1)
	v_add_f32_e32 v13, v3, v4
	v_sub_f32_e32 v17, v14, v16
	v_sub_f32_e32 v6, v6, v17
	s_delay_alu instid0(VALU_DEP_1) | instskip(NEXT) | instid1(VALU_DEP_1)
	v_dual_add_f32 v6, v7, v6 :: v_dual_sub_f32 v7, v13, v3
	v_add_f32_e32 v6, v13, v6
	s_delay_alu instid0(VALU_DEP_2) | instskip(NEXT) | instid1(VALU_DEP_1)
	v_sub_f32_e32 v13, v13, v7
	v_sub_f32_e32 v3, v3, v13
	s_delay_alu instid0(VALU_DEP_3) | instskip(NEXT) | instid1(VALU_DEP_1)
	v_dual_add_f32 v15, v14, v6 :: v_dual_sub_f32 v4, v4, v7
	v_sub_f32_e32 v7, v15, v14
	s_delay_alu instid0(VALU_DEP_2) | instskip(NEXT) | instid1(VALU_DEP_2)
	v_add_f32_e32 v3, v4, v3
	v_sub_f32_e32 v4, v6, v7
	s_delay_alu instid0(VALU_DEP_1) | instskip(NEXT) | instid1(VALU_DEP_1)
	v_add_f32_e32 v3, v3, v4
	v_add_f32_e32 v3, v15, v3
	s_wait_alu 0xfffd
	s_delay_alu instid0(VALU_DEP_1) | instskip(SKIP_2) | instid1(VALU_DEP_2)
	v_cndmask_b32_e32 v3, 0x7f800000, v3, vcc_lo
	v_cmp_gt_f32_e64 vcc_lo, 0x33800000, |v5|
	s_wait_alu 0xfffd
	v_cndmask_b32_e32 v3, v3, v5, vcc_lo
	s_delay_alu instid0(VALU_DEP_1) | instskip(NEXT) | instid1(VALU_DEP_1)
	v_add_f32_e32 v2, v2, v3
	v_cvt_f16_f32_e32 v27, v2
.LBB356_302:
	s_wait_alu 0xfffe
	s_or_b32 exec_lo, exec_lo, s0
	s_delay_alu instid0(SALU_CYCLE_1)
	s_mov_b32 s0, exec_lo
	v_cmpx_eq_u32_e32 0xff, v0
	s_cbranch_execz .LBB356_304
; %bb.303:
	v_dual_mov_b32 v3, 0 :: v_dual_and_b32 v2, 0xffff, v27
	s_delay_alu instid0(VALU_DEP_1)
	v_or_b32_e32 v2, 0x20000, v2
	global_store_b32 v3, v2, s[38:39] offset:128 scope:SCOPE_DEV
.LBB356_304:
	s_wait_alu 0xfffe
	s_or_b32 exec_lo, exec_lo, s0
	v_mov_b32_e32 v7, v1
.LBB356_305:
	v_perm_b32 v2, v22, v10, 0x5040100
	v_perm_b32 v1, v21, v9, 0x5040100
	;; [unrolled: 1-line block ×3, first 2 shown]
	s_delay_alu instid0(VALU_DEP_4)
	v_perm_b32 v5, v30, v7, 0x5040100
	v_perm_b32 v4, v27, v25, 0x5040100
	;; [unrolled: 1-line block ×3, first 2 shown]
	s_add_nc_u64 s[0:1], s[20:21], s[34:35]
	s_and_b32 vcc_lo, exec_lo, s17
	s_wait_alu 0xfffe
	s_add_nc_u64 s[0:1], s[0:1], s[36:37]
	s_mov_b32 s2, -1
	s_wait_loadcnt 0x0
	s_wait_storecnt 0x0
	s_barrier_signal -1
	s_barrier_wait -1
	global_inv scope:SCOPE_SE
	s_cbranch_vccz .LBB356_307
; %bb.306:
	ds_store_2addr_b64 v12, v[5:6], v[1:2] offset1:1
	ds_store_b64 v12, v[3:4] offset:16
	s_wait_loadcnt_dscnt 0x0
	s_barrier_signal -1
	s_barrier_wait -1
	global_inv scope:SCOPE_SE
	ds_load_u16 v7, v11
	ds_load_u16 v8, v11 offset:512
	ds_load_u16 v9, v11 offset:1024
	ds_load_u16 v10, v11 offset:1536
	ds_load_u16 v13, v11 offset:2048
	ds_load_u16 v14, v11 offset:2560
	ds_load_u16 v15, v11 offset:3072
	ds_load_u16 v16, v11 offset:3584
	ds_load_u16 v17, v11 offset:4096
	ds_load_u16 v18, v11 offset:4608
	ds_load_u16 v19, v11 offset:5120
	ds_load_u16 v20, v11 offset:5632
	s_mov_b32 s2, 0
	s_wait_dscnt 0xb
	global_store_b16 v11, v7, s[0:1]
	s_wait_dscnt 0xa
	global_store_b16 v11, v8, s[0:1] offset:512
	s_wait_dscnt 0x9
	global_store_b16 v11, v9, s[0:1] offset:1024
	;; [unrolled: 2-line block ×11, first 2 shown]
.LBB356_307:
	s_wait_alu 0xfffe
	s_and_not1_b32 vcc_lo, exec_lo, s2
	s_wait_alu 0xfffe
	s_cbranch_vccnz .LBB356_375
; %bb.308:
	ds_store_2addr_b64 v12, v[5:6], v[1:2] offset1:1
	ds_store_b64 v12, v[3:4] offset:16
	s_wait_storecnt 0x0
	s_wait_loadcnt_dscnt 0x0
	s_barrier_signal -1
	s_barrier_wait -1
	global_inv scope:SCOPE_SE
	ds_load_u16 v5, v11
	ds_load_u16 v4, v11 offset:512
	ds_load_u16 v6, v11 offset:1024
	;; [unrolled: 1-line block ×11, first 2 shown]
	v_add_co_u32 v2, s0, s0, v11
	v_mov_b32_e32 v1, 0
	s_wait_alu 0xf1ff
	v_add_co_ci_u32_e64 v3, null, s1, 0, s0
	s_mov_b32 s0, exec_lo
	v_cmpx_gt_u32_e64 s18, v0
	s_cbranch_execz .LBB356_310
; %bb.309:
	s_wait_dscnt 0xb
	global_store_b16 v[2:3], v5, off
.LBB356_310:
	s_wait_alu 0xfffe
	s_or_b32 exec_lo, exec_lo, s0
	v_or_b32_e32 v11, 0x100, v0
	s_mov_b32 s0, exec_lo
	s_delay_alu instid0(VALU_DEP_1)
	v_cmpx_gt_u32_e64 s18, v11
	s_cbranch_execz .LBB356_312
; %bb.311:
	s_wait_dscnt 0xa
	global_store_b16 v[2:3], v4, off offset:512
.LBB356_312:
	s_wait_alu 0xfffe
	s_or_b32 exec_lo, exec_lo, s0
	v_or_b32_e32 v11, 0x200, v0
	s_mov_b32 s0, exec_lo
	s_delay_alu instid0(VALU_DEP_1)
	v_cmpx_gt_u32_e64 s18, v11
	s_cbranch_execz .LBB356_314
; %bb.313:
	s_wait_dscnt 0x9
	global_store_b16 v[2:3], v6, off offset:1024
.LBB356_314:
	;; [unrolled: 11-line block ×11, first 2 shown]
	s_wait_alu 0xfffe
	s_or_b32 exec_lo, exec_lo, s0
	s_wait_kmcnt 0x0
	v_cmp_lt_u64_e64 s0, s[30:31], 2
	s_and_b32 vcc_lo, exec_lo, s0
	s_wait_alu 0xfffe
	s_cbranch_vccnz .LBB356_375
; %bb.333:
	s_add_nc_u64 s[0:1], s[18:19], -1
	s_mov_b32 s3, 0
	s_mov_b64 s[4:5], 0xaaaaaaab
	s_wait_alu 0xfffe
	s_mov_b32 s6, s0
	s_mov_b32 s7, s3
	;; [unrolled: 1-line block ×3, first 2 shown]
	s_wait_alu 0xfffe
	s_mul_u64 s[8:9], s[6:7], s[4:5]
	s_mul_u64 s[4:5], s[2:3], s[4:5]
	s_wait_alu 0xfffe
	s_mov_b32 s8, s9
	s_mov_b32 s9, s3
	s_mov_b64 s[10:11], 0xaaaaaaaa
	s_wait_alu 0xfffe
	s_add_nc_u64 s[4:5], s[4:5], s[8:9]
	s_mul_u64 s[6:7], s[6:7], s[10:11]
	s_wait_alu 0xfffe
	s_mov_b32 s8, s5
	s_mov_b32 s5, s3
	s_wait_alu 0xfffe
	s_add_nc_u64 s[4:5], s[6:7], s[4:5]
	s_mul_u64 s[6:7], s[2:3], s[10:11]
	s_wait_alu 0xfffe
	s_mov_b32 s4, s5
	s_mov_b32 s5, s3
	s_wait_alu 0xfffe
	s_add_nc_u64 s[2:3], s[8:9], s[4:5]
	s_wait_alu 0xfffe
	s_add_nc_u64 s[2:3], s[6:7], s[2:3]
	s_wait_alu 0xfffe
	s_lshr_b64 s[2:3], s[2:3], 3
	s_wait_alu 0xfffe
	v_cmp_eq_u64_e32 vcc_lo, s[2:3], v[0:1]
	s_and_saveexec_b32 s2, vcc_lo
	s_cbranch_execz .LBB356_375
; %bb.334:
	v_mul_u32_u24_e32 v1, 12, v0
	v_mul_hi_u32_u24_e32 v2, 12, v0
	s_delay_alu instid0(VALU_DEP_2) | instskip(SKIP_1) | instid1(VALU_DEP_2)
	v_sub_co_u32 v0, vcc_lo, s0, v1
	s_wait_alu 0xfffd
	v_sub_co_ci_u32_e64 v1, null, s1, v2, vcc_lo
	s_mov_b32 s0, exec_lo
	v_cmpx_lt_i64_e32 5, v[0:1]
	s_wait_alu 0xfffe
	s_xor_b32 s0, exec_lo, s0
	s_cbranch_execz .LBB356_356
; %bb.335:
	s_mov_b32 s1, exec_lo
	v_cmpx_lt_i64_e32 8, v[0:1]
	s_wait_alu 0xfffe
	s_xor_b32 s1, exec_lo, s1
	s_cbranch_execz .LBB356_345
; %bb.336:
	;; [unrolled: 6-line block ×4, first 2 shown]
	v_mov_b32_e32 v0, 0
                                        ; implicit-def: $vgpr14
	s_wait_dscnt 0x0
	global_store_b16 v0, v16, s[26:27]
.LBB356_339:
	s_wait_alu 0xfffe
	s_and_not1_saveexec_b32 s3, s3
	s_cbranch_execz .LBB356_341
; %bb.340:
	v_mov_b32_e32 v0, 0
	s_wait_dscnt 0x1
	global_store_b16 v0, v14, s[26:27]
.LBB356_341:
	s_wait_alu 0xfffe
	s_or_b32 exec_lo, exec_lo, s3
                                        ; implicit-def: $vgpr15
.LBB356_342:
	s_wait_alu 0xfffe
	s_and_not1_saveexec_b32 s2, s2
	s_cbranch_execz .LBB356_344
; %bb.343:
	v_mov_b32_e32 v0, 0
	s_wait_dscnt 0x2
	global_store_b16 v0, v15, s[26:27]
.LBB356_344:
	s_wait_alu 0xfffe
	s_or_b32 exec_lo, exec_lo, s2
                                        ; implicit-def: $vgpr12
                                        ; implicit-def: $vgpr0_vgpr1
                                        ; implicit-def: $vgpr9
                                        ; implicit-def: $vgpr13
.LBB356_345:
	s_wait_alu 0xfffe
	s_and_not1_saveexec_b32 s1, s1
	s_cbranch_execz .LBB356_355
; %bb.346:
	s_mov_b32 s2, exec_lo
	v_cmpx_lt_i64_e32 6, v[0:1]
	s_wait_alu 0xfffe
	s_xor_b32 s2, exec_lo, s2
	s_cbranch_execz .LBB356_352
; %bb.347:
	s_mov_b32 s3, exec_lo
	v_cmpx_lt_i64_e32 7, v[0:1]
	s_wait_alu 0xfffe
	s_xor_b32 s3, exec_lo, s3
	s_cbranch_execz .LBB356_349
; %bb.348:
	v_mov_b32_e32 v0, 0
                                        ; implicit-def: $vgpr9
	s_wait_dscnt 0x3
	global_store_b16 v0, v13, s[26:27]
.LBB356_349:
	s_wait_alu 0xfffe
	s_and_not1_saveexec_b32 s3, s3
	s_cbranch_execz .LBB356_351
; %bb.350:
	v_mov_b32_e32 v0, 0
	s_wait_dscnt 0x4
	global_store_b16 v0, v9, s[26:27]
.LBB356_351:
	s_wait_alu 0xfffe
	s_or_b32 exec_lo, exec_lo, s3
                                        ; implicit-def: $vgpr12
.LBB356_352:
	s_wait_alu 0xfffe
	s_and_not1_saveexec_b32 s2, s2
	s_cbranch_execz .LBB356_354
; %bb.353:
	v_mov_b32_e32 v0, 0
	s_wait_dscnt 0x5
	global_store_b16 v0, v12, s[26:27]
.LBB356_354:
	s_wait_alu 0xfffe
	s_or_b32 exec_lo, exec_lo, s2
.LBB356_355:
	s_wait_alu 0xfffe
	s_or_b32 exec_lo, exec_lo, s1
                                        ; implicit-def: $vgpr0_vgpr1
                                        ; implicit-def: $vgpr8
                                        ; implicit-def: $vgpr6
                                        ; implicit-def: $vgpr4
                                        ; implicit-def: $vgpr5
                                        ; implicit-def: $vgpr7
                                        ; implicit-def: $vgpr10
.LBB356_356:
	s_wait_alu 0xfffe
	s_and_not1_saveexec_b32 s0, s0
	s_cbranch_execz .LBB356_375
; %bb.357:
	s_mov_b32 s0, exec_lo
	v_cmpx_lt_i64_e32 2, v[0:1]
	s_wait_alu 0xfffe
	s_xor_b32 s0, exec_lo, s0
	s_cbranch_execz .LBB356_367
; %bb.358:
	s_mov_b32 s1, exec_lo
	v_cmpx_lt_i64_e32 3, v[0:1]
	s_wait_alu 0xfffe
	s_xor_b32 s1, exec_lo, s1
	;; [unrolled: 6-line block ×3, first 2 shown]
	s_cbranch_execz .LBB356_361
; %bb.360:
	v_mov_b32_e32 v0, 0
                                        ; implicit-def: $vgpr7
	s_wait_dscnt 0x6
	global_store_b16 v0, v10, s[26:27]
.LBB356_361:
	s_wait_alu 0xfffe
	s_and_not1_saveexec_b32 s2, s2
	s_cbranch_execz .LBB356_363
; %bb.362:
	v_mov_b32_e32 v0, 0
	s_wait_dscnt 0x7
	global_store_b16 v0, v7, s[26:27]
.LBB356_363:
	s_wait_alu 0xfffe
	s_or_b32 exec_lo, exec_lo, s2
                                        ; implicit-def: $vgpr8
.LBB356_364:
	s_wait_alu 0xfffe
	s_and_not1_saveexec_b32 s1, s1
	s_cbranch_execz .LBB356_366
; %bb.365:
	v_mov_b32_e32 v0, 0
	s_wait_dscnt 0x8
	global_store_b16 v0, v8, s[26:27]
.LBB356_366:
	s_wait_alu 0xfffe
	s_or_b32 exec_lo, exec_lo, s1
                                        ; implicit-def: $vgpr0_vgpr1
                                        ; implicit-def: $vgpr6
                                        ; implicit-def: $vgpr4
                                        ; implicit-def: $vgpr5
.LBB356_367:
	s_wait_alu 0xfffe
	s_and_not1_saveexec_b32 s0, s0
	s_cbranch_execz .LBB356_375
; %bb.368:
	s_mov_b32 s0, exec_lo
	v_cmpx_lt_i64_e32 1, v[0:1]
	s_wait_alu 0xfffe
	s_xor_b32 s0, exec_lo, s0
	s_cbranch_execz .LBB356_370
; %bb.369:
	v_mov_b32_e32 v0, 0
                                        ; implicit-def: $vgpr4
                                        ; implicit-def: $vgpr5
	s_wait_dscnt 0x9
	global_store_b16 v0, v6, s[26:27]
                                        ; implicit-def: $vgpr0_vgpr1
.LBB356_370:
	s_wait_alu 0xfffe
	s_and_not1_saveexec_b32 s0, s0
	s_cbranch_execz .LBB356_375
; %bb.371:
	s_mov_b32 s0, exec_lo
	v_cmpx_ne_u64_e32 1, v[0:1]
	s_wait_alu 0xfffe
	s_xor_b32 s0, exec_lo, s0
	s_cbranch_execz .LBB356_373
; %bb.372:
	v_mov_b32_e32 v0, 0
                                        ; implicit-def: $vgpr4
	s_wait_dscnt 0xb
	global_store_b16 v0, v5, s[26:27]
.LBB356_373:
	s_wait_alu 0xfffe
	s_and_not1_saveexec_b32 s0, s0
	s_cbranch_execz .LBB356_375
; %bb.374:
	v_mov_b32_e32 v0, 0
	s_wait_dscnt 0xa
	global_store_b16 v0, v4, s[26:27]
.LBB356_375:
	s_endpgm
	.section	.rodata,"a",@progbits
	.p2align	6, 0x0
	.amdhsa_kernel _ZN7rocprim17ROCPRIM_400000_NS6detail17trampoline_kernelINS0_14default_configENS1_20scan_config_selectorIN3c104HalfEEEZZNS1_9scan_implILNS1_25lookback_scan_determinismE0ELb0ELb0ES3_PKS6_PS6_S6_ZZZN2at6native31launch_logcumsumexp_cuda_kernelERKNSD_10TensorBaseESH_lENKUlvE_clEvENKUlvE3_clEvEUlS6_S6_E_S6_EEDaPvRmT3_T4_T5_mT6_P12ihipStream_tbENKUlT_T0_E_clISt17integral_constantIbLb0EESY_EEDaST_SU_EUlST_E_NS1_11comp_targetILNS1_3genE10ELNS1_11target_archE1201ELNS1_3gpuE5ELNS1_3repE0EEENS1_30default_config_static_selectorELNS0_4arch9wavefront6targetE0EEEvT1_
		.amdhsa_group_segment_fixed_size 6144
		.amdhsa_private_segment_fixed_size 0
		.amdhsa_kernarg_size 96
		.amdhsa_user_sgpr_count 2
		.amdhsa_user_sgpr_dispatch_ptr 0
		.amdhsa_user_sgpr_queue_ptr 0
		.amdhsa_user_sgpr_kernarg_segment_ptr 1
		.amdhsa_user_sgpr_dispatch_id 0
		.amdhsa_user_sgpr_private_segment_size 0
		.amdhsa_wavefront_size32 1
		.amdhsa_uses_dynamic_stack 0
		.amdhsa_enable_private_segment 0
		.amdhsa_system_sgpr_workgroup_id_x 1
		.amdhsa_system_sgpr_workgroup_id_y 0
		.amdhsa_system_sgpr_workgroup_id_z 0
		.amdhsa_system_sgpr_workgroup_info 0
		.amdhsa_system_vgpr_workitem_id 0
		.amdhsa_next_free_vgpr 59
		.amdhsa_next_free_sgpr 40
		.amdhsa_reserve_vcc 1
		.amdhsa_float_round_mode_32 0
		.amdhsa_float_round_mode_16_64 0
		.amdhsa_float_denorm_mode_32 3
		.amdhsa_float_denorm_mode_16_64 3
		.amdhsa_fp16_overflow 0
		.amdhsa_workgroup_processor_mode 1
		.amdhsa_memory_ordered 1
		.amdhsa_forward_progress 1
		.amdhsa_inst_pref_size 255
		.amdhsa_round_robin_scheduling 0
		.amdhsa_exception_fp_ieee_invalid_op 0
		.amdhsa_exception_fp_denorm_src 0
		.amdhsa_exception_fp_ieee_div_zero 0
		.amdhsa_exception_fp_ieee_overflow 0
		.amdhsa_exception_fp_ieee_underflow 0
		.amdhsa_exception_fp_ieee_inexact 0
		.amdhsa_exception_int_div_zero 0
	.end_amdhsa_kernel
	.section	.text._ZN7rocprim17ROCPRIM_400000_NS6detail17trampoline_kernelINS0_14default_configENS1_20scan_config_selectorIN3c104HalfEEEZZNS1_9scan_implILNS1_25lookback_scan_determinismE0ELb0ELb0ES3_PKS6_PS6_S6_ZZZN2at6native31launch_logcumsumexp_cuda_kernelERKNSD_10TensorBaseESH_lENKUlvE_clEvENKUlvE3_clEvEUlS6_S6_E_S6_EEDaPvRmT3_T4_T5_mT6_P12ihipStream_tbENKUlT_T0_E_clISt17integral_constantIbLb0EESY_EEDaST_SU_EUlST_E_NS1_11comp_targetILNS1_3genE10ELNS1_11target_archE1201ELNS1_3gpuE5ELNS1_3repE0EEENS1_30default_config_static_selectorELNS0_4arch9wavefront6targetE0EEEvT1_,"axG",@progbits,_ZN7rocprim17ROCPRIM_400000_NS6detail17trampoline_kernelINS0_14default_configENS1_20scan_config_selectorIN3c104HalfEEEZZNS1_9scan_implILNS1_25lookback_scan_determinismE0ELb0ELb0ES3_PKS6_PS6_S6_ZZZN2at6native31launch_logcumsumexp_cuda_kernelERKNSD_10TensorBaseESH_lENKUlvE_clEvENKUlvE3_clEvEUlS6_S6_E_S6_EEDaPvRmT3_T4_T5_mT6_P12ihipStream_tbENKUlT_T0_E_clISt17integral_constantIbLb0EESY_EEDaST_SU_EUlST_E_NS1_11comp_targetILNS1_3genE10ELNS1_11target_archE1201ELNS1_3gpuE5ELNS1_3repE0EEENS1_30default_config_static_selectorELNS0_4arch9wavefront6targetE0EEEvT1_,comdat
.Lfunc_end356:
	.size	_ZN7rocprim17ROCPRIM_400000_NS6detail17trampoline_kernelINS0_14default_configENS1_20scan_config_selectorIN3c104HalfEEEZZNS1_9scan_implILNS1_25lookback_scan_determinismE0ELb0ELb0ES3_PKS6_PS6_S6_ZZZN2at6native31launch_logcumsumexp_cuda_kernelERKNSD_10TensorBaseESH_lENKUlvE_clEvENKUlvE3_clEvEUlS6_S6_E_S6_EEDaPvRmT3_T4_T5_mT6_P12ihipStream_tbENKUlT_T0_E_clISt17integral_constantIbLb0EESY_EEDaST_SU_EUlST_E_NS1_11comp_targetILNS1_3genE10ELNS1_11target_archE1201ELNS1_3gpuE5ELNS1_3repE0EEENS1_30default_config_static_selectorELNS0_4arch9wavefront6targetE0EEEvT1_, .Lfunc_end356-_ZN7rocprim17ROCPRIM_400000_NS6detail17trampoline_kernelINS0_14default_configENS1_20scan_config_selectorIN3c104HalfEEEZZNS1_9scan_implILNS1_25lookback_scan_determinismE0ELb0ELb0ES3_PKS6_PS6_S6_ZZZN2at6native31launch_logcumsumexp_cuda_kernelERKNSD_10TensorBaseESH_lENKUlvE_clEvENKUlvE3_clEvEUlS6_S6_E_S6_EEDaPvRmT3_T4_T5_mT6_P12ihipStream_tbENKUlT_T0_E_clISt17integral_constantIbLb0EESY_EEDaST_SU_EUlST_E_NS1_11comp_targetILNS1_3genE10ELNS1_11target_archE1201ELNS1_3gpuE5ELNS1_3repE0EEENS1_30default_config_static_selectorELNS0_4arch9wavefront6targetE0EEEvT1_
                                        ; -- End function
	.set _ZN7rocprim17ROCPRIM_400000_NS6detail17trampoline_kernelINS0_14default_configENS1_20scan_config_selectorIN3c104HalfEEEZZNS1_9scan_implILNS1_25lookback_scan_determinismE0ELb0ELb0ES3_PKS6_PS6_S6_ZZZN2at6native31launch_logcumsumexp_cuda_kernelERKNSD_10TensorBaseESH_lENKUlvE_clEvENKUlvE3_clEvEUlS6_S6_E_S6_EEDaPvRmT3_T4_T5_mT6_P12ihipStream_tbENKUlT_T0_E_clISt17integral_constantIbLb0EESY_EEDaST_SU_EUlST_E_NS1_11comp_targetILNS1_3genE10ELNS1_11target_archE1201ELNS1_3gpuE5ELNS1_3repE0EEENS1_30default_config_static_selectorELNS0_4arch9wavefront6targetE0EEEvT1_.num_vgpr, 59
	.set _ZN7rocprim17ROCPRIM_400000_NS6detail17trampoline_kernelINS0_14default_configENS1_20scan_config_selectorIN3c104HalfEEEZZNS1_9scan_implILNS1_25lookback_scan_determinismE0ELb0ELb0ES3_PKS6_PS6_S6_ZZZN2at6native31launch_logcumsumexp_cuda_kernelERKNSD_10TensorBaseESH_lENKUlvE_clEvENKUlvE3_clEvEUlS6_S6_E_S6_EEDaPvRmT3_T4_T5_mT6_P12ihipStream_tbENKUlT_T0_E_clISt17integral_constantIbLb0EESY_EEDaST_SU_EUlST_E_NS1_11comp_targetILNS1_3genE10ELNS1_11target_archE1201ELNS1_3gpuE5ELNS1_3repE0EEENS1_30default_config_static_selectorELNS0_4arch9wavefront6targetE0EEEvT1_.num_agpr, 0
	.set _ZN7rocprim17ROCPRIM_400000_NS6detail17trampoline_kernelINS0_14default_configENS1_20scan_config_selectorIN3c104HalfEEEZZNS1_9scan_implILNS1_25lookback_scan_determinismE0ELb0ELb0ES3_PKS6_PS6_S6_ZZZN2at6native31launch_logcumsumexp_cuda_kernelERKNSD_10TensorBaseESH_lENKUlvE_clEvENKUlvE3_clEvEUlS6_S6_E_S6_EEDaPvRmT3_T4_T5_mT6_P12ihipStream_tbENKUlT_T0_E_clISt17integral_constantIbLb0EESY_EEDaST_SU_EUlST_E_NS1_11comp_targetILNS1_3genE10ELNS1_11target_archE1201ELNS1_3gpuE5ELNS1_3repE0EEENS1_30default_config_static_selectorELNS0_4arch9wavefront6targetE0EEEvT1_.numbered_sgpr, 40
	.set _ZN7rocprim17ROCPRIM_400000_NS6detail17trampoline_kernelINS0_14default_configENS1_20scan_config_selectorIN3c104HalfEEEZZNS1_9scan_implILNS1_25lookback_scan_determinismE0ELb0ELb0ES3_PKS6_PS6_S6_ZZZN2at6native31launch_logcumsumexp_cuda_kernelERKNSD_10TensorBaseESH_lENKUlvE_clEvENKUlvE3_clEvEUlS6_S6_E_S6_EEDaPvRmT3_T4_T5_mT6_P12ihipStream_tbENKUlT_T0_E_clISt17integral_constantIbLb0EESY_EEDaST_SU_EUlST_E_NS1_11comp_targetILNS1_3genE10ELNS1_11target_archE1201ELNS1_3gpuE5ELNS1_3repE0EEENS1_30default_config_static_selectorELNS0_4arch9wavefront6targetE0EEEvT1_.num_named_barrier, 0
	.set _ZN7rocprim17ROCPRIM_400000_NS6detail17trampoline_kernelINS0_14default_configENS1_20scan_config_selectorIN3c104HalfEEEZZNS1_9scan_implILNS1_25lookback_scan_determinismE0ELb0ELb0ES3_PKS6_PS6_S6_ZZZN2at6native31launch_logcumsumexp_cuda_kernelERKNSD_10TensorBaseESH_lENKUlvE_clEvENKUlvE3_clEvEUlS6_S6_E_S6_EEDaPvRmT3_T4_T5_mT6_P12ihipStream_tbENKUlT_T0_E_clISt17integral_constantIbLb0EESY_EEDaST_SU_EUlST_E_NS1_11comp_targetILNS1_3genE10ELNS1_11target_archE1201ELNS1_3gpuE5ELNS1_3repE0EEENS1_30default_config_static_selectorELNS0_4arch9wavefront6targetE0EEEvT1_.private_seg_size, 0
	.set _ZN7rocprim17ROCPRIM_400000_NS6detail17trampoline_kernelINS0_14default_configENS1_20scan_config_selectorIN3c104HalfEEEZZNS1_9scan_implILNS1_25lookback_scan_determinismE0ELb0ELb0ES3_PKS6_PS6_S6_ZZZN2at6native31launch_logcumsumexp_cuda_kernelERKNSD_10TensorBaseESH_lENKUlvE_clEvENKUlvE3_clEvEUlS6_S6_E_S6_EEDaPvRmT3_T4_T5_mT6_P12ihipStream_tbENKUlT_T0_E_clISt17integral_constantIbLb0EESY_EEDaST_SU_EUlST_E_NS1_11comp_targetILNS1_3genE10ELNS1_11target_archE1201ELNS1_3gpuE5ELNS1_3repE0EEENS1_30default_config_static_selectorELNS0_4arch9wavefront6targetE0EEEvT1_.uses_vcc, 1
	.set _ZN7rocprim17ROCPRIM_400000_NS6detail17trampoline_kernelINS0_14default_configENS1_20scan_config_selectorIN3c104HalfEEEZZNS1_9scan_implILNS1_25lookback_scan_determinismE0ELb0ELb0ES3_PKS6_PS6_S6_ZZZN2at6native31launch_logcumsumexp_cuda_kernelERKNSD_10TensorBaseESH_lENKUlvE_clEvENKUlvE3_clEvEUlS6_S6_E_S6_EEDaPvRmT3_T4_T5_mT6_P12ihipStream_tbENKUlT_T0_E_clISt17integral_constantIbLb0EESY_EEDaST_SU_EUlST_E_NS1_11comp_targetILNS1_3genE10ELNS1_11target_archE1201ELNS1_3gpuE5ELNS1_3repE0EEENS1_30default_config_static_selectorELNS0_4arch9wavefront6targetE0EEEvT1_.uses_flat_scratch, 0
	.set _ZN7rocprim17ROCPRIM_400000_NS6detail17trampoline_kernelINS0_14default_configENS1_20scan_config_selectorIN3c104HalfEEEZZNS1_9scan_implILNS1_25lookback_scan_determinismE0ELb0ELb0ES3_PKS6_PS6_S6_ZZZN2at6native31launch_logcumsumexp_cuda_kernelERKNSD_10TensorBaseESH_lENKUlvE_clEvENKUlvE3_clEvEUlS6_S6_E_S6_EEDaPvRmT3_T4_T5_mT6_P12ihipStream_tbENKUlT_T0_E_clISt17integral_constantIbLb0EESY_EEDaST_SU_EUlST_E_NS1_11comp_targetILNS1_3genE10ELNS1_11target_archE1201ELNS1_3gpuE5ELNS1_3repE0EEENS1_30default_config_static_selectorELNS0_4arch9wavefront6targetE0EEEvT1_.has_dyn_sized_stack, 0
	.set _ZN7rocprim17ROCPRIM_400000_NS6detail17trampoline_kernelINS0_14default_configENS1_20scan_config_selectorIN3c104HalfEEEZZNS1_9scan_implILNS1_25lookback_scan_determinismE0ELb0ELb0ES3_PKS6_PS6_S6_ZZZN2at6native31launch_logcumsumexp_cuda_kernelERKNSD_10TensorBaseESH_lENKUlvE_clEvENKUlvE3_clEvEUlS6_S6_E_S6_EEDaPvRmT3_T4_T5_mT6_P12ihipStream_tbENKUlT_T0_E_clISt17integral_constantIbLb0EESY_EEDaST_SU_EUlST_E_NS1_11comp_targetILNS1_3genE10ELNS1_11target_archE1201ELNS1_3gpuE5ELNS1_3repE0EEENS1_30default_config_static_selectorELNS0_4arch9wavefront6targetE0EEEvT1_.has_recursion, 0
	.set _ZN7rocprim17ROCPRIM_400000_NS6detail17trampoline_kernelINS0_14default_configENS1_20scan_config_selectorIN3c104HalfEEEZZNS1_9scan_implILNS1_25lookback_scan_determinismE0ELb0ELb0ES3_PKS6_PS6_S6_ZZZN2at6native31launch_logcumsumexp_cuda_kernelERKNSD_10TensorBaseESH_lENKUlvE_clEvENKUlvE3_clEvEUlS6_S6_E_S6_EEDaPvRmT3_T4_T5_mT6_P12ihipStream_tbENKUlT_T0_E_clISt17integral_constantIbLb0EESY_EEDaST_SU_EUlST_E_NS1_11comp_targetILNS1_3genE10ELNS1_11target_archE1201ELNS1_3gpuE5ELNS1_3repE0EEENS1_30default_config_static_selectorELNS0_4arch9wavefront6targetE0EEEvT1_.has_indirect_call, 0
	.section	.AMDGPU.csdata,"",@progbits
; Kernel info:
; codeLenInByte = 101548
; TotalNumSgprs: 42
; NumVgprs: 59
; ScratchSize: 0
; MemoryBound: 0
; FloatMode: 240
; IeeeMode: 1
; LDSByteSize: 6144 bytes/workgroup (compile time only)
; SGPRBlocks: 0
; VGPRBlocks: 7
; NumSGPRsForWavesPerEU: 42
; NumVGPRsForWavesPerEU: 59
; Occupancy: 16
; WaveLimiterHint : 1
; COMPUTE_PGM_RSRC2:SCRATCH_EN: 0
; COMPUTE_PGM_RSRC2:USER_SGPR: 2
; COMPUTE_PGM_RSRC2:TRAP_HANDLER: 0
; COMPUTE_PGM_RSRC2:TGID_X_EN: 1
; COMPUTE_PGM_RSRC2:TGID_Y_EN: 0
; COMPUTE_PGM_RSRC2:TGID_Z_EN: 0
; COMPUTE_PGM_RSRC2:TIDIG_COMP_CNT: 0
	.section	.text._ZN7rocprim17ROCPRIM_400000_NS6detail17trampoline_kernelINS0_14default_configENS1_20scan_config_selectorIN3c104HalfEEEZZNS1_9scan_implILNS1_25lookback_scan_determinismE0ELb0ELb0ES3_PKS6_PS6_S6_ZZZN2at6native31launch_logcumsumexp_cuda_kernelERKNSD_10TensorBaseESH_lENKUlvE_clEvENKUlvE3_clEvEUlS6_S6_E_S6_EEDaPvRmT3_T4_T5_mT6_P12ihipStream_tbENKUlT_T0_E_clISt17integral_constantIbLb0EESY_EEDaST_SU_EUlST_E_NS1_11comp_targetILNS1_3genE10ELNS1_11target_archE1200ELNS1_3gpuE4ELNS1_3repE0EEENS1_30default_config_static_selectorELNS0_4arch9wavefront6targetE0EEEvT1_,"axG",@progbits,_ZN7rocprim17ROCPRIM_400000_NS6detail17trampoline_kernelINS0_14default_configENS1_20scan_config_selectorIN3c104HalfEEEZZNS1_9scan_implILNS1_25lookback_scan_determinismE0ELb0ELb0ES3_PKS6_PS6_S6_ZZZN2at6native31launch_logcumsumexp_cuda_kernelERKNSD_10TensorBaseESH_lENKUlvE_clEvENKUlvE3_clEvEUlS6_S6_E_S6_EEDaPvRmT3_T4_T5_mT6_P12ihipStream_tbENKUlT_T0_E_clISt17integral_constantIbLb0EESY_EEDaST_SU_EUlST_E_NS1_11comp_targetILNS1_3genE10ELNS1_11target_archE1200ELNS1_3gpuE4ELNS1_3repE0EEENS1_30default_config_static_selectorELNS0_4arch9wavefront6targetE0EEEvT1_,comdat
	.globl	_ZN7rocprim17ROCPRIM_400000_NS6detail17trampoline_kernelINS0_14default_configENS1_20scan_config_selectorIN3c104HalfEEEZZNS1_9scan_implILNS1_25lookback_scan_determinismE0ELb0ELb0ES3_PKS6_PS6_S6_ZZZN2at6native31launch_logcumsumexp_cuda_kernelERKNSD_10TensorBaseESH_lENKUlvE_clEvENKUlvE3_clEvEUlS6_S6_E_S6_EEDaPvRmT3_T4_T5_mT6_P12ihipStream_tbENKUlT_T0_E_clISt17integral_constantIbLb0EESY_EEDaST_SU_EUlST_E_NS1_11comp_targetILNS1_3genE10ELNS1_11target_archE1200ELNS1_3gpuE4ELNS1_3repE0EEENS1_30default_config_static_selectorELNS0_4arch9wavefront6targetE0EEEvT1_ ; -- Begin function _ZN7rocprim17ROCPRIM_400000_NS6detail17trampoline_kernelINS0_14default_configENS1_20scan_config_selectorIN3c104HalfEEEZZNS1_9scan_implILNS1_25lookback_scan_determinismE0ELb0ELb0ES3_PKS6_PS6_S6_ZZZN2at6native31launch_logcumsumexp_cuda_kernelERKNSD_10TensorBaseESH_lENKUlvE_clEvENKUlvE3_clEvEUlS6_S6_E_S6_EEDaPvRmT3_T4_T5_mT6_P12ihipStream_tbENKUlT_T0_E_clISt17integral_constantIbLb0EESY_EEDaST_SU_EUlST_E_NS1_11comp_targetILNS1_3genE10ELNS1_11target_archE1200ELNS1_3gpuE4ELNS1_3repE0EEENS1_30default_config_static_selectorELNS0_4arch9wavefront6targetE0EEEvT1_
	.p2align	8
	.type	_ZN7rocprim17ROCPRIM_400000_NS6detail17trampoline_kernelINS0_14default_configENS1_20scan_config_selectorIN3c104HalfEEEZZNS1_9scan_implILNS1_25lookback_scan_determinismE0ELb0ELb0ES3_PKS6_PS6_S6_ZZZN2at6native31launch_logcumsumexp_cuda_kernelERKNSD_10TensorBaseESH_lENKUlvE_clEvENKUlvE3_clEvEUlS6_S6_E_S6_EEDaPvRmT3_T4_T5_mT6_P12ihipStream_tbENKUlT_T0_E_clISt17integral_constantIbLb0EESY_EEDaST_SU_EUlST_E_NS1_11comp_targetILNS1_3genE10ELNS1_11target_archE1200ELNS1_3gpuE4ELNS1_3repE0EEENS1_30default_config_static_selectorELNS0_4arch9wavefront6targetE0EEEvT1_,@function
_ZN7rocprim17ROCPRIM_400000_NS6detail17trampoline_kernelINS0_14default_configENS1_20scan_config_selectorIN3c104HalfEEEZZNS1_9scan_implILNS1_25lookback_scan_determinismE0ELb0ELb0ES3_PKS6_PS6_S6_ZZZN2at6native31launch_logcumsumexp_cuda_kernelERKNSD_10TensorBaseESH_lENKUlvE_clEvENKUlvE3_clEvEUlS6_S6_E_S6_EEDaPvRmT3_T4_T5_mT6_P12ihipStream_tbENKUlT_T0_E_clISt17integral_constantIbLb0EESY_EEDaST_SU_EUlST_E_NS1_11comp_targetILNS1_3genE10ELNS1_11target_archE1200ELNS1_3gpuE4ELNS1_3repE0EEENS1_30default_config_static_selectorELNS0_4arch9wavefront6targetE0EEEvT1_: ; @_ZN7rocprim17ROCPRIM_400000_NS6detail17trampoline_kernelINS0_14default_configENS1_20scan_config_selectorIN3c104HalfEEEZZNS1_9scan_implILNS1_25lookback_scan_determinismE0ELb0ELb0ES3_PKS6_PS6_S6_ZZZN2at6native31launch_logcumsumexp_cuda_kernelERKNSD_10TensorBaseESH_lENKUlvE_clEvENKUlvE3_clEvEUlS6_S6_E_S6_EEDaPvRmT3_T4_T5_mT6_P12ihipStream_tbENKUlT_T0_E_clISt17integral_constantIbLb0EESY_EEDaST_SU_EUlST_E_NS1_11comp_targetILNS1_3genE10ELNS1_11target_archE1200ELNS1_3gpuE4ELNS1_3repE0EEENS1_30default_config_static_selectorELNS0_4arch9wavefront6targetE0EEEvT1_
; %bb.0:
	.section	.rodata,"a",@progbits
	.p2align	6, 0x0
	.amdhsa_kernel _ZN7rocprim17ROCPRIM_400000_NS6detail17trampoline_kernelINS0_14default_configENS1_20scan_config_selectorIN3c104HalfEEEZZNS1_9scan_implILNS1_25lookback_scan_determinismE0ELb0ELb0ES3_PKS6_PS6_S6_ZZZN2at6native31launch_logcumsumexp_cuda_kernelERKNSD_10TensorBaseESH_lENKUlvE_clEvENKUlvE3_clEvEUlS6_S6_E_S6_EEDaPvRmT3_T4_T5_mT6_P12ihipStream_tbENKUlT_T0_E_clISt17integral_constantIbLb0EESY_EEDaST_SU_EUlST_E_NS1_11comp_targetILNS1_3genE10ELNS1_11target_archE1200ELNS1_3gpuE4ELNS1_3repE0EEENS1_30default_config_static_selectorELNS0_4arch9wavefront6targetE0EEEvT1_
		.amdhsa_group_segment_fixed_size 0
		.amdhsa_private_segment_fixed_size 0
		.amdhsa_kernarg_size 96
		.amdhsa_user_sgpr_count 2
		.amdhsa_user_sgpr_dispatch_ptr 0
		.amdhsa_user_sgpr_queue_ptr 0
		.amdhsa_user_sgpr_kernarg_segment_ptr 1
		.amdhsa_user_sgpr_dispatch_id 0
		.amdhsa_user_sgpr_private_segment_size 0
		.amdhsa_wavefront_size32 1
		.amdhsa_uses_dynamic_stack 0
		.amdhsa_enable_private_segment 0
		.amdhsa_system_sgpr_workgroup_id_x 1
		.amdhsa_system_sgpr_workgroup_id_y 0
		.amdhsa_system_sgpr_workgroup_id_z 0
		.amdhsa_system_sgpr_workgroup_info 0
		.amdhsa_system_vgpr_workitem_id 0
		.amdhsa_next_free_vgpr 1
		.amdhsa_next_free_sgpr 1
		.amdhsa_reserve_vcc 0
		.amdhsa_float_round_mode_32 0
		.amdhsa_float_round_mode_16_64 0
		.amdhsa_float_denorm_mode_32 3
		.amdhsa_float_denorm_mode_16_64 3
		.amdhsa_fp16_overflow 0
		.amdhsa_workgroup_processor_mode 1
		.amdhsa_memory_ordered 1
		.amdhsa_forward_progress 1
		.amdhsa_inst_pref_size 0
		.amdhsa_round_robin_scheduling 0
		.amdhsa_exception_fp_ieee_invalid_op 0
		.amdhsa_exception_fp_denorm_src 0
		.amdhsa_exception_fp_ieee_div_zero 0
		.amdhsa_exception_fp_ieee_overflow 0
		.amdhsa_exception_fp_ieee_underflow 0
		.amdhsa_exception_fp_ieee_inexact 0
		.amdhsa_exception_int_div_zero 0
	.end_amdhsa_kernel
	.section	.text._ZN7rocprim17ROCPRIM_400000_NS6detail17trampoline_kernelINS0_14default_configENS1_20scan_config_selectorIN3c104HalfEEEZZNS1_9scan_implILNS1_25lookback_scan_determinismE0ELb0ELb0ES3_PKS6_PS6_S6_ZZZN2at6native31launch_logcumsumexp_cuda_kernelERKNSD_10TensorBaseESH_lENKUlvE_clEvENKUlvE3_clEvEUlS6_S6_E_S6_EEDaPvRmT3_T4_T5_mT6_P12ihipStream_tbENKUlT_T0_E_clISt17integral_constantIbLb0EESY_EEDaST_SU_EUlST_E_NS1_11comp_targetILNS1_3genE10ELNS1_11target_archE1200ELNS1_3gpuE4ELNS1_3repE0EEENS1_30default_config_static_selectorELNS0_4arch9wavefront6targetE0EEEvT1_,"axG",@progbits,_ZN7rocprim17ROCPRIM_400000_NS6detail17trampoline_kernelINS0_14default_configENS1_20scan_config_selectorIN3c104HalfEEEZZNS1_9scan_implILNS1_25lookback_scan_determinismE0ELb0ELb0ES3_PKS6_PS6_S6_ZZZN2at6native31launch_logcumsumexp_cuda_kernelERKNSD_10TensorBaseESH_lENKUlvE_clEvENKUlvE3_clEvEUlS6_S6_E_S6_EEDaPvRmT3_T4_T5_mT6_P12ihipStream_tbENKUlT_T0_E_clISt17integral_constantIbLb0EESY_EEDaST_SU_EUlST_E_NS1_11comp_targetILNS1_3genE10ELNS1_11target_archE1200ELNS1_3gpuE4ELNS1_3repE0EEENS1_30default_config_static_selectorELNS0_4arch9wavefront6targetE0EEEvT1_,comdat
.Lfunc_end357:
	.size	_ZN7rocprim17ROCPRIM_400000_NS6detail17trampoline_kernelINS0_14default_configENS1_20scan_config_selectorIN3c104HalfEEEZZNS1_9scan_implILNS1_25lookback_scan_determinismE0ELb0ELb0ES3_PKS6_PS6_S6_ZZZN2at6native31launch_logcumsumexp_cuda_kernelERKNSD_10TensorBaseESH_lENKUlvE_clEvENKUlvE3_clEvEUlS6_S6_E_S6_EEDaPvRmT3_T4_T5_mT6_P12ihipStream_tbENKUlT_T0_E_clISt17integral_constantIbLb0EESY_EEDaST_SU_EUlST_E_NS1_11comp_targetILNS1_3genE10ELNS1_11target_archE1200ELNS1_3gpuE4ELNS1_3repE0EEENS1_30default_config_static_selectorELNS0_4arch9wavefront6targetE0EEEvT1_, .Lfunc_end357-_ZN7rocprim17ROCPRIM_400000_NS6detail17trampoline_kernelINS0_14default_configENS1_20scan_config_selectorIN3c104HalfEEEZZNS1_9scan_implILNS1_25lookback_scan_determinismE0ELb0ELb0ES3_PKS6_PS6_S6_ZZZN2at6native31launch_logcumsumexp_cuda_kernelERKNSD_10TensorBaseESH_lENKUlvE_clEvENKUlvE3_clEvEUlS6_S6_E_S6_EEDaPvRmT3_T4_T5_mT6_P12ihipStream_tbENKUlT_T0_E_clISt17integral_constantIbLb0EESY_EEDaST_SU_EUlST_E_NS1_11comp_targetILNS1_3genE10ELNS1_11target_archE1200ELNS1_3gpuE4ELNS1_3repE0EEENS1_30default_config_static_selectorELNS0_4arch9wavefront6targetE0EEEvT1_
                                        ; -- End function
	.set _ZN7rocprim17ROCPRIM_400000_NS6detail17trampoline_kernelINS0_14default_configENS1_20scan_config_selectorIN3c104HalfEEEZZNS1_9scan_implILNS1_25lookback_scan_determinismE0ELb0ELb0ES3_PKS6_PS6_S6_ZZZN2at6native31launch_logcumsumexp_cuda_kernelERKNSD_10TensorBaseESH_lENKUlvE_clEvENKUlvE3_clEvEUlS6_S6_E_S6_EEDaPvRmT3_T4_T5_mT6_P12ihipStream_tbENKUlT_T0_E_clISt17integral_constantIbLb0EESY_EEDaST_SU_EUlST_E_NS1_11comp_targetILNS1_3genE10ELNS1_11target_archE1200ELNS1_3gpuE4ELNS1_3repE0EEENS1_30default_config_static_selectorELNS0_4arch9wavefront6targetE0EEEvT1_.num_vgpr, 0
	.set _ZN7rocprim17ROCPRIM_400000_NS6detail17trampoline_kernelINS0_14default_configENS1_20scan_config_selectorIN3c104HalfEEEZZNS1_9scan_implILNS1_25lookback_scan_determinismE0ELb0ELb0ES3_PKS6_PS6_S6_ZZZN2at6native31launch_logcumsumexp_cuda_kernelERKNSD_10TensorBaseESH_lENKUlvE_clEvENKUlvE3_clEvEUlS6_S6_E_S6_EEDaPvRmT3_T4_T5_mT6_P12ihipStream_tbENKUlT_T0_E_clISt17integral_constantIbLb0EESY_EEDaST_SU_EUlST_E_NS1_11comp_targetILNS1_3genE10ELNS1_11target_archE1200ELNS1_3gpuE4ELNS1_3repE0EEENS1_30default_config_static_selectorELNS0_4arch9wavefront6targetE0EEEvT1_.num_agpr, 0
	.set _ZN7rocprim17ROCPRIM_400000_NS6detail17trampoline_kernelINS0_14default_configENS1_20scan_config_selectorIN3c104HalfEEEZZNS1_9scan_implILNS1_25lookback_scan_determinismE0ELb0ELb0ES3_PKS6_PS6_S6_ZZZN2at6native31launch_logcumsumexp_cuda_kernelERKNSD_10TensorBaseESH_lENKUlvE_clEvENKUlvE3_clEvEUlS6_S6_E_S6_EEDaPvRmT3_T4_T5_mT6_P12ihipStream_tbENKUlT_T0_E_clISt17integral_constantIbLb0EESY_EEDaST_SU_EUlST_E_NS1_11comp_targetILNS1_3genE10ELNS1_11target_archE1200ELNS1_3gpuE4ELNS1_3repE0EEENS1_30default_config_static_selectorELNS0_4arch9wavefront6targetE0EEEvT1_.numbered_sgpr, 0
	.set _ZN7rocprim17ROCPRIM_400000_NS6detail17trampoline_kernelINS0_14default_configENS1_20scan_config_selectorIN3c104HalfEEEZZNS1_9scan_implILNS1_25lookback_scan_determinismE0ELb0ELb0ES3_PKS6_PS6_S6_ZZZN2at6native31launch_logcumsumexp_cuda_kernelERKNSD_10TensorBaseESH_lENKUlvE_clEvENKUlvE3_clEvEUlS6_S6_E_S6_EEDaPvRmT3_T4_T5_mT6_P12ihipStream_tbENKUlT_T0_E_clISt17integral_constantIbLb0EESY_EEDaST_SU_EUlST_E_NS1_11comp_targetILNS1_3genE10ELNS1_11target_archE1200ELNS1_3gpuE4ELNS1_3repE0EEENS1_30default_config_static_selectorELNS0_4arch9wavefront6targetE0EEEvT1_.num_named_barrier, 0
	.set _ZN7rocprim17ROCPRIM_400000_NS6detail17trampoline_kernelINS0_14default_configENS1_20scan_config_selectorIN3c104HalfEEEZZNS1_9scan_implILNS1_25lookback_scan_determinismE0ELb0ELb0ES3_PKS6_PS6_S6_ZZZN2at6native31launch_logcumsumexp_cuda_kernelERKNSD_10TensorBaseESH_lENKUlvE_clEvENKUlvE3_clEvEUlS6_S6_E_S6_EEDaPvRmT3_T4_T5_mT6_P12ihipStream_tbENKUlT_T0_E_clISt17integral_constantIbLb0EESY_EEDaST_SU_EUlST_E_NS1_11comp_targetILNS1_3genE10ELNS1_11target_archE1200ELNS1_3gpuE4ELNS1_3repE0EEENS1_30default_config_static_selectorELNS0_4arch9wavefront6targetE0EEEvT1_.private_seg_size, 0
	.set _ZN7rocprim17ROCPRIM_400000_NS6detail17trampoline_kernelINS0_14default_configENS1_20scan_config_selectorIN3c104HalfEEEZZNS1_9scan_implILNS1_25lookback_scan_determinismE0ELb0ELb0ES3_PKS6_PS6_S6_ZZZN2at6native31launch_logcumsumexp_cuda_kernelERKNSD_10TensorBaseESH_lENKUlvE_clEvENKUlvE3_clEvEUlS6_S6_E_S6_EEDaPvRmT3_T4_T5_mT6_P12ihipStream_tbENKUlT_T0_E_clISt17integral_constantIbLb0EESY_EEDaST_SU_EUlST_E_NS1_11comp_targetILNS1_3genE10ELNS1_11target_archE1200ELNS1_3gpuE4ELNS1_3repE0EEENS1_30default_config_static_selectorELNS0_4arch9wavefront6targetE0EEEvT1_.uses_vcc, 0
	.set _ZN7rocprim17ROCPRIM_400000_NS6detail17trampoline_kernelINS0_14default_configENS1_20scan_config_selectorIN3c104HalfEEEZZNS1_9scan_implILNS1_25lookback_scan_determinismE0ELb0ELb0ES3_PKS6_PS6_S6_ZZZN2at6native31launch_logcumsumexp_cuda_kernelERKNSD_10TensorBaseESH_lENKUlvE_clEvENKUlvE3_clEvEUlS6_S6_E_S6_EEDaPvRmT3_T4_T5_mT6_P12ihipStream_tbENKUlT_T0_E_clISt17integral_constantIbLb0EESY_EEDaST_SU_EUlST_E_NS1_11comp_targetILNS1_3genE10ELNS1_11target_archE1200ELNS1_3gpuE4ELNS1_3repE0EEENS1_30default_config_static_selectorELNS0_4arch9wavefront6targetE0EEEvT1_.uses_flat_scratch, 0
	.set _ZN7rocprim17ROCPRIM_400000_NS6detail17trampoline_kernelINS0_14default_configENS1_20scan_config_selectorIN3c104HalfEEEZZNS1_9scan_implILNS1_25lookback_scan_determinismE0ELb0ELb0ES3_PKS6_PS6_S6_ZZZN2at6native31launch_logcumsumexp_cuda_kernelERKNSD_10TensorBaseESH_lENKUlvE_clEvENKUlvE3_clEvEUlS6_S6_E_S6_EEDaPvRmT3_T4_T5_mT6_P12ihipStream_tbENKUlT_T0_E_clISt17integral_constantIbLb0EESY_EEDaST_SU_EUlST_E_NS1_11comp_targetILNS1_3genE10ELNS1_11target_archE1200ELNS1_3gpuE4ELNS1_3repE0EEENS1_30default_config_static_selectorELNS0_4arch9wavefront6targetE0EEEvT1_.has_dyn_sized_stack, 0
	.set _ZN7rocprim17ROCPRIM_400000_NS6detail17trampoline_kernelINS0_14default_configENS1_20scan_config_selectorIN3c104HalfEEEZZNS1_9scan_implILNS1_25lookback_scan_determinismE0ELb0ELb0ES3_PKS6_PS6_S6_ZZZN2at6native31launch_logcumsumexp_cuda_kernelERKNSD_10TensorBaseESH_lENKUlvE_clEvENKUlvE3_clEvEUlS6_S6_E_S6_EEDaPvRmT3_T4_T5_mT6_P12ihipStream_tbENKUlT_T0_E_clISt17integral_constantIbLb0EESY_EEDaST_SU_EUlST_E_NS1_11comp_targetILNS1_3genE10ELNS1_11target_archE1200ELNS1_3gpuE4ELNS1_3repE0EEENS1_30default_config_static_selectorELNS0_4arch9wavefront6targetE0EEEvT1_.has_recursion, 0
	.set _ZN7rocprim17ROCPRIM_400000_NS6detail17trampoline_kernelINS0_14default_configENS1_20scan_config_selectorIN3c104HalfEEEZZNS1_9scan_implILNS1_25lookback_scan_determinismE0ELb0ELb0ES3_PKS6_PS6_S6_ZZZN2at6native31launch_logcumsumexp_cuda_kernelERKNSD_10TensorBaseESH_lENKUlvE_clEvENKUlvE3_clEvEUlS6_S6_E_S6_EEDaPvRmT3_T4_T5_mT6_P12ihipStream_tbENKUlT_T0_E_clISt17integral_constantIbLb0EESY_EEDaST_SU_EUlST_E_NS1_11comp_targetILNS1_3genE10ELNS1_11target_archE1200ELNS1_3gpuE4ELNS1_3repE0EEENS1_30default_config_static_selectorELNS0_4arch9wavefront6targetE0EEEvT1_.has_indirect_call, 0
	.section	.AMDGPU.csdata,"",@progbits
; Kernel info:
; codeLenInByte = 0
; TotalNumSgprs: 0
; NumVgprs: 0
; ScratchSize: 0
; MemoryBound: 0
; FloatMode: 240
; IeeeMode: 1
; LDSByteSize: 0 bytes/workgroup (compile time only)
; SGPRBlocks: 0
; VGPRBlocks: 0
; NumSGPRsForWavesPerEU: 1
; NumVGPRsForWavesPerEU: 1
; Occupancy: 16
; WaveLimiterHint : 0
; COMPUTE_PGM_RSRC2:SCRATCH_EN: 0
; COMPUTE_PGM_RSRC2:USER_SGPR: 2
; COMPUTE_PGM_RSRC2:TRAP_HANDLER: 0
; COMPUTE_PGM_RSRC2:TGID_X_EN: 1
; COMPUTE_PGM_RSRC2:TGID_Y_EN: 0
; COMPUTE_PGM_RSRC2:TGID_Z_EN: 0
; COMPUTE_PGM_RSRC2:TIDIG_COMP_CNT: 0
	.section	.text._ZN7rocprim17ROCPRIM_400000_NS6detail17trampoline_kernelINS0_14default_configENS1_20scan_config_selectorIN3c104HalfEEEZZNS1_9scan_implILNS1_25lookback_scan_determinismE0ELb0ELb0ES3_PKS6_PS6_S6_ZZZN2at6native31launch_logcumsumexp_cuda_kernelERKNSD_10TensorBaseESH_lENKUlvE_clEvENKUlvE3_clEvEUlS6_S6_E_S6_EEDaPvRmT3_T4_T5_mT6_P12ihipStream_tbENKUlT_T0_E_clISt17integral_constantIbLb0EESY_EEDaST_SU_EUlST_E_NS1_11comp_targetILNS1_3genE9ELNS1_11target_archE1100ELNS1_3gpuE3ELNS1_3repE0EEENS1_30default_config_static_selectorELNS0_4arch9wavefront6targetE0EEEvT1_,"axG",@progbits,_ZN7rocprim17ROCPRIM_400000_NS6detail17trampoline_kernelINS0_14default_configENS1_20scan_config_selectorIN3c104HalfEEEZZNS1_9scan_implILNS1_25lookback_scan_determinismE0ELb0ELb0ES3_PKS6_PS6_S6_ZZZN2at6native31launch_logcumsumexp_cuda_kernelERKNSD_10TensorBaseESH_lENKUlvE_clEvENKUlvE3_clEvEUlS6_S6_E_S6_EEDaPvRmT3_T4_T5_mT6_P12ihipStream_tbENKUlT_T0_E_clISt17integral_constantIbLb0EESY_EEDaST_SU_EUlST_E_NS1_11comp_targetILNS1_3genE9ELNS1_11target_archE1100ELNS1_3gpuE3ELNS1_3repE0EEENS1_30default_config_static_selectorELNS0_4arch9wavefront6targetE0EEEvT1_,comdat
	.globl	_ZN7rocprim17ROCPRIM_400000_NS6detail17trampoline_kernelINS0_14default_configENS1_20scan_config_selectorIN3c104HalfEEEZZNS1_9scan_implILNS1_25lookback_scan_determinismE0ELb0ELb0ES3_PKS6_PS6_S6_ZZZN2at6native31launch_logcumsumexp_cuda_kernelERKNSD_10TensorBaseESH_lENKUlvE_clEvENKUlvE3_clEvEUlS6_S6_E_S6_EEDaPvRmT3_T4_T5_mT6_P12ihipStream_tbENKUlT_T0_E_clISt17integral_constantIbLb0EESY_EEDaST_SU_EUlST_E_NS1_11comp_targetILNS1_3genE9ELNS1_11target_archE1100ELNS1_3gpuE3ELNS1_3repE0EEENS1_30default_config_static_selectorELNS0_4arch9wavefront6targetE0EEEvT1_ ; -- Begin function _ZN7rocprim17ROCPRIM_400000_NS6detail17trampoline_kernelINS0_14default_configENS1_20scan_config_selectorIN3c104HalfEEEZZNS1_9scan_implILNS1_25lookback_scan_determinismE0ELb0ELb0ES3_PKS6_PS6_S6_ZZZN2at6native31launch_logcumsumexp_cuda_kernelERKNSD_10TensorBaseESH_lENKUlvE_clEvENKUlvE3_clEvEUlS6_S6_E_S6_EEDaPvRmT3_T4_T5_mT6_P12ihipStream_tbENKUlT_T0_E_clISt17integral_constantIbLb0EESY_EEDaST_SU_EUlST_E_NS1_11comp_targetILNS1_3genE9ELNS1_11target_archE1100ELNS1_3gpuE3ELNS1_3repE0EEENS1_30default_config_static_selectorELNS0_4arch9wavefront6targetE0EEEvT1_
	.p2align	8
	.type	_ZN7rocprim17ROCPRIM_400000_NS6detail17trampoline_kernelINS0_14default_configENS1_20scan_config_selectorIN3c104HalfEEEZZNS1_9scan_implILNS1_25lookback_scan_determinismE0ELb0ELb0ES3_PKS6_PS6_S6_ZZZN2at6native31launch_logcumsumexp_cuda_kernelERKNSD_10TensorBaseESH_lENKUlvE_clEvENKUlvE3_clEvEUlS6_S6_E_S6_EEDaPvRmT3_T4_T5_mT6_P12ihipStream_tbENKUlT_T0_E_clISt17integral_constantIbLb0EESY_EEDaST_SU_EUlST_E_NS1_11comp_targetILNS1_3genE9ELNS1_11target_archE1100ELNS1_3gpuE3ELNS1_3repE0EEENS1_30default_config_static_selectorELNS0_4arch9wavefront6targetE0EEEvT1_,@function
_ZN7rocprim17ROCPRIM_400000_NS6detail17trampoline_kernelINS0_14default_configENS1_20scan_config_selectorIN3c104HalfEEEZZNS1_9scan_implILNS1_25lookback_scan_determinismE0ELb0ELb0ES3_PKS6_PS6_S6_ZZZN2at6native31launch_logcumsumexp_cuda_kernelERKNSD_10TensorBaseESH_lENKUlvE_clEvENKUlvE3_clEvEUlS6_S6_E_S6_EEDaPvRmT3_T4_T5_mT6_P12ihipStream_tbENKUlT_T0_E_clISt17integral_constantIbLb0EESY_EEDaST_SU_EUlST_E_NS1_11comp_targetILNS1_3genE9ELNS1_11target_archE1100ELNS1_3gpuE3ELNS1_3repE0EEENS1_30default_config_static_selectorELNS0_4arch9wavefront6targetE0EEEvT1_: ; @_ZN7rocprim17ROCPRIM_400000_NS6detail17trampoline_kernelINS0_14default_configENS1_20scan_config_selectorIN3c104HalfEEEZZNS1_9scan_implILNS1_25lookback_scan_determinismE0ELb0ELb0ES3_PKS6_PS6_S6_ZZZN2at6native31launch_logcumsumexp_cuda_kernelERKNSD_10TensorBaseESH_lENKUlvE_clEvENKUlvE3_clEvEUlS6_S6_E_S6_EEDaPvRmT3_T4_T5_mT6_P12ihipStream_tbENKUlT_T0_E_clISt17integral_constantIbLb0EESY_EEDaST_SU_EUlST_E_NS1_11comp_targetILNS1_3genE9ELNS1_11target_archE1100ELNS1_3gpuE3ELNS1_3repE0EEENS1_30default_config_static_selectorELNS0_4arch9wavefront6targetE0EEEvT1_
; %bb.0:
	.section	.rodata,"a",@progbits
	.p2align	6, 0x0
	.amdhsa_kernel _ZN7rocprim17ROCPRIM_400000_NS6detail17trampoline_kernelINS0_14default_configENS1_20scan_config_selectorIN3c104HalfEEEZZNS1_9scan_implILNS1_25lookback_scan_determinismE0ELb0ELb0ES3_PKS6_PS6_S6_ZZZN2at6native31launch_logcumsumexp_cuda_kernelERKNSD_10TensorBaseESH_lENKUlvE_clEvENKUlvE3_clEvEUlS6_S6_E_S6_EEDaPvRmT3_T4_T5_mT6_P12ihipStream_tbENKUlT_T0_E_clISt17integral_constantIbLb0EESY_EEDaST_SU_EUlST_E_NS1_11comp_targetILNS1_3genE9ELNS1_11target_archE1100ELNS1_3gpuE3ELNS1_3repE0EEENS1_30default_config_static_selectorELNS0_4arch9wavefront6targetE0EEEvT1_
		.amdhsa_group_segment_fixed_size 0
		.amdhsa_private_segment_fixed_size 0
		.amdhsa_kernarg_size 96
		.amdhsa_user_sgpr_count 2
		.amdhsa_user_sgpr_dispatch_ptr 0
		.amdhsa_user_sgpr_queue_ptr 0
		.amdhsa_user_sgpr_kernarg_segment_ptr 1
		.amdhsa_user_sgpr_dispatch_id 0
		.amdhsa_user_sgpr_private_segment_size 0
		.amdhsa_wavefront_size32 1
		.amdhsa_uses_dynamic_stack 0
		.amdhsa_enable_private_segment 0
		.amdhsa_system_sgpr_workgroup_id_x 1
		.amdhsa_system_sgpr_workgroup_id_y 0
		.amdhsa_system_sgpr_workgroup_id_z 0
		.amdhsa_system_sgpr_workgroup_info 0
		.amdhsa_system_vgpr_workitem_id 0
		.amdhsa_next_free_vgpr 1
		.amdhsa_next_free_sgpr 1
		.amdhsa_reserve_vcc 0
		.amdhsa_float_round_mode_32 0
		.amdhsa_float_round_mode_16_64 0
		.amdhsa_float_denorm_mode_32 3
		.amdhsa_float_denorm_mode_16_64 3
		.amdhsa_fp16_overflow 0
		.amdhsa_workgroup_processor_mode 1
		.amdhsa_memory_ordered 1
		.amdhsa_forward_progress 1
		.amdhsa_inst_pref_size 0
		.amdhsa_round_robin_scheduling 0
		.amdhsa_exception_fp_ieee_invalid_op 0
		.amdhsa_exception_fp_denorm_src 0
		.amdhsa_exception_fp_ieee_div_zero 0
		.amdhsa_exception_fp_ieee_overflow 0
		.amdhsa_exception_fp_ieee_underflow 0
		.amdhsa_exception_fp_ieee_inexact 0
		.amdhsa_exception_int_div_zero 0
	.end_amdhsa_kernel
	.section	.text._ZN7rocprim17ROCPRIM_400000_NS6detail17trampoline_kernelINS0_14default_configENS1_20scan_config_selectorIN3c104HalfEEEZZNS1_9scan_implILNS1_25lookback_scan_determinismE0ELb0ELb0ES3_PKS6_PS6_S6_ZZZN2at6native31launch_logcumsumexp_cuda_kernelERKNSD_10TensorBaseESH_lENKUlvE_clEvENKUlvE3_clEvEUlS6_S6_E_S6_EEDaPvRmT3_T4_T5_mT6_P12ihipStream_tbENKUlT_T0_E_clISt17integral_constantIbLb0EESY_EEDaST_SU_EUlST_E_NS1_11comp_targetILNS1_3genE9ELNS1_11target_archE1100ELNS1_3gpuE3ELNS1_3repE0EEENS1_30default_config_static_selectorELNS0_4arch9wavefront6targetE0EEEvT1_,"axG",@progbits,_ZN7rocprim17ROCPRIM_400000_NS6detail17trampoline_kernelINS0_14default_configENS1_20scan_config_selectorIN3c104HalfEEEZZNS1_9scan_implILNS1_25lookback_scan_determinismE0ELb0ELb0ES3_PKS6_PS6_S6_ZZZN2at6native31launch_logcumsumexp_cuda_kernelERKNSD_10TensorBaseESH_lENKUlvE_clEvENKUlvE3_clEvEUlS6_S6_E_S6_EEDaPvRmT3_T4_T5_mT6_P12ihipStream_tbENKUlT_T0_E_clISt17integral_constantIbLb0EESY_EEDaST_SU_EUlST_E_NS1_11comp_targetILNS1_3genE9ELNS1_11target_archE1100ELNS1_3gpuE3ELNS1_3repE0EEENS1_30default_config_static_selectorELNS0_4arch9wavefront6targetE0EEEvT1_,comdat
.Lfunc_end358:
	.size	_ZN7rocprim17ROCPRIM_400000_NS6detail17trampoline_kernelINS0_14default_configENS1_20scan_config_selectorIN3c104HalfEEEZZNS1_9scan_implILNS1_25lookback_scan_determinismE0ELb0ELb0ES3_PKS6_PS6_S6_ZZZN2at6native31launch_logcumsumexp_cuda_kernelERKNSD_10TensorBaseESH_lENKUlvE_clEvENKUlvE3_clEvEUlS6_S6_E_S6_EEDaPvRmT3_T4_T5_mT6_P12ihipStream_tbENKUlT_T0_E_clISt17integral_constantIbLb0EESY_EEDaST_SU_EUlST_E_NS1_11comp_targetILNS1_3genE9ELNS1_11target_archE1100ELNS1_3gpuE3ELNS1_3repE0EEENS1_30default_config_static_selectorELNS0_4arch9wavefront6targetE0EEEvT1_, .Lfunc_end358-_ZN7rocprim17ROCPRIM_400000_NS6detail17trampoline_kernelINS0_14default_configENS1_20scan_config_selectorIN3c104HalfEEEZZNS1_9scan_implILNS1_25lookback_scan_determinismE0ELb0ELb0ES3_PKS6_PS6_S6_ZZZN2at6native31launch_logcumsumexp_cuda_kernelERKNSD_10TensorBaseESH_lENKUlvE_clEvENKUlvE3_clEvEUlS6_S6_E_S6_EEDaPvRmT3_T4_T5_mT6_P12ihipStream_tbENKUlT_T0_E_clISt17integral_constantIbLb0EESY_EEDaST_SU_EUlST_E_NS1_11comp_targetILNS1_3genE9ELNS1_11target_archE1100ELNS1_3gpuE3ELNS1_3repE0EEENS1_30default_config_static_selectorELNS0_4arch9wavefront6targetE0EEEvT1_
                                        ; -- End function
	.set _ZN7rocprim17ROCPRIM_400000_NS6detail17trampoline_kernelINS0_14default_configENS1_20scan_config_selectorIN3c104HalfEEEZZNS1_9scan_implILNS1_25lookback_scan_determinismE0ELb0ELb0ES3_PKS6_PS6_S6_ZZZN2at6native31launch_logcumsumexp_cuda_kernelERKNSD_10TensorBaseESH_lENKUlvE_clEvENKUlvE3_clEvEUlS6_S6_E_S6_EEDaPvRmT3_T4_T5_mT6_P12ihipStream_tbENKUlT_T0_E_clISt17integral_constantIbLb0EESY_EEDaST_SU_EUlST_E_NS1_11comp_targetILNS1_3genE9ELNS1_11target_archE1100ELNS1_3gpuE3ELNS1_3repE0EEENS1_30default_config_static_selectorELNS0_4arch9wavefront6targetE0EEEvT1_.num_vgpr, 0
	.set _ZN7rocprim17ROCPRIM_400000_NS6detail17trampoline_kernelINS0_14default_configENS1_20scan_config_selectorIN3c104HalfEEEZZNS1_9scan_implILNS1_25lookback_scan_determinismE0ELb0ELb0ES3_PKS6_PS6_S6_ZZZN2at6native31launch_logcumsumexp_cuda_kernelERKNSD_10TensorBaseESH_lENKUlvE_clEvENKUlvE3_clEvEUlS6_S6_E_S6_EEDaPvRmT3_T4_T5_mT6_P12ihipStream_tbENKUlT_T0_E_clISt17integral_constantIbLb0EESY_EEDaST_SU_EUlST_E_NS1_11comp_targetILNS1_3genE9ELNS1_11target_archE1100ELNS1_3gpuE3ELNS1_3repE0EEENS1_30default_config_static_selectorELNS0_4arch9wavefront6targetE0EEEvT1_.num_agpr, 0
	.set _ZN7rocprim17ROCPRIM_400000_NS6detail17trampoline_kernelINS0_14default_configENS1_20scan_config_selectorIN3c104HalfEEEZZNS1_9scan_implILNS1_25lookback_scan_determinismE0ELb0ELb0ES3_PKS6_PS6_S6_ZZZN2at6native31launch_logcumsumexp_cuda_kernelERKNSD_10TensorBaseESH_lENKUlvE_clEvENKUlvE3_clEvEUlS6_S6_E_S6_EEDaPvRmT3_T4_T5_mT6_P12ihipStream_tbENKUlT_T0_E_clISt17integral_constantIbLb0EESY_EEDaST_SU_EUlST_E_NS1_11comp_targetILNS1_3genE9ELNS1_11target_archE1100ELNS1_3gpuE3ELNS1_3repE0EEENS1_30default_config_static_selectorELNS0_4arch9wavefront6targetE0EEEvT1_.numbered_sgpr, 0
	.set _ZN7rocprim17ROCPRIM_400000_NS6detail17trampoline_kernelINS0_14default_configENS1_20scan_config_selectorIN3c104HalfEEEZZNS1_9scan_implILNS1_25lookback_scan_determinismE0ELb0ELb0ES3_PKS6_PS6_S6_ZZZN2at6native31launch_logcumsumexp_cuda_kernelERKNSD_10TensorBaseESH_lENKUlvE_clEvENKUlvE3_clEvEUlS6_S6_E_S6_EEDaPvRmT3_T4_T5_mT6_P12ihipStream_tbENKUlT_T0_E_clISt17integral_constantIbLb0EESY_EEDaST_SU_EUlST_E_NS1_11comp_targetILNS1_3genE9ELNS1_11target_archE1100ELNS1_3gpuE3ELNS1_3repE0EEENS1_30default_config_static_selectorELNS0_4arch9wavefront6targetE0EEEvT1_.num_named_barrier, 0
	.set _ZN7rocprim17ROCPRIM_400000_NS6detail17trampoline_kernelINS0_14default_configENS1_20scan_config_selectorIN3c104HalfEEEZZNS1_9scan_implILNS1_25lookback_scan_determinismE0ELb0ELb0ES3_PKS6_PS6_S6_ZZZN2at6native31launch_logcumsumexp_cuda_kernelERKNSD_10TensorBaseESH_lENKUlvE_clEvENKUlvE3_clEvEUlS6_S6_E_S6_EEDaPvRmT3_T4_T5_mT6_P12ihipStream_tbENKUlT_T0_E_clISt17integral_constantIbLb0EESY_EEDaST_SU_EUlST_E_NS1_11comp_targetILNS1_3genE9ELNS1_11target_archE1100ELNS1_3gpuE3ELNS1_3repE0EEENS1_30default_config_static_selectorELNS0_4arch9wavefront6targetE0EEEvT1_.private_seg_size, 0
	.set _ZN7rocprim17ROCPRIM_400000_NS6detail17trampoline_kernelINS0_14default_configENS1_20scan_config_selectorIN3c104HalfEEEZZNS1_9scan_implILNS1_25lookback_scan_determinismE0ELb0ELb0ES3_PKS6_PS6_S6_ZZZN2at6native31launch_logcumsumexp_cuda_kernelERKNSD_10TensorBaseESH_lENKUlvE_clEvENKUlvE3_clEvEUlS6_S6_E_S6_EEDaPvRmT3_T4_T5_mT6_P12ihipStream_tbENKUlT_T0_E_clISt17integral_constantIbLb0EESY_EEDaST_SU_EUlST_E_NS1_11comp_targetILNS1_3genE9ELNS1_11target_archE1100ELNS1_3gpuE3ELNS1_3repE0EEENS1_30default_config_static_selectorELNS0_4arch9wavefront6targetE0EEEvT1_.uses_vcc, 0
	.set _ZN7rocprim17ROCPRIM_400000_NS6detail17trampoline_kernelINS0_14default_configENS1_20scan_config_selectorIN3c104HalfEEEZZNS1_9scan_implILNS1_25lookback_scan_determinismE0ELb0ELb0ES3_PKS6_PS6_S6_ZZZN2at6native31launch_logcumsumexp_cuda_kernelERKNSD_10TensorBaseESH_lENKUlvE_clEvENKUlvE3_clEvEUlS6_S6_E_S6_EEDaPvRmT3_T4_T5_mT6_P12ihipStream_tbENKUlT_T0_E_clISt17integral_constantIbLb0EESY_EEDaST_SU_EUlST_E_NS1_11comp_targetILNS1_3genE9ELNS1_11target_archE1100ELNS1_3gpuE3ELNS1_3repE0EEENS1_30default_config_static_selectorELNS0_4arch9wavefront6targetE0EEEvT1_.uses_flat_scratch, 0
	.set _ZN7rocprim17ROCPRIM_400000_NS6detail17trampoline_kernelINS0_14default_configENS1_20scan_config_selectorIN3c104HalfEEEZZNS1_9scan_implILNS1_25lookback_scan_determinismE0ELb0ELb0ES3_PKS6_PS6_S6_ZZZN2at6native31launch_logcumsumexp_cuda_kernelERKNSD_10TensorBaseESH_lENKUlvE_clEvENKUlvE3_clEvEUlS6_S6_E_S6_EEDaPvRmT3_T4_T5_mT6_P12ihipStream_tbENKUlT_T0_E_clISt17integral_constantIbLb0EESY_EEDaST_SU_EUlST_E_NS1_11comp_targetILNS1_3genE9ELNS1_11target_archE1100ELNS1_3gpuE3ELNS1_3repE0EEENS1_30default_config_static_selectorELNS0_4arch9wavefront6targetE0EEEvT1_.has_dyn_sized_stack, 0
	.set _ZN7rocprim17ROCPRIM_400000_NS6detail17trampoline_kernelINS0_14default_configENS1_20scan_config_selectorIN3c104HalfEEEZZNS1_9scan_implILNS1_25lookback_scan_determinismE0ELb0ELb0ES3_PKS6_PS6_S6_ZZZN2at6native31launch_logcumsumexp_cuda_kernelERKNSD_10TensorBaseESH_lENKUlvE_clEvENKUlvE3_clEvEUlS6_S6_E_S6_EEDaPvRmT3_T4_T5_mT6_P12ihipStream_tbENKUlT_T0_E_clISt17integral_constantIbLb0EESY_EEDaST_SU_EUlST_E_NS1_11comp_targetILNS1_3genE9ELNS1_11target_archE1100ELNS1_3gpuE3ELNS1_3repE0EEENS1_30default_config_static_selectorELNS0_4arch9wavefront6targetE0EEEvT1_.has_recursion, 0
	.set _ZN7rocprim17ROCPRIM_400000_NS6detail17trampoline_kernelINS0_14default_configENS1_20scan_config_selectorIN3c104HalfEEEZZNS1_9scan_implILNS1_25lookback_scan_determinismE0ELb0ELb0ES3_PKS6_PS6_S6_ZZZN2at6native31launch_logcumsumexp_cuda_kernelERKNSD_10TensorBaseESH_lENKUlvE_clEvENKUlvE3_clEvEUlS6_S6_E_S6_EEDaPvRmT3_T4_T5_mT6_P12ihipStream_tbENKUlT_T0_E_clISt17integral_constantIbLb0EESY_EEDaST_SU_EUlST_E_NS1_11comp_targetILNS1_3genE9ELNS1_11target_archE1100ELNS1_3gpuE3ELNS1_3repE0EEENS1_30default_config_static_selectorELNS0_4arch9wavefront6targetE0EEEvT1_.has_indirect_call, 0
	.section	.AMDGPU.csdata,"",@progbits
; Kernel info:
; codeLenInByte = 0
; TotalNumSgprs: 0
; NumVgprs: 0
; ScratchSize: 0
; MemoryBound: 0
; FloatMode: 240
; IeeeMode: 1
; LDSByteSize: 0 bytes/workgroup (compile time only)
; SGPRBlocks: 0
; VGPRBlocks: 0
; NumSGPRsForWavesPerEU: 1
; NumVGPRsForWavesPerEU: 1
; Occupancy: 16
; WaveLimiterHint : 0
; COMPUTE_PGM_RSRC2:SCRATCH_EN: 0
; COMPUTE_PGM_RSRC2:USER_SGPR: 2
; COMPUTE_PGM_RSRC2:TRAP_HANDLER: 0
; COMPUTE_PGM_RSRC2:TGID_X_EN: 1
; COMPUTE_PGM_RSRC2:TGID_Y_EN: 0
; COMPUTE_PGM_RSRC2:TGID_Z_EN: 0
; COMPUTE_PGM_RSRC2:TIDIG_COMP_CNT: 0
	.section	.text._ZN7rocprim17ROCPRIM_400000_NS6detail17trampoline_kernelINS0_14default_configENS1_20scan_config_selectorIN3c104HalfEEEZZNS1_9scan_implILNS1_25lookback_scan_determinismE0ELb0ELb0ES3_PKS6_PS6_S6_ZZZN2at6native31launch_logcumsumexp_cuda_kernelERKNSD_10TensorBaseESH_lENKUlvE_clEvENKUlvE3_clEvEUlS6_S6_E_S6_EEDaPvRmT3_T4_T5_mT6_P12ihipStream_tbENKUlT_T0_E_clISt17integral_constantIbLb0EESY_EEDaST_SU_EUlST_E_NS1_11comp_targetILNS1_3genE8ELNS1_11target_archE1030ELNS1_3gpuE2ELNS1_3repE0EEENS1_30default_config_static_selectorELNS0_4arch9wavefront6targetE0EEEvT1_,"axG",@progbits,_ZN7rocprim17ROCPRIM_400000_NS6detail17trampoline_kernelINS0_14default_configENS1_20scan_config_selectorIN3c104HalfEEEZZNS1_9scan_implILNS1_25lookback_scan_determinismE0ELb0ELb0ES3_PKS6_PS6_S6_ZZZN2at6native31launch_logcumsumexp_cuda_kernelERKNSD_10TensorBaseESH_lENKUlvE_clEvENKUlvE3_clEvEUlS6_S6_E_S6_EEDaPvRmT3_T4_T5_mT6_P12ihipStream_tbENKUlT_T0_E_clISt17integral_constantIbLb0EESY_EEDaST_SU_EUlST_E_NS1_11comp_targetILNS1_3genE8ELNS1_11target_archE1030ELNS1_3gpuE2ELNS1_3repE0EEENS1_30default_config_static_selectorELNS0_4arch9wavefront6targetE0EEEvT1_,comdat
	.globl	_ZN7rocprim17ROCPRIM_400000_NS6detail17trampoline_kernelINS0_14default_configENS1_20scan_config_selectorIN3c104HalfEEEZZNS1_9scan_implILNS1_25lookback_scan_determinismE0ELb0ELb0ES3_PKS6_PS6_S6_ZZZN2at6native31launch_logcumsumexp_cuda_kernelERKNSD_10TensorBaseESH_lENKUlvE_clEvENKUlvE3_clEvEUlS6_S6_E_S6_EEDaPvRmT3_T4_T5_mT6_P12ihipStream_tbENKUlT_T0_E_clISt17integral_constantIbLb0EESY_EEDaST_SU_EUlST_E_NS1_11comp_targetILNS1_3genE8ELNS1_11target_archE1030ELNS1_3gpuE2ELNS1_3repE0EEENS1_30default_config_static_selectorELNS0_4arch9wavefront6targetE0EEEvT1_ ; -- Begin function _ZN7rocprim17ROCPRIM_400000_NS6detail17trampoline_kernelINS0_14default_configENS1_20scan_config_selectorIN3c104HalfEEEZZNS1_9scan_implILNS1_25lookback_scan_determinismE0ELb0ELb0ES3_PKS6_PS6_S6_ZZZN2at6native31launch_logcumsumexp_cuda_kernelERKNSD_10TensorBaseESH_lENKUlvE_clEvENKUlvE3_clEvEUlS6_S6_E_S6_EEDaPvRmT3_T4_T5_mT6_P12ihipStream_tbENKUlT_T0_E_clISt17integral_constantIbLb0EESY_EEDaST_SU_EUlST_E_NS1_11comp_targetILNS1_3genE8ELNS1_11target_archE1030ELNS1_3gpuE2ELNS1_3repE0EEENS1_30default_config_static_selectorELNS0_4arch9wavefront6targetE0EEEvT1_
	.p2align	8
	.type	_ZN7rocprim17ROCPRIM_400000_NS6detail17trampoline_kernelINS0_14default_configENS1_20scan_config_selectorIN3c104HalfEEEZZNS1_9scan_implILNS1_25lookback_scan_determinismE0ELb0ELb0ES3_PKS6_PS6_S6_ZZZN2at6native31launch_logcumsumexp_cuda_kernelERKNSD_10TensorBaseESH_lENKUlvE_clEvENKUlvE3_clEvEUlS6_S6_E_S6_EEDaPvRmT3_T4_T5_mT6_P12ihipStream_tbENKUlT_T0_E_clISt17integral_constantIbLb0EESY_EEDaST_SU_EUlST_E_NS1_11comp_targetILNS1_3genE8ELNS1_11target_archE1030ELNS1_3gpuE2ELNS1_3repE0EEENS1_30default_config_static_selectorELNS0_4arch9wavefront6targetE0EEEvT1_,@function
_ZN7rocprim17ROCPRIM_400000_NS6detail17trampoline_kernelINS0_14default_configENS1_20scan_config_selectorIN3c104HalfEEEZZNS1_9scan_implILNS1_25lookback_scan_determinismE0ELb0ELb0ES3_PKS6_PS6_S6_ZZZN2at6native31launch_logcumsumexp_cuda_kernelERKNSD_10TensorBaseESH_lENKUlvE_clEvENKUlvE3_clEvEUlS6_S6_E_S6_EEDaPvRmT3_T4_T5_mT6_P12ihipStream_tbENKUlT_T0_E_clISt17integral_constantIbLb0EESY_EEDaST_SU_EUlST_E_NS1_11comp_targetILNS1_3genE8ELNS1_11target_archE1030ELNS1_3gpuE2ELNS1_3repE0EEENS1_30default_config_static_selectorELNS0_4arch9wavefront6targetE0EEEvT1_: ; @_ZN7rocprim17ROCPRIM_400000_NS6detail17trampoline_kernelINS0_14default_configENS1_20scan_config_selectorIN3c104HalfEEEZZNS1_9scan_implILNS1_25lookback_scan_determinismE0ELb0ELb0ES3_PKS6_PS6_S6_ZZZN2at6native31launch_logcumsumexp_cuda_kernelERKNSD_10TensorBaseESH_lENKUlvE_clEvENKUlvE3_clEvEUlS6_S6_E_S6_EEDaPvRmT3_T4_T5_mT6_P12ihipStream_tbENKUlT_T0_E_clISt17integral_constantIbLb0EESY_EEDaST_SU_EUlST_E_NS1_11comp_targetILNS1_3genE8ELNS1_11target_archE1030ELNS1_3gpuE2ELNS1_3repE0EEENS1_30default_config_static_selectorELNS0_4arch9wavefront6targetE0EEEvT1_
; %bb.0:
	.section	.rodata,"a",@progbits
	.p2align	6, 0x0
	.amdhsa_kernel _ZN7rocprim17ROCPRIM_400000_NS6detail17trampoline_kernelINS0_14default_configENS1_20scan_config_selectorIN3c104HalfEEEZZNS1_9scan_implILNS1_25lookback_scan_determinismE0ELb0ELb0ES3_PKS6_PS6_S6_ZZZN2at6native31launch_logcumsumexp_cuda_kernelERKNSD_10TensorBaseESH_lENKUlvE_clEvENKUlvE3_clEvEUlS6_S6_E_S6_EEDaPvRmT3_T4_T5_mT6_P12ihipStream_tbENKUlT_T0_E_clISt17integral_constantIbLb0EESY_EEDaST_SU_EUlST_E_NS1_11comp_targetILNS1_3genE8ELNS1_11target_archE1030ELNS1_3gpuE2ELNS1_3repE0EEENS1_30default_config_static_selectorELNS0_4arch9wavefront6targetE0EEEvT1_
		.amdhsa_group_segment_fixed_size 0
		.amdhsa_private_segment_fixed_size 0
		.amdhsa_kernarg_size 96
		.amdhsa_user_sgpr_count 2
		.amdhsa_user_sgpr_dispatch_ptr 0
		.amdhsa_user_sgpr_queue_ptr 0
		.amdhsa_user_sgpr_kernarg_segment_ptr 1
		.amdhsa_user_sgpr_dispatch_id 0
		.amdhsa_user_sgpr_private_segment_size 0
		.amdhsa_wavefront_size32 1
		.amdhsa_uses_dynamic_stack 0
		.amdhsa_enable_private_segment 0
		.amdhsa_system_sgpr_workgroup_id_x 1
		.amdhsa_system_sgpr_workgroup_id_y 0
		.amdhsa_system_sgpr_workgroup_id_z 0
		.amdhsa_system_sgpr_workgroup_info 0
		.amdhsa_system_vgpr_workitem_id 0
		.amdhsa_next_free_vgpr 1
		.amdhsa_next_free_sgpr 1
		.amdhsa_reserve_vcc 0
		.amdhsa_float_round_mode_32 0
		.amdhsa_float_round_mode_16_64 0
		.amdhsa_float_denorm_mode_32 3
		.amdhsa_float_denorm_mode_16_64 3
		.amdhsa_fp16_overflow 0
		.amdhsa_workgroup_processor_mode 1
		.amdhsa_memory_ordered 1
		.amdhsa_forward_progress 1
		.amdhsa_inst_pref_size 0
		.amdhsa_round_robin_scheduling 0
		.amdhsa_exception_fp_ieee_invalid_op 0
		.amdhsa_exception_fp_denorm_src 0
		.amdhsa_exception_fp_ieee_div_zero 0
		.amdhsa_exception_fp_ieee_overflow 0
		.amdhsa_exception_fp_ieee_underflow 0
		.amdhsa_exception_fp_ieee_inexact 0
		.amdhsa_exception_int_div_zero 0
	.end_amdhsa_kernel
	.section	.text._ZN7rocprim17ROCPRIM_400000_NS6detail17trampoline_kernelINS0_14default_configENS1_20scan_config_selectorIN3c104HalfEEEZZNS1_9scan_implILNS1_25lookback_scan_determinismE0ELb0ELb0ES3_PKS6_PS6_S6_ZZZN2at6native31launch_logcumsumexp_cuda_kernelERKNSD_10TensorBaseESH_lENKUlvE_clEvENKUlvE3_clEvEUlS6_S6_E_S6_EEDaPvRmT3_T4_T5_mT6_P12ihipStream_tbENKUlT_T0_E_clISt17integral_constantIbLb0EESY_EEDaST_SU_EUlST_E_NS1_11comp_targetILNS1_3genE8ELNS1_11target_archE1030ELNS1_3gpuE2ELNS1_3repE0EEENS1_30default_config_static_selectorELNS0_4arch9wavefront6targetE0EEEvT1_,"axG",@progbits,_ZN7rocprim17ROCPRIM_400000_NS6detail17trampoline_kernelINS0_14default_configENS1_20scan_config_selectorIN3c104HalfEEEZZNS1_9scan_implILNS1_25lookback_scan_determinismE0ELb0ELb0ES3_PKS6_PS6_S6_ZZZN2at6native31launch_logcumsumexp_cuda_kernelERKNSD_10TensorBaseESH_lENKUlvE_clEvENKUlvE3_clEvEUlS6_S6_E_S6_EEDaPvRmT3_T4_T5_mT6_P12ihipStream_tbENKUlT_T0_E_clISt17integral_constantIbLb0EESY_EEDaST_SU_EUlST_E_NS1_11comp_targetILNS1_3genE8ELNS1_11target_archE1030ELNS1_3gpuE2ELNS1_3repE0EEENS1_30default_config_static_selectorELNS0_4arch9wavefront6targetE0EEEvT1_,comdat
.Lfunc_end359:
	.size	_ZN7rocprim17ROCPRIM_400000_NS6detail17trampoline_kernelINS0_14default_configENS1_20scan_config_selectorIN3c104HalfEEEZZNS1_9scan_implILNS1_25lookback_scan_determinismE0ELb0ELb0ES3_PKS6_PS6_S6_ZZZN2at6native31launch_logcumsumexp_cuda_kernelERKNSD_10TensorBaseESH_lENKUlvE_clEvENKUlvE3_clEvEUlS6_S6_E_S6_EEDaPvRmT3_T4_T5_mT6_P12ihipStream_tbENKUlT_T0_E_clISt17integral_constantIbLb0EESY_EEDaST_SU_EUlST_E_NS1_11comp_targetILNS1_3genE8ELNS1_11target_archE1030ELNS1_3gpuE2ELNS1_3repE0EEENS1_30default_config_static_selectorELNS0_4arch9wavefront6targetE0EEEvT1_, .Lfunc_end359-_ZN7rocprim17ROCPRIM_400000_NS6detail17trampoline_kernelINS0_14default_configENS1_20scan_config_selectorIN3c104HalfEEEZZNS1_9scan_implILNS1_25lookback_scan_determinismE0ELb0ELb0ES3_PKS6_PS6_S6_ZZZN2at6native31launch_logcumsumexp_cuda_kernelERKNSD_10TensorBaseESH_lENKUlvE_clEvENKUlvE3_clEvEUlS6_S6_E_S6_EEDaPvRmT3_T4_T5_mT6_P12ihipStream_tbENKUlT_T0_E_clISt17integral_constantIbLb0EESY_EEDaST_SU_EUlST_E_NS1_11comp_targetILNS1_3genE8ELNS1_11target_archE1030ELNS1_3gpuE2ELNS1_3repE0EEENS1_30default_config_static_selectorELNS0_4arch9wavefront6targetE0EEEvT1_
                                        ; -- End function
	.set _ZN7rocprim17ROCPRIM_400000_NS6detail17trampoline_kernelINS0_14default_configENS1_20scan_config_selectorIN3c104HalfEEEZZNS1_9scan_implILNS1_25lookback_scan_determinismE0ELb0ELb0ES3_PKS6_PS6_S6_ZZZN2at6native31launch_logcumsumexp_cuda_kernelERKNSD_10TensorBaseESH_lENKUlvE_clEvENKUlvE3_clEvEUlS6_S6_E_S6_EEDaPvRmT3_T4_T5_mT6_P12ihipStream_tbENKUlT_T0_E_clISt17integral_constantIbLb0EESY_EEDaST_SU_EUlST_E_NS1_11comp_targetILNS1_3genE8ELNS1_11target_archE1030ELNS1_3gpuE2ELNS1_3repE0EEENS1_30default_config_static_selectorELNS0_4arch9wavefront6targetE0EEEvT1_.num_vgpr, 0
	.set _ZN7rocprim17ROCPRIM_400000_NS6detail17trampoline_kernelINS0_14default_configENS1_20scan_config_selectorIN3c104HalfEEEZZNS1_9scan_implILNS1_25lookback_scan_determinismE0ELb0ELb0ES3_PKS6_PS6_S6_ZZZN2at6native31launch_logcumsumexp_cuda_kernelERKNSD_10TensorBaseESH_lENKUlvE_clEvENKUlvE3_clEvEUlS6_S6_E_S6_EEDaPvRmT3_T4_T5_mT6_P12ihipStream_tbENKUlT_T0_E_clISt17integral_constantIbLb0EESY_EEDaST_SU_EUlST_E_NS1_11comp_targetILNS1_3genE8ELNS1_11target_archE1030ELNS1_3gpuE2ELNS1_3repE0EEENS1_30default_config_static_selectorELNS0_4arch9wavefront6targetE0EEEvT1_.num_agpr, 0
	.set _ZN7rocprim17ROCPRIM_400000_NS6detail17trampoline_kernelINS0_14default_configENS1_20scan_config_selectorIN3c104HalfEEEZZNS1_9scan_implILNS1_25lookback_scan_determinismE0ELb0ELb0ES3_PKS6_PS6_S6_ZZZN2at6native31launch_logcumsumexp_cuda_kernelERKNSD_10TensorBaseESH_lENKUlvE_clEvENKUlvE3_clEvEUlS6_S6_E_S6_EEDaPvRmT3_T4_T5_mT6_P12ihipStream_tbENKUlT_T0_E_clISt17integral_constantIbLb0EESY_EEDaST_SU_EUlST_E_NS1_11comp_targetILNS1_3genE8ELNS1_11target_archE1030ELNS1_3gpuE2ELNS1_3repE0EEENS1_30default_config_static_selectorELNS0_4arch9wavefront6targetE0EEEvT1_.numbered_sgpr, 0
	.set _ZN7rocprim17ROCPRIM_400000_NS6detail17trampoline_kernelINS0_14default_configENS1_20scan_config_selectorIN3c104HalfEEEZZNS1_9scan_implILNS1_25lookback_scan_determinismE0ELb0ELb0ES3_PKS6_PS6_S6_ZZZN2at6native31launch_logcumsumexp_cuda_kernelERKNSD_10TensorBaseESH_lENKUlvE_clEvENKUlvE3_clEvEUlS6_S6_E_S6_EEDaPvRmT3_T4_T5_mT6_P12ihipStream_tbENKUlT_T0_E_clISt17integral_constantIbLb0EESY_EEDaST_SU_EUlST_E_NS1_11comp_targetILNS1_3genE8ELNS1_11target_archE1030ELNS1_3gpuE2ELNS1_3repE0EEENS1_30default_config_static_selectorELNS0_4arch9wavefront6targetE0EEEvT1_.num_named_barrier, 0
	.set _ZN7rocprim17ROCPRIM_400000_NS6detail17trampoline_kernelINS0_14default_configENS1_20scan_config_selectorIN3c104HalfEEEZZNS1_9scan_implILNS1_25lookback_scan_determinismE0ELb0ELb0ES3_PKS6_PS6_S6_ZZZN2at6native31launch_logcumsumexp_cuda_kernelERKNSD_10TensorBaseESH_lENKUlvE_clEvENKUlvE3_clEvEUlS6_S6_E_S6_EEDaPvRmT3_T4_T5_mT6_P12ihipStream_tbENKUlT_T0_E_clISt17integral_constantIbLb0EESY_EEDaST_SU_EUlST_E_NS1_11comp_targetILNS1_3genE8ELNS1_11target_archE1030ELNS1_3gpuE2ELNS1_3repE0EEENS1_30default_config_static_selectorELNS0_4arch9wavefront6targetE0EEEvT1_.private_seg_size, 0
	.set _ZN7rocprim17ROCPRIM_400000_NS6detail17trampoline_kernelINS0_14default_configENS1_20scan_config_selectorIN3c104HalfEEEZZNS1_9scan_implILNS1_25lookback_scan_determinismE0ELb0ELb0ES3_PKS6_PS6_S6_ZZZN2at6native31launch_logcumsumexp_cuda_kernelERKNSD_10TensorBaseESH_lENKUlvE_clEvENKUlvE3_clEvEUlS6_S6_E_S6_EEDaPvRmT3_T4_T5_mT6_P12ihipStream_tbENKUlT_T0_E_clISt17integral_constantIbLb0EESY_EEDaST_SU_EUlST_E_NS1_11comp_targetILNS1_3genE8ELNS1_11target_archE1030ELNS1_3gpuE2ELNS1_3repE0EEENS1_30default_config_static_selectorELNS0_4arch9wavefront6targetE0EEEvT1_.uses_vcc, 0
	.set _ZN7rocprim17ROCPRIM_400000_NS6detail17trampoline_kernelINS0_14default_configENS1_20scan_config_selectorIN3c104HalfEEEZZNS1_9scan_implILNS1_25lookback_scan_determinismE0ELb0ELb0ES3_PKS6_PS6_S6_ZZZN2at6native31launch_logcumsumexp_cuda_kernelERKNSD_10TensorBaseESH_lENKUlvE_clEvENKUlvE3_clEvEUlS6_S6_E_S6_EEDaPvRmT3_T4_T5_mT6_P12ihipStream_tbENKUlT_T0_E_clISt17integral_constantIbLb0EESY_EEDaST_SU_EUlST_E_NS1_11comp_targetILNS1_3genE8ELNS1_11target_archE1030ELNS1_3gpuE2ELNS1_3repE0EEENS1_30default_config_static_selectorELNS0_4arch9wavefront6targetE0EEEvT1_.uses_flat_scratch, 0
	.set _ZN7rocprim17ROCPRIM_400000_NS6detail17trampoline_kernelINS0_14default_configENS1_20scan_config_selectorIN3c104HalfEEEZZNS1_9scan_implILNS1_25lookback_scan_determinismE0ELb0ELb0ES3_PKS6_PS6_S6_ZZZN2at6native31launch_logcumsumexp_cuda_kernelERKNSD_10TensorBaseESH_lENKUlvE_clEvENKUlvE3_clEvEUlS6_S6_E_S6_EEDaPvRmT3_T4_T5_mT6_P12ihipStream_tbENKUlT_T0_E_clISt17integral_constantIbLb0EESY_EEDaST_SU_EUlST_E_NS1_11comp_targetILNS1_3genE8ELNS1_11target_archE1030ELNS1_3gpuE2ELNS1_3repE0EEENS1_30default_config_static_selectorELNS0_4arch9wavefront6targetE0EEEvT1_.has_dyn_sized_stack, 0
	.set _ZN7rocprim17ROCPRIM_400000_NS6detail17trampoline_kernelINS0_14default_configENS1_20scan_config_selectorIN3c104HalfEEEZZNS1_9scan_implILNS1_25lookback_scan_determinismE0ELb0ELb0ES3_PKS6_PS6_S6_ZZZN2at6native31launch_logcumsumexp_cuda_kernelERKNSD_10TensorBaseESH_lENKUlvE_clEvENKUlvE3_clEvEUlS6_S6_E_S6_EEDaPvRmT3_T4_T5_mT6_P12ihipStream_tbENKUlT_T0_E_clISt17integral_constantIbLb0EESY_EEDaST_SU_EUlST_E_NS1_11comp_targetILNS1_3genE8ELNS1_11target_archE1030ELNS1_3gpuE2ELNS1_3repE0EEENS1_30default_config_static_selectorELNS0_4arch9wavefront6targetE0EEEvT1_.has_recursion, 0
	.set _ZN7rocprim17ROCPRIM_400000_NS6detail17trampoline_kernelINS0_14default_configENS1_20scan_config_selectorIN3c104HalfEEEZZNS1_9scan_implILNS1_25lookback_scan_determinismE0ELb0ELb0ES3_PKS6_PS6_S6_ZZZN2at6native31launch_logcumsumexp_cuda_kernelERKNSD_10TensorBaseESH_lENKUlvE_clEvENKUlvE3_clEvEUlS6_S6_E_S6_EEDaPvRmT3_T4_T5_mT6_P12ihipStream_tbENKUlT_T0_E_clISt17integral_constantIbLb0EESY_EEDaST_SU_EUlST_E_NS1_11comp_targetILNS1_3genE8ELNS1_11target_archE1030ELNS1_3gpuE2ELNS1_3repE0EEENS1_30default_config_static_selectorELNS0_4arch9wavefront6targetE0EEEvT1_.has_indirect_call, 0
	.section	.AMDGPU.csdata,"",@progbits
; Kernel info:
; codeLenInByte = 0
; TotalNumSgprs: 0
; NumVgprs: 0
; ScratchSize: 0
; MemoryBound: 0
; FloatMode: 240
; IeeeMode: 1
; LDSByteSize: 0 bytes/workgroup (compile time only)
; SGPRBlocks: 0
; VGPRBlocks: 0
; NumSGPRsForWavesPerEU: 1
; NumVGPRsForWavesPerEU: 1
; Occupancy: 16
; WaveLimiterHint : 0
; COMPUTE_PGM_RSRC2:SCRATCH_EN: 0
; COMPUTE_PGM_RSRC2:USER_SGPR: 2
; COMPUTE_PGM_RSRC2:TRAP_HANDLER: 0
; COMPUTE_PGM_RSRC2:TGID_X_EN: 1
; COMPUTE_PGM_RSRC2:TGID_Y_EN: 0
; COMPUTE_PGM_RSRC2:TGID_Z_EN: 0
; COMPUTE_PGM_RSRC2:TIDIG_COMP_CNT: 0
	.section	.text._ZN7rocprim17ROCPRIM_400000_NS6detail17trampoline_kernelINS0_14default_configENS1_25transform_config_selectorIN3c104HalfELb1EEEZNS1_14transform_implILb1ES3_S7_PS6_S9_NS0_8identityIS6_EEEE10hipError_tT2_T3_mT4_P12ihipStream_tbEUlT_E_NS1_11comp_targetILNS1_3genE0ELNS1_11target_archE4294967295ELNS1_3gpuE0ELNS1_3repE0EEENS1_30default_config_static_selectorELNS0_4arch9wavefront6targetE0EEEvT1_,"axG",@progbits,_ZN7rocprim17ROCPRIM_400000_NS6detail17trampoline_kernelINS0_14default_configENS1_25transform_config_selectorIN3c104HalfELb1EEEZNS1_14transform_implILb1ES3_S7_PS6_S9_NS0_8identityIS6_EEEE10hipError_tT2_T3_mT4_P12ihipStream_tbEUlT_E_NS1_11comp_targetILNS1_3genE0ELNS1_11target_archE4294967295ELNS1_3gpuE0ELNS1_3repE0EEENS1_30default_config_static_selectorELNS0_4arch9wavefront6targetE0EEEvT1_,comdat
	.protected	_ZN7rocprim17ROCPRIM_400000_NS6detail17trampoline_kernelINS0_14default_configENS1_25transform_config_selectorIN3c104HalfELb1EEEZNS1_14transform_implILb1ES3_S7_PS6_S9_NS0_8identityIS6_EEEE10hipError_tT2_T3_mT4_P12ihipStream_tbEUlT_E_NS1_11comp_targetILNS1_3genE0ELNS1_11target_archE4294967295ELNS1_3gpuE0ELNS1_3repE0EEENS1_30default_config_static_selectorELNS0_4arch9wavefront6targetE0EEEvT1_ ; -- Begin function _ZN7rocprim17ROCPRIM_400000_NS6detail17trampoline_kernelINS0_14default_configENS1_25transform_config_selectorIN3c104HalfELb1EEEZNS1_14transform_implILb1ES3_S7_PS6_S9_NS0_8identityIS6_EEEE10hipError_tT2_T3_mT4_P12ihipStream_tbEUlT_E_NS1_11comp_targetILNS1_3genE0ELNS1_11target_archE4294967295ELNS1_3gpuE0ELNS1_3repE0EEENS1_30default_config_static_selectorELNS0_4arch9wavefront6targetE0EEEvT1_
	.globl	_ZN7rocprim17ROCPRIM_400000_NS6detail17trampoline_kernelINS0_14default_configENS1_25transform_config_selectorIN3c104HalfELb1EEEZNS1_14transform_implILb1ES3_S7_PS6_S9_NS0_8identityIS6_EEEE10hipError_tT2_T3_mT4_P12ihipStream_tbEUlT_E_NS1_11comp_targetILNS1_3genE0ELNS1_11target_archE4294967295ELNS1_3gpuE0ELNS1_3repE0EEENS1_30default_config_static_selectorELNS0_4arch9wavefront6targetE0EEEvT1_
	.p2align	8
	.type	_ZN7rocprim17ROCPRIM_400000_NS6detail17trampoline_kernelINS0_14default_configENS1_25transform_config_selectorIN3c104HalfELb1EEEZNS1_14transform_implILb1ES3_S7_PS6_S9_NS0_8identityIS6_EEEE10hipError_tT2_T3_mT4_P12ihipStream_tbEUlT_E_NS1_11comp_targetILNS1_3genE0ELNS1_11target_archE4294967295ELNS1_3gpuE0ELNS1_3repE0EEENS1_30default_config_static_selectorELNS0_4arch9wavefront6targetE0EEEvT1_,@function
_ZN7rocprim17ROCPRIM_400000_NS6detail17trampoline_kernelINS0_14default_configENS1_25transform_config_selectorIN3c104HalfELb1EEEZNS1_14transform_implILb1ES3_S7_PS6_S9_NS0_8identityIS6_EEEE10hipError_tT2_T3_mT4_P12ihipStream_tbEUlT_E_NS1_11comp_targetILNS1_3genE0ELNS1_11target_archE4294967295ELNS1_3gpuE0ELNS1_3repE0EEENS1_30default_config_static_selectorELNS0_4arch9wavefront6targetE0EEEvT1_: ; @_ZN7rocprim17ROCPRIM_400000_NS6detail17trampoline_kernelINS0_14default_configENS1_25transform_config_selectorIN3c104HalfELb1EEEZNS1_14transform_implILb1ES3_S7_PS6_S9_NS0_8identityIS6_EEEE10hipError_tT2_T3_mT4_P12ihipStream_tbEUlT_E_NS1_11comp_targetILNS1_3genE0ELNS1_11target_archE4294967295ELNS1_3gpuE0ELNS1_3repE0EEENS1_30default_config_static_selectorELNS0_4arch9wavefront6targetE0EEEvT1_
; %bb.0:
	.section	.rodata,"a",@progbits
	.p2align	6, 0x0
	.amdhsa_kernel _ZN7rocprim17ROCPRIM_400000_NS6detail17trampoline_kernelINS0_14default_configENS1_25transform_config_selectorIN3c104HalfELb1EEEZNS1_14transform_implILb1ES3_S7_PS6_S9_NS0_8identityIS6_EEEE10hipError_tT2_T3_mT4_P12ihipStream_tbEUlT_E_NS1_11comp_targetILNS1_3genE0ELNS1_11target_archE4294967295ELNS1_3gpuE0ELNS1_3repE0EEENS1_30default_config_static_selectorELNS0_4arch9wavefront6targetE0EEEvT1_
		.amdhsa_group_segment_fixed_size 0
		.amdhsa_private_segment_fixed_size 0
		.amdhsa_kernarg_size 40
		.amdhsa_user_sgpr_count 2
		.amdhsa_user_sgpr_dispatch_ptr 0
		.amdhsa_user_sgpr_queue_ptr 0
		.amdhsa_user_sgpr_kernarg_segment_ptr 1
		.amdhsa_user_sgpr_dispatch_id 0
		.amdhsa_user_sgpr_private_segment_size 0
		.amdhsa_wavefront_size32 1
		.amdhsa_uses_dynamic_stack 0
		.amdhsa_enable_private_segment 0
		.amdhsa_system_sgpr_workgroup_id_x 1
		.amdhsa_system_sgpr_workgroup_id_y 0
		.amdhsa_system_sgpr_workgroup_id_z 0
		.amdhsa_system_sgpr_workgroup_info 0
		.amdhsa_system_vgpr_workitem_id 0
		.amdhsa_next_free_vgpr 1
		.amdhsa_next_free_sgpr 1
		.amdhsa_reserve_vcc 0
		.amdhsa_float_round_mode_32 0
		.amdhsa_float_round_mode_16_64 0
		.amdhsa_float_denorm_mode_32 3
		.amdhsa_float_denorm_mode_16_64 3
		.amdhsa_fp16_overflow 0
		.amdhsa_workgroup_processor_mode 1
		.amdhsa_memory_ordered 1
		.amdhsa_forward_progress 1
		.amdhsa_inst_pref_size 0
		.amdhsa_round_robin_scheduling 0
		.amdhsa_exception_fp_ieee_invalid_op 0
		.amdhsa_exception_fp_denorm_src 0
		.amdhsa_exception_fp_ieee_div_zero 0
		.amdhsa_exception_fp_ieee_overflow 0
		.amdhsa_exception_fp_ieee_underflow 0
		.amdhsa_exception_fp_ieee_inexact 0
		.amdhsa_exception_int_div_zero 0
	.end_amdhsa_kernel
	.section	.text._ZN7rocprim17ROCPRIM_400000_NS6detail17trampoline_kernelINS0_14default_configENS1_25transform_config_selectorIN3c104HalfELb1EEEZNS1_14transform_implILb1ES3_S7_PS6_S9_NS0_8identityIS6_EEEE10hipError_tT2_T3_mT4_P12ihipStream_tbEUlT_E_NS1_11comp_targetILNS1_3genE0ELNS1_11target_archE4294967295ELNS1_3gpuE0ELNS1_3repE0EEENS1_30default_config_static_selectorELNS0_4arch9wavefront6targetE0EEEvT1_,"axG",@progbits,_ZN7rocprim17ROCPRIM_400000_NS6detail17trampoline_kernelINS0_14default_configENS1_25transform_config_selectorIN3c104HalfELb1EEEZNS1_14transform_implILb1ES3_S7_PS6_S9_NS0_8identityIS6_EEEE10hipError_tT2_T3_mT4_P12ihipStream_tbEUlT_E_NS1_11comp_targetILNS1_3genE0ELNS1_11target_archE4294967295ELNS1_3gpuE0ELNS1_3repE0EEENS1_30default_config_static_selectorELNS0_4arch9wavefront6targetE0EEEvT1_,comdat
.Lfunc_end360:
	.size	_ZN7rocprim17ROCPRIM_400000_NS6detail17trampoline_kernelINS0_14default_configENS1_25transform_config_selectorIN3c104HalfELb1EEEZNS1_14transform_implILb1ES3_S7_PS6_S9_NS0_8identityIS6_EEEE10hipError_tT2_T3_mT4_P12ihipStream_tbEUlT_E_NS1_11comp_targetILNS1_3genE0ELNS1_11target_archE4294967295ELNS1_3gpuE0ELNS1_3repE0EEENS1_30default_config_static_selectorELNS0_4arch9wavefront6targetE0EEEvT1_, .Lfunc_end360-_ZN7rocprim17ROCPRIM_400000_NS6detail17trampoline_kernelINS0_14default_configENS1_25transform_config_selectorIN3c104HalfELb1EEEZNS1_14transform_implILb1ES3_S7_PS6_S9_NS0_8identityIS6_EEEE10hipError_tT2_T3_mT4_P12ihipStream_tbEUlT_E_NS1_11comp_targetILNS1_3genE0ELNS1_11target_archE4294967295ELNS1_3gpuE0ELNS1_3repE0EEENS1_30default_config_static_selectorELNS0_4arch9wavefront6targetE0EEEvT1_
                                        ; -- End function
	.set _ZN7rocprim17ROCPRIM_400000_NS6detail17trampoline_kernelINS0_14default_configENS1_25transform_config_selectorIN3c104HalfELb1EEEZNS1_14transform_implILb1ES3_S7_PS6_S9_NS0_8identityIS6_EEEE10hipError_tT2_T3_mT4_P12ihipStream_tbEUlT_E_NS1_11comp_targetILNS1_3genE0ELNS1_11target_archE4294967295ELNS1_3gpuE0ELNS1_3repE0EEENS1_30default_config_static_selectorELNS0_4arch9wavefront6targetE0EEEvT1_.num_vgpr, 0
	.set _ZN7rocprim17ROCPRIM_400000_NS6detail17trampoline_kernelINS0_14default_configENS1_25transform_config_selectorIN3c104HalfELb1EEEZNS1_14transform_implILb1ES3_S7_PS6_S9_NS0_8identityIS6_EEEE10hipError_tT2_T3_mT4_P12ihipStream_tbEUlT_E_NS1_11comp_targetILNS1_3genE0ELNS1_11target_archE4294967295ELNS1_3gpuE0ELNS1_3repE0EEENS1_30default_config_static_selectorELNS0_4arch9wavefront6targetE0EEEvT1_.num_agpr, 0
	.set _ZN7rocprim17ROCPRIM_400000_NS6detail17trampoline_kernelINS0_14default_configENS1_25transform_config_selectorIN3c104HalfELb1EEEZNS1_14transform_implILb1ES3_S7_PS6_S9_NS0_8identityIS6_EEEE10hipError_tT2_T3_mT4_P12ihipStream_tbEUlT_E_NS1_11comp_targetILNS1_3genE0ELNS1_11target_archE4294967295ELNS1_3gpuE0ELNS1_3repE0EEENS1_30default_config_static_selectorELNS0_4arch9wavefront6targetE0EEEvT1_.numbered_sgpr, 0
	.set _ZN7rocprim17ROCPRIM_400000_NS6detail17trampoline_kernelINS0_14default_configENS1_25transform_config_selectorIN3c104HalfELb1EEEZNS1_14transform_implILb1ES3_S7_PS6_S9_NS0_8identityIS6_EEEE10hipError_tT2_T3_mT4_P12ihipStream_tbEUlT_E_NS1_11comp_targetILNS1_3genE0ELNS1_11target_archE4294967295ELNS1_3gpuE0ELNS1_3repE0EEENS1_30default_config_static_selectorELNS0_4arch9wavefront6targetE0EEEvT1_.num_named_barrier, 0
	.set _ZN7rocprim17ROCPRIM_400000_NS6detail17trampoline_kernelINS0_14default_configENS1_25transform_config_selectorIN3c104HalfELb1EEEZNS1_14transform_implILb1ES3_S7_PS6_S9_NS0_8identityIS6_EEEE10hipError_tT2_T3_mT4_P12ihipStream_tbEUlT_E_NS1_11comp_targetILNS1_3genE0ELNS1_11target_archE4294967295ELNS1_3gpuE0ELNS1_3repE0EEENS1_30default_config_static_selectorELNS0_4arch9wavefront6targetE0EEEvT1_.private_seg_size, 0
	.set _ZN7rocprim17ROCPRIM_400000_NS6detail17trampoline_kernelINS0_14default_configENS1_25transform_config_selectorIN3c104HalfELb1EEEZNS1_14transform_implILb1ES3_S7_PS6_S9_NS0_8identityIS6_EEEE10hipError_tT2_T3_mT4_P12ihipStream_tbEUlT_E_NS1_11comp_targetILNS1_3genE0ELNS1_11target_archE4294967295ELNS1_3gpuE0ELNS1_3repE0EEENS1_30default_config_static_selectorELNS0_4arch9wavefront6targetE0EEEvT1_.uses_vcc, 0
	.set _ZN7rocprim17ROCPRIM_400000_NS6detail17trampoline_kernelINS0_14default_configENS1_25transform_config_selectorIN3c104HalfELb1EEEZNS1_14transform_implILb1ES3_S7_PS6_S9_NS0_8identityIS6_EEEE10hipError_tT2_T3_mT4_P12ihipStream_tbEUlT_E_NS1_11comp_targetILNS1_3genE0ELNS1_11target_archE4294967295ELNS1_3gpuE0ELNS1_3repE0EEENS1_30default_config_static_selectorELNS0_4arch9wavefront6targetE0EEEvT1_.uses_flat_scratch, 0
	.set _ZN7rocprim17ROCPRIM_400000_NS6detail17trampoline_kernelINS0_14default_configENS1_25transform_config_selectorIN3c104HalfELb1EEEZNS1_14transform_implILb1ES3_S7_PS6_S9_NS0_8identityIS6_EEEE10hipError_tT2_T3_mT4_P12ihipStream_tbEUlT_E_NS1_11comp_targetILNS1_3genE0ELNS1_11target_archE4294967295ELNS1_3gpuE0ELNS1_3repE0EEENS1_30default_config_static_selectorELNS0_4arch9wavefront6targetE0EEEvT1_.has_dyn_sized_stack, 0
	.set _ZN7rocprim17ROCPRIM_400000_NS6detail17trampoline_kernelINS0_14default_configENS1_25transform_config_selectorIN3c104HalfELb1EEEZNS1_14transform_implILb1ES3_S7_PS6_S9_NS0_8identityIS6_EEEE10hipError_tT2_T3_mT4_P12ihipStream_tbEUlT_E_NS1_11comp_targetILNS1_3genE0ELNS1_11target_archE4294967295ELNS1_3gpuE0ELNS1_3repE0EEENS1_30default_config_static_selectorELNS0_4arch9wavefront6targetE0EEEvT1_.has_recursion, 0
	.set _ZN7rocprim17ROCPRIM_400000_NS6detail17trampoline_kernelINS0_14default_configENS1_25transform_config_selectorIN3c104HalfELb1EEEZNS1_14transform_implILb1ES3_S7_PS6_S9_NS0_8identityIS6_EEEE10hipError_tT2_T3_mT4_P12ihipStream_tbEUlT_E_NS1_11comp_targetILNS1_3genE0ELNS1_11target_archE4294967295ELNS1_3gpuE0ELNS1_3repE0EEENS1_30default_config_static_selectorELNS0_4arch9wavefront6targetE0EEEvT1_.has_indirect_call, 0
	.section	.AMDGPU.csdata,"",@progbits
; Kernel info:
; codeLenInByte = 0
; TotalNumSgprs: 0
; NumVgprs: 0
; ScratchSize: 0
; MemoryBound: 0
; FloatMode: 240
; IeeeMode: 1
; LDSByteSize: 0 bytes/workgroup (compile time only)
; SGPRBlocks: 0
; VGPRBlocks: 0
; NumSGPRsForWavesPerEU: 1
; NumVGPRsForWavesPerEU: 1
; Occupancy: 16
; WaveLimiterHint : 0
; COMPUTE_PGM_RSRC2:SCRATCH_EN: 0
; COMPUTE_PGM_RSRC2:USER_SGPR: 2
; COMPUTE_PGM_RSRC2:TRAP_HANDLER: 0
; COMPUTE_PGM_RSRC2:TGID_X_EN: 1
; COMPUTE_PGM_RSRC2:TGID_Y_EN: 0
; COMPUTE_PGM_RSRC2:TGID_Z_EN: 0
; COMPUTE_PGM_RSRC2:TIDIG_COMP_CNT: 0
	.section	.text._ZN7rocprim17ROCPRIM_400000_NS6detail17trampoline_kernelINS0_14default_configENS1_25transform_config_selectorIN3c104HalfELb1EEEZNS1_14transform_implILb1ES3_S7_PS6_S9_NS0_8identityIS6_EEEE10hipError_tT2_T3_mT4_P12ihipStream_tbEUlT_E_NS1_11comp_targetILNS1_3genE10ELNS1_11target_archE1201ELNS1_3gpuE5ELNS1_3repE0EEENS1_30default_config_static_selectorELNS0_4arch9wavefront6targetE0EEEvT1_,"axG",@progbits,_ZN7rocprim17ROCPRIM_400000_NS6detail17trampoline_kernelINS0_14default_configENS1_25transform_config_selectorIN3c104HalfELb1EEEZNS1_14transform_implILb1ES3_S7_PS6_S9_NS0_8identityIS6_EEEE10hipError_tT2_T3_mT4_P12ihipStream_tbEUlT_E_NS1_11comp_targetILNS1_3genE10ELNS1_11target_archE1201ELNS1_3gpuE5ELNS1_3repE0EEENS1_30default_config_static_selectorELNS0_4arch9wavefront6targetE0EEEvT1_,comdat
	.protected	_ZN7rocprim17ROCPRIM_400000_NS6detail17trampoline_kernelINS0_14default_configENS1_25transform_config_selectorIN3c104HalfELb1EEEZNS1_14transform_implILb1ES3_S7_PS6_S9_NS0_8identityIS6_EEEE10hipError_tT2_T3_mT4_P12ihipStream_tbEUlT_E_NS1_11comp_targetILNS1_3genE10ELNS1_11target_archE1201ELNS1_3gpuE5ELNS1_3repE0EEENS1_30default_config_static_selectorELNS0_4arch9wavefront6targetE0EEEvT1_ ; -- Begin function _ZN7rocprim17ROCPRIM_400000_NS6detail17trampoline_kernelINS0_14default_configENS1_25transform_config_selectorIN3c104HalfELb1EEEZNS1_14transform_implILb1ES3_S7_PS6_S9_NS0_8identityIS6_EEEE10hipError_tT2_T3_mT4_P12ihipStream_tbEUlT_E_NS1_11comp_targetILNS1_3genE10ELNS1_11target_archE1201ELNS1_3gpuE5ELNS1_3repE0EEENS1_30default_config_static_selectorELNS0_4arch9wavefront6targetE0EEEvT1_
	.globl	_ZN7rocprim17ROCPRIM_400000_NS6detail17trampoline_kernelINS0_14default_configENS1_25transform_config_selectorIN3c104HalfELb1EEEZNS1_14transform_implILb1ES3_S7_PS6_S9_NS0_8identityIS6_EEEE10hipError_tT2_T3_mT4_P12ihipStream_tbEUlT_E_NS1_11comp_targetILNS1_3genE10ELNS1_11target_archE1201ELNS1_3gpuE5ELNS1_3repE0EEENS1_30default_config_static_selectorELNS0_4arch9wavefront6targetE0EEEvT1_
	.p2align	8
	.type	_ZN7rocprim17ROCPRIM_400000_NS6detail17trampoline_kernelINS0_14default_configENS1_25transform_config_selectorIN3c104HalfELb1EEEZNS1_14transform_implILb1ES3_S7_PS6_S9_NS0_8identityIS6_EEEE10hipError_tT2_T3_mT4_P12ihipStream_tbEUlT_E_NS1_11comp_targetILNS1_3genE10ELNS1_11target_archE1201ELNS1_3gpuE5ELNS1_3repE0EEENS1_30default_config_static_selectorELNS0_4arch9wavefront6targetE0EEEvT1_,@function
_ZN7rocprim17ROCPRIM_400000_NS6detail17trampoline_kernelINS0_14default_configENS1_25transform_config_selectorIN3c104HalfELb1EEEZNS1_14transform_implILb1ES3_S7_PS6_S9_NS0_8identityIS6_EEEE10hipError_tT2_T3_mT4_P12ihipStream_tbEUlT_E_NS1_11comp_targetILNS1_3genE10ELNS1_11target_archE1201ELNS1_3gpuE5ELNS1_3repE0EEENS1_30default_config_static_selectorELNS0_4arch9wavefront6targetE0EEEvT1_: ; @_ZN7rocprim17ROCPRIM_400000_NS6detail17trampoline_kernelINS0_14default_configENS1_25transform_config_selectorIN3c104HalfELb1EEEZNS1_14transform_implILb1ES3_S7_PS6_S9_NS0_8identityIS6_EEEE10hipError_tT2_T3_mT4_P12ihipStream_tbEUlT_E_NS1_11comp_targetILNS1_3genE10ELNS1_11target_archE1201ELNS1_3gpuE5ELNS1_3repE0EEENS1_30default_config_static_selectorELNS0_4arch9wavefront6targetE0EEEvT1_
; %bb.0:
	s_clause 0x1
	s_load_b256 s[4:11], s[0:1], 0x0
	s_load_b32 s12, s[0:1], 0x28
	s_lshl_b32 s0, ttmp9, 7
	s_mov_b32 s1, 0
	s_wait_kmcnt 0x0
	s_mov_b32 s9, -1
	s_lshl_b64 s[2:3], s[6:7], 1
	s_add_co_i32 s12, s12, -1
	s_add_nc_u64 s[6:7], s[4:5], s[2:3]
	s_lshl_b64 s[4:5], s[0:1], 1
	s_add_nc_u64 s[2:3], s[10:11], s[2:3]
	s_cmp_lg_u32 ttmp9, s12
	s_add_nc_u64 s[6:7], s[6:7], s[4:5]
	s_cbranch_scc0 .LBB361_2
; %bb.1:
	v_lshlrev_b32_e32 v1, 2, v0
	s_add_nc_u64 s[10:11], s[2:3], s[4:5]
	s_mov_b32 s9, 0
	global_load_b32 v2, v1, s[6:7] th:TH_LOAD_NT
	s_wait_loadcnt 0x0
	global_store_b32 v1, v2, s[10:11]
.LBB361_2:
	s_and_not1_b32 vcc_lo, exec_lo, s9
	s_cbranch_vccnz .LBB361_11
; %bb.3:
	s_sub_co_i32 s1, s8, s0
                                        ; implicit-def: $vgpr2
	s_delay_alu instid0(SALU_CYCLE_1)
	v_cmp_gt_u32_e32 vcc_lo, s1, v0
	s_and_saveexec_b32 s0, vcc_lo
	s_cbranch_execz .LBB361_5
; %bb.4:
	v_lshlrev_b32_e32 v1, 1, v0
	global_load_u16 v2, v1, s[6:7]
.LBB361_5:
	s_wait_alu 0xfffe
	s_or_b32 exec_lo, exec_lo, s0
	v_or_b32_e32 v1, 64, v0
	s_delay_alu instid0(VALU_DEP_1) | instskip(SKIP_2) | instid1(SALU_CYCLE_1)
	v_cmp_gt_u32_e64 s0, s1, v1
	v_cmp_le_u32_e64 s1, s1, v1
	s_and_saveexec_b32 s8, s1
	s_xor_b32 s1, exec_lo, s8
	s_wait_alu 0xfffe
	s_or_saveexec_b32 s1, s1
                                        ; implicit-def: $vgpr3
	s_wait_alu 0xfffe
	s_xor_b32 exec_lo, exec_lo, s1
	s_cbranch_execz .LBB361_7
; %bb.6:
	v_lshlrev_b32_e32 v1, 1, v0
	global_load_u16 v3, v1, s[6:7] offset:128
.LBB361_7:
	s_or_b32 exec_lo, exec_lo, s1
	v_lshlrev_b32_e32 v0, 1, v0
	s_add_nc_u64 s[2:3], s[2:3], s[4:5]
	s_delay_alu instid0(VALU_DEP_1) | instid1(SALU_CYCLE_1)
	v_add_co_u32 v0, s1, s2, v0
	s_wait_alu 0xf1ff
	v_add_co_ci_u32_e64 v1, null, s3, 0, s1
	s_and_saveexec_b32 s1, vcc_lo
	s_cbranch_execz .LBB361_9
; %bb.8:
	s_wait_loadcnt 0x0
	global_store_b16 v[0:1], v2, off
.LBB361_9:
	s_wait_alu 0xfffe
	s_or_b32 exec_lo, exec_lo, s1
	s_and_saveexec_b32 s1, s0
	s_cbranch_execz .LBB361_11
; %bb.10:
	s_wait_loadcnt 0x0
	global_store_b16 v[0:1], v3, off offset:128
.LBB361_11:
	s_endpgm
	.section	.rodata,"a",@progbits
	.p2align	6, 0x0
	.amdhsa_kernel _ZN7rocprim17ROCPRIM_400000_NS6detail17trampoline_kernelINS0_14default_configENS1_25transform_config_selectorIN3c104HalfELb1EEEZNS1_14transform_implILb1ES3_S7_PS6_S9_NS0_8identityIS6_EEEE10hipError_tT2_T3_mT4_P12ihipStream_tbEUlT_E_NS1_11comp_targetILNS1_3genE10ELNS1_11target_archE1201ELNS1_3gpuE5ELNS1_3repE0EEENS1_30default_config_static_selectorELNS0_4arch9wavefront6targetE0EEEvT1_
		.amdhsa_group_segment_fixed_size 0
		.amdhsa_private_segment_fixed_size 0
		.amdhsa_kernarg_size 296
		.amdhsa_user_sgpr_count 2
		.amdhsa_user_sgpr_dispatch_ptr 0
		.amdhsa_user_sgpr_queue_ptr 0
		.amdhsa_user_sgpr_kernarg_segment_ptr 1
		.amdhsa_user_sgpr_dispatch_id 0
		.amdhsa_user_sgpr_private_segment_size 0
		.amdhsa_wavefront_size32 1
		.amdhsa_uses_dynamic_stack 0
		.amdhsa_enable_private_segment 0
		.amdhsa_system_sgpr_workgroup_id_x 1
		.amdhsa_system_sgpr_workgroup_id_y 0
		.amdhsa_system_sgpr_workgroup_id_z 0
		.amdhsa_system_sgpr_workgroup_info 0
		.amdhsa_system_vgpr_workitem_id 0
		.amdhsa_next_free_vgpr 4
		.amdhsa_next_free_sgpr 13
		.amdhsa_reserve_vcc 1
		.amdhsa_float_round_mode_32 0
		.amdhsa_float_round_mode_16_64 0
		.amdhsa_float_denorm_mode_32 3
		.amdhsa_float_denorm_mode_16_64 3
		.amdhsa_fp16_overflow 0
		.amdhsa_workgroup_processor_mode 1
		.amdhsa_memory_ordered 1
		.amdhsa_forward_progress 1
		.amdhsa_inst_pref_size 3
		.amdhsa_round_robin_scheduling 0
		.amdhsa_exception_fp_ieee_invalid_op 0
		.amdhsa_exception_fp_denorm_src 0
		.amdhsa_exception_fp_ieee_div_zero 0
		.amdhsa_exception_fp_ieee_overflow 0
		.amdhsa_exception_fp_ieee_underflow 0
		.amdhsa_exception_fp_ieee_inexact 0
		.amdhsa_exception_int_div_zero 0
	.end_amdhsa_kernel
	.section	.text._ZN7rocprim17ROCPRIM_400000_NS6detail17trampoline_kernelINS0_14default_configENS1_25transform_config_selectorIN3c104HalfELb1EEEZNS1_14transform_implILb1ES3_S7_PS6_S9_NS0_8identityIS6_EEEE10hipError_tT2_T3_mT4_P12ihipStream_tbEUlT_E_NS1_11comp_targetILNS1_3genE10ELNS1_11target_archE1201ELNS1_3gpuE5ELNS1_3repE0EEENS1_30default_config_static_selectorELNS0_4arch9wavefront6targetE0EEEvT1_,"axG",@progbits,_ZN7rocprim17ROCPRIM_400000_NS6detail17trampoline_kernelINS0_14default_configENS1_25transform_config_selectorIN3c104HalfELb1EEEZNS1_14transform_implILb1ES3_S7_PS6_S9_NS0_8identityIS6_EEEE10hipError_tT2_T3_mT4_P12ihipStream_tbEUlT_E_NS1_11comp_targetILNS1_3genE10ELNS1_11target_archE1201ELNS1_3gpuE5ELNS1_3repE0EEENS1_30default_config_static_selectorELNS0_4arch9wavefront6targetE0EEEvT1_,comdat
.Lfunc_end361:
	.size	_ZN7rocprim17ROCPRIM_400000_NS6detail17trampoline_kernelINS0_14default_configENS1_25transform_config_selectorIN3c104HalfELb1EEEZNS1_14transform_implILb1ES3_S7_PS6_S9_NS0_8identityIS6_EEEE10hipError_tT2_T3_mT4_P12ihipStream_tbEUlT_E_NS1_11comp_targetILNS1_3genE10ELNS1_11target_archE1201ELNS1_3gpuE5ELNS1_3repE0EEENS1_30default_config_static_selectorELNS0_4arch9wavefront6targetE0EEEvT1_, .Lfunc_end361-_ZN7rocprim17ROCPRIM_400000_NS6detail17trampoline_kernelINS0_14default_configENS1_25transform_config_selectorIN3c104HalfELb1EEEZNS1_14transform_implILb1ES3_S7_PS6_S9_NS0_8identityIS6_EEEE10hipError_tT2_T3_mT4_P12ihipStream_tbEUlT_E_NS1_11comp_targetILNS1_3genE10ELNS1_11target_archE1201ELNS1_3gpuE5ELNS1_3repE0EEENS1_30default_config_static_selectorELNS0_4arch9wavefront6targetE0EEEvT1_
                                        ; -- End function
	.set _ZN7rocprim17ROCPRIM_400000_NS6detail17trampoline_kernelINS0_14default_configENS1_25transform_config_selectorIN3c104HalfELb1EEEZNS1_14transform_implILb1ES3_S7_PS6_S9_NS0_8identityIS6_EEEE10hipError_tT2_T3_mT4_P12ihipStream_tbEUlT_E_NS1_11comp_targetILNS1_3genE10ELNS1_11target_archE1201ELNS1_3gpuE5ELNS1_3repE0EEENS1_30default_config_static_selectorELNS0_4arch9wavefront6targetE0EEEvT1_.num_vgpr, 4
	.set _ZN7rocprim17ROCPRIM_400000_NS6detail17trampoline_kernelINS0_14default_configENS1_25transform_config_selectorIN3c104HalfELb1EEEZNS1_14transform_implILb1ES3_S7_PS6_S9_NS0_8identityIS6_EEEE10hipError_tT2_T3_mT4_P12ihipStream_tbEUlT_E_NS1_11comp_targetILNS1_3genE10ELNS1_11target_archE1201ELNS1_3gpuE5ELNS1_3repE0EEENS1_30default_config_static_selectorELNS0_4arch9wavefront6targetE0EEEvT1_.num_agpr, 0
	.set _ZN7rocprim17ROCPRIM_400000_NS6detail17trampoline_kernelINS0_14default_configENS1_25transform_config_selectorIN3c104HalfELb1EEEZNS1_14transform_implILb1ES3_S7_PS6_S9_NS0_8identityIS6_EEEE10hipError_tT2_T3_mT4_P12ihipStream_tbEUlT_E_NS1_11comp_targetILNS1_3genE10ELNS1_11target_archE1201ELNS1_3gpuE5ELNS1_3repE0EEENS1_30default_config_static_selectorELNS0_4arch9wavefront6targetE0EEEvT1_.numbered_sgpr, 13
	.set _ZN7rocprim17ROCPRIM_400000_NS6detail17trampoline_kernelINS0_14default_configENS1_25transform_config_selectorIN3c104HalfELb1EEEZNS1_14transform_implILb1ES3_S7_PS6_S9_NS0_8identityIS6_EEEE10hipError_tT2_T3_mT4_P12ihipStream_tbEUlT_E_NS1_11comp_targetILNS1_3genE10ELNS1_11target_archE1201ELNS1_3gpuE5ELNS1_3repE0EEENS1_30default_config_static_selectorELNS0_4arch9wavefront6targetE0EEEvT1_.num_named_barrier, 0
	.set _ZN7rocprim17ROCPRIM_400000_NS6detail17trampoline_kernelINS0_14default_configENS1_25transform_config_selectorIN3c104HalfELb1EEEZNS1_14transform_implILb1ES3_S7_PS6_S9_NS0_8identityIS6_EEEE10hipError_tT2_T3_mT4_P12ihipStream_tbEUlT_E_NS1_11comp_targetILNS1_3genE10ELNS1_11target_archE1201ELNS1_3gpuE5ELNS1_3repE0EEENS1_30default_config_static_selectorELNS0_4arch9wavefront6targetE0EEEvT1_.private_seg_size, 0
	.set _ZN7rocprim17ROCPRIM_400000_NS6detail17trampoline_kernelINS0_14default_configENS1_25transform_config_selectorIN3c104HalfELb1EEEZNS1_14transform_implILb1ES3_S7_PS6_S9_NS0_8identityIS6_EEEE10hipError_tT2_T3_mT4_P12ihipStream_tbEUlT_E_NS1_11comp_targetILNS1_3genE10ELNS1_11target_archE1201ELNS1_3gpuE5ELNS1_3repE0EEENS1_30default_config_static_selectorELNS0_4arch9wavefront6targetE0EEEvT1_.uses_vcc, 1
	.set _ZN7rocprim17ROCPRIM_400000_NS6detail17trampoline_kernelINS0_14default_configENS1_25transform_config_selectorIN3c104HalfELb1EEEZNS1_14transform_implILb1ES3_S7_PS6_S9_NS0_8identityIS6_EEEE10hipError_tT2_T3_mT4_P12ihipStream_tbEUlT_E_NS1_11comp_targetILNS1_3genE10ELNS1_11target_archE1201ELNS1_3gpuE5ELNS1_3repE0EEENS1_30default_config_static_selectorELNS0_4arch9wavefront6targetE0EEEvT1_.uses_flat_scratch, 0
	.set _ZN7rocprim17ROCPRIM_400000_NS6detail17trampoline_kernelINS0_14default_configENS1_25transform_config_selectorIN3c104HalfELb1EEEZNS1_14transform_implILb1ES3_S7_PS6_S9_NS0_8identityIS6_EEEE10hipError_tT2_T3_mT4_P12ihipStream_tbEUlT_E_NS1_11comp_targetILNS1_3genE10ELNS1_11target_archE1201ELNS1_3gpuE5ELNS1_3repE0EEENS1_30default_config_static_selectorELNS0_4arch9wavefront6targetE0EEEvT1_.has_dyn_sized_stack, 0
	.set _ZN7rocprim17ROCPRIM_400000_NS6detail17trampoline_kernelINS0_14default_configENS1_25transform_config_selectorIN3c104HalfELb1EEEZNS1_14transform_implILb1ES3_S7_PS6_S9_NS0_8identityIS6_EEEE10hipError_tT2_T3_mT4_P12ihipStream_tbEUlT_E_NS1_11comp_targetILNS1_3genE10ELNS1_11target_archE1201ELNS1_3gpuE5ELNS1_3repE0EEENS1_30default_config_static_selectorELNS0_4arch9wavefront6targetE0EEEvT1_.has_recursion, 0
	.set _ZN7rocprim17ROCPRIM_400000_NS6detail17trampoline_kernelINS0_14default_configENS1_25transform_config_selectorIN3c104HalfELb1EEEZNS1_14transform_implILb1ES3_S7_PS6_S9_NS0_8identityIS6_EEEE10hipError_tT2_T3_mT4_P12ihipStream_tbEUlT_E_NS1_11comp_targetILNS1_3genE10ELNS1_11target_archE1201ELNS1_3gpuE5ELNS1_3repE0EEENS1_30default_config_static_selectorELNS0_4arch9wavefront6targetE0EEEvT1_.has_indirect_call, 0
	.section	.AMDGPU.csdata,"",@progbits
; Kernel info:
; codeLenInByte = 324
; TotalNumSgprs: 15
; NumVgprs: 4
; ScratchSize: 0
; MemoryBound: 0
; FloatMode: 240
; IeeeMode: 1
; LDSByteSize: 0 bytes/workgroup (compile time only)
; SGPRBlocks: 0
; VGPRBlocks: 0
; NumSGPRsForWavesPerEU: 15
; NumVGPRsForWavesPerEU: 4
; Occupancy: 16
; WaveLimiterHint : 0
; COMPUTE_PGM_RSRC2:SCRATCH_EN: 0
; COMPUTE_PGM_RSRC2:USER_SGPR: 2
; COMPUTE_PGM_RSRC2:TRAP_HANDLER: 0
; COMPUTE_PGM_RSRC2:TGID_X_EN: 1
; COMPUTE_PGM_RSRC2:TGID_Y_EN: 0
; COMPUTE_PGM_RSRC2:TGID_Z_EN: 0
; COMPUTE_PGM_RSRC2:TIDIG_COMP_CNT: 0
	.section	.text._ZN7rocprim17ROCPRIM_400000_NS6detail17trampoline_kernelINS0_14default_configENS1_25transform_config_selectorIN3c104HalfELb1EEEZNS1_14transform_implILb1ES3_S7_PS6_S9_NS0_8identityIS6_EEEE10hipError_tT2_T3_mT4_P12ihipStream_tbEUlT_E_NS1_11comp_targetILNS1_3genE5ELNS1_11target_archE942ELNS1_3gpuE9ELNS1_3repE0EEENS1_30default_config_static_selectorELNS0_4arch9wavefront6targetE0EEEvT1_,"axG",@progbits,_ZN7rocprim17ROCPRIM_400000_NS6detail17trampoline_kernelINS0_14default_configENS1_25transform_config_selectorIN3c104HalfELb1EEEZNS1_14transform_implILb1ES3_S7_PS6_S9_NS0_8identityIS6_EEEE10hipError_tT2_T3_mT4_P12ihipStream_tbEUlT_E_NS1_11comp_targetILNS1_3genE5ELNS1_11target_archE942ELNS1_3gpuE9ELNS1_3repE0EEENS1_30default_config_static_selectorELNS0_4arch9wavefront6targetE0EEEvT1_,comdat
	.protected	_ZN7rocprim17ROCPRIM_400000_NS6detail17trampoline_kernelINS0_14default_configENS1_25transform_config_selectorIN3c104HalfELb1EEEZNS1_14transform_implILb1ES3_S7_PS6_S9_NS0_8identityIS6_EEEE10hipError_tT2_T3_mT4_P12ihipStream_tbEUlT_E_NS1_11comp_targetILNS1_3genE5ELNS1_11target_archE942ELNS1_3gpuE9ELNS1_3repE0EEENS1_30default_config_static_selectorELNS0_4arch9wavefront6targetE0EEEvT1_ ; -- Begin function _ZN7rocprim17ROCPRIM_400000_NS6detail17trampoline_kernelINS0_14default_configENS1_25transform_config_selectorIN3c104HalfELb1EEEZNS1_14transform_implILb1ES3_S7_PS6_S9_NS0_8identityIS6_EEEE10hipError_tT2_T3_mT4_P12ihipStream_tbEUlT_E_NS1_11comp_targetILNS1_3genE5ELNS1_11target_archE942ELNS1_3gpuE9ELNS1_3repE0EEENS1_30default_config_static_selectorELNS0_4arch9wavefront6targetE0EEEvT1_
	.globl	_ZN7rocprim17ROCPRIM_400000_NS6detail17trampoline_kernelINS0_14default_configENS1_25transform_config_selectorIN3c104HalfELb1EEEZNS1_14transform_implILb1ES3_S7_PS6_S9_NS0_8identityIS6_EEEE10hipError_tT2_T3_mT4_P12ihipStream_tbEUlT_E_NS1_11comp_targetILNS1_3genE5ELNS1_11target_archE942ELNS1_3gpuE9ELNS1_3repE0EEENS1_30default_config_static_selectorELNS0_4arch9wavefront6targetE0EEEvT1_
	.p2align	8
	.type	_ZN7rocprim17ROCPRIM_400000_NS6detail17trampoline_kernelINS0_14default_configENS1_25transform_config_selectorIN3c104HalfELb1EEEZNS1_14transform_implILb1ES3_S7_PS6_S9_NS0_8identityIS6_EEEE10hipError_tT2_T3_mT4_P12ihipStream_tbEUlT_E_NS1_11comp_targetILNS1_3genE5ELNS1_11target_archE942ELNS1_3gpuE9ELNS1_3repE0EEENS1_30default_config_static_selectorELNS0_4arch9wavefront6targetE0EEEvT1_,@function
_ZN7rocprim17ROCPRIM_400000_NS6detail17trampoline_kernelINS0_14default_configENS1_25transform_config_selectorIN3c104HalfELb1EEEZNS1_14transform_implILb1ES3_S7_PS6_S9_NS0_8identityIS6_EEEE10hipError_tT2_T3_mT4_P12ihipStream_tbEUlT_E_NS1_11comp_targetILNS1_3genE5ELNS1_11target_archE942ELNS1_3gpuE9ELNS1_3repE0EEENS1_30default_config_static_selectorELNS0_4arch9wavefront6targetE0EEEvT1_: ; @_ZN7rocprim17ROCPRIM_400000_NS6detail17trampoline_kernelINS0_14default_configENS1_25transform_config_selectorIN3c104HalfELb1EEEZNS1_14transform_implILb1ES3_S7_PS6_S9_NS0_8identityIS6_EEEE10hipError_tT2_T3_mT4_P12ihipStream_tbEUlT_E_NS1_11comp_targetILNS1_3genE5ELNS1_11target_archE942ELNS1_3gpuE9ELNS1_3repE0EEENS1_30default_config_static_selectorELNS0_4arch9wavefront6targetE0EEEvT1_
; %bb.0:
	.section	.rodata,"a",@progbits
	.p2align	6, 0x0
	.amdhsa_kernel _ZN7rocprim17ROCPRIM_400000_NS6detail17trampoline_kernelINS0_14default_configENS1_25transform_config_selectorIN3c104HalfELb1EEEZNS1_14transform_implILb1ES3_S7_PS6_S9_NS0_8identityIS6_EEEE10hipError_tT2_T3_mT4_P12ihipStream_tbEUlT_E_NS1_11comp_targetILNS1_3genE5ELNS1_11target_archE942ELNS1_3gpuE9ELNS1_3repE0EEENS1_30default_config_static_selectorELNS0_4arch9wavefront6targetE0EEEvT1_
		.amdhsa_group_segment_fixed_size 0
		.amdhsa_private_segment_fixed_size 0
		.amdhsa_kernarg_size 40
		.amdhsa_user_sgpr_count 2
		.amdhsa_user_sgpr_dispatch_ptr 0
		.amdhsa_user_sgpr_queue_ptr 0
		.amdhsa_user_sgpr_kernarg_segment_ptr 1
		.amdhsa_user_sgpr_dispatch_id 0
		.amdhsa_user_sgpr_private_segment_size 0
		.amdhsa_wavefront_size32 1
		.amdhsa_uses_dynamic_stack 0
		.amdhsa_enable_private_segment 0
		.amdhsa_system_sgpr_workgroup_id_x 1
		.amdhsa_system_sgpr_workgroup_id_y 0
		.amdhsa_system_sgpr_workgroup_id_z 0
		.amdhsa_system_sgpr_workgroup_info 0
		.amdhsa_system_vgpr_workitem_id 0
		.amdhsa_next_free_vgpr 1
		.amdhsa_next_free_sgpr 1
		.amdhsa_reserve_vcc 0
		.amdhsa_float_round_mode_32 0
		.amdhsa_float_round_mode_16_64 0
		.amdhsa_float_denorm_mode_32 3
		.amdhsa_float_denorm_mode_16_64 3
		.amdhsa_fp16_overflow 0
		.amdhsa_workgroup_processor_mode 1
		.amdhsa_memory_ordered 1
		.amdhsa_forward_progress 1
		.amdhsa_inst_pref_size 0
		.amdhsa_round_robin_scheduling 0
		.amdhsa_exception_fp_ieee_invalid_op 0
		.amdhsa_exception_fp_denorm_src 0
		.amdhsa_exception_fp_ieee_div_zero 0
		.amdhsa_exception_fp_ieee_overflow 0
		.amdhsa_exception_fp_ieee_underflow 0
		.amdhsa_exception_fp_ieee_inexact 0
		.amdhsa_exception_int_div_zero 0
	.end_amdhsa_kernel
	.section	.text._ZN7rocprim17ROCPRIM_400000_NS6detail17trampoline_kernelINS0_14default_configENS1_25transform_config_selectorIN3c104HalfELb1EEEZNS1_14transform_implILb1ES3_S7_PS6_S9_NS0_8identityIS6_EEEE10hipError_tT2_T3_mT4_P12ihipStream_tbEUlT_E_NS1_11comp_targetILNS1_3genE5ELNS1_11target_archE942ELNS1_3gpuE9ELNS1_3repE0EEENS1_30default_config_static_selectorELNS0_4arch9wavefront6targetE0EEEvT1_,"axG",@progbits,_ZN7rocprim17ROCPRIM_400000_NS6detail17trampoline_kernelINS0_14default_configENS1_25transform_config_selectorIN3c104HalfELb1EEEZNS1_14transform_implILb1ES3_S7_PS6_S9_NS0_8identityIS6_EEEE10hipError_tT2_T3_mT4_P12ihipStream_tbEUlT_E_NS1_11comp_targetILNS1_3genE5ELNS1_11target_archE942ELNS1_3gpuE9ELNS1_3repE0EEENS1_30default_config_static_selectorELNS0_4arch9wavefront6targetE0EEEvT1_,comdat
.Lfunc_end362:
	.size	_ZN7rocprim17ROCPRIM_400000_NS6detail17trampoline_kernelINS0_14default_configENS1_25transform_config_selectorIN3c104HalfELb1EEEZNS1_14transform_implILb1ES3_S7_PS6_S9_NS0_8identityIS6_EEEE10hipError_tT2_T3_mT4_P12ihipStream_tbEUlT_E_NS1_11comp_targetILNS1_3genE5ELNS1_11target_archE942ELNS1_3gpuE9ELNS1_3repE0EEENS1_30default_config_static_selectorELNS0_4arch9wavefront6targetE0EEEvT1_, .Lfunc_end362-_ZN7rocprim17ROCPRIM_400000_NS6detail17trampoline_kernelINS0_14default_configENS1_25transform_config_selectorIN3c104HalfELb1EEEZNS1_14transform_implILb1ES3_S7_PS6_S9_NS0_8identityIS6_EEEE10hipError_tT2_T3_mT4_P12ihipStream_tbEUlT_E_NS1_11comp_targetILNS1_3genE5ELNS1_11target_archE942ELNS1_3gpuE9ELNS1_3repE0EEENS1_30default_config_static_selectorELNS0_4arch9wavefront6targetE0EEEvT1_
                                        ; -- End function
	.set _ZN7rocprim17ROCPRIM_400000_NS6detail17trampoline_kernelINS0_14default_configENS1_25transform_config_selectorIN3c104HalfELb1EEEZNS1_14transform_implILb1ES3_S7_PS6_S9_NS0_8identityIS6_EEEE10hipError_tT2_T3_mT4_P12ihipStream_tbEUlT_E_NS1_11comp_targetILNS1_3genE5ELNS1_11target_archE942ELNS1_3gpuE9ELNS1_3repE0EEENS1_30default_config_static_selectorELNS0_4arch9wavefront6targetE0EEEvT1_.num_vgpr, 0
	.set _ZN7rocprim17ROCPRIM_400000_NS6detail17trampoline_kernelINS0_14default_configENS1_25transform_config_selectorIN3c104HalfELb1EEEZNS1_14transform_implILb1ES3_S7_PS6_S9_NS0_8identityIS6_EEEE10hipError_tT2_T3_mT4_P12ihipStream_tbEUlT_E_NS1_11comp_targetILNS1_3genE5ELNS1_11target_archE942ELNS1_3gpuE9ELNS1_3repE0EEENS1_30default_config_static_selectorELNS0_4arch9wavefront6targetE0EEEvT1_.num_agpr, 0
	.set _ZN7rocprim17ROCPRIM_400000_NS6detail17trampoline_kernelINS0_14default_configENS1_25transform_config_selectorIN3c104HalfELb1EEEZNS1_14transform_implILb1ES3_S7_PS6_S9_NS0_8identityIS6_EEEE10hipError_tT2_T3_mT4_P12ihipStream_tbEUlT_E_NS1_11comp_targetILNS1_3genE5ELNS1_11target_archE942ELNS1_3gpuE9ELNS1_3repE0EEENS1_30default_config_static_selectorELNS0_4arch9wavefront6targetE0EEEvT1_.numbered_sgpr, 0
	.set _ZN7rocprim17ROCPRIM_400000_NS6detail17trampoline_kernelINS0_14default_configENS1_25transform_config_selectorIN3c104HalfELb1EEEZNS1_14transform_implILb1ES3_S7_PS6_S9_NS0_8identityIS6_EEEE10hipError_tT2_T3_mT4_P12ihipStream_tbEUlT_E_NS1_11comp_targetILNS1_3genE5ELNS1_11target_archE942ELNS1_3gpuE9ELNS1_3repE0EEENS1_30default_config_static_selectorELNS0_4arch9wavefront6targetE0EEEvT1_.num_named_barrier, 0
	.set _ZN7rocprim17ROCPRIM_400000_NS6detail17trampoline_kernelINS0_14default_configENS1_25transform_config_selectorIN3c104HalfELb1EEEZNS1_14transform_implILb1ES3_S7_PS6_S9_NS0_8identityIS6_EEEE10hipError_tT2_T3_mT4_P12ihipStream_tbEUlT_E_NS1_11comp_targetILNS1_3genE5ELNS1_11target_archE942ELNS1_3gpuE9ELNS1_3repE0EEENS1_30default_config_static_selectorELNS0_4arch9wavefront6targetE0EEEvT1_.private_seg_size, 0
	.set _ZN7rocprim17ROCPRIM_400000_NS6detail17trampoline_kernelINS0_14default_configENS1_25transform_config_selectorIN3c104HalfELb1EEEZNS1_14transform_implILb1ES3_S7_PS6_S9_NS0_8identityIS6_EEEE10hipError_tT2_T3_mT4_P12ihipStream_tbEUlT_E_NS1_11comp_targetILNS1_3genE5ELNS1_11target_archE942ELNS1_3gpuE9ELNS1_3repE0EEENS1_30default_config_static_selectorELNS0_4arch9wavefront6targetE0EEEvT1_.uses_vcc, 0
	.set _ZN7rocprim17ROCPRIM_400000_NS6detail17trampoline_kernelINS0_14default_configENS1_25transform_config_selectorIN3c104HalfELb1EEEZNS1_14transform_implILb1ES3_S7_PS6_S9_NS0_8identityIS6_EEEE10hipError_tT2_T3_mT4_P12ihipStream_tbEUlT_E_NS1_11comp_targetILNS1_3genE5ELNS1_11target_archE942ELNS1_3gpuE9ELNS1_3repE0EEENS1_30default_config_static_selectorELNS0_4arch9wavefront6targetE0EEEvT1_.uses_flat_scratch, 0
	.set _ZN7rocprim17ROCPRIM_400000_NS6detail17trampoline_kernelINS0_14default_configENS1_25transform_config_selectorIN3c104HalfELb1EEEZNS1_14transform_implILb1ES3_S7_PS6_S9_NS0_8identityIS6_EEEE10hipError_tT2_T3_mT4_P12ihipStream_tbEUlT_E_NS1_11comp_targetILNS1_3genE5ELNS1_11target_archE942ELNS1_3gpuE9ELNS1_3repE0EEENS1_30default_config_static_selectorELNS0_4arch9wavefront6targetE0EEEvT1_.has_dyn_sized_stack, 0
	.set _ZN7rocprim17ROCPRIM_400000_NS6detail17trampoline_kernelINS0_14default_configENS1_25transform_config_selectorIN3c104HalfELb1EEEZNS1_14transform_implILb1ES3_S7_PS6_S9_NS0_8identityIS6_EEEE10hipError_tT2_T3_mT4_P12ihipStream_tbEUlT_E_NS1_11comp_targetILNS1_3genE5ELNS1_11target_archE942ELNS1_3gpuE9ELNS1_3repE0EEENS1_30default_config_static_selectorELNS0_4arch9wavefront6targetE0EEEvT1_.has_recursion, 0
	.set _ZN7rocprim17ROCPRIM_400000_NS6detail17trampoline_kernelINS0_14default_configENS1_25transform_config_selectorIN3c104HalfELb1EEEZNS1_14transform_implILb1ES3_S7_PS6_S9_NS0_8identityIS6_EEEE10hipError_tT2_T3_mT4_P12ihipStream_tbEUlT_E_NS1_11comp_targetILNS1_3genE5ELNS1_11target_archE942ELNS1_3gpuE9ELNS1_3repE0EEENS1_30default_config_static_selectorELNS0_4arch9wavefront6targetE0EEEvT1_.has_indirect_call, 0
	.section	.AMDGPU.csdata,"",@progbits
; Kernel info:
; codeLenInByte = 0
; TotalNumSgprs: 0
; NumVgprs: 0
; ScratchSize: 0
; MemoryBound: 0
; FloatMode: 240
; IeeeMode: 1
; LDSByteSize: 0 bytes/workgroup (compile time only)
; SGPRBlocks: 0
; VGPRBlocks: 0
; NumSGPRsForWavesPerEU: 1
; NumVGPRsForWavesPerEU: 1
; Occupancy: 16
; WaveLimiterHint : 0
; COMPUTE_PGM_RSRC2:SCRATCH_EN: 0
; COMPUTE_PGM_RSRC2:USER_SGPR: 2
; COMPUTE_PGM_RSRC2:TRAP_HANDLER: 0
; COMPUTE_PGM_RSRC2:TGID_X_EN: 1
; COMPUTE_PGM_RSRC2:TGID_Y_EN: 0
; COMPUTE_PGM_RSRC2:TGID_Z_EN: 0
; COMPUTE_PGM_RSRC2:TIDIG_COMP_CNT: 0
	.section	.text._ZN7rocprim17ROCPRIM_400000_NS6detail17trampoline_kernelINS0_14default_configENS1_25transform_config_selectorIN3c104HalfELb1EEEZNS1_14transform_implILb1ES3_S7_PS6_S9_NS0_8identityIS6_EEEE10hipError_tT2_T3_mT4_P12ihipStream_tbEUlT_E_NS1_11comp_targetILNS1_3genE4ELNS1_11target_archE910ELNS1_3gpuE8ELNS1_3repE0EEENS1_30default_config_static_selectorELNS0_4arch9wavefront6targetE0EEEvT1_,"axG",@progbits,_ZN7rocprim17ROCPRIM_400000_NS6detail17trampoline_kernelINS0_14default_configENS1_25transform_config_selectorIN3c104HalfELb1EEEZNS1_14transform_implILb1ES3_S7_PS6_S9_NS0_8identityIS6_EEEE10hipError_tT2_T3_mT4_P12ihipStream_tbEUlT_E_NS1_11comp_targetILNS1_3genE4ELNS1_11target_archE910ELNS1_3gpuE8ELNS1_3repE0EEENS1_30default_config_static_selectorELNS0_4arch9wavefront6targetE0EEEvT1_,comdat
	.protected	_ZN7rocprim17ROCPRIM_400000_NS6detail17trampoline_kernelINS0_14default_configENS1_25transform_config_selectorIN3c104HalfELb1EEEZNS1_14transform_implILb1ES3_S7_PS6_S9_NS0_8identityIS6_EEEE10hipError_tT2_T3_mT4_P12ihipStream_tbEUlT_E_NS1_11comp_targetILNS1_3genE4ELNS1_11target_archE910ELNS1_3gpuE8ELNS1_3repE0EEENS1_30default_config_static_selectorELNS0_4arch9wavefront6targetE0EEEvT1_ ; -- Begin function _ZN7rocprim17ROCPRIM_400000_NS6detail17trampoline_kernelINS0_14default_configENS1_25transform_config_selectorIN3c104HalfELb1EEEZNS1_14transform_implILb1ES3_S7_PS6_S9_NS0_8identityIS6_EEEE10hipError_tT2_T3_mT4_P12ihipStream_tbEUlT_E_NS1_11comp_targetILNS1_3genE4ELNS1_11target_archE910ELNS1_3gpuE8ELNS1_3repE0EEENS1_30default_config_static_selectorELNS0_4arch9wavefront6targetE0EEEvT1_
	.globl	_ZN7rocprim17ROCPRIM_400000_NS6detail17trampoline_kernelINS0_14default_configENS1_25transform_config_selectorIN3c104HalfELb1EEEZNS1_14transform_implILb1ES3_S7_PS6_S9_NS0_8identityIS6_EEEE10hipError_tT2_T3_mT4_P12ihipStream_tbEUlT_E_NS1_11comp_targetILNS1_3genE4ELNS1_11target_archE910ELNS1_3gpuE8ELNS1_3repE0EEENS1_30default_config_static_selectorELNS0_4arch9wavefront6targetE0EEEvT1_
	.p2align	8
	.type	_ZN7rocprim17ROCPRIM_400000_NS6detail17trampoline_kernelINS0_14default_configENS1_25transform_config_selectorIN3c104HalfELb1EEEZNS1_14transform_implILb1ES3_S7_PS6_S9_NS0_8identityIS6_EEEE10hipError_tT2_T3_mT4_P12ihipStream_tbEUlT_E_NS1_11comp_targetILNS1_3genE4ELNS1_11target_archE910ELNS1_3gpuE8ELNS1_3repE0EEENS1_30default_config_static_selectorELNS0_4arch9wavefront6targetE0EEEvT1_,@function
_ZN7rocprim17ROCPRIM_400000_NS6detail17trampoline_kernelINS0_14default_configENS1_25transform_config_selectorIN3c104HalfELb1EEEZNS1_14transform_implILb1ES3_S7_PS6_S9_NS0_8identityIS6_EEEE10hipError_tT2_T3_mT4_P12ihipStream_tbEUlT_E_NS1_11comp_targetILNS1_3genE4ELNS1_11target_archE910ELNS1_3gpuE8ELNS1_3repE0EEENS1_30default_config_static_selectorELNS0_4arch9wavefront6targetE0EEEvT1_: ; @_ZN7rocprim17ROCPRIM_400000_NS6detail17trampoline_kernelINS0_14default_configENS1_25transform_config_selectorIN3c104HalfELb1EEEZNS1_14transform_implILb1ES3_S7_PS6_S9_NS0_8identityIS6_EEEE10hipError_tT2_T3_mT4_P12ihipStream_tbEUlT_E_NS1_11comp_targetILNS1_3genE4ELNS1_11target_archE910ELNS1_3gpuE8ELNS1_3repE0EEENS1_30default_config_static_selectorELNS0_4arch9wavefront6targetE0EEEvT1_
; %bb.0:
	.section	.rodata,"a",@progbits
	.p2align	6, 0x0
	.amdhsa_kernel _ZN7rocprim17ROCPRIM_400000_NS6detail17trampoline_kernelINS0_14default_configENS1_25transform_config_selectorIN3c104HalfELb1EEEZNS1_14transform_implILb1ES3_S7_PS6_S9_NS0_8identityIS6_EEEE10hipError_tT2_T3_mT4_P12ihipStream_tbEUlT_E_NS1_11comp_targetILNS1_3genE4ELNS1_11target_archE910ELNS1_3gpuE8ELNS1_3repE0EEENS1_30default_config_static_selectorELNS0_4arch9wavefront6targetE0EEEvT1_
		.amdhsa_group_segment_fixed_size 0
		.amdhsa_private_segment_fixed_size 0
		.amdhsa_kernarg_size 40
		.amdhsa_user_sgpr_count 2
		.amdhsa_user_sgpr_dispatch_ptr 0
		.amdhsa_user_sgpr_queue_ptr 0
		.amdhsa_user_sgpr_kernarg_segment_ptr 1
		.amdhsa_user_sgpr_dispatch_id 0
		.amdhsa_user_sgpr_private_segment_size 0
		.amdhsa_wavefront_size32 1
		.amdhsa_uses_dynamic_stack 0
		.amdhsa_enable_private_segment 0
		.amdhsa_system_sgpr_workgroup_id_x 1
		.amdhsa_system_sgpr_workgroup_id_y 0
		.amdhsa_system_sgpr_workgroup_id_z 0
		.amdhsa_system_sgpr_workgroup_info 0
		.amdhsa_system_vgpr_workitem_id 0
		.amdhsa_next_free_vgpr 1
		.amdhsa_next_free_sgpr 1
		.amdhsa_reserve_vcc 0
		.amdhsa_float_round_mode_32 0
		.amdhsa_float_round_mode_16_64 0
		.amdhsa_float_denorm_mode_32 3
		.amdhsa_float_denorm_mode_16_64 3
		.amdhsa_fp16_overflow 0
		.amdhsa_workgroup_processor_mode 1
		.amdhsa_memory_ordered 1
		.amdhsa_forward_progress 1
		.amdhsa_inst_pref_size 0
		.amdhsa_round_robin_scheduling 0
		.amdhsa_exception_fp_ieee_invalid_op 0
		.amdhsa_exception_fp_denorm_src 0
		.amdhsa_exception_fp_ieee_div_zero 0
		.amdhsa_exception_fp_ieee_overflow 0
		.amdhsa_exception_fp_ieee_underflow 0
		.amdhsa_exception_fp_ieee_inexact 0
		.amdhsa_exception_int_div_zero 0
	.end_amdhsa_kernel
	.section	.text._ZN7rocprim17ROCPRIM_400000_NS6detail17trampoline_kernelINS0_14default_configENS1_25transform_config_selectorIN3c104HalfELb1EEEZNS1_14transform_implILb1ES3_S7_PS6_S9_NS0_8identityIS6_EEEE10hipError_tT2_T3_mT4_P12ihipStream_tbEUlT_E_NS1_11comp_targetILNS1_3genE4ELNS1_11target_archE910ELNS1_3gpuE8ELNS1_3repE0EEENS1_30default_config_static_selectorELNS0_4arch9wavefront6targetE0EEEvT1_,"axG",@progbits,_ZN7rocprim17ROCPRIM_400000_NS6detail17trampoline_kernelINS0_14default_configENS1_25transform_config_selectorIN3c104HalfELb1EEEZNS1_14transform_implILb1ES3_S7_PS6_S9_NS0_8identityIS6_EEEE10hipError_tT2_T3_mT4_P12ihipStream_tbEUlT_E_NS1_11comp_targetILNS1_3genE4ELNS1_11target_archE910ELNS1_3gpuE8ELNS1_3repE0EEENS1_30default_config_static_selectorELNS0_4arch9wavefront6targetE0EEEvT1_,comdat
.Lfunc_end363:
	.size	_ZN7rocprim17ROCPRIM_400000_NS6detail17trampoline_kernelINS0_14default_configENS1_25transform_config_selectorIN3c104HalfELb1EEEZNS1_14transform_implILb1ES3_S7_PS6_S9_NS0_8identityIS6_EEEE10hipError_tT2_T3_mT4_P12ihipStream_tbEUlT_E_NS1_11comp_targetILNS1_3genE4ELNS1_11target_archE910ELNS1_3gpuE8ELNS1_3repE0EEENS1_30default_config_static_selectorELNS0_4arch9wavefront6targetE0EEEvT1_, .Lfunc_end363-_ZN7rocprim17ROCPRIM_400000_NS6detail17trampoline_kernelINS0_14default_configENS1_25transform_config_selectorIN3c104HalfELb1EEEZNS1_14transform_implILb1ES3_S7_PS6_S9_NS0_8identityIS6_EEEE10hipError_tT2_T3_mT4_P12ihipStream_tbEUlT_E_NS1_11comp_targetILNS1_3genE4ELNS1_11target_archE910ELNS1_3gpuE8ELNS1_3repE0EEENS1_30default_config_static_selectorELNS0_4arch9wavefront6targetE0EEEvT1_
                                        ; -- End function
	.set _ZN7rocprim17ROCPRIM_400000_NS6detail17trampoline_kernelINS0_14default_configENS1_25transform_config_selectorIN3c104HalfELb1EEEZNS1_14transform_implILb1ES3_S7_PS6_S9_NS0_8identityIS6_EEEE10hipError_tT2_T3_mT4_P12ihipStream_tbEUlT_E_NS1_11comp_targetILNS1_3genE4ELNS1_11target_archE910ELNS1_3gpuE8ELNS1_3repE0EEENS1_30default_config_static_selectorELNS0_4arch9wavefront6targetE0EEEvT1_.num_vgpr, 0
	.set _ZN7rocprim17ROCPRIM_400000_NS6detail17trampoline_kernelINS0_14default_configENS1_25transform_config_selectorIN3c104HalfELb1EEEZNS1_14transform_implILb1ES3_S7_PS6_S9_NS0_8identityIS6_EEEE10hipError_tT2_T3_mT4_P12ihipStream_tbEUlT_E_NS1_11comp_targetILNS1_3genE4ELNS1_11target_archE910ELNS1_3gpuE8ELNS1_3repE0EEENS1_30default_config_static_selectorELNS0_4arch9wavefront6targetE0EEEvT1_.num_agpr, 0
	.set _ZN7rocprim17ROCPRIM_400000_NS6detail17trampoline_kernelINS0_14default_configENS1_25transform_config_selectorIN3c104HalfELb1EEEZNS1_14transform_implILb1ES3_S7_PS6_S9_NS0_8identityIS6_EEEE10hipError_tT2_T3_mT4_P12ihipStream_tbEUlT_E_NS1_11comp_targetILNS1_3genE4ELNS1_11target_archE910ELNS1_3gpuE8ELNS1_3repE0EEENS1_30default_config_static_selectorELNS0_4arch9wavefront6targetE0EEEvT1_.numbered_sgpr, 0
	.set _ZN7rocprim17ROCPRIM_400000_NS6detail17trampoline_kernelINS0_14default_configENS1_25transform_config_selectorIN3c104HalfELb1EEEZNS1_14transform_implILb1ES3_S7_PS6_S9_NS0_8identityIS6_EEEE10hipError_tT2_T3_mT4_P12ihipStream_tbEUlT_E_NS1_11comp_targetILNS1_3genE4ELNS1_11target_archE910ELNS1_3gpuE8ELNS1_3repE0EEENS1_30default_config_static_selectorELNS0_4arch9wavefront6targetE0EEEvT1_.num_named_barrier, 0
	.set _ZN7rocprim17ROCPRIM_400000_NS6detail17trampoline_kernelINS0_14default_configENS1_25transform_config_selectorIN3c104HalfELb1EEEZNS1_14transform_implILb1ES3_S7_PS6_S9_NS0_8identityIS6_EEEE10hipError_tT2_T3_mT4_P12ihipStream_tbEUlT_E_NS1_11comp_targetILNS1_3genE4ELNS1_11target_archE910ELNS1_3gpuE8ELNS1_3repE0EEENS1_30default_config_static_selectorELNS0_4arch9wavefront6targetE0EEEvT1_.private_seg_size, 0
	.set _ZN7rocprim17ROCPRIM_400000_NS6detail17trampoline_kernelINS0_14default_configENS1_25transform_config_selectorIN3c104HalfELb1EEEZNS1_14transform_implILb1ES3_S7_PS6_S9_NS0_8identityIS6_EEEE10hipError_tT2_T3_mT4_P12ihipStream_tbEUlT_E_NS1_11comp_targetILNS1_3genE4ELNS1_11target_archE910ELNS1_3gpuE8ELNS1_3repE0EEENS1_30default_config_static_selectorELNS0_4arch9wavefront6targetE0EEEvT1_.uses_vcc, 0
	.set _ZN7rocprim17ROCPRIM_400000_NS6detail17trampoline_kernelINS0_14default_configENS1_25transform_config_selectorIN3c104HalfELb1EEEZNS1_14transform_implILb1ES3_S7_PS6_S9_NS0_8identityIS6_EEEE10hipError_tT2_T3_mT4_P12ihipStream_tbEUlT_E_NS1_11comp_targetILNS1_3genE4ELNS1_11target_archE910ELNS1_3gpuE8ELNS1_3repE0EEENS1_30default_config_static_selectorELNS0_4arch9wavefront6targetE0EEEvT1_.uses_flat_scratch, 0
	.set _ZN7rocprim17ROCPRIM_400000_NS6detail17trampoline_kernelINS0_14default_configENS1_25transform_config_selectorIN3c104HalfELb1EEEZNS1_14transform_implILb1ES3_S7_PS6_S9_NS0_8identityIS6_EEEE10hipError_tT2_T3_mT4_P12ihipStream_tbEUlT_E_NS1_11comp_targetILNS1_3genE4ELNS1_11target_archE910ELNS1_3gpuE8ELNS1_3repE0EEENS1_30default_config_static_selectorELNS0_4arch9wavefront6targetE0EEEvT1_.has_dyn_sized_stack, 0
	.set _ZN7rocprim17ROCPRIM_400000_NS6detail17trampoline_kernelINS0_14default_configENS1_25transform_config_selectorIN3c104HalfELb1EEEZNS1_14transform_implILb1ES3_S7_PS6_S9_NS0_8identityIS6_EEEE10hipError_tT2_T3_mT4_P12ihipStream_tbEUlT_E_NS1_11comp_targetILNS1_3genE4ELNS1_11target_archE910ELNS1_3gpuE8ELNS1_3repE0EEENS1_30default_config_static_selectorELNS0_4arch9wavefront6targetE0EEEvT1_.has_recursion, 0
	.set _ZN7rocprim17ROCPRIM_400000_NS6detail17trampoline_kernelINS0_14default_configENS1_25transform_config_selectorIN3c104HalfELb1EEEZNS1_14transform_implILb1ES3_S7_PS6_S9_NS0_8identityIS6_EEEE10hipError_tT2_T3_mT4_P12ihipStream_tbEUlT_E_NS1_11comp_targetILNS1_3genE4ELNS1_11target_archE910ELNS1_3gpuE8ELNS1_3repE0EEENS1_30default_config_static_selectorELNS0_4arch9wavefront6targetE0EEEvT1_.has_indirect_call, 0
	.section	.AMDGPU.csdata,"",@progbits
; Kernel info:
; codeLenInByte = 0
; TotalNumSgprs: 0
; NumVgprs: 0
; ScratchSize: 0
; MemoryBound: 0
; FloatMode: 240
; IeeeMode: 1
; LDSByteSize: 0 bytes/workgroup (compile time only)
; SGPRBlocks: 0
; VGPRBlocks: 0
; NumSGPRsForWavesPerEU: 1
; NumVGPRsForWavesPerEU: 1
; Occupancy: 16
; WaveLimiterHint : 0
; COMPUTE_PGM_RSRC2:SCRATCH_EN: 0
; COMPUTE_PGM_RSRC2:USER_SGPR: 2
; COMPUTE_PGM_RSRC2:TRAP_HANDLER: 0
; COMPUTE_PGM_RSRC2:TGID_X_EN: 1
; COMPUTE_PGM_RSRC2:TGID_Y_EN: 0
; COMPUTE_PGM_RSRC2:TGID_Z_EN: 0
; COMPUTE_PGM_RSRC2:TIDIG_COMP_CNT: 0
	.section	.text._ZN7rocprim17ROCPRIM_400000_NS6detail17trampoline_kernelINS0_14default_configENS1_25transform_config_selectorIN3c104HalfELb1EEEZNS1_14transform_implILb1ES3_S7_PS6_S9_NS0_8identityIS6_EEEE10hipError_tT2_T3_mT4_P12ihipStream_tbEUlT_E_NS1_11comp_targetILNS1_3genE3ELNS1_11target_archE908ELNS1_3gpuE7ELNS1_3repE0EEENS1_30default_config_static_selectorELNS0_4arch9wavefront6targetE0EEEvT1_,"axG",@progbits,_ZN7rocprim17ROCPRIM_400000_NS6detail17trampoline_kernelINS0_14default_configENS1_25transform_config_selectorIN3c104HalfELb1EEEZNS1_14transform_implILb1ES3_S7_PS6_S9_NS0_8identityIS6_EEEE10hipError_tT2_T3_mT4_P12ihipStream_tbEUlT_E_NS1_11comp_targetILNS1_3genE3ELNS1_11target_archE908ELNS1_3gpuE7ELNS1_3repE0EEENS1_30default_config_static_selectorELNS0_4arch9wavefront6targetE0EEEvT1_,comdat
	.protected	_ZN7rocprim17ROCPRIM_400000_NS6detail17trampoline_kernelINS0_14default_configENS1_25transform_config_selectorIN3c104HalfELb1EEEZNS1_14transform_implILb1ES3_S7_PS6_S9_NS0_8identityIS6_EEEE10hipError_tT2_T3_mT4_P12ihipStream_tbEUlT_E_NS1_11comp_targetILNS1_3genE3ELNS1_11target_archE908ELNS1_3gpuE7ELNS1_3repE0EEENS1_30default_config_static_selectorELNS0_4arch9wavefront6targetE0EEEvT1_ ; -- Begin function _ZN7rocprim17ROCPRIM_400000_NS6detail17trampoline_kernelINS0_14default_configENS1_25transform_config_selectorIN3c104HalfELb1EEEZNS1_14transform_implILb1ES3_S7_PS6_S9_NS0_8identityIS6_EEEE10hipError_tT2_T3_mT4_P12ihipStream_tbEUlT_E_NS1_11comp_targetILNS1_3genE3ELNS1_11target_archE908ELNS1_3gpuE7ELNS1_3repE0EEENS1_30default_config_static_selectorELNS0_4arch9wavefront6targetE0EEEvT1_
	.globl	_ZN7rocprim17ROCPRIM_400000_NS6detail17trampoline_kernelINS0_14default_configENS1_25transform_config_selectorIN3c104HalfELb1EEEZNS1_14transform_implILb1ES3_S7_PS6_S9_NS0_8identityIS6_EEEE10hipError_tT2_T3_mT4_P12ihipStream_tbEUlT_E_NS1_11comp_targetILNS1_3genE3ELNS1_11target_archE908ELNS1_3gpuE7ELNS1_3repE0EEENS1_30default_config_static_selectorELNS0_4arch9wavefront6targetE0EEEvT1_
	.p2align	8
	.type	_ZN7rocprim17ROCPRIM_400000_NS6detail17trampoline_kernelINS0_14default_configENS1_25transform_config_selectorIN3c104HalfELb1EEEZNS1_14transform_implILb1ES3_S7_PS6_S9_NS0_8identityIS6_EEEE10hipError_tT2_T3_mT4_P12ihipStream_tbEUlT_E_NS1_11comp_targetILNS1_3genE3ELNS1_11target_archE908ELNS1_3gpuE7ELNS1_3repE0EEENS1_30default_config_static_selectorELNS0_4arch9wavefront6targetE0EEEvT1_,@function
_ZN7rocprim17ROCPRIM_400000_NS6detail17trampoline_kernelINS0_14default_configENS1_25transform_config_selectorIN3c104HalfELb1EEEZNS1_14transform_implILb1ES3_S7_PS6_S9_NS0_8identityIS6_EEEE10hipError_tT2_T3_mT4_P12ihipStream_tbEUlT_E_NS1_11comp_targetILNS1_3genE3ELNS1_11target_archE908ELNS1_3gpuE7ELNS1_3repE0EEENS1_30default_config_static_selectorELNS0_4arch9wavefront6targetE0EEEvT1_: ; @_ZN7rocprim17ROCPRIM_400000_NS6detail17trampoline_kernelINS0_14default_configENS1_25transform_config_selectorIN3c104HalfELb1EEEZNS1_14transform_implILb1ES3_S7_PS6_S9_NS0_8identityIS6_EEEE10hipError_tT2_T3_mT4_P12ihipStream_tbEUlT_E_NS1_11comp_targetILNS1_3genE3ELNS1_11target_archE908ELNS1_3gpuE7ELNS1_3repE0EEENS1_30default_config_static_selectorELNS0_4arch9wavefront6targetE0EEEvT1_
; %bb.0:
	.section	.rodata,"a",@progbits
	.p2align	6, 0x0
	.amdhsa_kernel _ZN7rocprim17ROCPRIM_400000_NS6detail17trampoline_kernelINS0_14default_configENS1_25transform_config_selectorIN3c104HalfELb1EEEZNS1_14transform_implILb1ES3_S7_PS6_S9_NS0_8identityIS6_EEEE10hipError_tT2_T3_mT4_P12ihipStream_tbEUlT_E_NS1_11comp_targetILNS1_3genE3ELNS1_11target_archE908ELNS1_3gpuE7ELNS1_3repE0EEENS1_30default_config_static_selectorELNS0_4arch9wavefront6targetE0EEEvT1_
		.amdhsa_group_segment_fixed_size 0
		.amdhsa_private_segment_fixed_size 0
		.amdhsa_kernarg_size 40
		.amdhsa_user_sgpr_count 2
		.amdhsa_user_sgpr_dispatch_ptr 0
		.amdhsa_user_sgpr_queue_ptr 0
		.amdhsa_user_sgpr_kernarg_segment_ptr 1
		.amdhsa_user_sgpr_dispatch_id 0
		.amdhsa_user_sgpr_private_segment_size 0
		.amdhsa_wavefront_size32 1
		.amdhsa_uses_dynamic_stack 0
		.amdhsa_enable_private_segment 0
		.amdhsa_system_sgpr_workgroup_id_x 1
		.amdhsa_system_sgpr_workgroup_id_y 0
		.amdhsa_system_sgpr_workgroup_id_z 0
		.amdhsa_system_sgpr_workgroup_info 0
		.amdhsa_system_vgpr_workitem_id 0
		.amdhsa_next_free_vgpr 1
		.amdhsa_next_free_sgpr 1
		.amdhsa_reserve_vcc 0
		.amdhsa_float_round_mode_32 0
		.amdhsa_float_round_mode_16_64 0
		.amdhsa_float_denorm_mode_32 3
		.amdhsa_float_denorm_mode_16_64 3
		.amdhsa_fp16_overflow 0
		.amdhsa_workgroup_processor_mode 1
		.amdhsa_memory_ordered 1
		.amdhsa_forward_progress 1
		.amdhsa_inst_pref_size 0
		.amdhsa_round_robin_scheduling 0
		.amdhsa_exception_fp_ieee_invalid_op 0
		.amdhsa_exception_fp_denorm_src 0
		.amdhsa_exception_fp_ieee_div_zero 0
		.amdhsa_exception_fp_ieee_overflow 0
		.amdhsa_exception_fp_ieee_underflow 0
		.amdhsa_exception_fp_ieee_inexact 0
		.amdhsa_exception_int_div_zero 0
	.end_amdhsa_kernel
	.section	.text._ZN7rocprim17ROCPRIM_400000_NS6detail17trampoline_kernelINS0_14default_configENS1_25transform_config_selectorIN3c104HalfELb1EEEZNS1_14transform_implILb1ES3_S7_PS6_S9_NS0_8identityIS6_EEEE10hipError_tT2_T3_mT4_P12ihipStream_tbEUlT_E_NS1_11comp_targetILNS1_3genE3ELNS1_11target_archE908ELNS1_3gpuE7ELNS1_3repE0EEENS1_30default_config_static_selectorELNS0_4arch9wavefront6targetE0EEEvT1_,"axG",@progbits,_ZN7rocprim17ROCPRIM_400000_NS6detail17trampoline_kernelINS0_14default_configENS1_25transform_config_selectorIN3c104HalfELb1EEEZNS1_14transform_implILb1ES3_S7_PS6_S9_NS0_8identityIS6_EEEE10hipError_tT2_T3_mT4_P12ihipStream_tbEUlT_E_NS1_11comp_targetILNS1_3genE3ELNS1_11target_archE908ELNS1_3gpuE7ELNS1_3repE0EEENS1_30default_config_static_selectorELNS0_4arch9wavefront6targetE0EEEvT1_,comdat
.Lfunc_end364:
	.size	_ZN7rocprim17ROCPRIM_400000_NS6detail17trampoline_kernelINS0_14default_configENS1_25transform_config_selectorIN3c104HalfELb1EEEZNS1_14transform_implILb1ES3_S7_PS6_S9_NS0_8identityIS6_EEEE10hipError_tT2_T3_mT4_P12ihipStream_tbEUlT_E_NS1_11comp_targetILNS1_3genE3ELNS1_11target_archE908ELNS1_3gpuE7ELNS1_3repE0EEENS1_30default_config_static_selectorELNS0_4arch9wavefront6targetE0EEEvT1_, .Lfunc_end364-_ZN7rocprim17ROCPRIM_400000_NS6detail17trampoline_kernelINS0_14default_configENS1_25transform_config_selectorIN3c104HalfELb1EEEZNS1_14transform_implILb1ES3_S7_PS6_S9_NS0_8identityIS6_EEEE10hipError_tT2_T3_mT4_P12ihipStream_tbEUlT_E_NS1_11comp_targetILNS1_3genE3ELNS1_11target_archE908ELNS1_3gpuE7ELNS1_3repE0EEENS1_30default_config_static_selectorELNS0_4arch9wavefront6targetE0EEEvT1_
                                        ; -- End function
	.set _ZN7rocprim17ROCPRIM_400000_NS6detail17trampoline_kernelINS0_14default_configENS1_25transform_config_selectorIN3c104HalfELb1EEEZNS1_14transform_implILb1ES3_S7_PS6_S9_NS0_8identityIS6_EEEE10hipError_tT2_T3_mT4_P12ihipStream_tbEUlT_E_NS1_11comp_targetILNS1_3genE3ELNS1_11target_archE908ELNS1_3gpuE7ELNS1_3repE0EEENS1_30default_config_static_selectorELNS0_4arch9wavefront6targetE0EEEvT1_.num_vgpr, 0
	.set _ZN7rocprim17ROCPRIM_400000_NS6detail17trampoline_kernelINS0_14default_configENS1_25transform_config_selectorIN3c104HalfELb1EEEZNS1_14transform_implILb1ES3_S7_PS6_S9_NS0_8identityIS6_EEEE10hipError_tT2_T3_mT4_P12ihipStream_tbEUlT_E_NS1_11comp_targetILNS1_3genE3ELNS1_11target_archE908ELNS1_3gpuE7ELNS1_3repE0EEENS1_30default_config_static_selectorELNS0_4arch9wavefront6targetE0EEEvT1_.num_agpr, 0
	.set _ZN7rocprim17ROCPRIM_400000_NS6detail17trampoline_kernelINS0_14default_configENS1_25transform_config_selectorIN3c104HalfELb1EEEZNS1_14transform_implILb1ES3_S7_PS6_S9_NS0_8identityIS6_EEEE10hipError_tT2_T3_mT4_P12ihipStream_tbEUlT_E_NS1_11comp_targetILNS1_3genE3ELNS1_11target_archE908ELNS1_3gpuE7ELNS1_3repE0EEENS1_30default_config_static_selectorELNS0_4arch9wavefront6targetE0EEEvT1_.numbered_sgpr, 0
	.set _ZN7rocprim17ROCPRIM_400000_NS6detail17trampoline_kernelINS0_14default_configENS1_25transform_config_selectorIN3c104HalfELb1EEEZNS1_14transform_implILb1ES3_S7_PS6_S9_NS0_8identityIS6_EEEE10hipError_tT2_T3_mT4_P12ihipStream_tbEUlT_E_NS1_11comp_targetILNS1_3genE3ELNS1_11target_archE908ELNS1_3gpuE7ELNS1_3repE0EEENS1_30default_config_static_selectorELNS0_4arch9wavefront6targetE0EEEvT1_.num_named_barrier, 0
	.set _ZN7rocprim17ROCPRIM_400000_NS6detail17trampoline_kernelINS0_14default_configENS1_25transform_config_selectorIN3c104HalfELb1EEEZNS1_14transform_implILb1ES3_S7_PS6_S9_NS0_8identityIS6_EEEE10hipError_tT2_T3_mT4_P12ihipStream_tbEUlT_E_NS1_11comp_targetILNS1_3genE3ELNS1_11target_archE908ELNS1_3gpuE7ELNS1_3repE0EEENS1_30default_config_static_selectorELNS0_4arch9wavefront6targetE0EEEvT1_.private_seg_size, 0
	.set _ZN7rocprim17ROCPRIM_400000_NS6detail17trampoline_kernelINS0_14default_configENS1_25transform_config_selectorIN3c104HalfELb1EEEZNS1_14transform_implILb1ES3_S7_PS6_S9_NS0_8identityIS6_EEEE10hipError_tT2_T3_mT4_P12ihipStream_tbEUlT_E_NS1_11comp_targetILNS1_3genE3ELNS1_11target_archE908ELNS1_3gpuE7ELNS1_3repE0EEENS1_30default_config_static_selectorELNS0_4arch9wavefront6targetE0EEEvT1_.uses_vcc, 0
	.set _ZN7rocprim17ROCPRIM_400000_NS6detail17trampoline_kernelINS0_14default_configENS1_25transform_config_selectorIN3c104HalfELb1EEEZNS1_14transform_implILb1ES3_S7_PS6_S9_NS0_8identityIS6_EEEE10hipError_tT2_T3_mT4_P12ihipStream_tbEUlT_E_NS1_11comp_targetILNS1_3genE3ELNS1_11target_archE908ELNS1_3gpuE7ELNS1_3repE0EEENS1_30default_config_static_selectorELNS0_4arch9wavefront6targetE0EEEvT1_.uses_flat_scratch, 0
	.set _ZN7rocprim17ROCPRIM_400000_NS6detail17trampoline_kernelINS0_14default_configENS1_25transform_config_selectorIN3c104HalfELb1EEEZNS1_14transform_implILb1ES3_S7_PS6_S9_NS0_8identityIS6_EEEE10hipError_tT2_T3_mT4_P12ihipStream_tbEUlT_E_NS1_11comp_targetILNS1_3genE3ELNS1_11target_archE908ELNS1_3gpuE7ELNS1_3repE0EEENS1_30default_config_static_selectorELNS0_4arch9wavefront6targetE0EEEvT1_.has_dyn_sized_stack, 0
	.set _ZN7rocprim17ROCPRIM_400000_NS6detail17trampoline_kernelINS0_14default_configENS1_25transform_config_selectorIN3c104HalfELb1EEEZNS1_14transform_implILb1ES3_S7_PS6_S9_NS0_8identityIS6_EEEE10hipError_tT2_T3_mT4_P12ihipStream_tbEUlT_E_NS1_11comp_targetILNS1_3genE3ELNS1_11target_archE908ELNS1_3gpuE7ELNS1_3repE0EEENS1_30default_config_static_selectorELNS0_4arch9wavefront6targetE0EEEvT1_.has_recursion, 0
	.set _ZN7rocprim17ROCPRIM_400000_NS6detail17trampoline_kernelINS0_14default_configENS1_25transform_config_selectorIN3c104HalfELb1EEEZNS1_14transform_implILb1ES3_S7_PS6_S9_NS0_8identityIS6_EEEE10hipError_tT2_T3_mT4_P12ihipStream_tbEUlT_E_NS1_11comp_targetILNS1_3genE3ELNS1_11target_archE908ELNS1_3gpuE7ELNS1_3repE0EEENS1_30default_config_static_selectorELNS0_4arch9wavefront6targetE0EEEvT1_.has_indirect_call, 0
	.section	.AMDGPU.csdata,"",@progbits
; Kernel info:
; codeLenInByte = 0
; TotalNumSgprs: 0
; NumVgprs: 0
; ScratchSize: 0
; MemoryBound: 0
; FloatMode: 240
; IeeeMode: 1
; LDSByteSize: 0 bytes/workgroup (compile time only)
; SGPRBlocks: 0
; VGPRBlocks: 0
; NumSGPRsForWavesPerEU: 1
; NumVGPRsForWavesPerEU: 1
; Occupancy: 16
; WaveLimiterHint : 0
; COMPUTE_PGM_RSRC2:SCRATCH_EN: 0
; COMPUTE_PGM_RSRC2:USER_SGPR: 2
; COMPUTE_PGM_RSRC2:TRAP_HANDLER: 0
; COMPUTE_PGM_RSRC2:TGID_X_EN: 1
; COMPUTE_PGM_RSRC2:TGID_Y_EN: 0
; COMPUTE_PGM_RSRC2:TGID_Z_EN: 0
; COMPUTE_PGM_RSRC2:TIDIG_COMP_CNT: 0
	.section	.text._ZN7rocprim17ROCPRIM_400000_NS6detail17trampoline_kernelINS0_14default_configENS1_25transform_config_selectorIN3c104HalfELb1EEEZNS1_14transform_implILb1ES3_S7_PS6_S9_NS0_8identityIS6_EEEE10hipError_tT2_T3_mT4_P12ihipStream_tbEUlT_E_NS1_11comp_targetILNS1_3genE2ELNS1_11target_archE906ELNS1_3gpuE6ELNS1_3repE0EEENS1_30default_config_static_selectorELNS0_4arch9wavefront6targetE0EEEvT1_,"axG",@progbits,_ZN7rocprim17ROCPRIM_400000_NS6detail17trampoline_kernelINS0_14default_configENS1_25transform_config_selectorIN3c104HalfELb1EEEZNS1_14transform_implILb1ES3_S7_PS6_S9_NS0_8identityIS6_EEEE10hipError_tT2_T3_mT4_P12ihipStream_tbEUlT_E_NS1_11comp_targetILNS1_3genE2ELNS1_11target_archE906ELNS1_3gpuE6ELNS1_3repE0EEENS1_30default_config_static_selectorELNS0_4arch9wavefront6targetE0EEEvT1_,comdat
	.protected	_ZN7rocprim17ROCPRIM_400000_NS6detail17trampoline_kernelINS0_14default_configENS1_25transform_config_selectorIN3c104HalfELb1EEEZNS1_14transform_implILb1ES3_S7_PS6_S9_NS0_8identityIS6_EEEE10hipError_tT2_T3_mT4_P12ihipStream_tbEUlT_E_NS1_11comp_targetILNS1_3genE2ELNS1_11target_archE906ELNS1_3gpuE6ELNS1_3repE0EEENS1_30default_config_static_selectorELNS0_4arch9wavefront6targetE0EEEvT1_ ; -- Begin function _ZN7rocprim17ROCPRIM_400000_NS6detail17trampoline_kernelINS0_14default_configENS1_25transform_config_selectorIN3c104HalfELb1EEEZNS1_14transform_implILb1ES3_S7_PS6_S9_NS0_8identityIS6_EEEE10hipError_tT2_T3_mT4_P12ihipStream_tbEUlT_E_NS1_11comp_targetILNS1_3genE2ELNS1_11target_archE906ELNS1_3gpuE6ELNS1_3repE0EEENS1_30default_config_static_selectorELNS0_4arch9wavefront6targetE0EEEvT1_
	.globl	_ZN7rocprim17ROCPRIM_400000_NS6detail17trampoline_kernelINS0_14default_configENS1_25transform_config_selectorIN3c104HalfELb1EEEZNS1_14transform_implILb1ES3_S7_PS6_S9_NS0_8identityIS6_EEEE10hipError_tT2_T3_mT4_P12ihipStream_tbEUlT_E_NS1_11comp_targetILNS1_3genE2ELNS1_11target_archE906ELNS1_3gpuE6ELNS1_3repE0EEENS1_30default_config_static_selectorELNS0_4arch9wavefront6targetE0EEEvT1_
	.p2align	8
	.type	_ZN7rocprim17ROCPRIM_400000_NS6detail17trampoline_kernelINS0_14default_configENS1_25transform_config_selectorIN3c104HalfELb1EEEZNS1_14transform_implILb1ES3_S7_PS6_S9_NS0_8identityIS6_EEEE10hipError_tT2_T3_mT4_P12ihipStream_tbEUlT_E_NS1_11comp_targetILNS1_3genE2ELNS1_11target_archE906ELNS1_3gpuE6ELNS1_3repE0EEENS1_30default_config_static_selectorELNS0_4arch9wavefront6targetE0EEEvT1_,@function
_ZN7rocprim17ROCPRIM_400000_NS6detail17trampoline_kernelINS0_14default_configENS1_25transform_config_selectorIN3c104HalfELb1EEEZNS1_14transform_implILb1ES3_S7_PS6_S9_NS0_8identityIS6_EEEE10hipError_tT2_T3_mT4_P12ihipStream_tbEUlT_E_NS1_11comp_targetILNS1_3genE2ELNS1_11target_archE906ELNS1_3gpuE6ELNS1_3repE0EEENS1_30default_config_static_selectorELNS0_4arch9wavefront6targetE0EEEvT1_: ; @_ZN7rocprim17ROCPRIM_400000_NS6detail17trampoline_kernelINS0_14default_configENS1_25transform_config_selectorIN3c104HalfELb1EEEZNS1_14transform_implILb1ES3_S7_PS6_S9_NS0_8identityIS6_EEEE10hipError_tT2_T3_mT4_P12ihipStream_tbEUlT_E_NS1_11comp_targetILNS1_3genE2ELNS1_11target_archE906ELNS1_3gpuE6ELNS1_3repE0EEENS1_30default_config_static_selectorELNS0_4arch9wavefront6targetE0EEEvT1_
; %bb.0:
	.section	.rodata,"a",@progbits
	.p2align	6, 0x0
	.amdhsa_kernel _ZN7rocprim17ROCPRIM_400000_NS6detail17trampoline_kernelINS0_14default_configENS1_25transform_config_selectorIN3c104HalfELb1EEEZNS1_14transform_implILb1ES3_S7_PS6_S9_NS0_8identityIS6_EEEE10hipError_tT2_T3_mT4_P12ihipStream_tbEUlT_E_NS1_11comp_targetILNS1_3genE2ELNS1_11target_archE906ELNS1_3gpuE6ELNS1_3repE0EEENS1_30default_config_static_selectorELNS0_4arch9wavefront6targetE0EEEvT1_
		.amdhsa_group_segment_fixed_size 0
		.amdhsa_private_segment_fixed_size 0
		.amdhsa_kernarg_size 40
		.amdhsa_user_sgpr_count 2
		.amdhsa_user_sgpr_dispatch_ptr 0
		.amdhsa_user_sgpr_queue_ptr 0
		.amdhsa_user_sgpr_kernarg_segment_ptr 1
		.amdhsa_user_sgpr_dispatch_id 0
		.amdhsa_user_sgpr_private_segment_size 0
		.amdhsa_wavefront_size32 1
		.amdhsa_uses_dynamic_stack 0
		.amdhsa_enable_private_segment 0
		.amdhsa_system_sgpr_workgroup_id_x 1
		.amdhsa_system_sgpr_workgroup_id_y 0
		.amdhsa_system_sgpr_workgroup_id_z 0
		.amdhsa_system_sgpr_workgroup_info 0
		.amdhsa_system_vgpr_workitem_id 0
		.amdhsa_next_free_vgpr 1
		.amdhsa_next_free_sgpr 1
		.amdhsa_reserve_vcc 0
		.amdhsa_float_round_mode_32 0
		.amdhsa_float_round_mode_16_64 0
		.amdhsa_float_denorm_mode_32 3
		.amdhsa_float_denorm_mode_16_64 3
		.amdhsa_fp16_overflow 0
		.amdhsa_workgroup_processor_mode 1
		.amdhsa_memory_ordered 1
		.amdhsa_forward_progress 1
		.amdhsa_inst_pref_size 0
		.amdhsa_round_robin_scheduling 0
		.amdhsa_exception_fp_ieee_invalid_op 0
		.amdhsa_exception_fp_denorm_src 0
		.amdhsa_exception_fp_ieee_div_zero 0
		.amdhsa_exception_fp_ieee_overflow 0
		.amdhsa_exception_fp_ieee_underflow 0
		.amdhsa_exception_fp_ieee_inexact 0
		.amdhsa_exception_int_div_zero 0
	.end_amdhsa_kernel
	.section	.text._ZN7rocprim17ROCPRIM_400000_NS6detail17trampoline_kernelINS0_14default_configENS1_25transform_config_selectorIN3c104HalfELb1EEEZNS1_14transform_implILb1ES3_S7_PS6_S9_NS0_8identityIS6_EEEE10hipError_tT2_T3_mT4_P12ihipStream_tbEUlT_E_NS1_11comp_targetILNS1_3genE2ELNS1_11target_archE906ELNS1_3gpuE6ELNS1_3repE0EEENS1_30default_config_static_selectorELNS0_4arch9wavefront6targetE0EEEvT1_,"axG",@progbits,_ZN7rocprim17ROCPRIM_400000_NS6detail17trampoline_kernelINS0_14default_configENS1_25transform_config_selectorIN3c104HalfELb1EEEZNS1_14transform_implILb1ES3_S7_PS6_S9_NS0_8identityIS6_EEEE10hipError_tT2_T3_mT4_P12ihipStream_tbEUlT_E_NS1_11comp_targetILNS1_3genE2ELNS1_11target_archE906ELNS1_3gpuE6ELNS1_3repE0EEENS1_30default_config_static_selectorELNS0_4arch9wavefront6targetE0EEEvT1_,comdat
.Lfunc_end365:
	.size	_ZN7rocprim17ROCPRIM_400000_NS6detail17trampoline_kernelINS0_14default_configENS1_25transform_config_selectorIN3c104HalfELb1EEEZNS1_14transform_implILb1ES3_S7_PS6_S9_NS0_8identityIS6_EEEE10hipError_tT2_T3_mT4_P12ihipStream_tbEUlT_E_NS1_11comp_targetILNS1_3genE2ELNS1_11target_archE906ELNS1_3gpuE6ELNS1_3repE0EEENS1_30default_config_static_selectorELNS0_4arch9wavefront6targetE0EEEvT1_, .Lfunc_end365-_ZN7rocprim17ROCPRIM_400000_NS6detail17trampoline_kernelINS0_14default_configENS1_25transform_config_selectorIN3c104HalfELb1EEEZNS1_14transform_implILb1ES3_S7_PS6_S9_NS0_8identityIS6_EEEE10hipError_tT2_T3_mT4_P12ihipStream_tbEUlT_E_NS1_11comp_targetILNS1_3genE2ELNS1_11target_archE906ELNS1_3gpuE6ELNS1_3repE0EEENS1_30default_config_static_selectorELNS0_4arch9wavefront6targetE0EEEvT1_
                                        ; -- End function
	.set _ZN7rocprim17ROCPRIM_400000_NS6detail17trampoline_kernelINS0_14default_configENS1_25transform_config_selectorIN3c104HalfELb1EEEZNS1_14transform_implILb1ES3_S7_PS6_S9_NS0_8identityIS6_EEEE10hipError_tT2_T3_mT4_P12ihipStream_tbEUlT_E_NS1_11comp_targetILNS1_3genE2ELNS1_11target_archE906ELNS1_3gpuE6ELNS1_3repE0EEENS1_30default_config_static_selectorELNS0_4arch9wavefront6targetE0EEEvT1_.num_vgpr, 0
	.set _ZN7rocprim17ROCPRIM_400000_NS6detail17trampoline_kernelINS0_14default_configENS1_25transform_config_selectorIN3c104HalfELb1EEEZNS1_14transform_implILb1ES3_S7_PS6_S9_NS0_8identityIS6_EEEE10hipError_tT2_T3_mT4_P12ihipStream_tbEUlT_E_NS1_11comp_targetILNS1_3genE2ELNS1_11target_archE906ELNS1_3gpuE6ELNS1_3repE0EEENS1_30default_config_static_selectorELNS0_4arch9wavefront6targetE0EEEvT1_.num_agpr, 0
	.set _ZN7rocprim17ROCPRIM_400000_NS6detail17trampoline_kernelINS0_14default_configENS1_25transform_config_selectorIN3c104HalfELb1EEEZNS1_14transform_implILb1ES3_S7_PS6_S9_NS0_8identityIS6_EEEE10hipError_tT2_T3_mT4_P12ihipStream_tbEUlT_E_NS1_11comp_targetILNS1_3genE2ELNS1_11target_archE906ELNS1_3gpuE6ELNS1_3repE0EEENS1_30default_config_static_selectorELNS0_4arch9wavefront6targetE0EEEvT1_.numbered_sgpr, 0
	.set _ZN7rocprim17ROCPRIM_400000_NS6detail17trampoline_kernelINS0_14default_configENS1_25transform_config_selectorIN3c104HalfELb1EEEZNS1_14transform_implILb1ES3_S7_PS6_S9_NS0_8identityIS6_EEEE10hipError_tT2_T3_mT4_P12ihipStream_tbEUlT_E_NS1_11comp_targetILNS1_3genE2ELNS1_11target_archE906ELNS1_3gpuE6ELNS1_3repE0EEENS1_30default_config_static_selectorELNS0_4arch9wavefront6targetE0EEEvT1_.num_named_barrier, 0
	.set _ZN7rocprim17ROCPRIM_400000_NS6detail17trampoline_kernelINS0_14default_configENS1_25transform_config_selectorIN3c104HalfELb1EEEZNS1_14transform_implILb1ES3_S7_PS6_S9_NS0_8identityIS6_EEEE10hipError_tT2_T3_mT4_P12ihipStream_tbEUlT_E_NS1_11comp_targetILNS1_3genE2ELNS1_11target_archE906ELNS1_3gpuE6ELNS1_3repE0EEENS1_30default_config_static_selectorELNS0_4arch9wavefront6targetE0EEEvT1_.private_seg_size, 0
	.set _ZN7rocprim17ROCPRIM_400000_NS6detail17trampoline_kernelINS0_14default_configENS1_25transform_config_selectorIN3c104HalfELb1EEEZNS1_14transform_implILb1ES3_S7_PS6_S9_NS0_8identityIS6_EEEE10hipError_tT2_T3_mT4_P12ihipStream_tbEUlT_E_NS1_11comp_targetILNS1_3genE2ELNS1_11target_archE906ELNS1_3gpuE6ELNS1_3repE0EEENS1_30default_config_static_selectorELNS0_4arch9wavefront6targetE0EEEvT1_.uses_vcc, 0
	.set _ZN7rocprim17ROCPRIM_400000_NS6detail17trampoline_kernelINS0_14default_configENS1_25transform_config_selectorIN3c104HalfELb1EEEZNS1_14transform_implILb1ES3_S7_PS6_S9_NS0_8identityIS6_EEEE10hipError_tT2_T3_mT4_P12ihipStream_tbEUlT_E_NS1_11comp_targetILNS1_3genE2ELNS1_11target_archE906ELNS1_3gpuE6ELNS1_3repE0EEENS1_30default_config_static_selectorELNS0_4arch9wavefront6targetE0EEEvT1_.uses_flat_scratch, 0
	.set _ZN7rocprim17ROCPRIM_400000_NS6detail17trampoline_kernelINS0_14default_configENS1_25transform_config_selectorIN3c104HalfELb1EEEZNS1_14transform_implILb1ES3_S7_PS6_S9_NS0_8identityIS6_EEEE10hipError_tT2_T3_mT4_P12ihipStream_tbEUlT_E_NS1_11comp_targetILNS1_3genE2ELNS1_11target_archE906ELNS1_3gpuE6ELNS1_3repE0EEENS1_30default_config_static_selectorELNS0_4arch9wavefront6targetE0EEEvT1_.has_dyn_sized_stack, 0
	.set _ZN7rocprim17ROCPRIM_400000_NS6detail17trampoline_kernelINS0_14default_configENS1_25transform_config_selectorIN3c104HalfELb1EEEZNS1_14transform_implILb1ES3_S7_PS6_S9_NS0_8identityIS6_EEEE10hipError_tT2_T3_mT4_P12ihipStream_tbEUlT_E_NS1_11comp_targetILNS1_3genE2ELNS1_11target_archE906ELNS1_3gpuE6ELNS1_3repE0EEENS1_30default_config_static_selectorELNS0_4arch9wavefront6targetE0EEEvT1_.has_recursion, 0
	.set _ZN7rocprim17ROCPRIM_400000_NS6detail17trampoline_kernelINS0_14default_configENS1_25transform_config_selectorIN3c104HalfELb1EEEZNS1_14transform_implILb1ES3_S7_PS6_S9_NS0_8identityIS6_EEEE10hipError_tT2_T3_mT4_P12ihipStream_tbEUlT_E_NS1_11comp_targetILNS1_3genE2ELNS1_11target_archE906ELNS1_3gpuE6ELNS1_3repE0EEENS1_30default_config_static_selectorELNS0_4arch9wavefront6targetE0EEEvT1_.has_indirect_call, 0
	.section	.AMDGPU.csdata,"",@progbits
; Kernel info:
; codeLenInByte = 0
; TotalNumSgprs: 0
; NumVgprs: 0
; ScratchSize: 0
; MemoryBound: 0
; FloatMode: 240
; IeeeMode: 1
; LDSByteSize: 0 bytes/workgroup (compile time only)
; SGPRBlocks: 0
; VGPRBlocks: 0
; NumSGPRsForWavesPerEU: 1
; NumVGPRsForWavesPerEU: 1
; Occupancy: 16
; WaveLimiterHint : 0
; COMPUTE_PGM_RSRC2:SCRATCH_EN: 0
; COMPUTE_PGM_RSRC2:USER_SGPR: 2
; COMPUTE_PGM_RSRC2:TRAP_HANDLER: 0
; COMPUTE_PGM_RSRC2:TGID_X_EN: 1
; COMPUTE_PGM_RSRC2:TGID_Y_EN: 0
; COMPUTE_PGM_RSRC2:TGID_Z_EN: 0
; COMPUTE_PGM_RSRC2:TIDIG_COMP_CNT: 0
	.section	.text._ZN7rocprim17ROCPRIM_400000_NS6detail17trampoline_kernelINS0_14default_configENS1_25transform_config_selectorIN3c104HalfELb1EEEZNS1_14transform_implILb1ES3_S7_PS6_S9_NS0_8identityIS6_EEEE10hipError_tT2_T3_mT4_P12ihipStream_tbEUlT_E_NS1_11comp_targetILNS1_3genE9ELNS1_11target_archE1100ELNS1_3gpuE3ELNS1_3repE0EEENS1_30default_config_static_selectorELNS0_4arch9wavefront6targetE0EEEvT1_,"axG",@progbits,_ZN7rocprim17ROCPRIM_400000_NS6detail17trampoline_kernelINS0_14default_configENS1_25transform_config_selectorIN3c104HalfELb1EEEZNS1_14transform_implILb1ES3_S7_PS6_S9_NS0_8identityIS6_EEEE10hipError_tT2_T3_mT4_P12ihipStream_tbEUlT_E_NS1_11comp_targetILNS1_3genE9ELNS1_11target_archE1100ELNS1_3gpuE3ELNS1_3repE0EEENS1_30default_config_static_selectorELNS0_4arch9wavefront6targetE0EEEvT1_,comdat
	.protected	_ZN7rocprim17ROCPRIM_400000_NS6detail17trampoline_kernelINS0_14default_configENS1_25transform_config_selectorIN3c104HalfELb1EEEZNS1_14transform_implILb1ES3_S7_PS6_S9_NS0_8identityIS6_EEEE10hipError_tT2_T3_mT4_P12ihipStream_tbEUlT_E_NS1_11comp_targetILNS1_3genE9ELNS1_11target_archE1100ELNS1_3gpuE3ELNS1_3repE0EEENS1_30default_config_static_selectorELNS0_4arch9wavefront6targetE0EEEvT1_ ; -- Begin function _ZN7rocprim17ROCPRIM_400000_NS6detail17trampoline_kernelINS0_14default_configENS1_25transform_config_selectorIN3c104HalfELb1EEEZNS1_14transform_implILb1ES3_S7_PS6_S9_NS0_8identityIS6_EEEE10hipError_tT2_T3_mT4_P12ihipStream_tbEUlT_E_NS1_11comp_targetILNS1_3genE9ELNS1_11target_archE1100ELNS1_3gpuE3ELNS1_3repE0EEENS1_30default_config_static_selectorELNS0_4arch9wavefront6targetE0EEEvT1_
	.globl	_ZN7rocprim17ROCPRIM_400000_NS6detail17trampoline_kernelINS0_14default_configENS1_25transform_config_selectorIN3c104HalfELb1EEEZNS1_14transform_implILb1ES3_S7_PS6_S9_NS0_8identityIS6_EEEE10hipError_tT2_T3_mT4_P12ihipStream_tbEUlT_E_NS1_11comp_targetILNS1_3genE9ELNS1_11target_archE1100ELNS1_3gpuE3ELNS1_3repE0EEENS1_30default_config_static_selectorELNS0_4arch9wavefront6targetE0EEEvT1_
	.p2align	8
	.type	_ZN7rocprim17ROCPRIM_400000_NS6detail17trampoline_kernelINS0_14default_configENS1_25transform_config_selectorIN3c104HalfELb1EEEZNS1_14transform_implILb1ES3_S7_PS6_S9_NS0_8identityIS6_EEEE10hipError_tT2_T3_mT4_P12ihipStream_tbEUlT_E_NS1_11comp_targetILNS1_3genE9ELNS1_11target_archE1100ELNS1_3gpuE3ELNS1_3repE0EEENS1_30default_config_static_selectorELNS0_4arch9wavefront6targetE0EEEvT1_,@function
_ZN7rocprim17ROCPRIM_400000_NS6detail17trampoline_kernelINS0_14default_configENS1_25transform_config_selectorIN3c104HalfELb1EEEZNS1_14transform_implILb1ES3_S7_PS6_S9_NS0_8identityIS6_EEEE10hipError_tT2_T3_mT4_P12ihipStream_tbEUlT_E_NS1_11comp_targetILNS1_3genE9ELNS1_11target_archE1100ELNS1_3gpuE3ELNS1_3repE0EEENS1_30default_config_static_selectorELNS0_4arch9wavefront6targetE0EEEvT1_: ; @_ZN7rocprim17ROCPRIM_400000_NS6detail17trampoline_kernelINS0_14default_configENS1_25transform_config_selectorIN3c104HalfELb1EEEZNS1_14transform_implILb1ES3_S7_PS6_S9_NS0_8identityIS6_EEEE10hipError_tT2_T3_mT4_P12ihipStream_tbEUlT_E_NS1_11comp_targetILNS1_3genE9ELNS1_11target_archE1100ELNS1_3gpuE3ELNS1_3repE0EEENS1_30default_config_static_selectorELNS0_4arch9wavefront6targetE0EEEvT1_
; %bb.0:
	.section	.rodata,"a",@progbits
	.p2align	6, 0x0
	.amdhsa_kernel _ZN7rocprim17ROCPRIM_400000_NS6detail17trampoline_kernelINS0_14default_configENS1_25transform_config_selectorIN3c104HalfELb1EEEZNS1_14transform_implILb1ES3_S7_PS6_S9_NS0_8identityIS6_EEEE10hipError_tT2_T3_mT4_P12ihipStream_tbEUlT_E_NS1_11comp_targetILNS1_3genE9ELNS1_11target_archE1100ELNS1_3gpuE3ELNS1_3repE0EEENS1_30default_config_static_selectorELNS0_4arch9wavefront6targetE0EEEvT1_
		.amdhsa_group_segment_fixed_size 0
		.amdhsa_private_segment_fixed_size 0
		.amdhsa_kernarg_size 40
		.amdhsa_user_sgpr_count 2
		.amdhsa_user_sgpr_dispatch_ptr 0
		.amdhsa_user_sgpr_queue_ptr 0
		.amdhsa_user_sgpr_kernarg_segment_ptr 1
		.amdhsa_user_sgpr_dispatch_id 0
		.amdhsa_user_sgpr_private_segment_size 0
		.amdhsa_wavefront_size32 1
		.amdhsa_uses_dynamic_stack 0
		.amdhsa_enable_private_segment 0
		.amdhsa_system_sgpr_workgroup_id_x 1
		.amdhsa_system_sgpr_workgroup_id_y 0
		.amdhsa_system_sgpr_workgroup_id_z 0
		.amdhsa_system_sgpr_workgroup_info 0
		.amdhsa_system_vgpr_workitem_id 0
		.amdhsa_next_free_vgpr 1
		.amdhsa_next_free_sgpr 1
		.amdhsa_reserve_vcc 0
		.amdhsa_float_round_mode_32 0
		.amdhsa_float_round_mode_16_64 0
		.amdhsa_float_denorm_mode_32 3
		.amdhsa_float_denorm_mode_16_64 3
		.amdhsa_fp16_overflow 0
		.amdhsa_workgroup_processor_mode 1
		.amdhsa_memory_ordered 1
		.amdhsa_forward_progress 1
		.amdhsa_inst_pref_size 0
		.amdhsa_round_robin_scheduling 0
		.amdhsa_exception_fp_ieee_invalid_op 0
		.amdhsa_exception_fp_denorm_src 0
		.amdhsa_exception_fp_ieee_div_zero 0
		.amdhsa_exception_fp_ieee_overflow 0
		.amdhsa_exception_fp_ieee_underflow 0
		.amdhsa_exception_fp_ieee_inexact 0
		.amdhsa_exception_int_div_zero 0
	.end_amdhsa_kernel
	.section	.text._ZN7rocprim17ROCPRIM_400000_NS6detail17trampoline_kernelINS0_14default_configENS1_25transform_config_selectorIN3c104HalfELb1EEEZNS1_14transform_implILb1ES3_S7_PS6_S9_NS0_8identityIS6_EEEE10hipError_tT2_T3_mT4_P12ihipStream_tbEUlT_E_NS1_11comp_targetILNS1_3genE9ELNS1_11target_archE1100ELNS1_3gpuE3ELNS1_3repE0EEENS1_30default_config_static_selectorELNS0_4arch9wavefront6targetE0EEEvT1_,"axG",@progbits,_ZN7rocprim17ROCPRIM_400000_NS6detail17trampoline_kernelINS0_14default_configENS1_25transform_config_selectorIN3c104HalfELb1EEEZNS1_14transform_implILb1ES3_S7_PS6_S9_NS0_8identityIS6_EEEE10hipError_tT2_T3_mT4_P12ihipStream_tbEUlT_E_NS1_11comp_targetILNS1_3genE9ELNS1_11target_archE1100ELNS1_3gpuE3ELNS1_3repE0EEENS1_30default_config_static_selectorELNS0_4arch9wavefront6targetE0EEEvT1_,comdat
.Lfunc_end366:
	.size	_ZN7rocprim17ROCPRIM_400000_NS6detail17trampoline_kernelINS0_14default_configENS1_25transform_config_selectorIN3c104HalfELb1EEEZNS1_14transform_implILb1ES3_S7_PS6_S9_NS0_8identityIS6_EEEE10hipError_tT2_T3_mT4_P12ihipStream_tbEUlT_E_NS1_11comp_targetILNS1_3genE9ELNS1_11target_archE1100ELNS1_3gpuE3ELNS1_3repE0EEENS1_30default_config_static_selectorELNS0_4arch9wavefront6targetE0EEEvT1_, .Lfunc_end366-_ZN7rocprim17ROCPRIM_400000_NS6detail17trampoline_kernelINS0_14default_configENS1_25transform_config_selectorIN3c104HalfELb1EEEZNS1_14transform_implILb1ES3_S7_PS6_S9_NS0_8identityIS6_EEEE10hipError_tT2_T3_mT4_P12ihipStream_tbEUlT_E_NS1_11comp_targetILNS1_3genE9ELNS1_11target_archE1100ELNS1_3gpuE3ELNS1_3repE0EEENS1_30default_config_static_selectorELNS0_4arch9wavefront6targetE0EEEvT1_
                                        ; -- End function
	.set _ZN7rocprim17ROCPRIM_400000_NS6detail17trampoline_kernelINS0_14default_configENS1_25transform_config_selectorIN3c104HalfELb1EEEZNS1_14transform_implILb1ES3_S7_PS6_S9_NS0_8identityIS6_EEEE10hipError_tT2_T3_mT4_P12ihipStream_tbEUlT_E_NS1_11comp_targetILNS1_3genE9ELNS1_11target_archE1100ELNS1_3gpuE3ELNS1_3repE0EEENS1_30default_config_static_selectorELNS0_4arch9wavefront6targetE0EEEvT1_.num_vgpr, 0
	.set _ZN7rocprim17ROCPRIM_400000_NS6detail17trampoline_kernelINS0_14default_configENS1_25transform_config_selectorIN3c104HalfELb1EEEZNS1_14transform_implILb1ES3_S7_PS6_S9_NS0_8identityIS6_EEEE10hipError_tT2_T3_mT4_P12ihipStream_tbEUlT_E_NS1_11comp_targetILNS1_3genE9ELNS1_11target_archE1100ELNS1_3gpuE3ELNS1_3repE0EEENS1_30default_config_static_selectorELNS0_4arch9wavefront6targetE0EEEvT1_.num_agpr, 0
	.set _ZN7rocprim17ROCPRIM_400000_NS6detail17trampoline_kernelINS0_14default_configENS1_25transform_config_selectorIN3c104HalfELb1EEEZNS1_14transform_implILb1ES3_S7_PS6_S9_NS0_8identityIS6_EEEE10hipError_tT2_T3_mT4_P12ihipStream_tbEUlT_E_NS1_11comp_targetILNS1_3genE9ELNS1_11target_archE1100ELNS1_3gpuE3ELNS1_3repE0EEENS1_30default_config_static_selectorELNS0_4arch9wavefront6targetE0EEEvT1_.numbered_sgpr, 0
	.set _ZN7rocprim17ROCPRIM_400000_NS6detail17trampoline_kernelINS0_14default_configENS1_25transform_config_selectorIN3c104HalfELb1EEEZNS1_14transform_implILb1ES3_S7_PS6_S9_NS0_8identityIS6_EEEE10hipError_tT2_T3_mT4_P12ihipStream_tbEUlT_E_NS1_11comp_targetILNS1_3genE9ELNS1_11target_archE1100ELNS1_3gpuE3ELNS1_3repE0EEENS1_30default_config_static_selectorELNS0_4arch9wavefront6targetE0EEEvT1_.num_named_barrier, 0
	.set _ZN7rocprim17ROCPRIM_400000_NS6detail17trampoline_kernelINS0_14default_configENS1_25transform_config_selectorIN3c104HalfELb1EEEZNS1_14transform_implILb1ES3_S7_PS6_S9_NS0_8identityIS6_EEEE10hipError_tT2_T3_mT4_P12ihipStream_tbEUlT_E_NS1_11comp_targetILNS1_3genE9ELNS1_11target_archE1100ELNS1_3gpuE3ELNS1_3repE0EEENS1_30default_config_static_selectorELNS0_4arch9wavefront6targetE0EEEvT1_.private_seg_size, 0
	.set _ZN7rocprim17ROCPRIM_400000_NS6detail17trampoline_kernelINS0_14default_configENS1_25transform_config_selectorIN3c104HalfELb1EEEZNS1_14transform_implILb1ES3_S7_PS6_S9_NS0_8identityIS6_EEEE10hipError_tT2_T3_mT4_P12ihipStream_tbEUlT_E_NS1_11comp_targetILNS1_3genE9ELNS1_11target_archE1100ELNS1_3gpuE3ELNS1_3repE0EEENS1_30default_config_static_selectorELNS0_4arch9wavefront6targetE0EEEvT1_.uses_vcc, 0
	.set _ZN7rocprim17ROCPRIM_400000_NS6detail17trampoline_kernelINS0_14default_configENS1_25transform_config_selectorIN3c104HalfELb1EEEZNS1_14transform_implILb1ES3_S7_PS6_S9_NS0_8identityIS6_EEEE10hipError_tT2_T3_mT4_P12ihipStream_tbEUlT_E_NS1_11comp_targetILNS1_3genE9ELNS1_11target_archE1100ELNS1_3gpuE3ELNS1_3repE0EEENS1_30default_config_static_selectorELNS0_4arch9wavefront6targetE0EEEvT1_.uses_flat_scratch, 0
	.set _ZN7rocprim17ROCPRIM_400000_NS6detail17trampoline_kernelINS0_14default_configENS1_25transform_config_selectorIN3c104HalfELb1EEEZNS1_14transform_implILb1ES3_S7_PS6_S9_NS0_8identityIS6_EEEE10hipError_tT2_T3_mT4_P12ihipStream_tbEUlT_E_NS1_11comp_targetILNS1_3genE9ELNS1_11target_archE1100ELNS1_3gpuE3ELNS1_3repE0EEENS1_30default_config_static_selectorELNS0_4arch9wavefront6targetE0EEEvT1_.has_dyn_sized_stack, 0
	.set _ZN7rocprim17ROCPRIM_400000_NS6detail17trampoline_kernelINS0_14default_configENS1_25transform_config_selectorIN3c104HalfELb1EEEZNS1_14transform_implILb1ES3_S7_PS6_S9_NS0_8identityIS6_EEEE10hipError_tT2_T3_mT4_P12ihipStream_tbEUlT_E_NS1_11comp_targetILNS1_3genE9ELNS1_11target_archE1100ELNS1_3gpuE3ELNS1_3repE0EEENS1_30default_config_static_selectorELNS0_4arch9wavefront6targetE0EEEvT1_.has_recursion, 0
	.set _ZN7rocprim17ROCPRIM_400000_NS6detail17trampoline_kernelINS0_14default_configENS1_25transform_config_selectorIN3c104HalfELb1EEEZNS1_14transform_implILb1ES3_S7_PS6_S9_NS0_8identityIS6_EEEE10hipError_tT2_T3_mT4_P12ihipStream_tbEUlT_E_NS1_11comp_targetILNS1_3genE9ELNS1_11target_archE1100ELNS1_3gpuE3ELNS1_3repE0EEENS1_30default_config_static_selectorELNS0_4arch9wavefront6targetE0EEEvT1_.has_indirect_call, 0
	.section	.AMDGPU.csdata,"",@progbits
; Kernel info:
; codeLenInByte = 0
; TotalNumSgprs: 0
; NumVgprs: 0
; ScratchSize: 0
; MemoryBound: 0
; FloatMode: 240
; IeeeMode: 1
; LDSByteSize: 0 bytes/workgroup (compile time only)
; SGPRBlocks: 0
; VGPRBlocks: 0
; NumSGPRsForWavesPerEU: 1
; NumVGPRsForWavesPerEU: 1
; Occupancy: 16
; WaveLimiterHint : 0
; COMPUTE_PGM_RSRC2:SCRATCH_EN: 0
; COMPUTE_PGM_RSRC2:USER_SGPR: 2
; COMPUTE_PGM_RSRC2:TRAP_HANDLER: 0
; COMPUTE_PGM_RSRC2:TGID_X_EN: 1
; COMPUTE_PGM_RSRC2:TGID_Y_EN: 0
; COMPUTE_PGM_RSRC2:TGID_Z_EN: 0
; COMPUTE_PGM_RSRC2:TIDIG_COMP_CNT: 0
	.section	.text._ZN7rocprim17ROCPRIM_400000_NS6detail17trampoline_kernelINS0_14default_configENS1_25transform_config_selectorIN3c104HalfELb1EEEZNS1_14transform_implILb1ES3_S7_PS6_S9_NS0_8identityIS6_EEEE10hipError_tT2_T3_mT4_P12ihipStream_tbEUlT_E_NS1_11comp_targetILNS1_3genE8ELNS1_11target_archE1030ELNS1_3gpuE2ELNS1_3repE0EEENS1_30default_config_static_selectorELNS0_4arch9wavefront6targetE0EEEvT1_,"axG",@progbits,_ZN7rocprim17ROCPRIM_400000_NS6detail17trampoline_kernelINS0_14default_configENS1_25transform_config_selectorIN3c104HalfELb1EEEZNS1_14transform_implILb1ES3_S7_PS6_S9_NS0_8identityIS6_EEEE10hipError_tT2_T3_mT4_P12ihipStream_tbEUlT_E_NS1_11comp_targetILNS1_3genE8ELNS1_11target_archE1030ELNS1_3gpuE2ELNS1_3repE0EEENS1_30default_config_static_selectorELNS0_4arch9wavefront6targetE0EEEvT1_,comdat
	.protected	_ZN7rocprim17ROCPRIM_400000_NS6detail17trampoline_kernelINS0_14default_configENS1_25transform_config_selectorIN3c104HalfELb1EEEZNS1_14transform_implILb1ES3_S7_PS6_S9_NS0_8identityIS6_EEEE10hipError_tT2_T3_mT4_P12ihipStream_tbEUlT_E_NS1_11comp_targetILNS1_3genE8ELNS1_11target_archE1030ELNS1_3gpuE2ELNS1_3repE0EEENS1_30default_config_static_selectorELNS0_4arch9wavefront6targetE0EEEvT1_ ; -- Begin function _ZN7rocprim17ROCPRIM_400000_NS6detail17trampoline_kernelINS0_14default_configENS1_25transform_config_selectorIN3c104HalfELb1EEEZNS1_14transform_implILb1ES3_S7_PS6_S9_NS0_8identityIS6_EEEE10hipError_tT2_T3_mT4_P12ihipStream_tbEUlT_E_NS1_11comp_targetILNS1_3genE8ELNS1_11target_archE1030ELNS1_3gpuE2ELNS1_3repE0EEENS1_30default_config_static_selectorELNS0_4arch9wavefront6targetE0EEEvT1_
	.globl	_ZN7rocprim17ROCPRIM_400000_NS6detail17trampoline_kernelINS0_14default_configENS1_25transform_config_selectorIN3c104HalfELb1EEEZNS1_14transform_implILb1ES3_S7_PS6_S9_NS0_8identityIS6_EEEE10hipError_tT2_T3_mT4_P12ihipStream_tbEUlT_E_NS1_11comp_targetILNS1_3genE8ELNS1_11target_archE1030ELNS1_3gpuE2ELNS1_3repE0EEENS1_30default_config_static_selectorELNS0_4arch9wavefront6targetE0EEEvT1_
	.p2align	8
	.type	_ZN7rocprim17ROCPRIM_400000_NS6detail17trampoline_kernelINS0_14default_configENS1_25transform_config_selectorIN3c104HalfELb1EEEZNS1_14transform_implILb1ES3_S7_PS6_S9_NS0_8identityIS6_EEEE10hipError_tT2_T3_mT4_P12ihipStream_tbEUlT_E_NS1_11comp_targetILNS1_3genE8ELNS1_11target_archE1030ELNS1_3gpuE2ELNS1_3repE0EEENS1_30default_config_static_selectorELNS0_4arch9wavefront6targetE0EEEvT1_,@function
_ZN7rocprim17ROCPRIM_400000_NS6detail17trampoline_kernelINS0_14default_configENS1_25transform_config_selectorIN3c104HalfELb1EEEZNS1_14transform_implILb1ES3_S7_PS6_S9_NS0_8identityIS6_EEEE10hipError_tT2_T3_mT4_P12ihipStream_tbEUlT_E_NS1_11comp_targetILNS1_3genE8ELNS1_11target_archE1030ELNS1_3gpuE2ELNS1_3repE0EEENS1_30default_config_static_selectorELNS0_4arch9wavefront6targetE0EEEvT1_: ; @_ZN7rocprim17ROCPRIM_400000_NS6detail17trampoline_kernelINS0_14default_configENS1_25transform_config_selectorIN3c104HalfELb1EEEZNS1_14transform_implILb1ES3_S7_PS6_S9_NS0_8identityIS6_EEEE10hipError_tT2_T3_mT4_P12ihipStream_tbEUlT_E_NS1_11comp_targetILNS1_3genE8ELNS1_11target_archE1030ELNS1_3gpuE2ELNS1_3repE0EEENS1_30default_config_static_selectorELNS0_4arch9wavefront6targetE0EEEvT1_
; %bb.0:
	.section	.rodata,"a",@progbits
	.p2align	6, 0x0
	.amdhsa_kernel _ZN7rocprim17ROCPRIM_400000_NS6detail17trampoline_kernelINS0_14default_configENS1_25transform_config_selectorIN3c104HalfELb1EEEZNS1_14transform_implILb1ES3_S7_PS6_S9_NS0_8identityIS6_EEEE10hipError_tT2_T3_mT4_P12ihipStream_tbEUlT_E_NS1_11comp_targetILNS1_3genE8ELNS1_11target_archE1030ELNS1_3gpuE2ELNS1_3repE0EEENS1_30default_config_static_selectorELNS0_4arch9wavefront6targetE0EEEvT1_
		.amdhsa_group_segment_fixed_size 0
		.amdhsa_private_segment_fixed_size 0
		.amdhsa_kernarg_size 40
		.amdhsa_user_sgpr_count 2
		.amdhsa_user_sgpr_dispatch_ptr 0
		.amdhsa_user_sgpr_queue_ptr 0
		.amdhsa_user_sgpr_kernarg_segment_ptr 1
		.amdhsa_user_sgpr_dispatch_id 0
		.amdhsa_user_sgpr_private_segment_size 0
		.amdhsa_wavefront_size32 1
		.amdhsa_uses_dynamic_stack 0
		.amdhsa_enable_private_segment 0
		.amdhsa_system_sgpr_workgroup_id_x 1
		.amdhsa_system_sgpr_workgroup_id_y 0
		.amdhsa_system_sgpr_workgroup_id_z 0
		.amdhsa_system_sgpr_workgroup_info 0
		.amdhsa_system_vgpr_workitem_id 0
		.amdhsa_next_free_vgpr 1
		.amdhsa_next_free_sgpr 1
		.amdhsa_reserve_vcc 0
		.amdhsa_float_round_mode_32 0
		.amdhsa_float_round_mode_16_64 0
		.amdhsa_float_denorm_mode_32 3
		.amdhsa_float_denorm_mode_16_64 3
		.amdhsa_fp16_overflow 0
		.amdhsa_workgroup_processor_mode 1
		.amdhsa_memory_ordered 1
		.amdhsa_forward_progress 1
		.amdhsa_inst_pref_size 0
		.amdhsa_round_robin_scheduling 0
		.amdhsa_exception_fp_ieee_invalid_op 0
		.amdhsa_exception_fp_denorm_src 0
		.amdhsa_exception_fp_ieee_div_zero 0
		.amdhsa_exception_fp_ieee_overflow 0
		.amdhsa_exception_fp_ieee_underflow 0
		.amdhsa_exception_fp_ieee_inexact 0
		.amdhsa_exception_int_div_zero 0
	.end_amdhsa_kernel
	.section	.text._ZN7rocprim17ROCPRIM_400000_NS6detail17trampoline_kernelINS0_14default_configENS1_25transform_config_selectorIN3c104HalfELb1EEEZNS1_14transform_implILb1ES3_S7_PS6_S9_NS0_8identityIS6_EEEE10hipError_tT2_T3_mT4_P12ihipStream_tbEUlT_E_NS1_11comp_targetILNS1_3genE8ELNS1_11target_archE1030ELNS1_3gpuE2ELNS1_3repE0EEENS1_30default_config_static_selectorELNS0_4arch9wavefront6targetE0EEEvT1_,"axG",@progbits,_ZN7rocprim17ROCPRIM_400000_NS6detail17trampoline_kernelINS0_14default_configENS1_25transform_config_selectorIN3c104HalfELb1EEEZNS1_14transform_implILb1ES3_S7_PS6_S9_NS0_8identityIS6_EEEE10hipError_tT2_T3_mT4_P12ihipStream_tbEUlT_E_NS1_11comp_targetILNS1_3genE8ELNS1_11target_archE1030ELNS1_3gpuE2ELNS1_3repE0EEENS1_30default_config_static_selectorELNS0_4arch9wavefront6targetE0EEEvT1_,comdat
.Lfunc_end367:
	.size	_ZN7rocprim17ROCPRIM_400000_NS6detail17trampoline_kernelINS0_14default_configENS1_25transform_config_selectorIN3c104HalfELb1EEEZNS1_14transform_implILb1ES3_S7_PS6_S9_NS0_8identityIS6_EEEE10hipError_tT2_T3_mT4_P12ihipStream_tbEUlT_E_NS1_11comp_targetILNS1_3genE8ELNS1_11target_archE1030ELNS1_3gpuE2ELNS1_3repE0EEENS1_30default_config_static_selectorELNS0_4arch9wavefront6targetE0EEEvT1_, .Lfunc_end367-_ZN7rocprim17ROCPRIM_400000_NS6detail17trampoline_kernelINS0_14default_configENS1_25transform_config_selectorIN3c104HalfELb1EEEZNS1_14transform_implILb1ES3_S7_PS6_S9_NS0_8identityIS6_EEEE10hipError_tT2_T3_mT4_P12ihipStream_tbEUlT_E_NS1_11comp_targetILNS1_3genE8ELNS1_11target_archE1030ELNS1_3gpuE2ELNS1_3repE0EEENS1_30default_config_static_selectorELNS0_4arch9wavefront6targetE0EEEvT1_
                                        ; -- End function
	.set _ZN7rocprim17ROCPRIM_400000_NS6detail17trampoline_kernelINS0_14default_configENS1_25transform_config_selectorIN3c104HalfELb1EEEZNS1_14transform_implILb1ES3_S7_PS6_S9_NS0_8identityIS6_EEEE10hipError_tT2_T3_mT4_P12ihipStream_tbEUlT_E_NS1_11comp_targetILNS1_3genE8ELNS1_11target_archE1030ELNS1_3gpuE2ELNS1_3repE0EEENS1_30default_config_static_selectorELNS0_4arch9wavefront6targetE0EEEvT1_.num_vgpr, 0
	.set _ZN7rocprim17ROCPRIM_400000_NS6detail17trampoline_kernelINS0_14default_configENS1_25transform_config_selectorIN3c104HalfELb1EEEZNS1_14transform_implILb1ES3_S7_PS6_S9_NS0_8identityIS6_EEEE10hipError_tT2_T3_mT4_P12ihipStream_tbEUlT_E_NS1_11comp_targetILNS1_3genE8ELNS1_11target_archE1030ELNS1_3gpuE2ELNS1_3repE0EEENS1_30default_config_static_selectorELNS0_4arch9wavefront6targetE0EEEvT1_.num_agpr, 0
	.set _ZN7rocprim17ROCPRIM_400000_NS6detail17trampoline_kernelINS0_14default_configENS1_25transform_config_selectorIN3c104HalfELb1EEEZNS1_14transform_implILb1ES3_S7_PS6_S9_NS0_8identityIS6_EEEE10hipError_tT2_T3_mT4_P12ihipStream_tbEUlT_E_NS1_11comp_targetILNS1_3genE8ELNS1_11target_archE1030ELNS1_3gpuE2ELNS1_3repE0EEENS1_30default_config_static_selectorELNS0_4arch9wavefront6targetE0EEEvT1_.numbered_sgpr, 0
	.set _ZN7rocprim17ROCPRIM_400000_NS6detail17trampoline_kernelINS0_14default_configENS1_25transform_config_selectorIN3c104HalfELb1EEEZNS1_14transform_implILb1ES3_S7_PS6_S9_NS0_8identityIS6_EEEE10hipError_tT2_T3_mT4_P12ihipStream_tbEUlT_E_NS1_11comp_targetILNS1_3genE8ELNS1_11target_archE1030ELNS1_3gpuE2ELNS1_3repE0EEENS1_30default_config_static_selectorELNS0_4arch9wavefront6targetE0EEEvT1_.num_named_barrier, 0
	.set _ZN7rocprim17ROCPRIM_400000_NS6detail17trampoline_kernelINS0_14default_configENS1_25transform_config_selectorIN3c104HalfELb1EEEZNS1_14transform_implILb1ES3_S7_PS6_S9_NS0_8identityIS6_EEEE10hipError_tT2_T3_mT4_P12ihipStream_tbEUlT_E_NS1_11comp_targetILNS1_3genE8ELNS1_11target_archE1030ELNS1_3gpuE2ELNS1_3repE0EEENS1_30default_config_static_selectorELNS0_4arch9wavefront6targetE0EEEvT1_.private_seg_size, 0
	.set _ZN7rocprim17ROCPRIM_400000_NS6detail17trampoline_kernelINS0_14default_configENS1_25transform_config_selectorIN3c104HalfELb1EEEZNS1_14transform_implILb1ES3_S7_PS6_S9_NS0_8identityIS6_EEEE10hipError_tT2_T3_mT4_P12ihipStream_tbEUlT_E_NS1_11comp_targetILNS1_3genE8ELNS1_11target_archE1030ELNS1_3gpuE2ELNS1_3repE0EEENS1_30default_config_static_selectorELNS0_4arch9wavefront6targetE0EEEvT1_.uses_vcc, 0
	.set _ZN7rocprim17ROCPRIM_400000_NS6detail17trampoline_kernelINS0_14default_configENS1_25transform_config_selectorIN3c104HalfELb1EEEZNS1_14transform_implILb1ES3_S7_PS6_S9_NS0_8identityIS6_EEEE10hipError_tT2_T3_mT4_P12ihipStream_tbEUlT_E_NS1_11comp_targetILNS1_3genE8ELNS1_11target_archE1030ELNS1_3gpuE2ELNS1_3repE0EEENS1_30default_config_static_selectorELNS0_4arch9wavefront6targetE0EEEvT1_.uses_flat_scratch, 0
	.set _ZN7rocprim17ROCPRIM_400000_NS6detail17trampoline_kernelINS0_14default_configENS1_25transform_config_selectorIN3c104HalfELb1EEEZNS1_14transform_implILb1ES3_S7_PS6_S9_NS0_8identityIS6_EEEE10hipError_tT2_T3_mT4_P12ihipStream_tbEUlT_E_NS1_11comp_targetILNS1_3genE8ELNS1_11target_archE1030ELNS1_3gpuE2ELNS1_3repE0EEENS1_30default_config_static_selectorELNS0_4arch9wavefront6targetE0EEEvT1_.has_dyn_sized_stack, 0
	.set _ZN7rocprim17ROCPRIM_400000_NS6detail17trampoline_kernelINS0_14default_configENS1_25transform_config_selectorIN3c104HalfELb1EEEZNS1_14transform_implILb1ES3_S7_PS6_S9_NS0_8identityIS6_EEEE10hipError_tT2_T3_mT4_P12ihipStream_tbEUlT_E_NS1_11comp_targetILNS1_3genE8ELNS1_11target_archE1030ELNS1_3gpuE2ELNS1_3repE0EEENS1_30default_config_static_selectorELNS0_4arch9wavefront6targetE0EEEvT1_.has_recursion, 0
	.set _ZN7rocprim17ROCPRIM_400000_NS6detail17trampoline_kernelINS0_14default_configENS1_25transform_config_selectorIN3c104HalfELb1EEEZNS1_14transform_implILb1ES3_S7_PS6_S9_NS0_8identityIS6_EEEE10hipError_tT2_T3_mT4_P12ihipStream_tbEUlT_E_NS1_11comp_targetILNS1_3genE8ELNS1_11target_archE1030ELNS1_3gpuE2ELNS1_3repE0EEENS1_30default_config_static_selectorELNS0_4arch9wavefront6targetE0EEEvT1_.has_indirect_call, 0
	.section	.AMDGPU.csdata,"",@progbits
; Kernel info:
; codeLenInByte = 0
; TotalNumSgprs: 0
; NumVgprs: 0
; ScratchSize: 0
; MemoryBound: 0
; FloatMode: 240
; IeeeMode: 1
; LDSByteSize: 0 bytes/workgroup (compile time only)
; SGPRBlocks: 0
; VGPRBlocks: 0
; NumSGPRsForWavesPerEU: 1
; NumVGPRsForWavesPerEU: 1
; Occupancy: 16
; WaveLimiterHint : 0
; COMPUTE_PGM_RSRC2:SCRATCH_EN: 0
; COMPUTE_PGM_RSRC2:USER_SGPR: 2
; COMPUTE_PGM_RSRC2:TRAP_HANDLER: 0
; COMPUTE_PGM_RSRC2:TGID_X_EN: 1
; COMPUTE_PGM_RSRC2:TGID_Y_EN: 0
; COMPUTE_PGM_RSRC2:TGID_Z_EN: 0
; COMPUTE_PGM_RSRC2:TIDIG_COMP_CNT: 0
	.section	.text._ZN7rocprim17ROCPRIM_400000_NS6detail17trampoline_kernelINS0_14default_configENS1_20scan_config_selectorIN3c104HalfEEEZZNS1_9scan_implILNS1_25lookback_scan_determinismE0ELb0ELb0ES3_PKS6_PS6_S6_ZZZN2at6native31launch_logcumsumexp_cuda_kernelERKNSD_10TensorBaseESH_lENKUlvE_clEvENKUlvE3_clEvEUlS6_S6_E_S6_EEDaPvRmT3_T4_T5_mT6_P12ihipStream_tbENKUlT_T0_E_clISt17integral_constantIbLb0EESY_EEDaST_SU_EUlST_E0_NS1_11comp_targetILNS1_3genE0ELNS1_11target_archE4294967295ELNS1_3gpuE0ELNS1_3repE0EEENS1_30default_config_static_selectorELNS0_4arch9wavefront6targetE0EEEvT1_,"axG",@progbits,_ZN7rocprim17ROCPRIM_400000_NS6detail17trampoline_kernelINS0_14default_configENS1_20scan_config_selectorIN3c104HalfEEEZZNS1_9scan_implILNS1_25lookback_scan_determinismE0ELb0ELb0ES3_PKS6_PS6_S6_ZZZN2at6native31launch_logcumsumexp_cuda_kernelERKNSD_10TensorBaseESH_lENKUlvE_clEvENKUlvE3_clEvEUlS6_S6_E_S6_EEDaPvRmT3_T4_T5_mT6_P12ihipStream_tbENKUlT_T0_E_clISt17integral_constantIbLb0EESY_EEDaST_SU_EUlST_E0_NS1_11comp_targetILNS1_3genE0ELNS1_11target_archE4294967295ELNS1_3gpuE0ELNS1_3repE0EEENS1_30default_config_static_selectorELNS0_4arch9wavefront6targetE0EEEvT1_,comdat
	.globl	_ZN7rocprim17ROCPRIM_400000_NS6detail17trampoline_kernelINS0_14default_configENS1_20scan_config_selectorIN3c104HalfEEEZZNS1_9scan_implILNS1_25lookback_scan_determinismE0ELb0ELb0ES3_PKS6_PS6_S6_ZZZN2at6native31launch_logcumsumexp_cuda_kernelERKNSD_10TensorBaseESH_lENKUlvE_clEvENKUlvE3_clEvEUlS6_S6_E_S6_EEDaPvRmT3_T4_T5_mT6_P12ihipStream_tbENKUlT_T0_E_clISt17integral_constantIbLb0EESY_EEDaST_SU_EUlST_E0_NS1_11comp_targetILNS1_3genE0ELNS1_11target_archE4294967295ELNS1_3gpuE0ELNS1_3repE0EEENS1_30default_config_static_selectorELNS0_4arch9wavefront6targetE0EEEvT1_ ; -- Begin function _ZN7rocprim17ROCPRIM_400000_NS6detail17trampoline_kernelINS0_14default_configENS1_20scan_config_selectorIN3c104HalfEEEZZNS1_9scan_implILNS1_25lookback_scan_determinismE0ELb0ELb0ES3_PKS6_PS6_S6_ZZZN2at6native31launch_logcumsumexp_cuda_kernelERKNSD_10TensorBaseESH_lENKUlvE_clEvENKUlvE3_clEvEUlS6_S6_E_S6_EEDaPvRmT3_T4_T5_mT6_P12ihipStream_tbENKUlT_T0_E_clISt17integral_constantIbLb0EESY_EEDaST_SU_EUlST_E0_NS1_11comp_targetILNS1_3genE0ELNS1_11target_archE4294967295ELNS1_3gpuE0ELNS1_3repE0EEENS1_30default_config_static_selectorELNS0_4arch9wavefront6targetE0EEEvT1_
	.p2align	8
	.type	_ZN7rocprim17ROCPRIM_400000_NS6detail17trampoline_kernelINS0_14default_configENS1_20scan_config_selectorIN3c104HalfEEEZZNS1_9scan_implILNS1_25lookback_scan_determinismE0ELb0ELb0ES3_PKS6_PS6_S6_ZZZN2at6native31launch_logcumsumexp_cuda_kernelERKNSD_10TensorBaseESH_lENKUlvE_clEvENKUlvE3_clEvEUlS6_S6_E_S6_EEDaPvRmT3_T4_T5_mT6_P12ihipStream_tbENKUlT_T0_E_clISt17integral_constantIbLb0EESY_EEDaST_SU_EUlST_E0_NS1_11comp_targetILNS1_3genE0ELNS1_11target_archE4294967295ELNS1_3gpuE0ELNS1_3repE0EEENS1_30default_config_static_selectorELNS0_4arch9wavefront6targetE0EEEvT1_,@function
_ZN7rocprim17ROCPRIM_400000_NS6detail17trampoline_kernelINS0_14default_configENS1_20scan_config_selectorIN3c104HalfEEEZZNS1_9scan_implILNS1_25lookback_scan_determinismE0ELb0ELb0ES3_PKS6_PS6_S6_ZZZN2at6native31launch_logcumsumexp_cuda_kernelERKNSD_10TensorBaseESH_lENKUlvE_clEvENKUlvE3_clEvEUlS6_S6_E_S6_EEDaPvRmT3_T4_T5_mT6_P12ihipStream_tbENKUlT_T0_E_clISt17integral_constantIbLb0EESY_EEDaST_SU_EUlST_E0_NS1_11comp_targetILNS1_3genE0ELNS1_11target_archE4294967295ELNS1_3gpuE0ELNS1_3repE0EEENS1_30default_config_static_selectorELNS0_4arch9wavefront6targetE0EEEvT1_: ; @_ZN7rocprim17ROCPRIM_400000_NS6detail17trampoline_kernelINS0_14default_configENS1_20scan_config_selectorIN3c104HalfEEEZZNS1_9scan_implILNS1_25lookback_scan_determinismE0ELb0ELb0ES3_PKS6_PS6_S6_ZZZN2at6native31launch_logcumsumexp_cuda_kernelERKNSD_10TensorBaseESH_lENKUlvE_clEvENKUlvE3_clEvEUlS6_S6_E_S6_EEDaPvRmT3_T4_T5_mT6_P12ihipStream_tbENKUlT_T0_E_clISt17integral_constantIbLb0EESY_EEDaST_SU_EUlST_E0_NS1_11comp_targetILNS1_3genE0ELNS1_11target_archE4294967295ELNS1_3gpuE0ELNS1_3repE0EEENS1_30default_config_static_selectorELNS0_4arch9wavefront6targetE0EEEvT1_
; %bb.0:
	.section	.rodata,"a",@progbits
	.p2align	6, 0x0
	.amdhsa_kernel _ZN7rocprim17ROCPRIM_400000_NS6detail17trampoline_kernelINS0_14default_configENS1_20scan_config_selectorIN3c104HalfEEEZZNS1_9scan_implILNS1_25lookback_scan_determinismE0ELb0ELb0ES3_PKS6_PS6_S6_ZZZN2at6native31launch_logcumsumexp_cuda_kernelERKNSD_10TensorBaseESH_lENKUlvE_clEvENKUlvE3_clEvEUlS6_S6_E_S6_EEDaPvRmT3_T4_T5_mT6_P12ihipStream_tbENKUlT_T0_E_clISt17integral_constantIbLb0EESY_EEDaST_SU_EUlST_E0_NS1_11comp_targetILNS1_3genE0ELNS1_11target_archE4294967295ELNS1_3gpuE0ELNS1_3repE0EEENS1_30default_config_static_selectorELNS0_4arch9wavefront6targetE0EEEvT1_
		.amdhsa_group_segment_fixed_size 0
		.amdhsa_private_segment_fixed_size 0
		.amdhsa_kernarg_size 32
		.amdhsa_user_sgpr_count 2
		.amdhsa_user_sgpr_dispatch_ptr 0
		.amdhsa_user_sgpr_queue_ptr 0
		.amdhsa_user_sgpr_kernarg_segment_ptr 1
		.amdhsa_user_sgpr_dispatch_id 0
		.amdhsa_user_sgpr_private_segment_size 0
		.amdhsa_wavefront_size32 1
		.amdhsa_uses_dynamic_stack 0
		.amdhsa_enable_private_segment 0
		.amdhsa_system_sgpr_workgroup_id_x 1
		.amdhsa_system_sgpr_workgroup_id_y 0
		.amdhsa_system_sgpr_workgroup_id_z 0
		.amdhsa_system_sgpr_workgroup_info 0
		.amdhsa_system_vgpr_workitem_id 0
		.amdhsa_next_free_vgpr 1
		.amdhsa_next_free_sgpr 1
		.amdhsa_reserve_vcc 0
		.amdhsa_float_round_mode_32 0
		.amdhsa_float_round_mode_16_64 0
		.amdhsa_float_denorm_mode_32 3
		.amdhsa_float_denorm_mode_16_64 3
		.amdhsa_fp16_overflow 0
		.amdhsa_workgroup_processor_mode 1
		.amdhsa_memory_ordered 1
		.amdhsa_forward_progress 1
		.amdhsa_inst_pref_size 0
		.amdhsa_round_robin_scheduling 0
		.amdhsa_exception_fp_ieee_invalid_op 0
		.amdhsa_exception_fp_denorm_src 0
		.amdhsa_exception_fp_ieee_div_zero 0
		.amdhsa_exception_fp_ieee_overflow 0
		.amdhsa_exception_fp_ieee_underflow 0
		.amdhsa_exception_fp_ieee_inexact 0
		.amdhsa_exception_int_div_zero 0
	.end_amdhsa_kernel
	.section	.text._ZN7rocprim17ROCPRIM_400000_NS6detail17trampoline_kernelINS0_14default_configENS1_20scan_config_selectorIN3c104HalfEEEZZNS1_9scan_implILNS1_25lookback_scan_determinismE0ELb0ELb0ES3_PKS6_PS6_S6_ZZZN2at6native31launch_logcumsumexp_cuda_kernelERKNSD_10TensorBaseESH_lENKUlvE_clEvENKUlvE3_clEvEUlS6_S6_E_S6_EEDaPvRmT3_T4_T5_mT6_P12ihipStream_tbENKUlT_T0_E_clISt17integral_constantIbLb0EESY_EEDaST_SU_EUlST_E0_NS1_11comp_targetILNS1_3genE0ELNS1_11target_archE4294967295ELNS1_3gpuE0ELNS1_3repE0EEENS1_30default_config_static_selectorELNS0_4arch9wavefront6targetE0EEEvT1_,"axG",@progbits,_ZN7rocprim17ROCPRIM_400000_NS6detail17trampoline_kernelINS0_14default_configENS1_20scan_config_selectorIN3c104HalfEEEZZNS1_9scan_implILNS1_25lookback_scan_determinismE0ELb0ELb0ES3_PKS6_PS6_S6_ZZZN2at6native31launch_logcumsumexp_cuda_kernelERKNSD_10TensorBaseESH_lENKUlvE_clEvENKUlvE3_clEvEUlS6_S6_E_S6_EEDaPvRmT3_T4_T5_mT6_P12ihipStream_tbENKUlT_T0_E_clISt17integral_constantIbLb0EESY_EEDaST_SU_EUlST_E0_NS1_11comp_targetILNS1_3genE0ELNS1_11target_archE4294967295ELNS1_3gpuE0ELNS1_3repE0EEENS1_30default_config_static_selectorELNS0_4arch9wavefront6targetE0EEEvT1_,comdat
.Lfunc_end368:
	.size	_ZN7rocprim17ROCPRIM_400000_NS6detail17trampoline_kernelINS0_14default_configENS1_20scan_config_selectorIN3c104HalfEEEZZNS1_9scan_implILNS1_25lookback_scan_determinismE0ELb0ELb0ES3_PKS6_PS6_S6_ZZZN2at6native31launch_logcumsumexp_cuda_kernelERKNSD_10TensorBaseESH_lENKUlvE_clEvENKUlvE3_clEvEUlS6_S6_E_S6_EEDaPvRmT3_T4_T5_mT6_P12ihipStream_tbENKUlT_T0_E_clISt17integral_constantIbLb0EESY_EEDaST_SU_EUlST_E0_NS1_11comp_targetILNS1_3genE0ELNS1_11target_archE4294967295ELNS1_3gpuE0ELNS1_3repE0EEENS1_30default_config_static_selectorELNS0_4arch9wavefront6targetE0EEEvT1_, .Lfunc_end368-_ZN7rocprim17ROCPRIM_400000_NS6detail17trampoline_kernelINS0_14default_configENS1_20scan_config_selectorIN3c104HalfEEEZZNS1_9scan_implILNS1_25lookback_scan_determinismE0ELb0ELb0ES3_PKS6_PS6_S6_ZZZN2at6native31launch_logcumsumexp_cuda_kernelERKNSD_10TensorBaseESH_lENKUlvE_clEvENKUlvE3_clEvEUlS6_S6_E_S6_EEDaPvRmT3_T4_T5_mT6_P12ihipStream_tbENKUlT_T0_E_clISt17integral_constantIbLb0EESY_EEDaST_SU_EUlST_E0_NS1_11comp_targetILNS1_3genE0ELNS1_11target_archE4294967295ELNS1_3gpuE0ELNS1_3repE0EEENS1_30default_config_static_selectorELNS0_4arch9wavefront6targetE0EEEvT1_
                                        ; -- End function
	.set _ZN7rocprim17ROCPRIM_400000_NS6detail17trampoline_kernelINS0_14default_configENS1_20scan_config_selectorIN3c104HalfEEEZZNS1_9scan_implILNS1_25lookback_scan_determinismE0ELb0ELb0ES3_PKS6_PS6_S6_ZZZN2at6native31launch_logcumsumexp_cuda_kernelERKNSD_10TensorBaseESH_lENKUlvE_clEvENKUlvE3_clEvEUlS6_S6_E_S6_EEDaPvRmT3_T4_T5_mT6_P12ihipStream_tbENKUlT_T0_E_clISt17integral_constantIbLb0EESY_EEDaST_SU_EUlST_E0_NS1_11comp_targetILNS1_3genE0ELNS1_11target_archE4294967295ELNS1_3gpuE0ELNS1_3repE0EEENS1_30default_config_static_selectorELNS0_4arch9wavefront6targetE0EEEvT1_.num_vgpr, 0
	.set _ZN7rocprim17ROCPRIM_400000_NS6detail17trampoline_kernelINS0_14default_configENS1_20scan_config_selectorIN3c104HalfEEEZZNS1_9scan_implILNS1_25lookback_scan_determinismE0ELb0ELb0ES3_PKS6_PS6_S6_ZZZN2at6native31launch_logcumsumexp_cuda_kernelERKNSD_10TensorBaseESH_lENKUlvE_clEvENKUlvE3_clEvEUlS6_S6_E_S6_EEDaPvRmT3_T4_T5_mT6_P12ihipStream_tbENKUlT_T0_E_clISt17integral_constantIbLb0EESY_EEDaST_SU_EUlST_E0_NS1_11comp_targetILNS1_3genE0ELNS1_11target_archE4294967295ELNS1_3gpuE0ELNS1_3repE0EEENS1_30default_config_static_selectorELNS0_4arch9wavefront6targetE0EEEvT1_.num_agpr, 0
	.set _ZN7rocprim17ROCPRIM_400000_NS6detail17trampoline_kernelINS0_14default_configENS1_20scan_config_selectorIN3c104HalfEEEZZNS1_9scan_implILNS1_25lookback_scan_determinismE0ELb0ELb0ES3_PKS6_PS6_S6_ZZZN2at6native31launch_logcumsumexp_cuda_kernelERKNSD_10TensorBaseESH_lENKUlvE_clEvENKUlvE3_clEvEUlS6_S6_E_S6_EEDaPvRmT3_T4_T5_mT6_P12ihipStream_tbENKUlT_T0_E_clISt17integral_constantIbLb0EESY_EEDaST_SU_EUlST_E0_NS1_11comp_targetILNS1_3genE0ELNS1_11target_archE4294967295ELNS1_3gpuE0ELNS1_3repE0EEENS1_30default_config_static_selectorELNS0_4arch9wavefront6targetE0EEEvT1_.numbered_sgpr, 0
	.set _ZN7rocprim17ROCPRIM_400000_NS6detail17trampoline_kernelINS0_14default_configENS1_20scan_config_selectorIN3c104HalfEEEZZNS1_9scan_implILNS1_25lookback_scan_determinismE0ELb0ELb0ES3_PKS6_PS6_S6_ZZZN2at6native31launch_logcumsumexp_cuda_kernelERKNSD_10TensorBaseESH_lENKUlvE_clEvENKUlvE3_clEvEUlS6_S6_E_S6_EEDaPvRmT3_T4_T5_mT6_P12ihipStream_tbENKUlT_T0_E_clISt17integral_constantIbLb0EESY_EEDaST_SU_EUlST_E0_NS1_11comp_targetILNS1_3genE0ELNS1_11target_archE4294967295ELNS1_3gpuE0ELNS1_3repE0EEENS1_30default_config_static_selectorELNS0_4arch9wavefront6targetE0EEEvT1_.num_named_barrier, 0
	.set _ZN7rocprim17ROCPRIM_400000_NS6detail17trampoline_kernelINS0_14default_configENS1_20scan_config_selectorIN3c104HalfEEEZZNS1_9scan_implILNS1_25lookback_scan_determinismE0ELb0ELb0ES3_PKS6_PS6_S6_ZZZN2at6native31launch_logcumsumexp_cuda_kernelERKNSD_10TensorBaseESH_lENKUlvE_clEvENKUlvE3_clEvEUlS6_S6_E_S6_EEDaPvRmT3_T4_T5_mT6_P12ihipStream_tbENKUlT_T0_E_clISt17integral_constantIbLb0EESY_EEDaST_SU_EUlST_E0_NS1_11comp_targetILNS1_3genE0ELNS1_11target_archE4294967295ELNS1_3gpuE0ELNS1_3repE0EEENS1_30default_config_static_selectorELNS0_4arch9wavefront6targetE0EEEvT1_.private_seg_size, 0
	.set _ZN7rocprim17ROCPRIM_400000_NS6detail17trampoline_kernelINS0_14default_configENS1_20scan_config_selectorIN3c104HalfEEEZZNS1_9scan_implILNS1_25lookback_scan_determinismE0ELb0ELb0ES3_PKS6_PS6_S6_ZZZN2at6native31launch_logcumsumexp_cuda_kernelERKNSD_10TensorBaseESH_lENKUlvE_clEvENKUlvE3_clEvEUlS6_S6_E_S6_EEDaPvRmT3_T4_T5_mT6_P12ihipStream_tbENKUlT_T0_E_clISt17integral_constantIbLb0EESY_EEDaST_SU_EUlST_E0_NS1_11comp_targetILNS1_3genE0ELNS1_11target_archE4294967295ELNS1_3gpuE0ELNS1_3repE0EEENS1_30default_config_static_selectorELNS0_4arch9wavefront6targetE0EEEvT1_.uses_vcc, 0
	.set _ZN7rocprim17ROCPRIM_400000_NS6detail17trampoline_kernelINS0_14default_configENS1_20scan_config_selectorIN3c104HalfEEEZZNS1_9scan_implILNS1_25lookback_scan_determinismE0ELb0ELb0ES3_PKS6_PS6_S6_ZZZN2at6native31launch_logcumsumexp_cuda_kernelERKNSD_10TensorBaseESH_lENKUlvE_clEvENKUlvE3_clEvEUlS6_S6_E_S6_EEDaPvRmT3_T4_T5_mT6_P12ihipStream_tbENKUlT_T0_E_clISt17integral_constantIbLb0EESY_EEDaST_SU_EUlST_E0_NS1_11comp_targetILNS1_3genE0ELNS1_11target_archE4294967295ELNS1_3gpuE0ELNS1_3repE0EEENS1_30default_config_static_selectorELNS0_4arch9wavefront6targetE0EEEvT1_.uses_flat_scratch, 0
	.set _ZN7rocprim17ROCPRIM_400000_NS6detail17trampoline_kernelINS0_14default_configENS1_20scan_config_selectorIN3c104HalfEEEZZNS1_9scan_implILNS1_25lookback_scan_determinismE0ELb0ELb0ES3_PKS6_PS6_S6_ZZZN2at6native31launch_logcumsumexp_cuda_kernelERKNSD_10TensorBaseESH_lENKUlvE_clEvENKUlvE3_clEvEUlS6_S6_E_S6_EEDaPvRmT3_T4_T5_mT6_P12ihipStream_tbENKUlT_T0_E_clISt17integral_constantIbLb0EESY_EEDaST_SU_EUlST_E0_NS1_11comp_targetILNS1_3genE0ELNS1_11target_archE4294967295ELNS1_3gpuE0ELNS1_3repE0EEENS1_30default_config_static_selectorELNS0_4arch9wavefront6targetE0EEEvT1_.has_dyn_sized_stack, 0
	.set _ZN7rocprim17ROCPRIM_400000_NS6detail17trampoline_kernelINS0_14default_configENS1_20scan_config_selectorIN3c104HalfEEEZZNS1_9scan_implILNS1_25lookback_scan_determinismE0ELb0ELb0ES3_PKS6_PS6_S6_ZZZN2at6native31launch_logcumsumexp_cuda_kernelERKNSD_10TensorBaseESH_lENKUlvE_clEvENKUlvE3_clEvEUlS6_S6_E_S6_EEDaPvRmT3_T4_T5_mT6_P12ihipStream_tbENKUlT_T0_E_clISt17integral_constantIbLb0EESY_EEDaST_SU_EUlST_E0_NS1_11comp_targetILNS1_3genE0ELNS1_11target_archE4294967295ELNS1_3gpuE0ELNS1_3repE0EEENS1_30default_config_static_selectorELNS0_4arch9wavefront6targetE0EEEvT1_.has_recursion, 0
	.set _ZN7rocprim17ROCPRIM_400000_NS6detail17trampoline_kernelINS0_14default_configENS1_20scan_config_selectorIN3c104HalfEEEZZNS1_9scan_implILNS1_25lookback_scan_determinismE0ELb0ELb0ES3_PKS6_PS6_S6_ZZZN2at6native31launch_logcumsumexp_cuda_kernelERKNSD_10TensorBaseESH_lENKUlvE_clEvENKUlvE3_clEvEUlS6_S6_E_S6_EEDaPvRmT3_T4_T5_mT6_P12ihipStream_tbENKUlT_T0_E_clISt17integral_constantIbLb0EESY_EEDaST_SU_EUlST_E0_NS1_11comp_targetILNS1_3genE0ELNS1_11target_archE4294967295ELNS1_3gpuE0ELNS1_3repE0EEENS1_30default_config_static_selectorELNS0_4arch9wavefront6targetE0EEEvT1_.has_indirect_call, 0
	.section	.AMDGPU.csdata,"",@progbits
; Kernel info:
; codeLenInByte = 0
; TotalNumSgprs: 0
; NumVgprs: 0
; ScratchSize: 0
; MemoryBound: 0
; FloatMode: 240
; IeeeMode: 1
; LDSByteSize: 0 bytes/workgroup (compile time only)
; SGPRBlocks: 0
; VGPRBlocks: 0
; NumSGPRsForWavesPerEU: 1
; NumVGPRsForWavesPerEU: 1
; Occupancy: 16
; WaveLimiterHint : 0
; COMPUTE_PGM_RSRC2:SCRATCH_EN: 0
; COMPUTE_PGM_RSRC2:USER_SGPR: 2
; COMPUTE_PGM_RSRC2:TRAP_HANDLER: 0
; COMPUTE_PGM_RSRC2:TGID_X_EN: 1
; COMPUTE_PGM_RSRC2:TGID_Y_EN: 0
; COMPUTE_PGM_RSRC2:TGID_Z_EN: 0
; COMPUTE_PGM_RSRC2:TIDIG_COMP_CNT: 0
	.section	.text._ZN7rocprim17ROCPRIM_400000_NS6detail17trampoline_kernelINS0_14default_configENS1_20scan_config_selectorIN3c104HalfEEEZZNS1_9scan_implILNS1_25lookback_scan_determinismE0ELb0ELb0ES3_PKS6_PS6_S6_ZZZN2at6native31launch_logcumsumexp_cuda_kernelERKNSD_10TensorBaseESH_lENKUlvE_clEvENKUlvE3_clEvEUlS6_S6_E_S6_EEDaPvRmT3_T4_T5_mT6_P12ihipStream_tbENKUlT_T0_E_clISt17integral_constantIbLb0EESY_EEDaST_SU_EUlST_E0_NS1_11comp_targetILNS1_3genE5ELNS1_11target_archE942ELNS1_3gpuE9ELNS1_3repE0EEENS1_30default_config_static_selectorELNS0_4arch9wavefront6targetE0EEEvT1_,"axG",@progbits,_ZN7rocprim17ROCPRIM_400000_NS6detail17trampoline_kernelINS0_14default_configENS1_20scan_config_selectorIN3c104HalfEEEZZNS1_9scan_implILNS1_25lookback_scan_determinismE0ELb0ELb0ES3_PKS6_PS6_S6_ZZZN2at6native31launch_logcumsumexp_cuda_kernelERKNSD_10TensorBaseESH_lENKUlvE_clEvENKUlvE3_clEvEUlS6_S6_E_S6_EEDaPvRmT3_T4_T5_mT6_P12ihipStream_tbENKUlT_T0_E_clISt17integral_constantIbLb0EESY_EEDaST_SU_EUlST_E0_NS1_11comp_targetILNS1_3genE5ELNS1_11target_archE942ELNS1_3gpuE9ELNS1_3repE0EEENS1_30default_config_static_selectorELNS0_4arch9wavefront6targetE0EEEvT1_,comdat
	.globl	_ZN7rocprim17ROCPRIM_400000_NS6detail17trampoline_kernelINS0_14default_configENS1_20scan_config_selectorIN3c104HalfEEEZZNS1_9scan_implILNS1_25lookback_scan_determinismE0ELb0ELb0ES3_PKS6_PS6_S6_ZZZN2at6native31launch_logcumsumexp_cuda_kernelERKNSD_10TensorBaseESH_lENKUlvE_clEvENKUlvE3_clEvEUlS6_S6_E_S6_EEDaPvRmT3_T4_T5_mT6_P12ihipStream_tbENKUlT_T0_E_clISt17integral_constantIbLb0EESY_EEDaST_SU_EUlST_E0_NS1_11comp_targetILNS1_3genE5ELNS1_11target_archE942ELNS1_3gpuE9ELNS1_3repE0EEENS1_30default_config_static_selectorELNS0_4arch9wavefront6targetE0EEEvT1_ ; -- Begin function _ZN7rocprim17ROCPRIM_400000_NS6detail17trampoline_kernelINS0_14default_configENS1_20scan_config_selectorIN3c104HalfEEEZZNS1_9scan_implILNS1_25lookback_scan_determinismE0ELb0ELb0ES3_PKS6_PS6_S6_ZZZN2at6native31launch_logcumsumexp_cuda_kernelERKNSD_10TensorBaseESH_lENKUlvE_clEvENKUlvE3_clEvEUlS6_S6_E_S6_EEDaPvRmT3_T4_T5_mT6_P12ihipStream_tbENKUlT_T0_E_clISt17integral_constantIbLb0EESY_EEDaST_SU_EUlST_E0_NS1_11comp_targetILNS1_3genE5ELNS1_11target_archE942ELNS1_3gpuE9ELNS1_3repE0EEENS1_30default_config_static_selectorELNS0_4arch9wavefront6targetE0EEEvT1_
	.p2align	8
	.type	_ZN7rocprim17ROCPRIM_400000_NS6detail17trampoline_kernelINS0_14default_configENS1_20scan_config_selectorIN3c104HalfEEEZZNS1_9scan_implILNS1_25lookback_scan_determinismE0ELb0ELb0ES3_PKS6_PS6_S6_ZZZN2at6native31launch_logcumsumexp_cuda_kernelERKNSD_10TensorBaseESH_lENKUlvE_clEvENKUlvE3_clEvEUlS6_S6_E_S6_EEDaPvRmT3_T4_T5_mT6_P12ihipStream_tbENKUlT_T0_E_clISt17integral_constantIbLb0EESY_EEDaST_SU_EUlST_E0_NS1_11comp_targetILNS1_3genE5ELNS1_11target_archE942ELNS1_3gpuE9ELNS1_3repE0EEENS1_30default_config_static_selectorELNS0_4arch9wavefront6targetE0EEEvT1_,@function
_ZN7rocprim17ROCPRIM_400000_NS6detail17trampoline_kernelINS0_14default_configENS1_20scan_config_selectorIN3c104HalfEEEZZNS1_9scan_implILNS1_25lookback_scan_determinismE0ELb0ELb0ES3_PKS6_PS6_S6_ZZZN2at6native31launch_logcumsumexp_cuda_kernelERKNSD_10TensorBaseESH_lENKUlvE_clEvENKUlvE3_clEvEUlS6_S6_E_S6_EEDaPvRmT3_T4_T5_mT6_P12ihipStream_tbENKUlT_T0_E_clISt17integral_constantIbLb0EESY_EEDaST_SU_EUlST_E0_NS1_11comp_targetILNS1_3genE5ELNS1_11target_archE942ELNS1_3gpuE9ELNS1_3repE0EEENS1_30default_config_static_selectorELNS0_4arch9wavefront6targetE0EEEvT1_: ; @_ZN7rocprim17ROCPRIM_400000_NS6detail17trampoline_kernelINS0_14default_configENS1_20scan_config_selectorIN3c104HalfEEEZZNS1_9scan_implILNS1_25lookback_scan_determinismE0ELb0ELb0ES3_PKS6_PS6_S6_ZZZN2at6native31launch_logcumsumexp_cuda_kernelERKNSD_10TensorBaseESH_lENKUlvE_clEvENKUlvE3_clEvEUlS6_S6_E_S6_EEDaPvRmT3_T4_T5_mT6_P12ihipStream_tbENKUlT_T0_E_clISt17integral_constantIbLb0EESY_EEDaST_SU_EUlST_E0_NS1_11comp_targetILNS1_3genE5ELNS1_11target_archE942ELNS1_3gpuE9ELNS1_3repE0EEENS1_30default_config_static_selectorELNS0_4arch9wavefront6targetE0EEEvT1_
; %bb.0:
	.section	.rodata,"a",@progbits
	.p2align	6, 0x0
	.amdhsa_kernel _ZN7rocprim17ROCPRIM_400000_NS6detail17trampoline_kernelINS0_14default_configENS1_20scan_config_selectorIN3c104HalfEEEZZNS1_9scan_implILNS1_25lookback_scan_determinismE0ELb0ELb0ES3_PKS6_PS6_S6_ZZZN2at6native31launch_logcumsumexp_cuda_kernelERKNSD_10TensorBaseESH_lENKUlvE_clEvENKUlvE3_clEvEUlS6_S6_E_S6_EEDaPvRmT3_T4_T5_mT6_P12ihipStream_tbENKUlT_T0_E_clISt17integral_constantIbLb0EESY_EEDaST_SU_EUlST_E0_NS1_11comp_targetILNS1_3genE5ELNS1_11target_archE942ELNS1_3gpuE9ELNS1_3repE0EEENS1_30default_config_static_selectorELNS0_4arch9wavefront6targetE0EEEvT1_
		.amdhsa_group_segment_fixed_size 0
		.amdhsa_private_segment_fixed_size 0
		.amdhsa_kernarg_size 32
		.amdhsa_user_sgpr_count 2
		.amdhsa_user_sgpr_dispatch_ptr 0
		.amdhsa_user_sgpr_queue_ptr 0
		.amdhsa_user_sgpr_kernarg_segment_ptr 1
		.amdhsa_user_sgpr_dispatch_id 0
		.amdhsa_user_sgpr_private_segment_size 0
		.amdhsa_wavefront_size32 1
		.amdhsa_uses_dynamic_stack 0
		.amdhsa_enable_private_segment 0
		.amdhsa_system_sgpr_workgroup_id_x 1
		.amdhsa_system_sgpr_workgroup_id_y 0
		.amdhsa_system_sgpr_workgroup_id_z 0
		.amdhsa_system_sgpr_workgroup_info 0
		.amdhsa_system_vgpr_workitem_id 0
		.amdhsa_next_free_vgpr 1
		.amdhsa_next_free_sgpr 1
		.amdhsa_reserve_vcc 0
		.amdhsa_float_round_mode_32 0
		.amdhsa_float_round_mode_16_64 0
		.amdhsa_float_denorm_mode_32 3
		.amdhsa_float_denorm_mode_16_64 3
		.amdhsa_fp16_overflow 0
		.amdhsa_workgroup_processor_mode 1
		.amdhsa_memory_ordered 1
		.amdhsa_forward_progress 1
		.amdhsa_inst_pref_size 0
		.amdhsa_round_robin_scheduling 0
		.amdhsa_exception_fp_ieee_invalid_op 0
		.amdhsa_exception_fp_denorm_src 0
		.amdhsa_exception_fp_ieee_div_zero 0
		.amdhsa_exception_fp_ieee_overflow 0
		.amdhsa_exception_fp_ieee_underflow 0
		.amdhsa_exception_fp_ieee_inexact 0
		.amdhsa_exception_int_div_zero 0
	.end_amdhsa_kernel
	.section	.text._ZN7rocprim17ROCPRIM_400000_NS6detail17trampoline_kernelINS0_14default_configENS1_20scan_config_selectorIN3c104HalfEEEZZNS1_9scan_implILNS1_25lookback_scan_determinismE0ELb0ELb0ES3_PKS6_PS6_S6_ZZZN2at6native31launch_logcumsumexp_cuda_kernelERKNSD_10TensorBaseESH_lENKUlvE_clEvENKUlvE3_clEvEUlS6_S6_E_S6_EEDaPvRmT3_T4_T5_mT6_P12ihipStream_tbENKUlT_T0_E_clISt17integral_constantIbLb0EESY_EEDaST_SU_EUlST_E0_NS1_11comp_targetILNS1_3genE5ELNS1_11target_archE942ELNS1_3gpuE9ELNS1_3repE0EEENS1_30default_config_static_selectorELNS0_4arch9wavefront6targetE0EEEvT1_,"axG",@progbits,_ZN7rocprim17ROCPRIM_400000_NS6detail17trampoline_kernelINS0_14default_configENS1_20scan_config_selectorIN3c104HalfEEEZZNS1_9scan_implILNS1_25lookback_scan_determinismE0ELb0ELb0ES3_PKS6_PS6_S6_ZZZN2at6native31launch_logcumsumexp_cuda_kernelERKNSD_10TensorBaseESH_lENKUlvE_clEvENKUlvE3_clEvEUlS6_S6_E_S6_EEDaPvRmT3_T4_T5_mT6_P12ihipStream_tbENKUlT_T0_E_clISt17integral_constantIbLb0EESY_EEDaST_SU_EUlST_E0_NS1_11comp_targetILNS1_3genE5ELNS1_11target_archE942ELNS1_3gpuE9ELNS1_3repE0EEENS1_30default_config_static_selectorELNS0_4arch9wavefront6targetE0EEEvT1_,comdat
.Lfunc_end369:
	.size	_ZN7rocprim17ROCPRIM_400000_NS6detail17trampoline_kernelINS0_14default_configENS1_20scan_config_selectorIN3c104HalfEEEZZNS1_9scan_implILNS1_25lookback_scan_determinismE0ELb0ELb0ES3_PKS6_PS6_S6_ZZZN2at6native31launch_logcumsumexp_cuda_kernelERKNSD_10TensorBaseESH_lENKUlvE_clEvENKUlvE3_clEvEUlS6_S6_E_S6_EEDaPvRmT3_T4_T5_mT6_P12ihipStream_tbENKUlT_T0_E_clISt17integral_constantIbLb0EESY_EEDaST_SU_EUlST_E0_NS1_11comp_targetILNS1_3genE5ELNS1_11target_archE942ELNS1_3gpuE9ELNS1_3repE0EEENS1_30default_config_static_selectorELNS0_4arch9wavefront6targetE0EEEvT1_, .Lfunc_end369-_ZN7rocprim17ROCPRIM_400000_NS6detail17trampoline_kernelINS0_14default_configENS1_20scan_config_selectorIN3c104HalfEEEZZNS1_9scan_implILNS1_25lookback_scan_determinismE0ELb0ELb0ES3_PKS6_PS6_S6_ZZZN2at6native31launch_logcumsumexp_cuda_kernelERKNSD_10TensorBaseESH_lENKUlvE_clEvENKUlvE3_clEvEUlS6_S6_E_S6_EEDaPvRmT3_T4_T5_mT6_P12ihipStream_tbENKUlT_T0_E_clISt17integral_constantIbLb0EESY_EEDaST_SU_EUlST_E0_NS1_11comp_targetILNS1_3genE5ELNS1_11target_archE942ELNS1_3gpuE9ELNS1_3repE0EEENS1_30default_config_static_selectorELNS0_4arch9wavefront6targetE0EEEvT1_
                                        ; -- End function
	.set _ZN7rocprim17ROCPRIM_400000_NS6detail17trampoline_kernelINS0_14default_configENS1_20scan_config_selectorIN3c104HalfEEEZZNS1_9scan_implILNS1_25lookback_scan_determinismE0ELb0ELb0ES3_PKS6_PS6_S6_ZZZN2at6native31launch_logcumsumexp_cuda_kernelERKNSD_10TensorBaseESH_lENKUlvE_clEvENKUlvE3_clEvEUlS6_S6_E_S6_EEDaPvRmT3_T4_T5_mT6_P12ihipStream_tbENKUlT_T0_E_clISt17integral_constantIbLb0EESY_EEDaST_SU_EUlST_E0_NS1_11comp_targetILNS1_3genE5ELNS1_11target_archE942ELNS1_3gpuE9ELNS1_3repE0EEENS1_30default_config_static_selectorELNS0_4arch9wavefront6targetE0EEEvT1_.num_vgpr, 0
	.set _ZN7rocprim17ROCPRIM_400000_NS6detail17trampoline_kernelINS0_14default_configENS1_20scan_config_selectorIN3c104HalfEEEZZNS1_9scan_implILNS1_25lookback_scan_determinismE0ELb0ELb0ES3_PKS6_PS6_S6_ZZZN2at6native31launch_logcumsumexp_cuda_kernelERKNSD_10TensorBaseESH_lENKUlvE_clEvENKUlvE3_clEvEUlS6_S6_E_S6_EEDaPvRmT3_T4_T5_mT6_P12ihipStream_tbENKUlT_T0_E_clISt17integral_constantIbLb0EESY_EEDaST_SU_EUlST_E0_NS1_11comp_targetILNS1_3genE5ELNS1_11target_archE942ELNS1_3gpuE9ELNS1_3repE0EEENS1_30default_config_static_selectorELNS0_4arch9wavefront6targetE0EEEvT1_.num_agpr, 0
	.set _ZN7rocprim17ROCPRIM_400000_NS6detail17trampoline_kernelINS0_14default_configENS1_20scan_config_selectorIN3c104HalfEEEZZNS1_9scan_implILNS1_25lookback_scan_determinismE0ELb0ELb0ES3_PKS6_PS6_S6_ZZZN2at6native31launch_logcumsumexp_cuda_kernelERKNSD_10TensorBaseESH_lENKUlvE_clEvENKUlvE3_clEvEUlS6_S6_E_S6_EEDaPvRmT3_T4_T5_mT6_P12ihipStream_tbENKUlT_T0_E_clISt17integral_constantIbLb0EESY_EEDaST_SU_EUlST_E0_NS1_11comp_targetILNS1_3genE5ELNS1_11target_archE942ELNS1_3gpuE9ELNS1_3repE0EEENS1_30default_config_static_selectorELNS0_4arch9wavefront6targetE0EEEvT1_.numbered_sgpr, 0
	.set _ZN7rocprim17ROCPRIM_400000_NS6detail17trampoline_kernelINS0_14default_configENS1_20scan_config_selectorIN3c104HalfEEEZZNS1_9scan_implILNS1_25lookback_scan_determinismE0ELb0ELb0ES3_PKS6_PS6_S6_ZZZN2at6native31launch_logcumsumexp_cuda_kernelERKNSD_10TensorBaseESH_lENKUlvE_clEvENKUlvE3_clEvEUlS6_S6_E_S6_EEDaPvRmT3_T4_T5_mT6_P12ihipStream_tbENKUlT_T0_E_clISt17integral_constantIbLb0EESY_EEDaST_SU_EUlST_E0_NS1_11comp_targetILNS1_3genE5ELNS1_11target_archE942ELNS1_3gpuE9ELNS1_3repE0EEENS1_30default_config_static_selectorELNS0_4arch9wavefront6targetE0EEEvT1_.num_named_barrier, 0
	.set _ZN7rocprim17ROCPRIM_400000_NS6detail17trampoline_kernelINS0_14default_configENS1_20scan_config_selectorIN3c104HalfEEEZZNS1_9scan_implILNS1_25lookback_scan_determinismE0ELb0ELb0ES3_PKS6_PS6_S6_ZZZN2at6native31launch_logcumsumexp_cuda_kernelERKNSD_10TensorBaseESH_lENKUlvE_clEvENKUlvE3_clEvEUlS6_S6_E_S6_EEDaPvRmT3_T4_T5_mT6_P12ihipStream_tbENKUlT_T0_E_clISt17integral_constantIbLb0EESY_EEDaST_SU_EUlST_E0_NS1_11comp_targetILNS1_3genE5ELNS1_11target_archE942ELNS1_3gpuE9ELNS1_3repE0EEENS1_30default_config_static_selectorELNS0_4arch9wavefront6targetE0EEEvT1_.private_seg_size, 0
	.set _ZN7rocprim17ROCPRIM_400000_NS6detail17trampoline_kernelINS0_14default_configENS1_20scan_config_selectorIN3c104HalfEEEZZNS1_9scan_implILNS1_25lookback_scan_determinismE0ELb0ELb0ES3_PKS6_PS6_S6_ZZZN2at6native31launch_logcumsumexp_cuda_kernelERKNSD_10TensorBaseESH_lENKUlvE_clEvENKUlvE3_clEvEUlS6_S6_E_S6_EEDaPvRmT3_T4_T5_mT6_P12ihipStream_tbENKUlT_T0_E_clISt17integral_constantIbLb0EESY_EEDaST_SU_EUlST_E0_NS1_11comp_targetILNS1_3genE5ELNS1_11target_archE942ELNS1_3gpuE9ELNS1_3repE0EEENS1_30default_config_static_selectorELNS0_4arch9wavefront6targetE0EEEvT1_.uses_vcc, 0
	.set _ZN7rocprim17ROCPRIM_400000_NS6detail17trampoline_kernelINS0_14default_configENS1_20scan_config_selectorIN3c104HalfEEEZZNS1_9scan_implILNS1_25lookback_scan_determinismE0ELb0ELb0ES3_PKS6_PS6_S6_ZZZN2at6native31launch_logcumsumexp_cuda_kernelERKNSD_10TensorBaseESH_lENKUlvE_clEvENKUlvE3_clEvEUlS6_S6_E_S6_EEDaPvRmT3_T4_T5_mT6_P12ihipStream_tbENKUlT_T0_E_clISt17integral_constantIbLb0EESY_EEDaST_SU_EUlST_E0_NS1_11comp_targetILNS1_3genE5ELNS1_11target_archE942ELNS1_3gpuE9ELNS1_3repE0EEENS1_30default_config_static_selectorELNS0_4arch9wavefront6targetE0EEEvT1_.uses_flat_scratch, 0
	.set _ZN7rocprim17ROCPRIM_400000_NS6detail17trampoline_kernelINS0_14default_configENS1_20scan_config_selectorIN3c104HalfEEEZZNS1_9scan_implILNS1_25lookback_scan_determinismE0ELb0ELb0ES3_PKS6_PS6_S6_ZZZN2at6native31launch_logcumsumexp_cuda_kernelERKNSD_10TensorBaseESH_lENKUlvE_clEvENKUlvE3_clEvEUlS6_S6_E_S6_EEDaPvRmT3_T4_T5_mT6_P12ihipStream_tbENKUlT_T0_E_clISt17integral_constantIbLb0EESY_EEDaST_SU_EUlST_E0_NS1_11comp_targetILNS1_3genE5ELNS1_11target_archE942ELNS1_3gpuE9ELNS1_3repE0EEENS1_30default_config_static_selectorELNS0_4arch9wavefront6targetE0EEEvT1_.has_dyn_sized_stack, 0
	.set _ZN7rocprim17ROCPRIM_400000_NS6detail17trampoline_kernelINS0_14default_configENS1_20scan_config_selectorIN3c104HalfEEEZZNS1_9scan_implILNS1_25lookback_scan_determinismE0ELb0ELb0ES3_PKS6_PS6_S6_ZZZN2at6native31launch_logcumsumexp_cuda_kernelERKNSD_10TensorBaseESH_lENKUlvE_clEvENKUlvE3_clEvEUlS6_S6_E_S6_EEDaPvRmT3_T4_T5_mT6_P12ihipStream_tbENKUlT_T0_E_clISt17integral_constantIbLb0EESY_EEDaST_SU_EUlST_E0_NS1_11comp_targetILNS1_3genE5ELNS1_11target_archE942ELNS1_3gpuE9ELNS1_3repE0EEENS1_30default_config_static_selectorELNS0_4arch9wavefront6targetE0EEEvT1_.has_recursion, 0
	.set _ZN7rocprim17ROCPRIM_400000_NS6detail17trampoline_kernelINS0_14default_configENS1_20scan_config_selectorIN3c104HalfEEEZZNS1_9scan_implILNS1_25lookback_scan_determinismE0ELb0ELb0ES3_PKS6_PS6_S6_ZZZN2at6native31launch_logcumsumexp_cuda_kernelERKNSD_10TensorBaseESH_lENKUlvE_clEvENKUlvE3_clEvEUlS6_S6_E_S6_EEDaPvRmT3_T4_T5_mT6_P12ihipStream_tbENKUlT_T0_E_clISt17integral_constantIbLb0EESY_EEDaST_SU_EUlST_E0_NS1_11comp_targetILNS1_3genE5ELNS1_11target_archE942ELNS1_3gpuE9ELNS1_3repE0EEENS1_30default_config_static_selectorELNS0_4arch9wavefront6targetE0EEEvT1_.has_indirect_call, 0
	.section	.AMDGPU.csdata,"",@progbits
; Kernel info:
; codeLenInByte = 0
; TotalNumSgprs: 0
; NumVgprs: 0
; ScratchSize: 0
; MemoryBound: 0
; FloatMode: 240
; IeeeMode: 1
; LDSByteSize: 0 bytes/workgroup (compile time only)
; SGPRBlocks: 0
; VGPRBlocks: 0
; NumSGPRsForWavesPerEU: 1
; NumVGPRsForWavesPerEU: 1
; Occupancy: 16
; WaveLimiterHint : 0
; COMPUTE_PGM_RSRC2:SCRATCH_EN: 0
; COMPUTE_PGM_RSRC2:USER_SGPR: 2
; COMPUTE_PGM_RSRC2:TRAP_HANDLER: 0
; COMPUTE_PGM_RSRC2:TGID_X_EN: 1
; COMPUTE_PGM_RSRC2:TGID_Y_EN: 0
; COMPUTE_PGM_RSRC2:TGID_Z_EN: 0
; COMPUTE_PGM_RSRC2:TIDIG_COMP_CNT: 0
	.section	.text._ZN7rocprim17ROCPRIM_400000_NS6detail17trampoline_kernelINS0_14default_configENS1_20scan_config_selectorIN3c104HalfEEEZZNS1_9scan_implILNS1_25lookback_scan_determinismE0ELb0ELb0ES3_PKS6_PS6_S6_ZZZN2at6native31launch_logcumsumexp_cuda_kernelERKNSD_10TensorBaseESH_lENKUlvE_clEvENKUlvE3_clEvEUlS6_S6_E_S6_EEDaPvRmT3_T4_T5_mT6_P12ihipStream_tbENKUlT_T0_E_clISt17integral_constantIbLb0EESY_EEDaST_SU_EUlST_E0_NS1_11comp_targetILNS1_3genE4ELNS1_11target_archE910ELNS1_3gpuE8ELNS1_3repE0EEENS1_30default_config_static_selectorELNS0_4arch9wavefront6targetE0EEEvT1_,"axG",@progbits,_ZN7rocprim17ROCPRIM_400000_NS6detail17trampoline_kernelINS0_14default_configENS1_20scan_config_selectorIN3c104HalfEEEZZNS1_9scan_implILNS1_25lookback_scan_determinismE0ELb0ELb0ES3_PKS6_PS6_S6_ZZZN2at6native31launch_logcumsumexp_cuda_kernelERKNSD_10TensorBaseESH_lENKUlvE_clEvENKUlvE3_clEvEUlS6_S6_E_S6_EEDaPvRmT3_T4_T5_mT6_P12ihipStream_tbENKUlT_T0_E_clISt17integral_constantIbLb0EESY_EEDaST_SU_EUlST_E0_NS1_11comp_targetILNS1_3genE4ELNS1_11target_archE910ELNS1_3gpuE8ELNS1_3repE0EEENS1_30default_config_static_selectorELNS0_4arch9wavefront6targetE0EEEvT1_,comdat
	.globl	_ZN7rocprim17ROCPRIM_400000_NS6detail17trampoline_kernelINS0_14default_configENS1_20scan_config_selectorIN3c104HalfEEEZZNS1_9scan_implILNS1_25lookback_scan_determinismE0ELb0ELb0ES3_PKS6_PS6_S6_ZZZN2at6native31launch_logcumsumexp_cuda_kernelERKNSD_10TensorBaseESH_lENKUlvE_clEvENKUlvE3_clEvEUlS6_S6_E_S6_EEDaPvRmT3_T4_T5_mT6_P12ihipStream_tbENKUlT_T0_E_clISt17integral_constantIbLb0EESY_EEDaST_SU_EUlST_E0_NS1_11comp_targetILNS1_3genE4ELNS1_11target_archE910ELNS1_3gpuE8ELNS1_3repE0EEENS1_30default_config_static_selectorELNS0_4arch9wavefront6targetE0EEEvT1_ ; -- Begin function _ZN7rocprim17ROCPRIM_400000_NS6detail17trampoline_kernelINS0_14default_configENS1_20scan_config_selectorIN3c104HalfEEEZZNS1_9scan_implILNS1_25lookback_scan_determinismE0ELb0ELb0ES3_PKS6_PS6_S6_ZZZN2at6native31launch_logcumsumexp_cuda_kernelERKNSD_10TensorBaseESH_lENKUlvE_clEvENKUlvE3_clEvEUlS6_S6_E_S6_EEDaPvRmT3_T4_T5_mT6_P12ihipStream_tbENKUlT_T0_E_clISt17integral_constantIbLb0EESY_EEDaST_SU_EUlST_E0_NS1_11comp_targetILNS1_3genE4ELNS1_11target_archE910ELNS1_3gpuE8ELNS1_3repE0EEENS1_30default_config_static_selectorELNS0_4arch9wavefront6targetE0EEEvT1_
	.p2align	8
	.type	_ZN7rocprim17ROCPRIM_400000_NS6detail17trampoline_kernelINS0_14default_configENS1_20scan_config_selectorIN3c104HalfEEEZZNS1_9scan_implILNS1_25lookback_scan_determinismE0ELb0ELb0ES3_PKS6_PS6_S6_ZZZN2at6native31launch_logcumsumexp_cuda_kernelERKNSD_10TensorBaseESH_lENKUlvE_clEvENKUlvE3_clEvEUlS6_S6_E_S6_EEDaPvRmT3_T4_T5_mT6_P12ihipStream_tbENKUlT_T0_E_clISt17integral_constantIbLb0EESY_EEDaST_SU_EUlST_E0_NS1_11comp_targetILNS1_3genE4ELNS1_11target_archE910ELNS1_3gpuE8ELNS1_3repE0EEENS1_30default_config_static_selectorELNS0_4arch9wavefront6targetE0EEEvT1_,@function
_ZN7rocprim17ROCPRIM_400000_NS6detail17trampoline_kernelINS0_14default_configENS1_20scan_config_selectorIN3c104HalfEEEZZNS1_9scan_implILNS1_25lookback_scan_determinismE0ELb0ELb0ES3_PKS6_PS6_S6_ZZZN2at6native31launch_logcumsumexp_cuda_kernelERKNSD_10TensorBaseESH_lENKUlvE_clEvENKUlvE3_clEvEUlS6_S6_E_S6_EEDaPvRmT3_T4_T5_mT6_P12ihipStream_tbENKUlT_T0_E_clISt17integral_constantIbLb0EESY_EEDaST_SU_EUlST_E0_NS1_11comp_targetILNS1_3genE4ELNS1_11target_archE910ELNS1_3gpuE8ELNS1_3repE0EEENS1_30default_config_static_selectorELNS0_4arch9wavefront6targetE0EEEvT1_: ; @_ZN7rocprim17ROCPRIM_400000_NS6detail17trampoline_kernelINS0_14default_configENS1_20scan_config_selectorIN3c104HalfEEEZZNS1_9scan_implILNS1_25lookback_scan_determinismE0ELb0ELb0ES3_PKS6_PS6_S6_ZZZN2at6native31launch_logcumsumexp_cuda_kernelERKNSD_10TensorBaseESH_lENKUlvE_clEvENKUlvE3_clEvEUlS6_S6_E_S6_EEDaPvRmT3_T4_T5_mT6_P12ihipStream_tbENKUlT_T0_E_clISt17integral_constantIbLb0EESY_EEDaST_SU_EUlST_E0_NS1_11comp_targetILNS1_3genE4ELNS1_11target_archE910ELNS1_3gpuE8ELNS1_3repE0EEENS1_30default_config_static_selectorELNS0_4arch9wavefront6targetE0EEEvT1_
; %bb.0:
	.section	.rodata,"a",@progbits
	.p2align	6, 0x0
	.amdhsa_kernel _ZN7rocprim17ROCPRIM_400000_NS6detail17trampoline_kernelINS0_14default_configENS1_20scan_config_selectorIN3c104HalfEEEZZNS1_9scan_implILNS1_25lookback_scan_determinismE0ELb0ELb0ES3_PKS6_PS6_S6_ZZZN2at6native31launch_logcumsumexp_cuda_kernelERKNSD_10TensorBaseESH_lENKUlvE_clEvENKUlvE3_clEvEUlS6_S6_E_S6_EEDaPvRmT3_T4_T5_mT6_P12ihipStream_tbENKUlT_T0_E_clISt17integral_constantIbLb0EESY_EEDaST_SU_EUlST_E0_NS1_11comp_targetILNS1_3genE4ELNS1_11target_archE910ELNS1_3gpuE8ELNS1_3repE0EEENS1_30default_config_static_selectorELNS0_4arch9wavefront6targetE0EEEvT1_
		.amdhsa_group_segment_fixed_size 0
		.amdhsa_private_segment_fixed_size 0
		.amdhsa_kernarg_size 32
		.amdhsa_user_sgpr_count 2
		.amdhsa_user_sgpr_dispatch_ptr 0
		.amdhsa_user_sgpr_queue_ptr 0
		.amdhsa_user_sgpr_kernarg_segment_ptr 1
		.amdhsa_user_sgpr_dispatch_id 0
		.amdhsa_user_sgpr_private_segment_size 0
		.amdhsa_wavefront_size32 1
		.amdhsa_uses_dynamic_stack 0
		.amdhsa_enable_private_segment 0
		.amdhsa_system_sgpr_workgroup_id_x 1
		.amdhsa_system_sgpr_workgroup_id_y 0
		.amdhsa_system_sgpr_workgroup_id_z 0
		.amdhsa_system_sgpr_workgroup_info 0
		.amdhsa_system_vgpr_workitem_id 0
		.amdhsa_next_free_vgpr 1
		.amdhsa_next_free_sgpr 1
		.amdhsa_reserve_vcc 0
		.amdhsa_float_round_mode_32 0
		.amdhsa_float_round_mode_16_64 0
		.amdhsa_float_denorm_mode_32 3
		.amdhsa_float_denorm_mode_16_64 3
		.amdhsa_fp16_overflow 0
		.amdhsa_workgroup_processor_mode 1
		.amdhsa_memory_ordered 1
		.amdhsa_forward_progress 1
		.amdhsa_inst_pref_size 0
		.amdhsa_round_robin_scheduling 0
		.amdhsa_exception_fp_ieee_invalid_op 0
		.amdhsa_exception_fp_denorm_src 0
		.amdhsa_exception_fp_ieee_div_zero 0
		.amdhsa_exception_fp_ieee_overflow 0
		.amdhsa_exception_fp_ieee_underflow 0
		.amdhsa_exception_fp_ieee_inexact 0
		.amdhsa_exception_int_div_zero 0
	.end_amdhsa_kernel
	.section	.text._ZN7rocprim17ROCPRIM_400000_NS6detail17trampoline_kernelINS0_14default_configENS1_20scan_config_selectorIN3c104HalfEEEZZNS1_9scan_implILNS1_25lookback_scan_determinismE0ELb0ELb0ES3_PKS6_PS6_S6_ZZZN2at6native31launch_logcumsumexp_cuda_kernelERKNSD_10TensorBaseESH_lENKUlvE_clEvENKUlvE3_clEvEUlS6_S6_E_S6_EEDaPvRmT3_T4_T5_mT6_P12ihipStream_tbENKUlT_T0_E_clISt17integral_constantIbLb0EESY_EEDaST_SU_EUlST_E0_NS1_11comp_targetILNS1_3genE4ELNS1_11target_archE910ELNS1_3gpuE8ELNS1_3repE0EEENS1_30default_config_static_selectorELNS0_4arch9wavefront6targetE0EEEvT1_,"axG",@progbits,_ZN7rocprim17ROCPRIM_400000_NS6detail17trampoline_kernelINS0_14default_configENS1_20scan_config_selectorIN3c104HalfEEEZZNS1_9scan_implILNS1_25lookback_scan_determinismE0ELb0ELb0ES3_PKS6_PS6_S6_ZZZN2at6native31launch_logcumsumexp_cuda_kernelERKNSD_10TensorBaseESH_lENKUlvE_clEvENKUlvE3_clEvEUlS6_S6_E_S6_EEDaPvRmT3_T4_T5_mT6_P12ihipStream_tbENKUlT_T0_E_clISt17integral_constantIbLb0EESY_EEDaST_SU_EUlST_E0_NS1_11comp_targetILNS1_3genE4ELNS1_11target_archE910ELNS1_3gpuE8ELNS1_3repE0EEENS1_30default_config_static_selectorELNS0_4arch9wavefront6targetE0EEEvT1_,comdat
.Lfunc_end370:
	.size	_ZN7rocprim17ROCPRIM_400000_NS6detail17trampoline_kernelINS0_14default_configENS1_20scan_config_selectorIN3c104HalfEEEZZNS1_9scan_implILNS1_25lookback_scan_determinismE0ELb0ELb0ES3_PKS6_PS6_S6_ZZZN2at6native31launch_logcumsumexp_cuda_kernelERKNSD_10TensorBaseESH_lENKUlvE_clEvENKUlvE3_clEvEUlS6_S6_E_S6_EEDaPvRmT3_T4_T5_mT6_P12ihipStream_tbENKUlT_T0_E_clISt17integral_constantIbLb0EESY_EEDaST_SU_EUlST_E0_NS1_11comp_targetILNS1_3genE4ELNS1_11target_archE910ELNS1_3gpuE8ELNS1_3repE0EEENS1_30default_config_static_selectorELNS0_4arch9wavefront6targetE0EEEvT1_, .Lfunc_end370-_ZN7rocprim17ROCPRIM_400000_NS6detail17trampoline_kernelINS0_14default_configENS1_20scan_config_selectorIN3c104HalfEEEZZNS1_9scan_implILNS1_25lookback_scan_determinismE0ELb0ELb0ES3_PKS6_PS6_S6_ZZZN2at6native31launch_logcumsumexp_cuda_kernelERKNSD_10TensorBaseESH_lENKUlvE_clEvENKUlvE3_clEvEUlS6_S6_E_S6_EEDaPvRmT3_T4_T5_mT6_P12ihipStream_tbENKUlT_T0_E_clISt17integral_constantIbLb0EESY_EEDaST_SU_EUlST_E0_NS1_11comp_targetILNS1_3genE4ELNS1_11target_archE910ELNS1_3gpuE8ELNS1_3repE0EEENS1_30default_config_static_selectorELNS0_4arch9wavefront6targetE0EEEvT1_
                                        ; -- End function
	.set _ZN7rocprim17ROCPRIM_400000_NS6detail17trampoline_kernelINS0_14default_configENS1_20scan_config_selectorIN3c104HalfEEEZZNS1_9scan_implILNS1_25lookback_scan_determinismE0ELb0ELb0ES3_PKS6_PS6_S6_ZZZN2at6native31launch_logcumsumexp_cuda_kernelERKNSD_10TensorBaseESH_lENKUlvE_clEvENKUlvE3_clEvEUlS6_S6_E_S6_EEDaPvRmT3_T4_T5_mT6_P12ihipStream_tbENKUlT_T0_E_clISt17integral_constantIbLb0EESY_EEDaST_SU_EUlST_E0_NS1_11comp_targetILNS1_3genE4ELNS1_11target_archE910ELNS1_3gpuE8ELNS1_3repE0EEENS1_30default_config_static_selectorELNS0_4arch9wavefront6targetE0EEEvT1_.num_vgpr, 0
	.set _ZN7rocprim17ROCPRIM_400000_NS6detail17trampoline_kernelINS0_14default_configENS1_20scan_config_selectorIN3c104HalfEEEZZNS1_9scan_implILNS1_25lookback_scan_determinismE0ELb0ELb0ES3_PKS6_PS6_S6_ZZZN2at6native31launch_logcumsumexp_cuda_kernelERKNSD_10TensorBaseESH_lENKUlvE_clEvENKUlvE3_clEvEUlS6_S6_E_S6_EEDaPvRmT3_T4_T5_mT6_P12ihipStream_tbENKUlT_T0_E_clISt17integral_constantIbLb0EESY_EEDaST_SU_EUlST_E0_NS1_11comp_targetILNS1_3genE4ELNS1_11target_archE910ELNS1_3gpuE8ELNS1_3repE0EEENS1_30default_config_static_selectorELNS0_4arch9wavefront6targetE0EEEvT1_.num_agpr, 0
	.set _ZN7rocprim17ROCPRIM_400000_NS6detail17trampoline_kernelINS0_14default_configENS1_20scan_config_selectorIN3c104HalfEEEZZNS1_9scan_implILNS1_25lookback_scan_determinismE0ELb0ELb0ES3_PKS6_PS6_S6_ZZZN2at6native31launch_logcumsumexp_cuda_kernelERKNSD_10TensorBaseESH_lENKUlvE_clEvENKUlvE3_clEvEUlS6_S6_E_S6_EEDaPvRmT3_T4_T5_mT6_P12ihipStream_tbENKUlT_T0_E_clISt17integral_constantIbLb0EESY_EEDaST_SU_EUlST_E0_NS1_11comp_targetILNS1_3genE4ELNS1_11target_archE910ELNS1_3gpuE8ELNS1_3repE0EEENS1_30default_config_static_selectorELNS0_4arch9wavefront6targetE0EEEvT1_.numbered_sgpr, 0
	.set _ZN7rocprim17ROCPRIM_400000_NS6detail17trampoline_kernelINS0_14default_configENS1_20scan_config_selectorIN3c104HalfEEEZZNS1_9scan_implILNS1_25lookback_scan_determinismE0ELb0ELb0ES3_PKS6_PS6_S6_ZZZN2at6native31launch_logcumsumexp_cuda_kernelERKNSD_10TensorBaseESH_lENKUlvE_clEvENKUlvE3_clEvEUlS6_S6_E_S6_EEDaPvRmT3_T4_T5_mT6_P12ihipStream_tbENKUlT_T0_E_clISt17integral_constantIbLb0EESY_EEDaST_SU_EUlST_E0_NS1_11comp_targetILNS1_3genE4ELNS1_11target_archE910ELNS1_3gpuE8ELNS1_3repE0EEENS1_30default_config_static_selectorELNS0_4arch9wavefront6targetE0EEEvT1_.num_named_barrier, 0
	.set _ZN7rocprim17ROCPRIM_400000_NS6detail17trampoline_kernelINS0_14default_configENS1_20scan_config_selectorIN3c104HalfEEEZZNS1_9scan_implILNS1_25lookback_scan_determinismE0ELb0ELb0ES3_PKS6_PS6_S6_ZZZN2at6native31launch_logcumsumexp_cuda_kernelERKNSD_10TensorBaseESH_lENKUlvE_clEvENKUlvE3_clEvEUlS6_S6_E_S6_EEDaPvRmT3_T4_T5_mT6_P12ihipStream_tbENKUlT_T0_E_clISt17integral_constantIbLb0EESY_EEDaST_SU_EUlST_E0_NS1_11comp_targetILNS1_3genE4ELNS1_11target_archE910ELNS1_3gpuE8ELNS1_3repE0EEENS1_30default_config_static_selectorELNS0_4arch9wavefront6targetE0EEEvT1_.private_seg_size, 0
	.set _ZN7rocprim17ROCPRIM_400000_NS6detail17trampoline_kernelINS0_14default_configENS1_20scan_config_selectorIN3c104HalfEEEZZNS1_9scan_implILNS1_25lookback_scan_determinismE0ELb0ELb0ES3_PKS6_PS6_S6_ZZZN2at6native31launch_logcumsumexp_cuda_kernelERKNSD_10TensorBaseESH_lENKUlvE_clEvENKUlvE3_clEvEUlS6_S6_E_S6_EEDaPvRmT3_T4_T5_mT6_P12ihipStream_tbENKUlT_T0_E_clISt17integral_constantIbLb0EESY_EEDaST_SU_EUlST_E0_NS1_11comp_targetILNS1_3genE4ELNS1_11target_archE910ELNS1_3gpuE8ELNS1_3repE0EEENS1_30default_config_static_selectorELNS0_4arch9wavefront6targetE0EEEvT1_.uses_vcc, 0
	.set _ZN7rocprim17ROCPRIM_400000_NS6detail17trampoline_kernelINS0_14default_configENS1_20scan_config_selectorIN3c104HalfEEEZZNS1_9scan_implILNS1_25lookback_scan_determinismE0ELb0ELb0ES3_PKS6_PS6_S6_ZZZN2at6native31launch_logcumsumexp_cuda_kernelERKNSD_10TensorBaseESH_lENKUlvE_clEvENKUlvE3_clEvEUlS6_S6_E_S6_EEDaPvRmT3_T4_T5_mT6_P12ihipStream_tbENKUlT_T0_E_clISt17integral_constantIbLb0EESY_EEDaST_SU_EUlST_E0_NS1_11comp_targetILNS1_3genE4ELNS1_11target_archE910ELNS1_3gpuE8ELNS1_3repE0EEENS1_30default_config_static_selectorELNS0_4arch9wavefront6targetE0EEEvT1_.uses_flat_scratch, 0
	.set _ZN7rocprim17ROCPRIM_400000_NS6detail17trampoline_kernelINS0_14default_configENS1_20scan_config_selectorIN3c104HalfEEEZZNS1_9scan_implILNS1_25lookback_scan_determinismE0ELb0ELb0ES3_PKS6_PS6_S6_ZZZN2at6native31launch_logcumsumexp_cuda_kernelERKNSD_10TensorBaseESH_lENKUlvE_clEvENKUlvE3_clEvEUlS6_S6_E_S6_EEDaPvRmT3_T4_T5_mT6_P12ihipStream_tbENKUlT_T0_E_clISt17integral_constantIbLb0EESY_EEDaST_SU_EUlST_E0_NS1_11comp_targetILNS1_3genE4ELNS1_11target_archE910ELNS1_3gpuE8ELNS1_3repE0EEENS1_30default_config_static_selectorELNS0_4arch9wavefront6targetE0EEEvT1_.has_dyn_sized_stack, 0
	.set _ZN7rocprim17ROCPRIM_400000_NS6detail17trampoline_kernelINS0_14default_configENS1_20scan_config_selectorIN3c104HalfEEEZZNS1_9scan_implILNS1_25lookback_scan_determinismE0ELb0ELb0ES3_PKS6_PS6_S6_ZZZN2at6native31launch_logcumsumexp_cuda_kernelERKNSD_10TensorBaseESH_lENKUlvE_clEvENKUlvE3_clEvEUlS6_S6_E_S6_EEDaPvRmT3_T4_T5_mT6_P12ihipStream_tbENKUlT_T0_E_clISt17integral_constantIbLb0EESY_EEDaST_SU_EUlST_E0_NS1_11comp_targetILNS1_3genE4ELNS1_11target_archE910ELNS1_3gpuE8ELNS1_3repE0EEENS1_30default_config_static_selectorELNS0_4arch9wavefront6targetE0EEEvT1_.has_recursion, 0
	.set _ZN7rocprim17ROCPRIM_400000_NS6detail17trampoline_kernelINS0_14default_configENS1_20scan_config_selectorIN3c104HalfEEEZZNS1_9scan_implILNS1_25lookback_scan_determinismE0ELb0ELb0ES3_PKS6_PS6_S6_ZZZN2at6native31launch_logcumsumexp_cuda_kernelERKNSD_10TensorBaseESH_lENKUlvE_clEvENKUlvE3_clEvEUlS6_S6_E_S6_EEDaPvRmT3_T4_T5_mT6_P12ihipStream_tbENKUlT_T0_E_clISt17integral_constantIbLb0EESY_EEDaST_SU_EUlST_E0_NS1_11comp_targetILNS1_3genE4ELNS1_11target_archE910ELNS1_3gpuE8ELNS1_3repE0EEENS1_30default_config_static_selectorELNS0_4arch9wavefront6targetE0EEEvT1_.has_indirect_call, 0
	.section	.AMDGPU.csdata,"",@progbits
; Kernel info:
; codeLenInByte = 0
; TotalNumSgprs: 0
; NumVgprs: 0
; ScratchSize: 0
; MemoryBound: 0
; FloatMode: 240
; IeeeMode: 1
; LDSByteSize: 0 bytes/workgroup (compile time only)
; SGPRBlocks: 0
; VGPRBlocks: 0
; NumSGPRsForWavesPerEU: 1
; NumVGPRsForWavesPerEU: 1
; Occupancy: 16
; WaveLimiterHint : 0
; COMPUTE_PGM_RSRC2:SCRATCH_EN: 0
; COMPUTE_PGM_RSRC2:USER_SGPR: 2
; COMPUTE_PGM_RSRC2:TRAP_HANDLER: 0
; COMPUTE_PGM_RSRC2:TGID_X_EN: 1
; COMPUTE_PGM_RSRC2:TGID_Y_EN: 0
; COMPUTE_PGM_RSRC2:TGID_Z_EN: 0
; COMPUTE_PGM_RSRC2:TIDIG_COMP_CNT: 0
	.section	.text._ZN7rocprim17ROCPRIM_400000_NS6detail17trampoline_kernelINS0_14default_configENS1_20scan_config_selectorIN3c104HalfEEEZZNS1_9scan_implILNS1_25lookback_scan_determinismE0ELb0ELb0ES3_PKS6_PS6_S6_ZZZN2at6native31launch_logcumsumexp_cuda_kernelERKNSD_10TensorBaseESH_lENKUlvE_clEvENKUlvE3_clEvEUlS6_S6_E_S6_EEDaPvRmT3_T4_T5_mT6_P12ihipStream_tbENKUlT_T0_E_clISt17integral_constantIbLb0EESY_EEDaST_SU_EUlST_E0_NS1_11comp_targetILNS1_3genE3ELNS1_11target_archE908ELNS1_3gpuE7ELNS1_3repE0EEENS1_30default_config_static_selectorELNS0_4arch9wavefront6targetE0EEEvT1_,"axG",@progbits,_ZN7rocprim17ROCPRIM_400000_NS6detail17trampoline_kernelINS0_14default_configENS1_20scan_config_selectorIN3c104HalfEEEZZNS1_9scan_implILNS1_25lookback_scan_determinismE0ELb0ELb0ES3_PKS6_PS6_S6_ZZZN2at6native31launch_logcumsumexp_cuda_kernelERKNSD_10TensorBaseESH_lENKUlvE_clEvENKUlvE3_clEvEUlS6_S6_E_S6_EEDaPvRmT3_T4_T5_mT6_P12ihipStream_tbENKUlT_T0_E_clISt17integral_constantIbLb0EESY_EEDaST_SU_EUlST_E0_NS1_11comp_targetILNS1_3genE3ELNS1_11target_archE908ELNS1_3gpuE7ELNS1_3repE0EEENS1_30default_config_static_selectorELNS0_4arch9wavefront6targetE0EEEvT1_,comdat
	.globl	_ZN7rocprim17ROCPRIM_400000_NS6detail17trampoline_kernelINS0_14default_configENS1_20scan_config_selectorIN3c104HalfEEEZZNS1_9scan_implILNS1_25lookback_scan_determinismE0ELb0ELb0ES3_PKS6_PS6_S6_ZZZN2at6native31launch_logcumsumexp_cuda_kernelERKNSD_10TensorBaseESH_lENKUlvE_clEvENKUlvE3_clEvEUlS6_S6_E_S6_EEDaPvRmT3_T4_T5_mT6_P12ihipStream_tbENKUlT_T0_E_clISt17integral_constantIbLb0EESY_EEDaST_SU_EUlST_E0_NS1_11comp_targetILNS1_3genE3ELNS1_11target_archE908ELNS1_3gpuE7ELNS1_3repE0EEENS1_30default_config_static_selectorELNS0_4arch9wavefront6targetE0EEEvT1_ ; -- Begin function _ZN7rocprim17ROCPRIM_400000_NS6detail17trampoline_kernelINS0_14default_configENS1_20scan_config_selectorIN3c104HalfEEEZZNS1_9scan_implILNS1_25lookback_scan_determinismE0ELb0ELb0ES3_PKS6_PS6_S6_ZZZN2at6native31launch_logcumsumexp_cuda_kernelERKNSD_10TensorBaseESH_lENKUlvE_clEvENKUlvE3_clEvEUlS6_S6_E_S6_EEDaPvRmT3_T4_T5_mT6_P12ihipStream_tbENKUlT_T0_E_clISt17integral_constantIbLb0EESY_EEDaST_SU_EUlST_E0_NS1_11comp_targetILNS1_3genE3ELNS1_11target_archE908ELNS1_3gpuE7ELNS1_3repE0EEENS1_30default_config_static_selectorELNS0_4arch9wavefront6targetE0EEEvT1_
	.p2align	8
	.type	_ZN7rocprim17ROCPRIM_400000_NS6detail17trampoline_kernelINS0_14default_configENS1_20scan_config_selectorIN3c104HalfEEEZZNS1_9scan_implILNS1_25lookback_scan_determinismE0ELb0ELb0ES3_PKS6_PS6_S6_ZZZN2at6native31launch_logcumsumexp_cuda_kernelERKNSD_10TensorBaseESH_lENKUlvE_clEvENKUlvE3_clEvEUlS6_S6_E_S6_EEDaPvRmT3_T4_T5_mT6_P12ihipStream_tbENKUlT_T0_E_clISt17integral_constantIbLb0EESY_EEDaST_SU_EUlST_E0_NS1_11comp_targetILNS1_3genE3ELNS1_11target_archE908ELNS1_3gpuE7ELNS1_3repE0EEENS1_30default_config_static_selectorELNS0_4arch9wavefront6targetE0EEEvT1_,@function
_ZN7rocprim17ROCPRIM_400000_NS6detail17trampoline_kernelINS0_14default_configENS1_20scan_config_selectorIN3c104HalfEEEZZNS1_9scan_implILNS1_25lookback_scan_determinismE0ELb0ELb0ES3_PKS6_PS6_S6_ZZZN2at6native31launch_logcumsumexp_cuda_kernelERKNSD_10TensorBaseESH_lENKUlvE_clEvENKUlvE3_clEvEUlS6_S6_E_S6_EEDaPvRmT3_T4_T5_mT6_P12ihipStream_tbENKUlT_T0_E_clISt17integral_constantIbLb0EESY_EEDaST_SU_EUlST_E0_NS1_11comp_targetILNS1_3genE3ELNS1_11target_archE908ELNS1_3gpuE7ELNS1_3repE0EEENS1_30default_config_static_selectorELNS0_4arch9wavefront6targetE0EEEvT1_: ; @_ZN7rocprim17ROCPRIM_400000_NS6detail17trampoline_kernelINS0_14default_configENS1_20scan_config_selectorIN3c104HalfEEEZZNS1_9scan_implILNS1_25lookback_scan_determinismE0ELb0ELb0ES3_PKS6_PS6_S6_ZZZN2at6native31launch_logcumsumexp_cuda_kernelERKNSD_10TensorBaseESH_lENKUlvE_clEvENKUlvE3_clEvEUlS6_S6_E_S6_EEDaPvRmT3_T4_T5_mT6_P12ihipStream_tbENKUlT_T0_E_clISt17integral_constantIbLb0EESY_EEDaST_SU_EUlST_E0_NS1_11comp_targetILNS1_3genE3ELNS1_11target_archE908ELNS1_3gpuE7ELNS1_3repE0EEENS1_30default_config_static_selectorELNS0_4arch9wavefront6targetE0EEEvT1_
; %bb.0:
	.section	.rodata,"a",@progbits
	.p2align	6, 0x0
	.amdhsa_kernel _ZN7rocprim17ROCPRIM_400000_NS6detail17trampoline_kernelINS0_14default_configENS1_20scan_config_selectorIN3c104HalfEEEZZNS1_9scan_implILNS1_25lookback_scan_determinismE0ELb0ELb0ES3_PKS6_PS6_S6_ZZZN2at6native31launch_logcumsumexp_cuda_kernelERKNSD_10TensorBaseESH_lENKUlvE_clEvENKUlvE3_clEvEUlS6_S6_E_S6_EEDaPvRmT3_T4_T5_mT6_P12ihipStream_tbENKUlT_T0_E_clISt17integral_constantIbLb0EESY_EEDaST_SU_EUlST_E0_NS1_11comp_targetILNS1_3genE3ELNS1_11target_archE908ELNS1_3gpuE7ELNS1_3repE0EEENS1_30default_config_static_selectorELNS0_4arch9wavefront6targetE0EEEvT1_
		.amdhsa_group_segment_fixed_size 0
		.amdhsa_private_segment_fixed_size 0
		.amdhsa_kernarg_size 32
		.amdhsa_user_sgpr_count 2
		.amdhsa_user_sgpr_dispatch_ptr 0
		.amdhsa_user_sgpr_queue_ptr 0
		.amdhsa_user_sgpr_kernarg_segment_ptr 1
		.amdhsa_user_sgpr_dispatch_id 0
		.amdhsa_user_sgpr_private_segment_size 0
		.amdhsa_wavefront_size32 1
		.amdhsa_uses_dynamic_stack 0
		.amdhsa_enable_private_segment 0
		.amdhsa_system_sgpr_workgroup_id_x 1
		.amdhsa_system_sgpr_workgroup_id_y 0
		.amdhsa_system_sgpr_workgroup_id_z 0
		.amdhsa_system_sgpr_workgroup_info 0
		.amdhsa_system_vgpr_workitem_id 0
		.amdhsa_next_free_vgpr 1
		.amdhsa_next_free_sgpr 1
		.amdhsa_reserve_vcc 0
		.amdhsa_float_round_mode_32 0
		.amdhsa_float_round_mode_16_64 0
		.amdhsa_float_denorm_mode_32 3
		.amdhsa_float_denorm_mode_16_64 3
		.amdhsa_fp16_overflow 0
		.amdhsa_workgroup_processor_mode 1
		.amdhsa_memory_ordered 1
		.amdhsa_forward_progress 1
		.amdhsa_inst_pref_size 0
		.amdhsa_round_robin_scheduling 0
		.amdhsa_exception_fp_ieee_invalid_op 0
		.amdhsa_exception_fp_denorm_src 0
		.amdhsa_exception_fp_ieee_div_zero 0
		.amdhsa_exception_fp_ieee_overflow 0
		.amdhsa_exception_fp_ieee_underflow 0
		.amdhsa_exception_fp_ieee_inexact 0
		.amdhsa_exception_int_div_zero 0
	.end_amdhsa_kernel
	.section	.text._ZN7rocprim17ROCPRIM_400000_NS6detail17trampoline_kernelINS0_14default_configENS1_20scan_config_selectorIN3c104HalfEEEZZNS1_9scan_implILNS1_25lookback_scan_determinismE0ELb0ELb0ES3_PKS6_PS6_S6_ZZZN2at6native31launch_logcumsumexp_cuda_kernelERKNSD_10TensorBaseESH_lENKUlvE_clEvENKUlvE3_clEvEUlS6_S6_E_S6_EEDaPvRmT3_T4_T5_mT6_P12ihipStream_tbENKUlT_T0_E_clISt17integral_constantIbLb0EESY_EEDaST_SU_EUlST_E0_NS1_11comp_targetILNS1_3genE3ELNS1_11target_archE908ELNS1_3gpuE7ELNS1_3repE0EEENS1_30default_config_static_selectorELNS0_4arch9wavefront6targetE0EEEvT1_,"axG",@progbits,_ZN7rocprim17ROCPRIM_400000_NS6detail17trampoline_kernelINS0_14default_configENS1_20scan_config_selectorIN3c104HalfEEEZZNS1_9scan_implILNS1_25lookback_scan_determinismE0ELb0ELb0ES3_PKS6_PS6_S6_ZZZN2at6native31launch_logcumsumexp_cuda_kernelERKNSD_10TensorBaseESH_lENKUlvE_clEvENKUlvE3_clEvEUlS6_S6_E_S6_EEDaPvRmT3_T4_T5_mT6_P12ihipStream_tbENKUlT_T0_E_clISt17integral_constantIbLb0EESY_EEDaST_SU_EUlST_E0_NS1_11comp_targetILNS1_3genE3ELNS1_11target_archE908ELNS1_3gpuE7ELNS1_3repE0EEENS1_30default_config_static_selectorELNS0_4arch9wavefront6targetE0EEEvT1_,comdat
.Lfunc_end371:
	.size	_ZN7rocprim17ROCPRIM_400000_NS6detail17trampoline_kernelINS0_14default_configENS1_20scan_config_selectorIN3c104HalfEEEZZNS1_9scan_implILNS1_25lookback_scan_determinismE0ELb0ELb0ES3_PKS6_PS6_S6_ZZZN2at6native31launch_logcumsumexp_cuda_kernelERKNSD_10TensorBaseESH_lENKUlvE_clEvENKUlvE3_clEvEUlS6_S6_E_S6_EEDaPvRmT3_T4_T5_mT6_P12ihipStream_tbENKUlT_T0_E_clISt17integral_constantIbLb0EESY_EEDaST_SU_EUlST_E0_NS1_11comp_targetILNS1_3genE3ELNS1_11target_archE908ELNS1_3gpuE7ELNS1_3repE0EEENS1_30default_config_static_selectorELNS0_4arch9wavefront6targetE0EEEvT1_, .Lfunc_end371-_ZN7rocprim17ROCPRIM_400000_NS6detail17trampoline_kernelINS0_14default_configENS1_20scan_config_selectorIN3c104HalfEEEZZNS1_9scan_implILNS1_25lookback_scan_determinismE0ELb0ELb0ES3_PKS6_PS6_S6_ZZZN2at6native31launch_logcumsumexp_cuda_kernelERKNSD_10TensorBaseESH_lENKUlvE_clEvENKUlvE3_clEvEUlS6_S6_E_S6_EEDaPvRmT3_T4_T5_mT6_P12ihipStream_tbENKUlT_T0_E_clISt17integral_constantIbLb0EESY_EEDaST_SU_EUlST_E0_NS1_11comp_targetILNS1_3genE3ELNS1_11target_archE908ELNS1_3gpuE7ELNS1_3repE0EEENS1_30default_config_static_selectorELNS0_4arch9wavefront6targetE0EEEvT1_
                                        ; -- End function
	.set _ZN7rocprim17ROCPRIM_400000_NS6detail17trampoline_kernelINS0_14default_configENS1_20scan_config_selectorIN3c104HalfEEEZZNS1_9scan_implILNS1_25lookback_scan_determinismE0ELb0ELb0ES3_PKS6_PS6_S6_ZZZN2at6native31launch_logcumsumexp_cuda_kernelERKNSD_10TensorBaseESH_lENKUlvE_clEvENKUlvE3_clEvEUlS6_S6_E_S6_EEDaPvRmT3_T4_T5_mT6_P12ihipStream_tbENKUlT_T0_E_clISt17integral_constantIbLb0EESY_EEDaST_SU_EUlST_E0_NS1_11comp_targetILNS1_3genE3ELNS1_11target_archE908ELNS1_3gpuE7ELNS1_3repE0EEENS1_30default_config_static_selectorELNS0_4arch9wavefront6targetE0EEEvT1_.num_vgpr, 0
	.set _ZN7rocprim17ROCPRIM_400000_NS6detail17trampoline_kernelINS0_14default_configENS1_20scan_config_selectorIN3c104HalfEEEZZNS1_9scan_implILNS1_25lookback_scan_determinismE0ELb0ELb0ES3_PKS6_PS6_S6_ZZZN2at6native31launch_logcumsumexp_cuda_kernelERKNSD_10TensorBaseESH_lENKUlvE_clEvENKUlvE3_clEvEUlS6_S6_E_S6_EEDaPvRmT3_T4_T5_mT6_P12ihipStream_tbENKUlT_T0_E_clISt17integral_constantIbLb0EESY_EEDaST_SU_EUlST_E0_NS1_11comp_targetILNS1_3genE3ELNS1_11target_archE908ELNS1_3gpuE7ELNS1_3repE0EEENS1_30default_config_static_selectorELNS0_4arch9wavefront6targetE0EEEvT1_.num_agpr, 0
	.set _ZN7rocprim17ROCPRIM_400000_NS6detail17trampoline_kernelINS0_14default_configENS1_20scan_config_selectorIN3c104HalfEEEZZNS1_9scan_implILNS1_25lookback_scan_determinismE0ELb0ELb0ES3_PKS6_PS6_S6_ZZZN2at6native31launch_logcumsumexp_cuda_kernelERKNSD_10TensorBaseESH_lENKUlvE_clEvENKUlvE3_clEvEUlS6_S6_E_S6_EEDaPvRmT3_T4_T5_mT6_P12ihipStream_tbENKUlT_T0_E_clISt17integral_constantIbLb0EESY_EEDaST_SU_EUlST_E0_NS1_11comp_targetILNS1_3genE3ELNS1_11target_archE908ELNS1_3gpuE7ELNS1_3repE0EEENS1_30default_config_static_selectorELNS0_4arch9wavefront6targetE0EEEvT1_.numbered_sgpr, 0
	.set _ZN7rocprim17ROCPRIM_400000_NS6detail17trampoline_kernelINS0_14default_configENS1_20scan_config_selectorIN3c104HalfEEEZZNS1_9scan_implILNS1_25lookback_scan_determinismE0ELb0ELb0ES3_PKS6_PS6_S6_ZZZN2at6native31launch_logcumsumexp_cuda_kernelERKNSD_10TensorBaseESH_lENKUlvE_clEvENKUlvE3_clEvEUlS6_S6_E_S6_EEDaPvRmT3_T4_T5_mT6_P12ihipStream_tbENKUlT_T0_E_clISt17integral_constantIbLb0EESY_EEDaST_SU_EUlST_E0_NS1_11comp_targetILNS1_3genE3ELNS1_11target_archE908ELNS1_3gpuE7ELNS1_3repE0EEENS1_30default_config_static_selectorELNS0_4arch9wavefront6targetE0EEEvT1_.num_named_barrier, 0
	.set _ZN7rocprim17ROCPRIM_400000_NS6detail17trampoline_kernelINS0_14default_configENS1_20scan_config_selectorIN3c104HalfEEEZZNS1_9scan_implILNS1_25lookback_scan_determinismE0ELb0ELb0ES3_PKS6_PS6_S6_ZZZN2at6native31launch_logcumsumexp_cuda_kernelERKNSD_10TensorBaseESH_lENKUlvE_clEvENKUlvE3_clEvEUlS6_S6_E_S6_EEDaPvRmT3_T4_T5_mT6_P12ihipStream_tbENKUlT_T0_E_clISt17integral_constantIbLb0EESY_EEDaST_SU_EUlST_E0_NS1_11comp_targetILNS1_3genE3ELNS1_11target_archE908ELNS1_3gpuE7ELNS1_3repE0EEENS1_30default_config_static_selectorELNS0_4arch9wavefront6targetE0EEEvT1_.private_seg_size, 0
	.set _ZN7rocprim17ROCPRIM_400000_NS6detail17trampoline_kernelINS0_14default_configENS1_20scan_config_selectorIN3c104HalfEEEZZNS1_9scan_implILNS1_25lookback_scan_determinismE0ELb0ELb0ES3_PKS6_PS6_S6_ZZZN2at6native31launch_logcumsumexp_cuda_kernelERKNSD_10TensorBaseESH_lENKUlvE_clEvENKUlvE3_clEvEUlS6_S6_E_S6_EEDaPvRmT3_T4_T5_mT6_P12ihipStream_tbENKUlT_T0_E_clISt17integral_constantIbLb0EESY_EEDaST_SU_EUlST_E0_NS1_11comp_targetILNS1_3genE3ELNS1_11target_archE908ELNS1_3gpuE7ELNS1_3repE0EEENS1_30default_config_static_selectorELNS0_4arch9wavefront6targetE0EEEvT1_.uses_vcc, 0
	.set _ZN7rocprim17ROCPRIM_400000_NS6detail17trampoline_kernelINS0_14default_configENS1_20scan_config_selectorIN3c104HalfEEEZZNS1_9scan_implILNS1_25lookback_scan_determinismE0ELb0ELb0ES3_PKS6_PS6_S6_ZZZN2at6native31launch_logcumsumexp_cuda_kernelERKNSD_10TensorBaseESH_lENKUlvE_clEvENKUlvE3_clEvEUlS6_S6_E_S6_EEDaPvRmT3_T4_T5_mT6_P12ihipStream_tbENKUlT_T0_E_clISt17integral_constantIbLb0EESY_EEDaST_SU_EUlST_E0_NS1_11comp_targetILNS1_3genE3ELNS1_11target_archE908ELNS1_3gpuE7ELNS1_3repE0EEENS1_30default_config_static_selectorELNS0_4arch9wavefront6targetE0EEEvT1_.uses_flat_scratch, 0
	.set _ZN7rocprim17ROCPRIM_400000_NS6detail17trampoline_kernelINS0_14default_configENS1_20scan_config_selectorIN3c104HalfEEEZZNS1_9scan_implILNS1_25lookback_scan_determinismE0ELb0ELb0ES3_PKS6_PS6_S6_ZZZN2at6native31launch_logcumsumexp_cuda_kernelERKNSD_10TensorBaseESH_lENKUlvE_clEvENKUlvE3_clEvEUlS6_S6_E_S6_EEDaPvRmT3_T4_T5_mT6_P12ihipStream_tbENKUlT_T0_E_clISt17integral_constantIbLb0EESY_EEDaST_SU_EUlST_E0_NS1_11comp_targetILNS1_3genE3ELNS1_11target_archE908ELNS1_3gpuE7ELNS1_3repE0EEENS1_30default_config_static_selectorELNS0_4arch9wavefront6targetE0EEEvT1_.has_dyn_sized_stack, 0
	.set _ZN7rocprim17ROCPRIM_400000_NS6detail17trampoline_kernelINS0_14default_configENS1_20scan_config_selectorIN3c104HalfEEEZZNS1_9scan_implILNS1_25lookback_scan_determinismE0ELb0ELb0ES3_PKS6_PS6_S6_ZZZN2at6native31launch_logcumsumexp_cuda_kernelERKNSD_10TensorBaseESH_lENKUlvE_clEvENKUlvE3_clEvEUlS6_S6_E_S6_EEDaPvRmT3_T4_T5_mT6_P12ihipStream_tbENKUlT_T0_E_clISt17integral_constantIbLb0EESY_EEDaST_SU_EUlST_E0_NS1_11comp_targetILNS1_3genE3ELNS1_11target_archE908ELNS1_3gpuE7ELNS1_3repE0EEENS1_30default_config_static_selectorELNS0_4arch9wavefront6targetE0EEEvT1_.has_recursion, 0
	.set _ZN7rocprim17ROCPRIM_400000_NS6detail17trampoline_kernelINS0_14default_configENS1_20scan_config_selectorIN3c104HalfEEEZZNS1_9scan_implILNS1_25lookback_scan_determinismE0ELb0ELb0ES3_PKS6_PS6_S6_ZZZN2at6native31launch_logcumsumexp_cuda_kernelERKNSD_10TensorBaseESH_lENKUlvE_clEvENKUlvE3_clEvEUlS6_S6_E_S6_EEDaPvRmT3_T4_T5_mT6_P12ihipStream_tbENKUlT_T0_E_clISt17integral_constantIbLb0EESY_EEDaST_SU_EUlST_E0_NS1_11comp_targetILNS1_3genE3ELNS1_11target_archE908ELNS1_3gpuE7ELNS1_3repE0EEENS1_30default_config_static_selectorELNS0_4arch9wavefront6targetE0EEEvT1_.has_indirect_call, 0
	.section	.AMDGPU.csdata,"",@progbits
; Kernel info:
; codeLenInByte = 0
; TotalNumSgprs: 0
; NumVgprs: 0
; ScratchSize: 0
; MemoryBound: 0
; FloatMode: 240
; IeeeMode: 1
; LDSByteSize: 0 bytes/workgroup (compile time only)
; SGPRBlocks: 0
; VGPRBlocks: 0
; NumSGPRsForWavesPerEU: 1
; NumVGPRsForWavesPerEU: 1
; Occupancy: 16
; WaveLimiterHint : 0
; COMPUTE_PGM_RSRC2:SCRATCH_EN: 0
; COMPUTE_PGM_RSRC2:USER_SGPR: 2
; COMPUTE_PGM_RSRC2:TRAP_HANDLER: 0
; COMPUTE_PGM_RSRC2:TGID_X_EN: 1
; COMPUTE_PGM_RSRC2:TGID_Y_EN: 0
; COMPUTE_PGM_RSRC2:TGID_Z_EN: 0
; COMPUTE_PGM_RSRC2:TIDIG_COMP_CNT: 0
	.section	.text._ZN7rocprim17ROCPRIM_400000_NS6detail17trampoline_kernelINS0_14default_configENS1_20scan_config_selectorIN3c104HalfEEEZZNS1_9scan_implILNS1_25lookback_scan_determinismE0ELb0ELb0ES3_PKS6_PS6_S6_ZZZN2at6native31launch_logcumsumexp_cuda_kernelERKNSD_10TensorBaseESH_lENKUlvE_clEvENKUlvE3_clEvEUlS6_S6_E_S6_EEDaPvRmT3_T4_T5_mT6_P12ihipStream_tbENKUlT_T0_E_clISt17integral_constantIbLb0EESY_EEDaST_SU_EUlST_E0_NS1_11comp_targetILNS1_3genE2ELNS1_11target_archE906ELNS1_3gpuE6ELNS1_3repE0EEENS1_30default_config_static_selectorELNS0_4arch9wavefront6targetE0EEEvT1_,"axG",@progbits,_ZN7rocprim17ROCPRIM_400000_NS6detail17trampoline_kernelINS0_14default_configENS1_20scan_config_selectorIN3c104HalfEEEZZNS1_9scan_implILNS1_25lookback_scan_determinismE0ELb0ELb0ES3_PKS6_PS6_S6_ZZZN2at6native31launch_logcumsumexp_cuda_kernelERKNSD_10TensorBaseESH_lENKUlvE_clEvENKUlvE3_clEvEUlS6_S6_E_S6_EEDaPvRmT3_T4_T5_mT6_P12ihipStream_tbENKUlT_T0_E_clISt17integral_constantIbLb0EESY_EEDaST_SU_EUlST_E0_NS1_11comp_targetILNS1_3genE2ELNS1_11target_archE906ELNS1_3gpuE6ELNS1_3repE0EEENS1_30default_config_static_selectorELNS0_4arch9wavefront6targetE0EEEvT1_,comdat
	.globl	_ZN7rocprim17ROCPRIM_400000_NS6detail17trampoline_kernelINS0_14default_configENS1_20scan_config_selectorIN3c104HalfEEEZZNS1_9scan_implILNS1_25lookback_scan_determinismE0ELb0ELb0ES3_PKS6_PS6_S6_ZZZN2at6native31launch_logcumsumexp_cuda_kernelERKNSD_10TensorBaseESH_lENKUlvE_clEvENKUlvE3_clEvEUlS6_S6_E_S6_EEDaPvRmT3_T4_T5_mT6_P12ihipStream_tbENKUlT_T0_E_clISt17integral_constantIbLb0EESY_EEDaST_SU_EUlST_E0_NS1_11comp_targetILNS1_3genE2ELNS1_11target_archE906ELNS1_3gpuE6ELNS1_3repE0EEENS1_30default_config_static_selectorELNS0_4arch9wavefront6targetE0EEEvT1_ ; -- Begin function _ZN7rocprim17ROCPRIM_400000_NS6detail17trampoline_kernelINS0_14default_configENS1_20scan_config_selectorIN3c104HalfEEEZZNS1_9scan_implILNS1_25lookback_scan_determinismE0ELb0ELb0ES3_PKS6_PS6_S6_ZZZN2at6native31launch_logcumsumexp_cuda_kernelERKNSD_10TensorBaseESH_lENKUlvE_clEvENKUlvE3_clEvEUlS6_S6_E_S6_EEDaPvRmT3_T4_T5_mT6_P12ihipStream_tbENKUlT_T0_E_clISt17integral_constantIbLb0EESY_EEDaST_SU_EUlST_E0_NS1_11comp_targetILNS1_3genE2ELNS1_11target_archE906ELNS1_3gpuE6ELNS1_3repE0EEENS1_30default_config_static_selectorELNS0_4arch9wavefront6targetE0EEEvT1_
	.p2align	8
	.type	_ZN7rocprim17ROCPRIM_400000_NS6detail17trampoline_kernelINS0_14default_configENS1_20scan_config_selectorIN3c104HalfEEEZZNS1_9scan_implILNS1_25lookback_scan_determinismE0ELb0ELb0ES3_PKS6_PS6_S6_ZZZN2at6native31launch_logcumsumexp_cuda_kernelERKNSD_10TensorBaseESH_lENKUlvE_clEvENKUlvE3_clEvEUlS6_S6_E_S6_EEDaPvRmT3_T4_T5_mT6_P12ihipStream_tbENKUlT_T0_E_clISt17integral_constantIbLb0EESY_EEDaST_SU_EUlST_E0_NS1_11comp_targetILNS1_3genE2ELNS1_11target_archE906ELNS1_3gpuE6ELNS1_3repE0EEENS1_30default_config_static_selectorELNS0_4arch9wavefront6targetE0EEEvT1_,@function
_ZN7rocprim17ROCPRIM_400000_NS6detail17trampoline_kernelINS0_14default_configENS1_20scan_config_selectorIN3c104HalfEEEZZNS1_9scan_implILNS1_25lookback_scan_determinismE0ELb0ELb0ES3_PKS6_PS6_S6_ZZZN2at6native31launch_logcumsumexp_cuda_kernelERKNSD_10TensorBaseESH_lENKUlvE_clEvENKUlvE3_clEvEUlS6_S6_E_S6_EEDaPvRmT3_T4_T5_mT6_P12ihipStream_tbENKUlT_T0_E_clISt17integral_constantIbLb0EESY_EEDaST_SU_EUlST_E0_NS1_11comp_targetILNS1_3genE2ELNS1_11target_archE906ELNS1_3gpuE6ELNS1_3repE0EEENS1_30default_config_static_selectorELNS0_4arch9wavefront6targetE0EEEvT1_: ; @_ZN7rocprim17ROCPRIM_400000_NS6detail17trampoline_kernelINS0_14default_configENS1_20scan_config_selectorIN3c104HalfEEEZZNS1_9scan_implILNS1_25lookback_scan_determinismE0ELb0ELb0ES3_PKS6_PS6_S6_ZZZN2at6native31launch_logcumsumexp_cuda_kernelERKNSD_10TensorBaseESH_lENKUlvE_clEvENKUlvE3_clEvEUlS6_S6_E_S6_EEDaPvRmT3_T4_T5_mT6_P12ihipStream_tbENKUlT_T0_E_clISt17integral_constantIbLb0EESY_EEDaST_SU_EUlST_E0_NS1_11comp_targetILNS1_3genE2ELNS1_11target_archE906ELNS1_3gpuE6ELNS1_3repE0EEENS1_30default_config_static_selectorELNS0_4arch9wavefront6targetE0EEEvT1_
; %bb.0:
	.section	.rodata,"a",@progbits
	.p2align	6, 0x0
	.amdhsa_kernel _ZN7rocprim17ROCPRIM_400000_NS6detail17trampoline_kernelINS0_14default_configENS1_20scan_config_selectorIN3c104HalfEEEZZNS1_9scan_implILNS1_25lookback_scan_determinismE0ELb0ELb0ES3_PKS6_PS6_S6_ZZZN2at6native31launch_logcumsumexp_cuda_kernelERKNSD_10TensorBaseESH_lENKUlvE_clEvENKUlvE3_clEvEUlS6_S6_E_S6_EEDaPvRmT3_T4_T5_mT6_P12ihipStream_tbENKUlT_T0_E_clISt17integral_constantIbLb0EESY_EEDaST_SU_EUlST_E0_NS1_11comp_targetILNS1_3genE2ELNS1_11target_archE906ELNS1_3gpuE6ELNS1_3repE0EEENS1_30default_config_static_selectorELNS0_4arch9wavefront6targetE0EEEvT1_
		.amdhsa_group_segment_fixed_size 0
		.amdhsa_private_segment_fixed_size 0
		.amdhsa_kernarg_size 32
		.amdhsa_user_sgpr_count 2
		.amdhsa_user_sgpr_dispatch_ptr 0
		.amdhsa_user_sgpr_queue_ptr 0
		.amdhsa_user_sgpr_kernarg_segment_ptr 1
		.amdhsa_user_sgpr_dispatch_id 0
		.amdhsa_user_sgpr_private_segment_size 0
		.amdhsa_wavefront_size32 1
		.amdhsa_uses_dynamic_stack 0
		.amdhsa_enable_private_segment 0
		.amdhsa_system_sgpr_workgroup_id_x 1
		.amdhsa_system_sgpr_workgroup_id_y 0
		.amdhsa_system_sgpr_workgroup_id_z 0
		.amdhsa_system_sgpr_workgroup_info 0
		.amdhsa_system_vgpr_workitem_id 0
		.amdhsa_next_free_vgpr 1
		.amdhsa_next_free_sgpr 1
		.amdhsa_reserve_vcc 0
		.amdhsa_float_round_mode_32 0
		.amdhsa_float_round_mode_16_64 0
		.amdhsa_float_denorm_mode_32 3
		.amdhsa_float_denorm_mode_16_64 3
		.amdhsa_fp16_overflow 0
		.amdhsa_workgroup_processor_mode 1
		.amdhsa_memory_ordered 1
		.amdhsa_forward_progress 1
		.amdhsa_inst_pref_size 0
		.amdhsa_round_robin_scheduling 0
		.amdhsa_exception_fp_ieee_invalid_op 0
		.amdhsa_exception_fp_denorm_src 0
		.amdhsa_exception_fp_ieee_div_zero 0
		.amdhsa_exception_fp_ieee_overflow 0
		.amdhsa_exception_fp_ieee_underflow 0
		.amdhsa_exception_fp_ieee_inexact 0
		.amdhsa_exception_int_div_zero 0
	.end_amdhsa_kernel
	.section	.text._ZN7rocprim17ROCPRIM_400000_NS6detail17trampoline_kernelINS0_14default_configENS1_20scan_config_selectorIN3c104HalfEEEZZNS1_9scan_implILNS1_25lookback_scan_determinismE0ELb0ELb0ES3_PKS6_PS6_S6_ZZZN2at6native31launch_logcumsumexp_cuda_kernelERKNSD_10TensorBaseESH_lENKUlvE_clEvENKUlvE3_clEvEUlS6_S6_E_S6_EEDaPvRmT3_T4_T5_mT6_P12ihipStream_tbENKUlT_T0_E_clISt17integral_constantIbLb0EESY_EEDaST_SU_EUlST_E0_NS1_11comp_targetILNS1_3genE2ELNS1_11target_archE906ELNS1_3gpuE6ELNS1_3repE0EEENS1_30default_config_static_selectorELNS0_4arch9wavefront6targetE0EEEvT1_,"axG",@progbits,_ZN7rocprim17ROCPRIM_400000_NS6detail17trampoline_kernelINS0_14default_configENS1_20scan_config_selectorIN3c104HalfEEEZZNS1_9scan_implILNS1_25lookback_scan_determinismE0ELb0ELb0ES3_PKS6_PS6_S6_ZZZN2at6native31launch_logcumsumexp_cuda_kernelERKNSD_10TensorBaseESH_lENKUlvE_clEvENKUlvE3_clEvEUlS6_S6_E_S6_EEDaPvRmT3_T4_T5_mT6_P12ihipStream_tbENKUlT_T0_E_clISt17integral_constantIbLb0EESY_EEDaST_SU_EUlST_E0_NS1_11comp_targetILNS1_3genE2ELNS1_11target_archE906ELNS1_3gpuE6ELNS1_3repE0EEENS1_30default_config_static_selectorELNS0_4arch9wavefront6targetE0EEEvT1_,comdat
.Lfunc_end372:
	.size	_ZN7rocprim17ROCPRIM_400000_NS6detail17trampoline_kernelINS0_14default_configENS1_20scan_config_selectorIN3c104HalfEEEZZNS1_9scan_implILNS1_25lookback_scan_determinismE0ELb0ELb0ES3_PKS6_PS6_S6_ZZZN2at6native31launch_logcumsumexp_cuda_kernelERKNSD_10TensorBaseESH_lENKUlvE_clEvENKUlvE3_clEvEUlS6_S6_E_S6_EEDaPvRmT3_T4_T5_mT6_P12ihipStream_tbENKUlT_T0_E_clISt17integral_constantIbLb0EESY_EEDaST_SU_EUlST_E0_NS1_11comp_targetILNS1_3genE2ELNS1_11target_archE906ELNS1_3gpuE6ELNS1_3repE0EEENS1_30default_config_static_selectorELNS0_4arch9wavefront6targetE0EEEvT1_, .Lfunc_end372-_ZN7rocprim17ROCPRIM_400000_NS6detail17trampoline_kernelINS0_14default_configENS1_20scan_config_selectorIN3c104HalfEEEZZNS1_9scan_implILNS1_25lookback_scan_determinismE0ELb0ELb0ES3_PKS6_PS6_S6_ZZZN2at6native31launch_logcumsumexp_cuda_kernelERKNSD_10TensorBaseESH_lENKUlvE_clEvENKUlvE3_clEvEUlS6_S6_E_S6_EEDaPvRmT3_T4_T5_mT6_P12ihipStream_tbENKUlT_T0_E_clISt17integral_constantIbLb0EESY_EEDaST_SU_EUlST_E0_NS1_11comp_targetILNS1_3genE2ELNS1_11target_archE906ELNS1_3gpuE6ELNS1_3repE0EEENS1_30default_config_static_selectorELNS0_4arch9wavefront6targetE0EEEvT1_
                                        ; -- End function
	.set _ZN7rocprim17ROCPRIM_400000_NS6detail17trampoline_kernelINS0_14default_configENS1_20scan_config_selectorIN3c104HalfEEEZZNS1_9scan_implILNS1_25lookback_scan_determinismE0ELb0ELb0ES3_PKS6_PS6_S6_ZZZN2at6native31launch_logcumsumexp_cuda_kernelERKNSD_10TensorBaseESH_lENKUlvE_clEvENKUlvE3_clEvEUlS6_S6_E_S6_EEDaPvRmT3_T4_T5_mT6_P12ihipStream_tbENKUlT_T0_E_clISt17integral_constantIbLb0EESY_EEDaST_SU_EUlST_E0_NS1_11comp_targetILNS1_3genE2ELNS1_11target_archE906ELNS1_3gpuE6ELNS1_3repE0EEENS1_30default_config_static_selectorELNS0_4arch9wavefront6targetE0EEEvT1_.num_vgpr, 0
	.set _ZN7rocprim17ROCPRIM_400000_NS6detail17trampoline_kernelINS0_14default_configENS1_20scan_config_selectorIN3c104HalfEEEZZNS1_9scan_implILNS1_25lookback_scan_determinismE0ELb0ELb0ES3_PKS6_PS6_S6_ZZZN2at6native31launch_logcumsumexp_cuda_kernelERKNSD_10TensorBaseESH_lENKUlvE_clEvENKUlvE3_clEvEUlS6_S6_E_S6_EEDaPvRmT3_T4_T5_mT6_P12ihipStream_tbENKUlT_T0_E_clISt17integral_constantIbLb0EESY_EEDaST_SU_EUlST_E0_NS1_11comp_targetILNS1_3genE2ELNS1_11target_archE906ELNS1_3gpuE6ELNS1_3repE0EEENS1_30default_config_static_selectorELNS0_4arch9wavefront6targetE0EEEvT1_.num_agpr, 0
	.set _ZN7rocprim17ROCPRIM_400000_NS6detail17trampoline_kernelINS0_14default_configENS1_20scan_config_selectorIN3c104HalfEEEZZNS1_9scan_implILNS1_25lookback_scan_determinismE0ELb0ELb0ES3_PKS6_PS6_S6_ZZZN2at6native31launch_logcumsumexp_cuda_kernelERKNSD_10TensorBaseESH_lENKUlvE_clEvENKUlvE3_clEvEUlS6_S6_E_S6_EEDaPvRmT3_T4_T5_mT6_P12ihipStream_tbENKUlT_T0_E_clISt17integral_constantIbLb0EESY_EEDaST_SU_EUlST_E0_NS1_11comp_targetILNS1_3genE2ELNS1_11target_archE906ELNS1_3gpuE6ELNS1_3repE0EEENS1_30default_config_static_selectorELNS0_4arch9wavefront6targetE0EEEvT1_.numbered_sgpr, 0
	.set _ZN7rocprim17ROCPRIM_400000_NS6detail17trampoline_kernelINS0_14default_configENS1_20scan_config_selectorIN3c104HalfEEEZZNS1_9scan_implILNS1_25lookback_scan_determinismE0ELb0ELb0ES3_PKS6_PS6_S6_ZZZN2at6native31launch_logcumsumexp_cuda_kernelERKNSD_10TensorBaseESH_lENKUlvE_clEvENKUlvE3_clEvEUlS6_S6_E_S6_EEDaPvRmT3_T4_T5_mT6_P12ihipStream_tbENKUlT_T0_E_clISt17integral_constantIbLb0EESY_EEDaST_SU_EUlST_E0_NS1_11comp_targetILNS1_3genE2ELNS1_11target_archE906ELNS1_3gpuE6ELNS1_3repE0EEENS1_30default_config_static_selectorELNS0_4arch9wavefront6targetE0EEEvT1_.num_named_barrier, 0
	.set _ZN7rocprim17ROCPRIM_400000_NS6detail17trampoline_kernelINS0_14default_configENS1_20scan_config_selectorIN3c104HalfEEEZZNS1_9scan_implILNS1_25lookback_scan_determinismE0ELb0ELb0ES3_PKS6_PS6_S6_ZZZN2at6native31launch_logcumsumexp_cuda_kernelERKNSD_10TensorBaseESH_lENKUlvE_clEvENKUlvE3_clEvEUlS6_S6_E_S6_EEDaPvRmT3_T4_T5_mT6_P12ihipStream_tbENKUlT_T0_E_clISt17integral_constantIbLb0EESY_EEDaST_SU_EUlST_E0_NS1_11comp_targetILNS1_3genE2ELNS1_11target_archE906ELNS1_3gpuE6ELNS1_3repE0EEENS1_30default_config_static_selectorELNS0_4arch9wavefront6targetE0EEEvT1_.private_seg_size, 0
	.set _ZN7rocprim17ROCPRIM_400000_NS6detail17trampoline_kernelINS0_14default_configENS1_20scan_config_selectorIN3c104HalfEEEZZNS1_9scan_implILNS1_25lookback_scan_determinismE0ELb0ELb0ES3_PKS6_PS6_S6_ZZZN2at6native31launch_logcumsumexp_cuda_kernelERKNSD_10TensorBaseESH_lENKUlvE_clEvENKUlvE3_clEvEUlS6_S6_E_S6_EEDaPvRmT3_T4_T5_mT6_P12ihipStream_tbENKUlT_T0_E_clISt17integral_constantIbLb0EESY_EEDaST_SU_EUlST_E0_NS1_11comp_targetILNS1_3genE2ELNS1_11target_archE906ELNS1_3gpuE6ELNS1_3repE0EEENS1_30default_config_static_selectorELNS0_4arch9wavefront6targetE0EEEvT1_.uses_vcc, 0
	.set _ZN7rocprim17ROCPRIM_400000_NS6detail17trampoline_kernelINS0_14default_configENS1_20scan_config_selectorIN3c104HalfEEEZZNS1_9scan_implILNS1_25lookback_scan_determinismE0ELb0ELb0ES3_PKS6_PS6_S6_ZZZN2at6native31launch_logcumsumexp_cuda_kernelERKNSD_10TensorBaseESH_lENKUlvE_clEvENKUlvE3_clEvEUlS6_S6_E_S6_EEDaPvRmT3_T4_T5_mT6_P12ihipStream_tbENKUlT_T0_E_clISt17integral_constantIbLb0EESY_EEDaST_SU_EUlST_E0_NS1_11comp_targetILNS1_3genE2ELNS1_11target_archE906ELNS1_3gpuE6ELNS1_3repE0EEENS1_30default_config_static_selectorELNS0_4arch9wavefront6targetE0EEEvT1_.uses_flat_scratch, 0
	.set _ZN7rocprim17ROCPRIM_400000_NS6detail17trampoline_kernelINS0_14default_configENS1_20scan_config_selectorIN3c104HalfEEEZZNS1_9scan_implILNS1_25lookback_scan_determinismE0ELb0ELb0ES3_PKS6_PS6_S6_ZZZN2at6native31launch_logcumsumexp_cuda_kernelERKNSD_10TensorBaseESH_lENKUlvE_clEvENKUlvE3_clEvEUlS6_S6_E_S6_EEDaPvRmT3_T4_T5_mT6_P12ihipStream_tbENKUlT_T0_E_clISt17integral_constantIbLb0EESY_EEDaST_SU_EUlST_E0_NS1_11comp_targetILNS1_3genE2ELNS1_11target_archE906ELNS1_3gpuE6ELNS1_3repE0EEENS1_30default_config_static_selectorELNS0_4arch9wavefront6targetE0EEEvT1_.has_dyn_sized_stack, 0
	.set _ZN7rocprim17ROCPRIM_400000_NS6detail17trampoline_kernelINS0_14default_configENS1_20scan_config_selectorIN3c104HalfEEEZZNS1_9scan_implILNS1_25lookback_scan_determinismE0ELb0ELb0ES3_PKS6_PS6_S6_ZZZN2at6native31launch_logcumsumexp_cuda_kernelERKNSD_10TensorBaseESH_lENKUlvE_clEvENKUlvE3_clEvEUlS6_S6_E_S6_EEDaPvRmT3_T4_T5_mT6_P12ihipStream_tbENKUlT_T0_E_clISt17integral_constantIbLb0EESY_EEDaST_SU_EUlST_E0_NS1_11comp_targetILNS1_3genE2ELNS1_11target_archE906ELNS1_3gpuE6ELNS1_3repE0EEENS1_30default_config_static_selectorELNS0_4arch9wavefront6targetE0EEEvT1_.has_recursion, 0
	.set _ZN7rocprim17ROCPRIM_400000_NS6detail17trampoline_kernelINS0_14default_configENS1_20scan_config_selectorIN3c104HalfEEEZZNS1_9scan_implILNS1_25lookback_scan_determinismE0ELb0ELb0ES3_PKS6_PS6_S6_ZZZN2at6native31launch_logcumsumexp_cuda_kernelERKNSD_10TensorBaseESH_lENKUlvE_clEvENKUlvE3_clEvEUlS6_S6_E_S6_EEDaPvRmT3_T4_T5_mT6_P12ihipStream_tbENKUlT_T0_E_clISt17integral_constantIbLb0EESY_EEDaST_SU_EUlST_E0_NS1_11comp_targetILNS1_3genE2ELNS1_11target_archE906ELNS1_3gpuE6ELNS1_3repE0EEENS1_30default_config_static_selectorELNS0_4arch9wavefront6targetE0EEEvT1_.has_indirect_call, 0
	.section	.AMDGPU.csdata,"",@progbits
; Kernel info:
; codeLenInByte = 0
; TotalNumSgprs: 0
; NumVgprs: 0
; ScratchSize: 0
; MemoryBound: 0
; FloatMode: 240
; IeeeMode: 1
; LDSByteSize: 0 bytes/workgroup (compile time only)
; SGPRBlocks: 0
; VGPRBlocks: 0
; NumSGPRsForWavesPerEU: 1
; NumVGPRsForWavesPerEU: 1
; Occupancy: 16
; WaveLimiterHint : 0
; COMPUTE_PGM_RSRC2:SCRATCH_EN: 0
; COMPUTE_PGM_RSRC2:USER_SGPR: 2
; COMPUTE_PGM_RSRC2:TRAP_HANDLER: 0
; COMPUTE_PGM_RSRC2:TGID_X_EN: 1
; COMPUTE_PGM_RSRC2:TGID_Y_EN: 0
; COMPUTE_PGM_RSRC2:TGID_Z_EN: 0
; COMPUTE_PGM_RSRC2:TIDIG_COMP_CNT: 0
	.section	.text._ZN7rocprim17ROCPRIM_400000_NS6detail17trampoline_kernelINS0_14default_configENS1_20scan_config_selectorIN3c104HalfEEEZZNS1_9scan_implILNS1_25lookback_scan_determinismE0ELb0ELb0ES3_PKS6_PS6_S6_ZZZN2at6native31launch_logcumsumexp_cuda_kernelERKNSD_10TensorBaseESH_lENKUlvE_clEvENKUlvE3_clEvEUlS6_S6_E_S6_EEDaPvRmT3_T4_T5_mT6_P12ihipStream_tbENKUlT_T0_E_clISt17integral_constantIbLb0EESY_EEDaST_SU_EUlST_E0_NS1_11comp_targetILNS1_3genE10ELNS1_11target_archE1201ELNS1_3gpuE5ELNS1_3repE0EEENS1_30default_config_static_selectorELNS0_4arch9wavefront6targetE0EEEvT1_,"axG",@progbits,_ZN7rocprim17ROCPRIM_400000_NS6detail17trampoline_kernelINS0_14default_configENS1_20scan_config_selectorIN3c104HalfEEEZZNS1_9scan_implILNS1_25lookback_scan_determinismE0ELb0ELb0ES3_PKS6_PS6_S6_ZZZN2at6native31launch_logcumsumexp_cuda_kernelERKNSD_10TensorBaseESH_lENKUlvE_clEvENKUlvE3_clEvEUlS6_S6_E_S6_EEDaPvRmT3_T4_T5_mT6_P12ihipStream_tbENKUlT_T0_E_clISt17integral_constantIbLb0EESY_EEDaST_SU_EUlST_E0_NS1_11comp_targetILNS1_3genE10ELNS1_11target_archE1201ELNS1_3gpuE5ELNS1_3repE0EEENS1_30default_config_static_selectorELNS0_4arch9wavefront6targetE0EEEvT1_,comdat
	.globl	_ZN7rocprim17ROCPRIM_400000_NS6detail17trampoline_kernelINS0_14default_configENS1_20scan_config_selectorIN3c104HalfEEEZZNS1_9scan_implILNS1_25lookback_scan_determinismE0ELb0ELb0ES3_PKS6_PS6_S6_ZZZN2at6native31launch_logcumsumexp_cuda_kernelERKNSD_10TensorBaseESH_lENKUlvE_clEvENKUlvE3_clEvEUlS6_S6_E_S6_EEDaPvRmT3_T4_T5_mT6_P12ihipStream_tbENKUlT_T0_E_clISt17integral_constantIbLb0EESY_EEDaST_SU_EUlST_E0_NS1_11comp_targetILNS1_3genE10ELNS1_11target_archE1201ELNS1_3gpuE5ELNS1_3repE0EEENS1_30default_config_static_selectorELNS0_4arch9wavefront6targetE0EEEvT1_ ; -- Begin function _ZN7rocprim17ROCPRIM_400000_NS6detail17trampoline_kernelINS0_14default_configENS1_20scan_config_selectorIN3c104HalfEEEZZNS1_9scan_implILNS1_25lookback_scan_determinismE0ELb0ELb0ES3_PKS6_PS6_S6_ZZZN2at6native31launch_logcumsumexp_cuda_kernelERKNSD_10TensorBaseESH_lENKUlvE_clEvENKUlvE3_clEvEUlS6_S6_E_S6_EEDaPvRmT3_T4_T5_mT6_P12ihipStream_tbENKUlT_T0_E_clISt17integral_constantIbLb0EESY_EEDaST_SU_EUlST_E0_NS1_11comp_targetILNS1_3genE10ELNS1_11target_archE1201ELNS1_3gpuE5ELNS1_3repE0EEENS1_30default_config_static_selectorELNS0_4arch9wavefront6targetE0EEEvT1_
	.p2align	8
	.type	_ZN7rocprim17ROCPRIM_400000_NS6detail17trampoline_kernelINS0_14default_configENS1_20scan_config_selectorIN3c104HalfEEEZZNS1_9scan_implILNS1_25lookback_scan_determinismE0ELb0ELb0ES3_PKS6_PS6_S6_ZZZN2at6native31launch_logcumsumexp_cuda_kernelERKNSD_10TensorBaseESH_lENKUlvE_clEvENKUlvE3_clEvEUlS6_S6_E_S6_EEDaPvRmT3_T4_T5_mT6_P12ihipStream_tbENKUlT_T0_E_clISt17integral_constantIbLb0EESY_EEDaST_SU_EUlST_E0_NS1_11comp_targetILNS1_3genE10ELNS1_11target_archE1201ELNS1_3gpuE5ELNS1_3repE0EEENS1_30default_config_static_selectorELNS0_4arch9wavefront6targetE0EEEvT1_,@function
_ZN7rocprim17ROCPRIM_400000_NS6detail17trampoline_kernelINS0_14default_configENS1_20scan_config_selectorIN3c104HalfEEEZZNS1_9scan_implILNS1_25lookback_scan_determinismE0ELb0ELb0ES3_PKS6_PS6_S6_ZZZN2at6native31launch_logcumsumexp_cuda_kernelERKNSD_10TensorBaseESH_lENKUlvE_clEvENKUlvE3_clEvEUlS6_S6_E_S6_EEDaPvRmT3_T4_T5_mT6_P12ihipStream_tbENKUlT_T0_E_clISt17integral_constantIbLb0EESY_EEDaST_SU_EUlST_E0_NS1_11comp_targetILNS1_3genE10ELNS1_11target_archE1201ELNS1_3gpuE5ELNS1_3repE0EEENS1_30default_config_static_selectorELNS0_4arch9wavefront6targetE0EEEvT1_: ; @_ZN7rocprim17ROCPRIM_400000_NS6detail17trampoline_kernelINS0_14default_configENS1_20scan_config_selectorIN3c104HalfEEEZZNS1_9scan_implILNS1_25lookback_scan_determinismE0ELb0ELb0ES3_PKS6_PS6_S6_ZZZN2at6native31launch_logcumsumexp_cuda_kernelERKNSD_10TensorBaseESH_lENKUlvE_clEvENKUlvE3_clEvEUlS6_S6_E_S6_EEDaPvRmT3_T4_T5_mT6_P12ihipStream_tbENKUlT_T0_E_clISt17integral_constantIbLb0EESY_EEDaST_SU_EUlST_E0_NS1_11comp_targetILNS1_3genE10ELNS1_11target_archE1201ELNS1_3gpuE5ELNS1_3repE0EEENS1_30default_config_static_selectorELNS0_4arch9wavefront6targetE0EEEvT1_
; %bb.0:
	s_load_b128 s[16:19], s[0:1], 0x0
	v_mov_b32_e32 v1, 0
	s_wait_kmcnt 0x0
	global_load_u16 v1, v1, s[16:17]
	v_cmp_gt_u32_e32 vcc_lo, s18, v0
	s_wait_loadcnt 0x0
	v_dual_mov_b32 v2, v1 :: v_dual_lshlrev_b32 v7, 1, v0
	s_and_saveexec_b32 s2, vcc_lo
	s_cbranch_execz .LBB373_2
; %bb.1:
	global_load_u16 v2, v7, s[16:17]
.LBB373_2:
	s_or_b32 exec_lo, exec_lo, s2
	v_or_b32_e32 v3, 0x100, v0
	s_delay_alu instid0(VALU_DEP_1)
	v_cmp_gt_u32_e64 s2, s18, v3
	v_mov_b32_e32 v3, v1
	s_and_saveexec_b32 s3, s2
	s_cbranch_execz .LBB373_4
; %bb.3:
	global_load_u16 v3, v7, s[16:17] offset:512
.LBB373_4:
	s_or_b32 exec_lo, exec_lo, s3
	v_or_b32_e32 v4, 0x200, v0
	s_delay_alu instid0(VALU_DEP_1)
	v_cmp_gt_u32_e64 s3, s18, v4
	v_mov_b32_e32 v4, v1
	s_and_saveexec_b32 s4, s3
	s_cbranch_execz .LBB373_6
; %bb.5:
	global_load_u16 v4, v7, s[16:17] offset:1024
.LBB373_6:
	;; [unrolled: 10-line block ×10, first 2 shown]
	s_or_b32 exec_lo, exec_lo, s12
	v_or_b32_e32 v14, 0xb00, v0
	s_delay_alu instid0(VALU_DEP_1) | instskip(SKIP_2) | instid1(SALU_CYCLE_1)
	v_cmp_gt_u32_e64 s12, s18, v14
	v_cmp_le_u32_e64 s13, s18, v14
	s_and_saveexec_b32 s14, s13
	s_xor_b32 s13, exec_lo, s14
	s_delay_alu instid0(SALU_CYCLE_1)
	s_and_not1_saveexec_b32 s13, s13
	s_cbranch_execz .LBB373_24
; %bb.23:
	v_lshlrev_b32_e32 v1, 1, v0
	global_load_u16 v1, v1, s[16:17] offset:5632
.LBB373_24:
	s_or_b32 exec_lo, exec_lo, s13
	s_wait_loadcnt 0x0
	ds_store_b16 v7, v2
	ds_store_b16 v7, v3 offset:512
	ds_store_b16 v7, v4 offset:1024
	;; [unrolled: 1-line block ×11, first 2 shown]
	v_mad_u32_u24 v5, v0, 22, v7
	s_wait_dscnt 0x0
	s_barrier_signal -1
	s_barrier_wait -1
	global_inv scope:SCOPE_SE
	ds_load_2addr_b64 v[1:4], v5 offset1:1
	ds_load_b64 v[5:6], v5 offset:16
	s_wait_loadcnt_dscnt 0x0
	s_barrier_signal -1
	s_barrier_wait -1
	global_inv scope:SCOPE_SE
	v_lshrrev_b32_e32 v10, 16, v1
	v_cvt_f32_f16_e32 v8, v1
	v_cmp_u_f16_e64 s24, v1, v1
	v_dual_mov_b32 v17, v1 :: v_dual_mov_b32 v18, v1
	s_delay_alu instid0(VALU_DEP_4) | instskip(SKIP_2) | instid1(VALU_DEP_3)
	v_cvt_f32_f16_e32 v9, v10
	v_cmp_u_f16_e64 s13, v10, v10
	v_mov_b32_e32 v19, v8
	v_min_num_f32_e32 v15, v8, v9
	v_max_num_f32_e32 v16, v8, v9
	s_delay_alu instid0(VALU_DEP_2) | instskip(NEXT) | instid1(VALU_DEP_2)
	v_cndmask_b32_e64 v11, v15, v8, s24
	v_cndmask_b32_e64 v12, v16, v8, s24
	s_delay_alu instid0(VALU_DEP_2) | instskip(NEXT) | instid1(VALU_DEP_2)
	v_cndmask_b32_e64 v11, v11, v9, s13
	v_cndmask_b32_e64 v10, v12, v9, s13
	s_delay_alu instid0(VALU_DEP_2) | instskip(NEXT) | instid1(VALU_DEP_2)
	v_cmp_class_f32_e64 s15, v11, 0x1f8
	v_cmp_neq_f32_e64 s14, v11, v10
	s_or_b32 s14, s14, s15
	s_delay_alu instid0(SALU_CYCLE_1)
	s_and_saveexec_b32 s15, s14
	s_cbranch_execz .LBB373_26
; %bb.25:
	v_sub_f32_e32 v11, v11, v10
	s_delay_alu instid0(VALU_DEP_1) | instskip(NEXT) | instid1(VALU_DEP_1)
	v_mul_f32_e32 v12, 0x3fb8aa3b, v11
	v_fma_f32 v13, 0x3fb8aa3b, v11, -v12
	v_rndne_f32_e32 v14, v12
	s_delay_alu instid0(VALU_DEP_1) | instskip(NEXT) | instid1(VALU_DEP_1)
	v_dual_fmamk_f32 v13, v11, 0x32a5705f, v13 :: v_dual_sub_f32 v12, v12, v14
	v_add_f32_e32 v12, v12, v13
	v_cvt_i32_f32_e32 v13, v14
	v_cmp_ngt_f32_e64 s14, 0xc2ce8ed0, v11
	s_delay_alu instid0(VALU_DEP_3) | instskip(NEXT) | instid1(TRANS32_DEP_1)
	v_exp_f32_e32 v12, v12
	v_ldexp_f32 v12, v12, v13
	s_delay_alu instid0(VALU_DEP_1) | instskip(SKIP_2) | instid1(VALU_DEP_1)
	v_cndmask_b32_e64 v12, 0, v12, s14
	v_cmp_nlt_f32_e64 s14, 0x42b17218, v11
	s_wait_alu 0xf1ff
	v_cndmask_b32_e64 v13, 0x7f800000, v12, s14
	s_delay_alu instid0(VALU_DEP_1) | instskip(NEXT) | instid1(VALU_DEP_1)
	v_add_f32_e32 v14, 1.0, v13
	v_cvt_f64_f32_e32 v[11:12], v14
	s_delay_alu instid0(VALU_DEP_1) | instskip(SKIP_1) | instid1(VALU_DEP_1)
	v_frexp_exp_i32_f64_e32 v11, v[11:12]
	v_frexp_mant_f32_e32 v12, v14
	v_cmp_gt_f32_e64 s14, 0x3f2aaaab, v12
	v_add_f32_e32 v12, -1.0, v14
	s_delay_alu instid0(VALU_DEP_1) | instskip(NEXT) | instid1(VALU_DEP_1)
	v_sub_f32_e32 v18, v12, v14
	v_add_f32_e32 v18, 1.0, v18
	s_wait_alu 0xf1ff
	v_subrev_co_ci_u32_e64 v11, null, 0, v11, s14
	s_mov_b32 s14, 0x3e9b6dac
	v_sub_nc_u32_e32 v17, 0, v11
	v_cvt_f32_i32_e32 v11, v11
	s_delay_alu instid0(VALU_DEP_2) | instskip(NEXT) | instid1(VALU_DEP_1)
	v_ldexp_f32 v14, v14, v17
	v_dual_sub_f32 v12, v13, v12 :: v_dual_add_f32 v19, 1.0, v14
	s_delay_alu instid0(VALU_DEP_1) | instskip(NEXT) | instid1(VALU_DEP_2)
	v_add_f32_e32 v12, v12, v18
	v_add_f32_e32 v18, -1.0, v19
	s_delay_alu instid0(VALU_DEP_2) | instskip(SKIP_1) | instid1(VALU_DEP_3)
	v_ldexp_f32 v12, v12, v17
	v_add_f32_e32 v17, -1.0, v14
	v_sub_f32_e32 v18, v14, v18
	s_delay_alu instid0(VALU_DEP_2) | instskip(NEXT) | instid1(VALU_DEP_2)
	v_add_f32_e32 v20, 1.0, v17
	v_add_f32_e32 v18, v12, v18
	s_delay_alu instid0(VALU_DEP_2) | instskip(NEXT) | instid1(VALU_DEP_2)
	v_sub_f32_e32 v14, v14, v20
	v_add_f32_e32 v20, v19, v18
	s_delay_alu instid0(VALU_DEP_2) | instskip(NEXT) | instid1(VALU_DEP_2)
	v_add_f32_e32 v12, v12, v14
	v_rcp_f32_e32 v14, v20
	v_sub_f32_e32 v19, v19, v20
	s_delay_alu instid0(VALU_DEP_1) | instskip(NEXT) | instid1(VALU_DEP_1)
	v_dual_add_f32 v21, v17, v12 :: v_dual_add_f32 v18, v18, v19
	v_sub_f32_e32 v17, v17, v21
	s_delay_alu instid0(TRANS32_DEP_1) | instskip(NEXT) | instid1(VALU_DEP_2)
	v_mul_f32_e32 v22, v21, v14
	v_add_f32_e32 v12, v12, v17
	s_delay_alu instid0(VALU_DEP_2) | instskip(NEXT) | instid1(VALU_DEP_1)
	v_mul_f32_e32 v23, v20, v22
	v_fma_f32 v19, v22, v20, -v23
	s_delay_alu instid0(VALU_DEP_1) | instskip(NEXT) | instid1(VALU_DEP_1)
	v_fmac_f32_e32 v19, v22, v18
	v_add_f32_e32 v24, v23, v19
	s_delay_alu instid0(VALU_DEP_1) | instskip(SKIP_1) | instid1(VALU_DEP_2)
	v_sub_f32_e32 v25, v21, v24
	v_sub_f32_e32 v17, v24, v23
	;; [unrolled: 1-line block ×3, first 2 shown]
	s_delay_alu instid0(VALU_DEP_2) | instskip(NEXT) | instid1(VALU_DEP_2)
	v_sub_f32_e32 v17, v17, v19
	v_sub_f32_e32 v21, v21, v24
	s_delay_alu instid0(VALU_DEP_1) | instskip(NEXT) | instid1(VALU_DEP_1)
	v_add_f32_e32 v12, v12, v21
	v_add_f32_e32 v12, v17, v12
	s_delay_alu instid0(VALU_DEP_1) | instskip(NEXT) | instid1(VALU_DEP_1)
	v_add_f32_e32 v17, v25, v12
	v_mul_f32_e32 v19, v14, v17
	s_delay_alu instid0(VALU_DEP_1) | instskip(NEXT) | instid1(VALU_DEP_1)
	v_dual_sub_f32 v24, v25, v17 :: v_dual_mul_f32 v21, v20, v19
	v_fma_f32 v20, v19, v20, -v21
	s_delay_alu instid0(VALU_DEP_1) | instskip(NEXT) | instid1(VALU_DEP_1)
	v_fmac_f32_e32 v20, v19, v18
	v_add_f32_e32 v18, v21, v20
	s_delay_alu instid0(VALU_DEP_1) | instskip(SKIP_1) | instid1(VALU_DEP_2)
	v_sub_f32_e32 v23, v17, v18
	v_dual_sub_f32 v21, v18, v21 :: v_dual_add_f32 v12, v12, v24
	v_sub_f32_e32 v17, v17, v23
	s_delay_alu instid0(VALU_DEP_1) | instskip(NEXT) | instid1(VALU_DEP_1)
	v_sub_f32_e32 v17, v17, v18
	v_dual_add_f32 v12, v12, v17 :: v_dual_add_f32 v17, v22, v19
	s_delay_alu instid0(VALU_DEP_4) | instskip(NEXT) | instid1(VALU_DEP_1)
	v_sub_f32_e32 v18, v21, v20
	v_add_f32_e32 v12, v18, v12
	s_delay_alu instid0(VALU_DEP_3) | instskip(NEXT) | instid1(VALU_DEP_2)
	v_sub_f32_e32 v18, v17, v22
	v_add_f32_e32 v12, v23, v12
	s_delay_alu instid0(VALU_DEP_2) | instskip(NEXT) | instid1(VALU_DEP_2)
	v_sub_f32_e32 v18, v19, v18
	v_mul_f32_e32 v12, v14, v12
	s_delay_alu instid0(VALU_DEP_1) | instskip(NEXT) | instid1(VALU_DEP_1)
	v_add_f32_e32 v12, v18, v12
	v_add_f32_e32 v14, v17, v12
	s_delay_alu instid0(VALU_DEP_1) | instskip(SKIP_1) | instid1(VALU_DEP_1)
	v_mul_f32_e32 v18, v14, v14
	s_wait_alu 0xfffe
	v_fmaak_f32 v19, s14, v18, 0x3ecc95a3
	v_mul_f32_e32 v20, v14, v18
	v_cmp_neq_f32_e64 s14, 0x7f800000, v13
	s_delay_alu instid0(VALU_DEP_3) | instskip(SKIP_2) | instid1(VALU_DEP_3)
	v_fmaak_f32 v18, v18, v19, 0x3f2aaada
	v_ldexp_f32 v19, v14, 1
	v_sub_f32_e32 v14, v14, v17
	v_mul_f32_e32 v18, v20, v18
	v_mul_f32_e32 v20, 0x3f317218, v11
	s_delay_alu instid0(VALU_DEP_3) | instskip(NEXT) | instid1(VALU_DEP_3)
	v_sub_f32_e32 v12, v12, v14
	v_add_f32_e32 v17, v19, v18
	s_delay_alu instid0(VALU_DEP_2) | instskip(NEXT) | instid1(VALU_DEP_2)
	v_ldexp_f32 v12, v12, 1
	v_sub_f32_e32 v14, v17, v19
	v_fma_f32 v19, 0x3f317218, v11, -v20
	s_delay_alu instid0(VALU_DEP_1) | instskip(NEXT) | instid1(VALU_DEP_1)
	v_dual_sub_f32 v14, v18, v14 :: v_dual_fmamk_f32 v11, v11, 0xb102e308, v19
	v_add_f32_e32 v12, v12, v14
	s_delay_alu instid0(VALU_DEP_2) | instskip(NEXT) | instid1(VALU_DEP_2)
	v_add_f32_e32 v14, v20, v11
	v_add_f32_e32 v18, v17, v12
	s_delay_alu instid0(VALU_DEP_2) | instskip(NEXT) | instid1(VALU_DEP_2)
	v_sub_f32_e32 v20, v14, v20
	v_add_f32_e32 v19, v14, v18
	v_sub_f32_e32 v17, v18, v17
	s_delay_alu instid0(VALU_DEP_3) | instskip(NEXT) | instid1(VALU_DEP_2)
	v_sub_f32_e32 v11, v11, v20
	v_dual_sub_f32 v21, v19, v14 :: v_dual_sub_f32 v12, v12, v17
	s_delay_alu instid0(VALU_DEP_1) | instskip(NEXT) | instid1(VALU_DEP_2)
	v_sub_f32_e32 v22, v19, v21
	v_dual_sub_f32 v17, v18, v21 :: v_dual_add_f32 v18, v11, v12
	s_delay_alu instid0(VALU_DEP_2) | instskip(NEXT) | instid1(VALU_DEP_1)
	v_sub_f32_e32 v14, v14, v22
	v_dual_add_f32 v14, v17, v14 :: v_dual_sub_f32 v17, v18, v11
	s_delay_alu instid0(VALU_DEP_1) | instskip(NEXT) | instid1(VALU_DEP_2)
	v_add_f32_e32 v14, v18, v14
	v_sub_f32_e32 v18, v18, v17
	v_sub_f32_e32 v12, v12, v17
	s_delay_alu instid0(VALU_DEP_3) | instskip(NEXT) | instid1(VALU_DEP_3)
	v_add_f32_e32 v20, v19, v14
	v_sub_f32_e32 v11, v11, v18
	s_delay_alu instid0(VALU_DEP_2) | instskip(NEXT) | instid1(VALU_DEP_1)
	v_sub_f32_e32 v17, v20, v19
	v_dual_add_f32 v11, v12, v11 :: v_dual_sub_f32 v12, v14, v17
	s_delay_alu instid0(VALU_DEP_1) | instskip(NEXT) | instid1(VALU_DEP_1)
	v_add_f32_e32 v11, v11, v12
	v_add_f32_e32 v11, v20, v11
	s_wait_alu 0xf1ff
	s_delay_alu instid0(VALU_DEP_1) | instskip(SKIP_2) | instid1(VALU_DEP_1)
	v_cndmask_b32_e64 v11, 0x7f800000, v11, s14
	v_cmp_gt_f32_e64 s14, 0x33800000, |v13|
	s_wait_alu 0xf1ff
	v_cndmask_b32_e64 v11, v11, v13, s14
	s_delay_alu instid0(VALU_DEP_1) | instskip(NEXT) | instid1(VALU_DEP_1)
	v_add_f32_e32 v10, v10, v11
	v_cvt_f16_f32_e32 v17, v10
	s_delay_alu instid0(VALU_DEP_1)
	v_cvt_f32_f16_e32 v19, v17
	v_mov_b32_e32 v18, v17
.LBB373_26:
	s_or_b32 exec_lo, exec_lo, s15
	v_cvt_f32_f16_e32 v10, v2
	s_delay_alu instid0(VALU_DEP_3) | instskip(SKIP_1) | instid1(VALU_DEP_2)
	v_max_num_f32_e32 v11, v19, v19
	v_cmp_u_f16_e64 s14, v17, v17
	v_min_num_f32_e32 v12, v11, v10
	v_max_num_f32_e32 v11, v11, v10
	s_wait_alu 0xf1ff
	s_delay_alu instid0(VALU_DEP_2) | instskip(NEXT) | instid1(VALU_DEP_2)
	v_cndmask_b32_e64 v12, v12, v19, s14
	v_cndmask_b32_e64 v11, v11, v19, s14
	v_cmp_u_f16_e64 s14, v2, v2
	s_wait_alu 0xf1ff
	s_delay_alu instid0(VALU_DEP_1) | instskip(NEXT) | instid1(VALU_DEP_3)
	v_cndmask_b32_e64 v12, v12, v10, s14
	v_cndmask_b32_e64 v11, v11, v10, s14
	s_delay_alu instid0(VALU_DEP_2) | instskip(NEXT) | instid1(VALU_DEP_2)
	v_cmp_class_f32_e64 s16, v12, 0x1f8
	v_cmp_neq_f32_e64 s15, v12, v11
	s_or_b32 s15, s15, s16
	s_wait_alu 0xfffe
	s_and_saveexec_b32 s16, s15
	s_cbranch_execz .LBB373_28
; %bb.27:
	v_sub_f32_e32 v12, v12, v11
	s_delay_alu instid0(VALU_DEP_1) | instskip(NEXT) | instid1(VALU_DEP_1)
	v_mul_f32_e32 v13, 0x3fb8aa3b, v12
	v_fma_f32 v14, 0x3fb8aa3b, v12, -v13
	v_rndne_f32_e32 v17, v13
	s_delay_alu instid0(VALU_DEP_1) | instskip(SKIP_1) | instid1(VALU_DEP_2)
	v_dual_sub_f32 v13, v13, v17 :: v_dual_fmamk_f32 v14, v12, 0x32a5705f, v14
	v_cmp_ngt_f32_e64 s15, 0xc2ce8ed0, v12
	v_add_f32_e32 v13, v13, v14
	v_cvt_i32_f32_e32 v14, v17
	s_delay_alu instid0(VALU_DEP_2) | instskip(NEXT) | instid1(TRANS32_DEP_1)
	v_exp_f32_e32 v13, v13
	v_ldexp_f32 v13, v13, v14
	s_wait_alu 0xf1ff
	s_delay_alu instid0(VALU_DEP_1) | instskip(SKIP_2) | instid1(VALU_DEP_1)
	v_cndmask_b32_e64 v13, 0, v13, s15
	v_cmp_nlt_f32_e64 s15, 0x42b17218, v12
	s_wait_alu 0xf1ff
	v_cndmask_b32_e64 v14, 0x7f800000, v13, s15
	s_delay_alu instid0(VALU_DEP_1) | instskip(NEXT) | instid1(VALU_DEP_1)
	v_add_f32_e32 v17, 1.0, v14
	v_cvt_f64_f32_e32 v[12:13], v17
	s_delay_alu instid0(VALU_DEP_1) | instskip(SKIP_1) | instid1(VALU_DEP_1)
	v_frexp_exp_i32_f64_e32 v12, v[12:13]
	v_frexp_mant_f32_e32 v13, v17
	v_cmp_gt_f32_e64 s15, 0x3f2aaaab, v13
	v_add_f32_e32 v13, -1.0, v17
	s_delay_alu instid0(VALU_DEP_1)
	v_sub_f32_e32 v19, v13, v17
	v_sub_f32_e32 v13, v14, v13
	s_wait_alu 0xf1ff
	v_subrev_co_ci_u32_e64 v12, null, 0, v12, s15
	s_mov_b32 s15, 0x3e9b6dac
	v_sub_nc_u32_e32 v18, 0, v12
	v_cvt_f32_i32_e32 v12, v12
	s_delay_alu instid0(VALU_DEP_2) | instskip(NEXT) | instid1(VALU_DEP_1)
	v_ldexp_f32 v17, v17, v18
	v_dual_add_f32 v20, 1.0, v17 :: v_dual_add_f32 v19, 1.0, v19
	s_delay_alu instid0(VALU_DEP_1) | instskip(NEXT) | instid1(VALU_DEP_2)
	v_add_f32_e32 v13, v13, v19
	v_add_f32_e32 v19, -1.0, v20
	s_delay_alu instid0(VALU_DEP_2) | instskip(NEXT) | instid1(VALU_DEP_2)
	v_ldexp_f32 v13, v13, v18
	v_dual_add_f32 v18, -1.0, v17 :: v_dual_sub_f32 v19, v17, v19
	s_delay_alu instid0(VALU_DEP_1) | instskip(NEXT) | instid1(VALU_DEP_2)
	v_add_f32_e32 v21, 1.0, v18
	v_add_f32_e32 v19, v13, v19
	s_delay_alu instid0(VALU_DEP_2) | instskip(NEXT) | instid1(VALU_DEP_2)
	v_sub_f32_e32 v17, v17, v21
	v_add_f32_e32 v21, v20, v19
	s_delay_alu instid0(VALU_DEP_2) | instskip(NEXT) | instid1(VALU_DEP_2)
	v_add_f32_e32 v13, v13, v17
	v_rcp_f32_e32 v17, v21
	v_sub_f32_e32 v20, v20, v21
	s_delay_alu instid0(VALU_DEP_1) | instskip(NEXT) | instid1(VALU_DEP_1)
	v_dual_add_f32 v22, v18, v13 :: v_dual_add_f32 v19, v19, v20
	v_sub_f32_e32 v18, v18, v22
	s_delay_alu instid0(TRANS32_DEP_1) | instskip(NEXT) | instid1(VALU_DEP_2)
	v_mul_f32_e32 v23, v22, v17
	v_add_f32_e32 v13, v13, v18
	s_delay_alu instid0(VALU_DEP_2) | instskip(NEXT) | instid1(VALU_DEP_1)
	v_mul_f32_e32 v24, v21, v23
	v_fma_f32 v20, v23, v21, -v24
	s_delay_alu instid0(VALU_DEP_1) | instskip(NEXT) | instid1(VALU_DEP_1)
	v_fmac_f32_e32 v20, v23, v19
	v_add_f32_e32 v25, v24, v20
	s_delay_alu instid0(VALU_DEP_1) | instskip(SKIP_1) | instid1(VALU_DEP_2)
	v_sub_f32_e32 v26, v22, v25
	v_sub_f32_e32 v18, v25, v24
	;; [unrolled: 1-line block ×3, first 2 shown]
	s_delay_alu instid0(VALU_DEP_2) | instskip(NEXT) | instid1(VALU_DEP_2)
	v_sub_f32_e32 v18, v18, v20
	v_sub_f32_e32 v22, v22, v25
	s_delay_alu instid0(VALU_DEP_1) | instskip(NEXT) | instid1(VALU_DEP_1)
	v_add_f32_e32 v13, v13, v22
	v_add_f32_e32 v13, v18, v13
	s_delay_alu instid0(VALU_DEP_1) | instskip(NEXT) | instid1(VALU_DEP_1)
	v_add_f32_e32 v18, v26, v13
	v_mul_f32_e32 v20, v17, v18
	s_delay_alu instid0(VALU_DEP_1) | instskip(NEXT) | instid1(VALU_DEP_1)
	v_dual_sub_f32 v25, v26, v18 :: v_dual_mul_f32 v22, v21, v20
	v_add_f32_e32 v13, v13, v25
	s_delay_alu instid0(VALU_DEP_2) | instskip(NEXT) | instid1(VALU_DEP_1)
	v_fma_f32 v21, v20, v21, -v22
	v_fmac_f32_e32 v21, v20, v19
	s_delay_alu instid0(VALU_DEP_1) | instskip(NEXT) | instid1(VALU_DEP_1)
	v_add_f32_e32 v19, v22, v21
	v_sub_f32_e32 v24, v18, v19
	v_sub_f32_e32 v22, v19, v22
	s_delay_alu instid0(VALU_DEP_2) | instskip(NEXT) | instid1(VALU_DEP_1)
	v_sub_f32_e32 v18, v18, v24
	v_sub_f32_e32 v18, v18, v19
	s_delay_alu instid0(VALU_DEP_3) | instskip(NEXT) | instid1(VALU_DEP_2)
	v_sub_f32_e32 v19, v22, v21
	v_dual_add_f32 v13, v13, v18 :: v_dual_add_f32 v18, v23, v20
	s_delay_alu instid0(VALU_DEP_1) | instskip(NEXT) | instid1(VALU_DEP_2)
	v_add_f32_e32 v13, v19, v13
	v_sub_f32_e32 v19, v18, v23
	s_delay_alu instid0(VALU_DEP_2) | instskip(NEXT) | instid1(VALU_DEP_2)
	v_add_f32_e32 v13, v24, v13
	v_sub_f32_e32 v19, v20, v19
	s_delay_alu instid0(VALU_DEP_2) | instskip(NEXT) | instid1(VALU_DEP_1)
	v_mul_f32_e32 v13, v17, v13
	v_add_f32_e32 v13, v19, v13
	s_delay_alu instid0(VALU_DEP_1) | instskip(NEXT) | instid1(VALU_DEP_1)
	v_add_f32_e32 v17, v18, v13
	v_mul_f32_e32 v19, v17, v17
	s_wait_alu 0xfffe
	s_delay_alu instid0(VALU_DEP_1) | instskip(SKIP_2) | instid1(VALU_DEP_3)
	v_fmaak_f32 v20, s15, v19, 0x3ecc95a3
	v_mul_f32_e32 v21, v17, v19
	v_cmp_neq_f32_e64 s15, 0x7f800000, v14
	v_fmaak_f32 v19, v19, v20, 0x3f2aaada
	v_ldexp_f32 v20, v17, 1
	v_sub_f32_e32 v17, v17, v18
	s_delay_alu instid0(VALU_DEP_3) | instskip(SKIP_1) | instid1(VALU_DEP_2)
	v_mul_f32_e32 v19, v21, v19
	v_mul_f32_e32 v21, 0x3f317218, v12
	v_dual_sub_f32 v13, v13, v17 :: v_dual_add_f32 v18, v20, v19
	s_delay_alu instid0(VALU_DEP_1) | instskip(NEXT) | instid1(VALU_DEP_2)
	v_ldexp_f32 v13, v13, 1
	v_sub_f32_e32 v17, v18, v20
	s_delay_alu instid0(VALU_DEP_4) | instskip(NEXT) | instid1(VALU_DEP_1)
	v_fma_f32 v20, 0x3f317218, v12, -v21
	v_dual_sub_f32 v17, v19, v17 :: v_dual_fmamk_f32 v12, v12, 0xb102e308, v20
	s_delay_alu instid0(VALU_DEP_1) | instskip(NEXT) | instid1(VALU_DEP_2)
	v_add_f32_e32 v13, v13, v17
	v_add_f32_e32 v17, v21, v12
	s_delay_alu instid0(VALU_DEP_2) | instskip(NEXT) | instid1(VALU_DEP_2)
	v_add_f32_e32 v19, v18, v13
	v_sub_f32_e32 v21, v17, v21
	s_delay_alu instid0(VALU_DEP_2) | instskip(SKIP_1) | instid1(VALU_DEP_3)
	v_add_f32_e32 v20, v17, v19
	v_sub_f32_e32 v18, v19, v18
	v_sub_f32_e32 v12, v12, v21
	s_delay_alu instid0(VALU_DEP_2) | instskip(NEXT) | instid1(VALU_DEP_1)
	v_dual_sub_f32 v22, v20, v17 :: v_dual_sub_f32 v13, v13, v18
	v_sub_f32_e32 v23, v20, v22
	s_delay_alu instid0(VALU_DEP_2) | instskip(NEXT) | instid1(VALU_DEP_2)
	v_dual_sub_f32 v18, v19, v22 :: v_dual_add_f32 v19, v12, v13
	v_sub_f32_e32 v17, v17, v23
	s_delay_alu instid0(VALU_DEP_1) | instskip(NEXT) | instid1(VALU_DEP_1)
	v_dual_add_f32 v17, v18, v17 :: v_dual_sub_f32 v18, v19, v12
	v_add_f32_e32 v17, v19, v17
	s_delay_alu instid0(VALU_DEP_2) | instskip(SKIP_1) | instid1(VALU_DEP_3)
	v_sub_f32_e32 v19, v19, v18
	v_sub_f32_e32 v13, v13, v18
	v_add_f32_e32 v21, v20, v17
	s_delay_alu instid0(VALU_DEP_3) | instskip(NEXT) | instid1(VALU_DEP_2)
	v_sub_f32_e32 v12, v12, v19
	v_sub_f32_e32 v18, v21, v20
	s_delay_alu instid0(VALU_DEP_2) | instskip(NEXT) | instid1(VALU_DEP_2)
	v_add_f32_e32 v12, v13, v12
	v_sub_f32_e32 v13, v17, v18
	s_delay_alu instid0(VALU_DEP_1) | instskip(NEXT) | instid1(VALU_DEP_1)
	v_add_f32_e32 v12, v12, v13
	v_add_f32_e32 v12, v21, v12
	s_wait_alu 0xf1ff
	s_delay_alu instid0(VALU_DEP_1) | instskip(SKIP_2) | instid1(VALU_DEP_1)
	v_cndmask_b32_e64 v12, 0x7f800000, v12, s15
	v_cmp_gt_f32_e64 s15, 0x33800000, |v14|
	s_wait_alu 0xf1ff
	v_cndmask_b32_e64 v12, v12, v14, s15
	s_delay_alu instid0(VALU_DEP_1) | instskip(NEXT) | instid1(VALU_DEP_1)
	v_add_f32_e32 v11, v11, v12
	v_cvt_f16_f32_e32 v17, v11
	s_delay_alu instid0(VALU_DEP_1)
	v_cvt_f32_f16_e32 v19, v17
	v_mov_b32_e32 v18, v17
.LBB373_28:
	s_or_b32 exec_lo, exec_lo, s16
	v_lshrrev_b32_e32 v2, 16, v2
	s_delay_alu instid0(VALU_DEP_3) | instskip(SKIP_1) | instid1(VALU_DEP_3)
	v_max_num_f32_e32 v12, v19, v19
	v_cmp_u_f16_e64 s15, v17, v17
	v_cvt_f32_f16_e32 v11, v2
	s_delay_alu instid0(VALU_DEP_1) | instskip(SKIP_2) | instid1(VALU_DEP_2)
	v_min_num_f32_e32 v13, v12, v11
	v_max_num_f32_e32 v12, v12, v11
	s_wait_alu 0xf1ff
	v_cndmask_b32_e64 v13, v13, v19, s15
	s_delay_alu instid0(VALU_DEP_2) | instskip(SKIP_2) | instid1(VALU_DEP_1)
	v_cndmask_b32_e64 v14, v12, v19, s15
	v_cmp_u_f16_e64 s15, v2, v2
	s_wait_alu 0xf1ff
	v_cndmask_b32_e64 v12, v13, v11, s15
	s_delay_alu instid0(VALU_DEP_3) | instskip(NEXT) | instid1(VALU_DEP_2)
	v_cndmask_b32_e64 v2, v14, v11, s15
	v_cmp_class_f32_e64 s17, v12, 0x1f8
	s_delay_alu instid0(VALU_DEP_2) | instskip(SKIP_1) | instid1(SALU_CYCLE_1)
	v_cmp_neq_f32_e64 s16, v12, v2
	s_or_b32 s16, s16, s17
	s_and_saveexec_b32 s17, s16
	s_cbranch_execz .LBB373_30
; %bb.29:
	v_sub_f32_e32 v12, v12, v2
	s_delay_alu instid0(VALU_DEP_1) | instskip(NEXT) | instid1(VALU_DEP_1)
	v_mul_f32_e32 v13, 0x3fb8aa3b, v12
	v_fma_f32 v14, 0x3fb8aa3b, v12, -v13
	v_rndne_f32_e32 v17, v13
	s_delay_alu instid0(VALU_DEP_1) | instskip(SKIP_1) | instid1(VALU_DEP_2)
	v_dual_sub_f32 v13, v13, v17 :: v_dual_fmamk_f32 v14, v12, 0x32a5705f, v14
	v_cmp_ngt_f32_e64 s16, 0xc2ce8ed0, v12
	v_add_f32_e32 v13, v13, v14
	v_cvt_i32_f32_e32 v14, v17
	s_delay_alu instid0(VALU_DEP_2) | instskip(NEXT) | instid1(TRANS32_DEP_1)
	v_exp_f32_e32 v13, v13
	v_ldexp_f32 v13, v13, v14
	s_delay_alu instid0(VALU_DEP_1) | instskip(SKIP_2) | instid1(VALU_DEP_1)
	v_cndmask_b32_e64 v13, 0, v13, s16
	v_cmp_nlt_f32_e64 s16, 0x42b17218, v12
	s_wait_alu 0xf1ff
	v_cndmask_b32_e64 v14, 0x7f800000, v13, s16
	s_delay_alu instid0(VALU_DEP_1) | instskip(NEXT) | instid1(VALU_DEP_1)
	v_add_f32_e32 v17, 1.0, v14
	v_cvt_f64_f32_e32 v[12:13], v17
	s_delay_alu instid0(VALU_DEP_1) | instskip(SKIP_1) | instid1(VALU_DEP_1)
	v_frexp_exp_i32_f64_e32 v12, v[12:13]
	v_frexp_mant_f32_e32 v13, v17
	v_cmp_gt_f32_e64 s16, 0x3f2aaaab, v13
	v_add_f32_e32 v13, -1.0, v17
	s_delay_alu instid0(VALU_DEP_1)
	v_sub_f32_e32 v19, v13, v17
	v_sub_f32_e32 v13, v14, v13
	s_wait_alu 0xf1ff
	v_subrev_co_ci_u32_e64 v12, null, 0, v12, s16
	s_mov_b32 s16, 0x3e9b6dac
	v_sub_nc_u32_e32 v18, 0, v12
	v_cvt_f32_i32_e32 v12, v12
	s_delay_alu instid0(VALU_DEP_2) | instskip(NEXT) | instid1(VALU_DEP_1)
	v_ldexp_f32 v17, v17, v18
	v_dual_add_f32 v20, 1.0, v17 :: v_dual_add_f32 v19, 1.0, v19
	s_delay_alu instid0(VALU_DEP_1) | instskip(NEXT) | instid1(VALU_DEP_2)
	v_add_f32_e32 v13, v13, v19
	v_add_f32_e32 v19, -1.0, v20
	s_delay_alu instid0(VALU_DEP_2) | instskip(NEXT) | instid1(VALU_DEP_2)
	v_ldexp_f32 v13, v13, v18
	v_dual_add_f32 v18, -1.0, v17 :: v_dual_sub_f32 v19, v17, v19
	s_delay_alu instid0(VALU_DEP_1) | instskip(NEXT) | instid1(VALU_DEP_2)
	v_add_f32_e32 v21, 1.0, v18
	v_add_f32_e32 v19, v13, v19
	s_delay_alu instid0(VALU_DEP_2) | instskip(NEXT) | instid1(VALU_DEP_2)
	v_sub_f32_e32 v17, v17, v21
	v_add_f32_e32 v21, v20, v19
	s_delay_alu instid0(VALU_DEP_2) | instskip(NEXT) | instid1(VALU_DEP_2)
	v_add_f32_e32 v13, v13, v17
	v_rcp_f32_e32 v17, v21
	v_sub_f32_e32 v20, v20, v21
	s_delay_alu instid0(VALU_DEP_1) | instskip(NEXT) | instid1(VALU_DEP_1)
	v_dual_add_f32 v22, v18, v13 :: v_dual_add_f32 v19, v19, v20
	v_sub_f32_e32 v18, v18, v22
	s_delay_alu instid0(TRANS32_DEP_1) | instskip(NEXT) | instid1(VALU_DEP_2)
	v_mul_f32_e32 v23, v22, v17
	v_add_f32_e32 v13, v13, v18
	s_delay_alu instid0(VALU_DEP_2) | instskip(NEXT) | instid1(VALU_DEP_1)
	v_mul_f32_e32 v24, v21, v23
	v_fma_f32 v20, v23, v21, -v24
	s_delay_alu instid0(VALU_DEP_1) | instskip(NEXT) | instid1(VALU_DEP_1)
	v_fmac_f32_e32 v20, v23, v19
	v_add_f32_e32 v25, v24, v20
	s_delay_alu instid0(VALU_DEP_1) | instskip(SKIP_1) | instid1(VALU_DEP_2)
	v_sub_f32_e32 v26, v22, v25
	v_sub_f32_e32 v18, v25, v24
	;; [unrolled: 1-line block ×3, first 2 shown]
	s_delay_alu instid0(VALU_DEP_2) | instskip(NEXT) | instid1(VALU_DEP_2)
	v_sub_f32_e32 v18, v18, v20
	v_sub_f32_e32 v22, v22, v25
	s_delay_alu instid0(VALU_DEP_1) | instskip(NEXT) | instid1(VALU_DEP_1)
	v_add_f32_e32 v13, v13, v22
	v_add_f32_e32 v13, v18, v13
	s_delay_alu instid0(VALU_DEP_1) | instskip(NEXT) | instid1(VALU_DEP_1)
	v_add_f32_e32 v18, v26, v13
	v_mul_f32_e32 v20, v17, v18
	s_delay_alu instid0(VALU_DEP_1) | instskip(NEXT) | instid1(VALU_DEP_1)
	v_dual_sub_f32 v25, v26, v18 :: v_dual_mul_f32 v22, v21, v20
	v_add_f32_e32 v13, v13, v25
	s_delay_alu instid0(VALU_DEP_2) | instskip(NEXT) | instid1(VALU_DEP_1)
	v_fma_f32 v21, v20, v21, -v22
	v_fmac_f32_e32 v21, v20, v19
	s_delay_alu instid0(VALU_DEP_1) | instskip(NEXT) | instid1(VALU_DEP_1)
	v_add_f32_e32 v19, v22, v21
	v_sub_f32_e32 v24, v18, v19
	v_sub_f32_e32 v22, v19, v22
	s_delay_alu instid0(VALU_DEP_2) | instskip(NEXT) | instid1(VALU_DEP_1)
	v_sub_f32_e32 v18, v18, v24
	v_sub_f32_e32 v18, v18, v19
	s_delay_alu instid0(VALU_DEP_3) | instskip(NEXT) | instid1(VALU_DEP_2)
	v_sub_f32_e32 v19, v22, v21
	v_dual_add_f32 v13, v13, v18 :: v_dual_add_f32 v18, v23, v20
	s_delay_alu instid0(VALU_DEP_1) | instskip(NEXT) | instid1(VALU_DEP_2)
	v_add_f32_e32 v13, v19, v13
	v_sub_f32_e32 v19, v18, v23
	s_delay_alu instid0(VALU_DEP_2) | instskip(NEXT) | instid1(VALU_DEP_2)
	v_add_f32_e32 v13, v24, v13
	v_sub_f32_e32 v19, v20, v19
	s_delay_alu instid0(VALU_DEP_2) | instskip(NEXT) | instid1(VALU_DEP_1)
	v_mul_f32_e32 v13, v17, v13
	v_add_f32_e32 v13, v19, v13
	s_delay_alu instid0(VALU_DEP_1) | instskip(NEXT) | instid1(VALU_DEP_1)
	v_add_f32_e32 v17, v18, v13
	v_mul_f32_e32 v19, v17, v17
	s_wait_alu 0xfffe
	s_delay_alu instid0(VALU_DEP_1) | instskip(SKIP_2) | instid1(VALU_DEP_3)
	v_fmaak_f32 v20, s16, v19, 0x3ecc95a3
	v_mul_f32_e32 v21, v17, v19
	v_cmp_neq_f32_e64 s16, 0x7f800000, v14
	v_fmaak_f32 v19, v19, v20, 0x3f2aaada
	v_ldexp_f32 v20, v17, 1
	v_sub_f32_e32 v17, v17, v18
	s_delay_alu instid0(VALU_DEP_3) | instskip(SKIP_1) | instid1(VALU_DEP_2)
	v_mul_f32_e32 v19, v21, v19
	v_mul_f32_e32 v21, 0x3f317218, v12
	v_dual_sub_f32 v13, v13, v17 :: v_dual_add_f32 v18, v20, v19
	s_delay_alu instid0(VALU_DEP_1) | instskip(NEXT) | instid1(VALU_DEP_2)
	v_ldexp_f32 v13, v13, 1
	v_sub_f32_e32 v17, v18, v20
	s_delay_alu instid0(VALU_DEP_4) | instskip(NEXT) | instid1(VALU_DEP_1)
	v_fma_f32 v20, 0x3f317218, v12, -v21
	v_dual_sub_f32 v17, v19, v17 :: v_dual_fmamk_f32 v12, v12, 0xb102e308, v20
	s_delay_alu instid0(VALU_DEP_1) | instskip(NEXT) | instid1(VALU_DEP_2)
	v_add_f32_e32 v13, v13, v17
	v_add_f32_e32 v17, v21, v12
	s_delay_alu instid0(VALU_DEP_2) | instskip(NEXT) | instid1(VALU_DEP_2)
	v_add_f32_e32 v19, v18, v13
	v_sub_f32_e32 v21, v17, v21
	s_delay_alu instid0(VALU_DEP_2) | instskip(SKIP_1) | instid1(VALU_DEP_3)
	v_add_f32_e32 v20, v17, v19
	v_sub_f32_e32 v18, v19, v18
	v_sub_f32_e32 v12, v12, v21
	s_delay_alu instid0(VALU_DEP_2) | instskip(NEXT) | instid1(VALU_DEP_1)
	v_dual_sub_f32 v22, v20, v17 :: v_dual_sub_f32 v13, v13, v18
	v_sub_f32_e32 v23, v20, v22
	s_delay_alu instid0(VALU_DEP_2) | instskip(NEXT) | instid1(VALU_DEP_2)
	v_dual_sub_f32 v18, v19, v22 :: v_dual_add_f32 v19, v12, v13
	v_sub_f32_e32 v17, v17, v23
	s_delay_alu instid0(VALU_DEP_1) | instskip(NEXT) | instid1(VALU_DEP_1)
	v_dual_add_f32 v17, v18, v17 :: v_dual_sub_f32 v18, v19, v12
	v_add_f32_e32 v17, v19, v17
	s_delay_alu instid0(VALU_DEP_2) | instskip(SKIP_1) | instid1(VALU_DEP_3)
	v_sub_f32_e32 v19, v19, v18
	v_sub_f32_e32 v13, v13, v18
	v_add_f32_e32 v21, v20, v17
	s_delay_alu instid0(VALU_DEP_3) | instskip(NEXT) | instid1(VALU_DEP_2)
	v_sub_f32_e32 v12, v12, v19
	v_sub_f32_e32 v18, v21, v20
	s_delay_alu instid0(VALU_DEP_2) | instskip(NEXT) | instid1(VALU_DEP_2)
	v_add_f32_e32 v12, v13, v12
	v_sub_f32_e32 v13, v17, v18
	s_delay_alu instid0(VALU_DEP_1) | instskip(NEXT) | instid1(VALU_DEP_1)
	v_add_f32_e32 v12, v12, v13
	v_add_f32_e32 v12, v21, v12
	s_wait_alu 0xf1ff
	s_delay_alu instid0(VALU_DEP_1) | instskip(SKIP_2) | instid1(VALU_DEP_1)
	v_cndmask_b32_e64 v12, 0x7f800000, v12, s16
	v_cmp_gt_f32_e64 s16, 0x33800000, |v14|
	s_wait_alu 0xf1ff
	v_cndmask_b32_e64 v12, v12, v14, s16
	s_delay_alu instid0(VALU_DEP_1) | instskip(NEXT) | instid1(VALU_DEP_1)
	v_add_f32_e32 v2, v2, v12
	v_cvt_f16_f32_e32 v17, v2
	s_delay_alu instid0(VALU_DEP_1)
	v_cvt_f32_f16_e32 v19, v17
	v_mov_b32_e32 v18, v17
.LBB373_30:
	s_or_b32 exec_lo, exec_lo, s17
	v_cvt_f32_f16_e32 v2, v3
	s_delay_alu instid0(VALU_DEP_3) | instskip(SKIP_1) | instid1(VALU_DEP_2)
	v_max_num_f32_e32 v12, v19, v19
	v_cmp_u_f16_e64 s16, v17, v17
	v_min_num_f32_e32 v13, v12, v2
	v_max_num_f32_e32 v12, v12, v2
	s_wait_alu 0xf1ff
	s_delay_alu instid0(VALU_DEP_2) | instskip(NEXT) | instid1(VALU_DEP_2)
	v_cndmask_b32_e64 v13, v13, v19, s16
	v_cndmask_b32_e64 v12, v12, v19, s16
	v_cmp_u_f16_e64 s16, v3, v3
	s_wait_alu 0xf1ff
	s_delay_alu instid0(VALU_DEP_1) | instskip(NEXT) | instid1(VALU_DEP_3)
	v_cndmask_b32_e64 v13, v13, v2, s16
	v_cndmask_b32_e64 v12, v12, v2, s16
	s_delay_alu instid0(VALU_DEP_2) | instskip(NEXT) | instid1(VALU_DEP_2)
	v_cmp_class_f32_e64 s18, v13, 0x1f8
	v_cmp_neq_f32_e64 s17, v13, v12
	s_or_b32 s17, s17, s18
	s_wait_alu 0xfffe
	s_and_saveexec_b32 s18, s17
	s_cbranch_execz .LBB373_32
; %bb.31:
	v_sub_f32_e32 v13, v13, v12
	s_delay_alu instid0(VALU_DEP_1) | instskip(NEXT) | instid1(VALU_DEP_1)
	v_mul_f32_e32 v14, 0x3fb8aa3b, v13
	v_fma_f32 v17, 0x3fb8aa3b, v13, -v14
	v_rndne_f32_e32 v18, v14
	s_delay_alu instid0(VALU_DEP_1) | instskip(SKIP_1) | instid1(VALU_DEP_2)
	v_dual_sub_f32 v14, v14, v18 :: v_dual_fmamk_f32 v17, v13, 0x32a5705f, v17
	v_cmp_ngt_f32_e64 s17, 0xc2ce8ed0, v13
	v_add_f32_e32 v14, v14, v17
	v_cvt_i32_f32_e32 v17, v18
	s_delay_alu instid0(VALU_DEP_2) | instskip(NEXT) | instid1(TRANS32_DEP_1)
	v_exp_f32_e32 v14, v14
	v_ldexp_f32 v14, v14, v17
	s_wait_alu 0xf1ff
	s_delay_alu instid0(VALU_DEP_1) | instskip(SKIP_2) | instid1(VALU_DEP_1)
	v_cndmask_b32_e64 v14, 0, v14, s17
	v_cmp_nlt_f32_e64 s17, 0x42b17218, v13
	s_wait_alu 0xf1ff
	v_cndmask_b32_e64 v17, 0x7f800000, v14, s17
	s_delay_alu instid0(VALU_DEP_1) | instskip(NEXT) | instid1(VALU_DEP_1)
	v_add_f32_e32 v18, 1.0, v17
	v_cvt_f64_f32_e32 v[13:14], v18
	s_delay_alu instid0(VALU_DEP_1) | instskip(SKIP_1) | instid1(VALU_DEP_1)
	v_frexp_exp_i32_f64_e32 v13, v[13:14]
	v_frexp_mant_f32_e32 v14, v18
	v_cmp_gt_f32_e64 s17, 0x3f2aaaab, v14
	v_add_f32_e32 v14, -1.0, v18
	s_delay_alu instid0(VALU_DEP_1)
	v_sub_f32_e32 v20, v14, v18
	v_sub_f32_e32 v14, v17, v14
	s_wait_alu 0xf1ff
	v_subrev_co_ci_u32_e64 v13, null, 0, v13, s17
	s_mov_b32 s17, 0x3e9b6dac
	v_sub_nc_u32_e32 v19, 0, v13
	v_cvt_f32_i32_e32 v13, v13
	s_delay_alu instid0(VALU_DEP_2) | instskip(NEXT) | instid1(VALU_DEP_1)
	v_ldexp_f32 v18, v18, v19
	v_dual_add_f32 v21, 1.0, v18 :: v_dual_add_f32 v20, 1.0, v20
	s_delay_alu instid0(VALU_DEP_1) | instskip(NEXT) | instid1(VALU_DEP_2)
	v_add_f32_e32 v14, v14, v20
	v_add_f32_e32 v20, -1.0, v21
	s_delay_alu instid0(VALU_DEP_2) | instskip(NEXT) | instid1(VALU_DEP_2)
	v_ldexp_f32 v14, v14, v19
	v_dual_add_f32 v19, -1.0, v18 :: v_dual_sub_f32 v20, v18, v20
	s_delay_alu instid0(VALU_DEP_1) | instskip(NEXT) | instid1(VALU_DEP_2)
	v_add_f32_e32 v22, 1.0, v19
	v_add_f32_e32 v20, v14, v20
	s_delay_alu instid0(VALU_DEP_2) | instskip(NEXT) | instid1(VALU_DEP_2)
	v_sub_f32_e32 v18, v18, v22
	v_add_f32_e32 v22, v21, v20
	s_delay_alu instid0(VALU_DEP_2) | instskip(NEXT) | instid1(VALU_DEP_2)
	v_add_f32_e32 v14, v14, v18
	v_rcp_f32_e32 v18, v22
	v_sub_f32_e32 v21, v21, v22
	s_delay_alu instid0(VALU_DEP_1) | instskip(NEXT) | instid1(VALU_DEP_1)
	v_dual_add_f32 v23, v19, v14 :: v_dual_add_f32 v20, v20, v21
	v_sub_f32_e32 v19, v19, v23
	s_delay_alu instid0(TRANS32_DEP_1) | instskip(NEXT) | instid1(VALU_DEP_2)
	v_mul_f32_e32 v24, v23, v18
	v_add_f32_e32 v14, v14, v19
	s_delay_alu instid0(VALU_DEP_2) | instskip(NEXT) | instid1(VALU_DEP_1)
	v_mul_f32_e32 v25, v22, v24
	v_fma_f32 v21, v24, v22, -v25
	s_delay_alu instid0(VALU_DEP_1) | instskip(NEXT) | instid1(VALU_DEP_1)
	v_fmac_f32_e32 v21, v24, v20
	v_add_f32_e32 v26, v25, v21
	s_delay_alu instid0(VALU_DEP_1) | instskip(SKIP_1) | instid1(VALU_DEP_2)
	v_sub_f32_e32 v27, v23, v26
	v_sub_f32_e32 v19, v26, v25
	;; [unrolled: 1-line block ×3, first 2 shown]
	s_delay_alu instid0(VALU_DEP_2) | instskip(NEXT) | instid1(VALU_DEP_2)
	v_sub_f32_e32 v19, v19, v21
	v_sub_f32_e32 v23, v23, v26
	s_delay_alu instid0(VALU_DEP_1) | instskip(NEXT) | instid1(VALU_DEP_1)
	v_add_f32_e32 v14, v14, v23
	v_add_f32_e32 v14, v19, v14
	s_delay_alu instid0(VALU_DEP_1) | instskip(NEXT) | instid1(VALU_DEP_1)
	v_add_f32_e32 v19, v27, v14
	v_mul_f32_e32 v21, v18, v19
	s_delay_alu instid0(VALU_DEP_1) | instskip(NEXT) | instid1(VALU_DEP_1)
	v_dual_sub_f32 v26, v27, v19 :: v_dual_mul_f32 v23, v22, v21
	v_add_f32_e32 v14, v14, v26
	s_delay_alu instid0(VALU_DEP_2) | instskip(NEXT) | instid1(VALU_DEP_1)
	v_fma_f32 v22, v21, v22, -v23
	v_fmac_f32_e32 v22, v21, v20
	s_delay_alu instid0(VALU_DEP_1) | instskip(NEXT) | instid1(VALU_DEP_1)
	v_add_f32_e32 v20, v23, v22
	v_sub_f32_e32 v25, v19, v20
	v_sub_f32_e32 v23, v20, v23
	s_delay_alu instid0(VALU_DEP_2) | instskip(NEXT) | instid1(VALU_DEP_1)
	v_sub_f32_e32 v19, v19, v25
	v_sub_f32_e32 v19, v19, v20
	s_delay_alu instid0(VALU_DEP_3) | instskip(NEXT) | instid1(VALU_DEP_2)
	v_sub_f32_e32 v20, v23, v22
	v_dual_add_f32 v14, v14, v19 :: v_dual_add_f32 v19, v24, v21
	s_delay_alu instid0(VALU_DEP_1) | instskip(NEXT) | instid1(VALU_DEP_2)
	v_add_f32_e32 v14, v20, v14
	v_sub_f32_e32 v20, v19, v24
	s_delay_alu instid0(VALU_DEP_2) | instskip(NEXT) | instid1(VALU_DEP_2)
	v_add_f32_e32 v14, v25, v14
	v_sub_f32_e32 v20, v21, v20
	s_delay_alu instid0(VALU_DEP_2) | instskip(NEXT) | instid1(VALU_DEP_1)
	v_mul_f32_e32 v14, v18, v14
	v_add_f32_e32 v14, v20, v14
	s_delay_alu instid0(VALU_DEP_1) | instskip(NEXT) | instid1(VALU_DEP_1)
	v_add_f32_e32 v18, v19, v14
	v_mul_f32_e32 v20, v18, v18
	s_wait_alu 0xfffe
	s_delay_alu instid0(VALU_DEP_1) | instskip(SKIP_2) | instid1(VALU_DEP_3)
	v_fmaak_f32 v21, s17, v20, 0x3ecc95a3
	v_mul_f32_e32 v22, v18, v20
	v_cmp_neq_f32_e64 s17, 0x7f800000, v17
	v_fmaak_f32 v20, v20, v21, 0x3f2aaada
	v_ldexp_f32 v21, v18, 1
	v_sub_f32_e32 v18, v18, v19
	s_delay_alu instid0(VALU_DEP_3) | instskip(SKIP_1) | instid1(VALU_DEP_2)
	v_mul_f32_e32 v20, v22, v20
	v_mul_f32_e32 v22, 0x3f317218, v13
	v_dual_sub_f32 v14, v14, v18 :: v_dual_add_f32 v19, v21, v20
	s_delay_alu instid0(VALU_DEP_1) | instskip(NEXT) | instid1(VALU_DEP_2)
	v_ldexp_f32 v14, v14, 1
	v_sub_f32_e32 v18, v19, v21
	s_delay_alu instid0(VALU_DEP_4) | instskip(NEXT) | instid1(VALU_DEP_1)
	v_fma_f32 v21, 0x3f317218, v13, -v22
	v_dual_sub_f32 v18, v20, v18 :: v_dual_fmamk_f32 v13, v13, 0xb102e308, v21
	s_delay_alu instid0(VALU_DEP_1) | instskip(NEXT) | instid1(VALU_DEP_2)
	v_add_f32_e32 v14, v14, v18
	v_add_f32_e32 v18, v22, v13
	s_delay_alu instid0(VALU_DEP_2) | instskip(NEXT) | instid1(VALU_DEP_2)
	v_add_f32_e32 v20, v19, v14
	v_sub_f32_e32 v22, v18, v22
	s_delay_alu instid0(VALU_DEP_2) | instskip(SKIP_1) | instid1(VALU_DEP_3)
	v_add_f32_e32 v21, v18, v20
	v_sub_f32_e32 v19, v20, v19
	v_sub_f32_e32 v13, v13, v22
	s_delay_alu instid0(VALU_DEP_2) | instskip(NEXT) | instid1(VALU_DEP_1)
	v_dual_sub_f32 v23, v21, v18 :: v_dual_sub_f32 v14, v14, v19
	v_sub_f32_e32 v24, v21, v23
	s_delay_alu instid0(VALU_DEP_2) | instskip(NEXT) | instid1(VALU_DEP_2)
	v_dual_sub_f32 v19, v20, v23 :: v_dual_add_f32 v20, v13, v14
	v_sub_f32_e32 v18, v18, v24
	s_delay_alu instid0(VALU_DEP_1) | instskip(NEXT) | instid1(VALU_DEP_1)
	v_dual_add_f32 v18, v19, v18 :: v_dual_sub_f32 v19, v20, v13
	v_add_f32_e32 v18, v20, v18
	s_delay_alu instid0(VALU_DEP_2) | instskip(SKIP_1) | instid1(VALU_DEP_3)
	v_sub_f32_e32 v20, v20, v19
	v_sub_f32_e32 v14, v14, v19
	v_add_f32_e32 v22, v21, v18
	s_delay_alu instid0(VALU_DEP_3) | instskip(NEXT) | instid1(VALU_DEP_2)
	v_sub_f32_e32 v13, v13, v20
	v_sub_f32_e32 v19, v22, v21
	s_delay_alu instid0(VALU_DEP_2) | instskip(NEXT) | instid1(VALU_DEP_2)
	v_add_f32_e32 v13, v14, v13
	v_sub_f32_e32 v14, v18, v19
	s_delay_alu instid0(VALU_DEP_1) | instskip(NEXT) | instid1(VALU_DEP_1)
	v_add_f32_e32 v13, v13, v14
	v_add_f32_e32 v13, v22, v13
	s_wait_alu 0xf1ff
	s_delay_alu instid0(VALU_DEP_1) | instskip(SKIP_2) | instid1(VALU_DEP_1)
	v_cndmask_b32_e64 v13, 0x7f800000, v13, s17
	v_cmp_gt_f32_e64 s17, 0x33800000, |v17|
	s_wait_alu 0xf1ff
	v_cndmask_b32_e64 v13, v13, v17, s17
	s_delay_alu instid0(VALU_DEP_1) | instskip(NEXT) | instid1(VALU_DEP_1)
	v_add_f32_e32 v12, v12, v13
	v_cvt_f16_f32_e32 v17, v12
	s_delay_alu instid0(VALU_DEP_1)
	v_cvt_f32_f16_e32 v19, v17
	v_mov_b32_e32 v18, v17
.LBB373_32:
	s_wait_alu 0xfffe
	s_or_b32 exec_lo, exec_lo, s18
	v_lshrrev_b32_e32 v3, 16, v3
	v_max_num_f32_e32 v13, v19, v19
	v_cmp_u_f16_e64 s17, v17, v17
	s_delay_alu instid0(VALU_DEP_3) | instskip(NEXT) | instid1(VALU_DEP_1)
	v_cvt_f32_f16_e32 v12, v3
	v_min_num_f32_e32 v14, v13, v12
	v_max_num_f32_e32 v13, v13, v12
	s_wait_alu 0xf1ff
	s_delay_alu instid0(VALU_DEP_2) | instskip(NEXT) | instid1(VALU_DEP_2)
	v_cndmask_b32_e64 v14, v14, v19, s17
	v_cndmask_b32_e64 v20, v13, v19, s17
	v_cmp_u_f16_e64 s17, v3, v3
	s_wait_alu 0xf1ff
	s_delay_alu instid0(VALU_DEP_1) | instskip(NEXT) | instid1(VALU_DEP_3)
	v_cndmask_b32_e64 v13, v14, v12, s17
	v_cndmask_b32_e64 v3, v20, v12, s17
	s_delay_alu instid0(VALU_DEP_2) | instskip(NEXT) | instid1(VALU_DEP_2)
	v_cmp_class_f32_e64 s19, v13, 0x1f8
	v_cmp_neq_f32_e64 s18, v13, v3
	s_or_b32 s18, s18, s19
	s_wait_alu 0xfffe
	s_and_saveexec_b32 s19, s18
	s_cbranch_execz .LBB373_34
; %bb.33:
	v_sub_f32_e32 v13, v13, v3
	s_delay_alu instid0(VALU_DEP_1) | instskip(NEXT) | instid1(VALU_DEP_1)
	v_mul_f32_e32 v14, 0x3fb8aa3b, v13
	v_fma_f32 v17, 0x3fb8aa3b, v13, -v14
	v_rndne_f32_e32 v18, v14
	s_delay_alu instid0(VALU_DEP_1) | instskip(SKIP_1) | instid1(VALU_DEP_2)
	v_dual_sub_f32 v14, v14, v18 :: v_dual_fmamk_f32 v17, v13, 0x32a5705f, v17
	v_cmp_ngt_f32_e64 s18, 0xc2ce8ed0, v13
	v_add_f32_e32 v14, v14, v17
	v_cvt_i32_f32_e32 v17, v18
	s_delay_alu instid0(VALU_DEP_2) | instskip(NEXT) | instid1(TRANS32_DEP_1)
	v_exp_f32_e32 v14, v14
	v_ldexp_f32 v14, v14, v17
	s_wait_alu 0xf1ff
	s_delay_alu instid0(VALU_DEP_1) | instskip(SKIP_2) | instid1(VALU_DEP_1)
	v_cndmask_b32_e64 v14, 0, v14, s18
	v_cmp_nlt_f32_e64 s18, 0x42b17218, v13
	s_wait_alu 0xf1ff
	v_cndmask_b32_e64 v17, 0x7f800000, v14, s18
	s_delay_alu instid0(VALU_DEP_1) | instskip(NEXT) | instid1(VALU_DEP_1)
	v_add_f32_e32 v18, 1.0, v17
	v_cvt_f64_f32_e32 v[13:14], v18
	s_delay_alu instid0(VALU_DEP_1) | instskip(SKIP_1) | instid1(VALU_DEP_1)
	v_frexp_exp_i32_f64_e32 v13, v[13:14]
	v_frexp_mant_f32_e32 v14, v18
	v_cmp_gt_f32_e64 s18, 0x3f2aaaab, v14
	v_add_f32_e32 v14, -1.0, v18
	s_delay_alu instid0(VALU_DEP_1)
	v_sub_f32_e32 v20, v14, v18
	v_sub_f32_e32 v14, v17, v14
	s_wait_alu 0xf1ff
	v_subrev_co_ci_u32_e64 v13, null, 0, v13, s18
	s_mov_b32 s18, 0x3e9b6dac
	v_sub_nc_u32_e32 v19, 0, v13
	v_cvt_f32_i32_e32 v13, v13
	s_delay_alu instid0(VALU_DEP_2) | instskip(NEXT) | instid1(VALU_DEP_1)
	v_ldexp_f32 v18, v18, v19
	v_dual_add_f32 v21, 1.0, v18 :: v_dual_add_f32 v20, 1.0, v20
	s_delay_alu instid0(VALU_DEP_1) | instskip(NEXT) | instid1(VALU_DEP_2)
	v_add_f32_e32 v14, v14, v20
	v_add_f32_e32 v20, -1.0, v21
	s_delay_alu instid0(VALU_DEP_2) | instskip(NEXT) | instid1(VALU_DEP_2)
	v_ldexp_f32 v14, v14, v19
	v_dual_add_f32 v19, -1.0, v18 :: v_dual_sub_f32 v20, v18, v20
	s_delay_alu instid0(VALU_DEP_1) | instskip(NEXT) | instid1(VALU_DEP_2)
	v_add_f32_e32 v22, 1.0, v19
	v_add_f32_e32 v20, v14, v20
	s_delay_alu instid0(VALU_DEP_2) | instskip(NEXT) | instid1(VALU_DEP_2)
	v_sub_f32_e32 v18, v18, v22
	v_add_f32_e32 v22, v21, v20
	s_delay_alu instid0(VALU_DEP_2) | instskip(NEXT) | instid1(VALU_DEP_2)
	v_add_f32_e32 v14, v14, v18
	v_rcp_f32_e32 v18, v22
	v_sub_f32_e32 v21, v21, v22
	s_delay_alu instid0(VALU_DEP_1) | instskip(NEXT) | instid1(VALU_DEP_1)
	v_dual_add_f32 v23, v19, v14 :: v_dual_add_f32 v20, v20, v21
	v_sub_f32_e32 v19, v19, v23
	s_delay_alu instid0(TRANS32_DEP_1) | instskip(NEXT) | instid1(VALU_DEP_2)
	v_mul_f32_e32 v24, v23, v18
	v_add_f32_e32 v14, v14, v19
	s_delay_alu instid0(VALU_DEP_2) | instskip(NEXT) | instid1(VALU_DEP_1)
	v_mul_f32_e32 v25, v22, v24
	v_fma_f32 v21, v24, v22, -v25
	s_delay_alu instid0(VALU_DEP_1) | instskip(NEXT) | instid1(VALU_DEP_1)
	v_fmac_f32_e32 v21, v24, v20
	v_add_f32_e32 v26, v25, v21
	s_delay_alu instid0(VALU_DEP_1) | instskip(SKIP_1) | instid1(VALU_DEP_2)
	v_sub_f32_e32 v27, v23, v26
	v_sub_f32_e32 v19, v26, v25
	;; [unrolled: 1-line block ×3, first 2 shown]
	s_delay_alu instid0(VALU_DEP_2) | instskip(NEXT) | instid1(VALU_DEP_2)
	v_sub_f32_e32 v19, v19, v21
	v_sub_f32_e32 v23, v23, v26
	s_delay_alu instid0(VALU_DEP_1) | instskip(NEXT) | instid1(VALU_DEP_1)
	v_add_f32_e32 v14, v14, v23
	v_add_f32_e32 v14, v19, v14
	s_delay_alu instid0(VALU_DEP_1) | instskip(NEXT) | instid1(VALU_DEP_1)
	v_add_f32_e32 v19, v27, v14
	v_mul_f32_e32 v21, v18, v19
	s_delay_alu instid0(VALU_DEP_1) | instskip(NEXT) | instid1(VALU_DEP_1)
	v_dual_sub_f32 v26, v27, v19 :: v_dual_mul_f32 v23, v22, v21
	v_add_f32_e32 v14, v14, v26
	s_delay_alu instid0(VALU_DEP_2) | instskip(NEXT) | instid1(VALU_DEP_1)
	v_fma_f32 v22, v21, v22, -v23
	v_fmac_f32_e32 v22, v21, v20
	s_delay_alu instid0(VALU_DEP_1) | instskip(NEXT) | instid1(VALU_DEP_1)
	v_add_f32_e32 v20, v23, v22
	v_sub_f32_e32 v25, v19, v20
	v_sub_f32_e32 v23, v20, v23
	s_delay_alu instid0(VALU_DEP_2) | instskip(NEXT) | instid1(VALU_DEP_1)
	v_sub_f32_e32 v19, v19, v25
	v_sub_f32_e32 v19, v19, v20
	s_delay_alu instid0(VALU_DEP_3) | instskip(NEXT) | instid1(VALU_DEP_2)
	v_sub_f32_e32 v20, v23, v22
	v_dual_add_f32 v14, v14, v19 :: v_dual_add_f32 v19, v24, v21
	s_delay_alu instid0(VALU_DEP_1) | instskip(NEXT) | instid1(VALU_DEP_2)
	v_add_f32_e32 v14, v20, v14
	v_sub_f32_e32 v20, v19, v24
	s_delay_alu instid0(VALU_DEP_2) | instskip(NEXT) | instid1(VALU_DEP_2)
	v_add_f32_e32 v14, v25, v14
	v_sub_f32_e32 v20, v21, v20
	s_delay_alu instid0(VALU_DEP_2) | instskip(NEXT) | instid1(VALU_DEP_1)
	v_mul_f32_e32 v14, v18, v14
	v_add_f32_e32 v14, v20, v14
	s_delay_alu instid0(VALU_DEP_1) | instskip(NEXT) | instid1(VALU_DEP_1)
	v_add_f32_e32 v18, v19, v14
	v_mul_f32_e32 v20, v18, v18
	s_wait_alu 0xfffe
	s_delay_alu instid0(VALU_DEP_1) | instskip(SKIP_2) | instid1(VALU_DEP_3)
	v_fmaak_f32 v21, s18, v20, 0x3ecc95a3
	v_mul_f32_e32 v22, v18, v20
	v_cmp_neq_f32_e64 s18, 0x7f800000, v17
	v_fmaak_f32 v20, v20, v21, 0x3f2aaada
	v_ldexp_f32 v21, v18, 1
	v_sub_f32_e32 v18, v18, v19
	s_delay_alu instid0(VALU_DEP_3) | instskip(SKIP_1) | instid1(VALU_DEP_2)
	v_mul_f32_e32 v20, v22, v20
	v_mul_f32_e32 v22, 0x3f317218, v13
	v_dual_sub_f32 v14, v14, v18 :: v_dual_add_f32 v19, v21, v20
	s_delay_alu instid0(VALU_DEP_1) | instskip(NEXT) | instid1(VALU_DEP_2)
	v_ldexp_f32 v14, v14, 1
	v_sub_f32_e32 v18, v19, v21
	s_delay_alu instid0(VALU_DEP_4) | instskip(NEXT) | instid1(VALU_DEP_1)
	v_fma_f32 v21, 0x3f317218, v13, -v22
	v_dual_sub_f32 v18, v20, v18 :: v_dual_fmamk_f32 v13, v13, 0xb102e308, v21
	s_delay_alu instid0(VALU_DEP_1) | instskip(NEXT) | instid1(VALU_DEP_2)
	v_add_f32_e32 v14, v14, v18
	v_add_f32_e32 v18, v22, v13
	s_delay_alu instid0(VALU_DEP_2) | instskip(NEXT) | instid1(VALU_DEP_2)
	v_add_f32_e32 v20, v19, v14
	v_sub_f32_e32 v22, v18, v22
	s_delay_alu instid0(VALU_DEP_2) | instskip(SKIP_1) | instid1(VALU_DEP_3)
	v_add_f32_e32 v21, v18, v20
	v_sub_f32_e32 v19, v20, v19
	v_sub_f32_e32 v13, v13, v22
	s_delay_alu instid0(VALU_DEP_2) | instskip(NEXT) | instid1(VALU_DEP_1)
	v_dual_sub_f32 v23, v21, v18 :: v_dual_sub_f32 v14, v14, v19
	v_sub_f32_e32 v24, v21, v23
	s_delay_alu instid0(VALU_DEP_2) | instskip(NEXT) | instid1(VALU_DEP_2)
	v_dual_sub_f32 v19, v20, v23 :: v_dual_add_f32 v20, v13, v14
	v_sub_f32_e32 v18, v18, v24
	s_delay_alu instid0(VALU_DEP_1) | instskip(NEXT) | instid1(VALU_DEP_1)
	v_dual_add_f32 v18, v19, v18 :: v_dual_sub_f32 v19, v20, v13
	v_add_f32_e32 v18, v20, v18
	s_delay_alu instid0(VALU_DEP_2) | instskip(SKIP_1) | instid1(VALU_DEP_3)
	v_sub_f32_e32 v20, v20, v19
	v_sub_f32_e32 v14, v14, v19
	v_add_f32_e32 v22, v21, v18
	s_delay_alu instid0(VALU_DEP_3) | instskip(NEXT) | instid1(VALU_DEP_2)
	v_sub_f32_e32 v13, v13, v20
	v_sub_f32_e32 v19, v22, v21
	s_delay_alu instid0(VALU_DEP_2) | instskip(NEXT) | instid1(VALU_DEP_2)
	v_add_f32_e32 v13, v14, v13
	v_sub_f32_e32 v14, v18, v19
	s_delay_alu instid0(VALU_DEP_1) | instskip(NEXT) | instid1(VALU_DEP_1)
	v_add_f32_e32 v13, v13, v14
	v_add_f32_e32 v13, v22, v13
	s_wait_alu 0xf1ff
	s_delay_alu instid0(VALU_DEP_1) | instskip(SKIP_2) | instid1(VALU_DEP_1)
	v_cndmask_b32_e64 v13, 0x7f800000, v13, s18
	v_cmp_gt_f32_e64 s18, 0x33800000, |v17|
	s_wait_alu 0xf1ff
	v_cndmask_b32_e64 v13, v13, v17, s18
	s_delay_alu instid0(VALU_DEP_1) | instskip(NEXT) | instid1(VALU_DEP_1)
	v_add_f32_e32 v3, v3, v13
	v_cvt_f16_f32_e32 v17, v3
	s_delay_alu instid0(VALU_DEP_1)
	v_cvt_f32_f16_e32 v19, v17
	v_mov_b32_e32 v18, v17
.LBB373_34:
	s_wait_alu 0xfffe
	s_or_b32 exec_lo, exec_lo, s19
	v_cvt_f32_f16_e32 v3, v4
	v_max_num_f32_e32 v13, v19, v19
	v_cmp_u_f16_e64 s18, v17, v17
	s_delay_alu instid0(VALU_DEP_2) | instskip(SKIP_2) | instid1(VALU_DEP_2)
	v_min_num_f32_e32 v14, v13, v3
	v_max_num_f32_e32 v13, v13, v3
	s_wait_alu 0xf1ff
	v_cndmask_b32_e64 v14, v14, v19, s18
	s_delay_alu instid0(VALU_DEP_2) | instskip(SKIP_2) | instid1(VALU_DEP_1)
	v_cndmask_b32_e64 v13, v13, v19, s18
	v_cmp_u_f16_e64 s18, v4, v4
	s_wait_alu 0xf1ff
	v_cndmask_b32_e64 v14, v14, v3, s18
	s_delay_alu instid0(VALU_DEP_3) | instskip(NEXT) | instid1(VALU_DEP_2)
	v_cndmask_b32_e64 v13, v13, v3, s18
	v_cmp_class_f32_e64 s20, v14, 0x1f8
	s_delay_alu instid0(VALU_DEP_2)
	v_cmp_neq_f32_e64 s19, v14, v13
	s_or_b32 s19, s19, s20
	s_wait_alu 0xfffe
	s_and_saveexec_b32 s20, s19
	s_cbranch_execz .LBB373_36
; %bb.35:
	v_sub_f32_e32 v14, v14, v13
	s_delay_alu instid0(VALU_DEP_1) | instskip(NEXT) | instid1(VALU_DEP_1)
	v_mul_f32_e32 v17, 0x3fb8aa3b, v14
	v_fma_f32 v18, 0x3fb8aa3b, v14, -v17
	v_rndne_f32_e32 v19, v17
	s_delay_alu instid0(VALU_DEP_1) | instskip(SKIP_1) | instid1(VALU_DEP_2)
	v_dual_sub_f32 v17, v17, v19 :: v_dual_fmamk_f32 v18, v14, 0x32a5705f, v18
	v_cmp_ngt_f32_e64 s19, 0xc2ce8ed0, v14
	v_add_f32_e32 v17, v17, v18
	v_cvt_i32_f32_e32 v18, v19
	s_delay_alu instid0(VALU_DEP_2) | instskip(NEXT) | instid1(TRANS32_DEP_1)
	v_exp_f32_e32 v17, v17
	v_ldexp_f32 v17, v17, v18
	s_wait_alu 0xf1ff
	s_delay_alu instid0(VALU_DEP_1) | instskip(SKIP_2) | instid1(VALU_DEP_1)
	v_cndmask_b32_e64 v17, 0, v17, s19
	v_cmp_nlt_f32_e64 s19, 0x42b17218, v14
	s_wait_alu 0xf1ff
	v_cndmask_b32_e64 v14, 0x7f800000, v17, s19
	s_delay_alu instid0(VALU_DEP_1) | instskip(NEXT) | instid1(VALU_DEP_1)
	v_add_f32_e32 v19, 1.0, v14
	v_cvt_f64_f32_e32 v[17:18], v19
	s_delay_alu instid0(VALU_DEP_1) | instskip(SKIP_1) | instid1(VALU_DEP_1)
	v_frexp_exp_i32_f64_e32 v17, v[17:18]
	v_frexp_mant_f32_e32 v18, v19
	v_cmp_gt_f32_e64 s19, 0x3f2aaaab, v18
	v_add_f32_e32 v18, -1.0, v19
	s_delay_alu instid0(VALU_DEP_1) | instskip(NEXT) | instid1(VALU_DEP_1)
	v_sub_f32_e32 v21, v18, v19
	v_dual_sub_f32 v18, v14, v18 :: v_dual_add_f32 v21, 1.0, v21
	s_wait_alu 0xf1ff
	v_subrev_co_ci_u32_e64 v17, null, 0, v17, s19
	s_mov_b32 s19, 0x3e9b6dac
	v_sub_nc_u32_e32 v20, 0, v17
	v_cvt_f32_i32_e32 v17, v17
	s_delay_alu instid0(VALU_DEP_2) | instskip(NEXT) | instid1(VALU_DEP_1)
	v_ldexp_f32 v19, v19, v20
	v_add_f32_e32 v22, 1.0, v19
	s_delay_alu instid0(VALU_DEP_1) | instskip(NEXT) | instid1(VALU_DEP_1)
	v_dual_add_f32 v18, v18, v21 :: v_dual_add_f32 v21, -1.0, v22
	v_ldexp_f32 v18, v18, v20
	s_delay_alu instid0(VALU_DEP_2) | instskip(NEXT) | instid1(VALU_DEP_1)
	v_dual_add_f32 v20, -1.0, v19 :: v_dual_sub_f32 v21, v19, v21
	v_add_f32_e32 v23, 1.0, v20
	s_delay_alu instid0(VALU_DEP_2) | instskip(NEXT) | instid1(VALU_DEP_2)
	v_add_f32_e32 v21, v18, v21
	v_sub_f32_e32 v19, v19, v23
	s_delay_alu instid0(VALU_DEP_1) | instskip(NEXT) | instid1(VALU_DEP_1)
	v_add_f32_e32 v18, v18, v19
	v_dual_add_f32 v24, v20, v18 :: v_dual_add_f32 v23, v22, v21
	s_delay_alu instid0(VALU_DEP_1) | instskip(NEXT) | instid1(VALU_DEP_2)
	v_sub_f32_e32 v20, v20, v24
	v_rcp_f32_e32 v19, v23
	v_sub_f32_e32 v22, v22, v23
	s_delay_alu instid0(VALU_DEP_1) | instskip(NEXT) | instid1(TRANS32_DEP_1)
	v_dual_add_f32 v18, v18, v20 :: v_dual_add_f32 v21, v21, v22
	v_mul_f32_e32 v25, v24, v19
	s_delay_alu instid0(VALU_DEP_1) | instskip(NEXT) | instid1(VALU_DEP_1)
	v_mul_f32_e32 v26, v23, v25
	v_fma_f32 v22, v25, v23, -v26
	s_delay_alu instid0(VALU_DEP_1) | instskip(NEXT) | instid1(VALU_DEP_1)
	v_fmac_f32_e32 v22, v25, v21
	v_add_f32_e32 v27, v26, v22
	s_delay_alu instid0(VALU_DEP_1) | instskip(NEXT) | instid1(VALU_DEP_1)
	v_sub_f32_e32 v28, v24, v27
	v_sub_f32_e32 v24, v24, v28
	;; [unrolled: 1-line block ×3, first 2 shown]
	s_delay_alu instid0(VALU_DEP_2) | instskip(NEXT) | instid1(VALU_DEP_2)
	v_sub_f32_e32 v24, v24, v27
	v_sub_f32_e32 v20, v20, v22
	s_delay_alu instid0(VALU_DEP_2) | instskip(NEXT) | instid1(VALU_DEP_1)
	v_add_f32_e32 v18, v18, v24
	v_add_f32_e32 v18, v20, v18
	s_delay_alu instid0(VALU_DEP_1) | instskip(NEXT) | instid1(VALU_DEP_1)
	v_add_f32_e32 v20, v28, v18
	v_mul_f32_e32 v22, v19, v20
	s_delay_alu instid0(VALU_DEP_1) | instskip(NEXT) | instid1(VALU_DEP_1)
	v_dual_sub_f32 v27, v28, v20 :: v_dual_mul_f32 v24, v23, v22
	v_add_f32_e32 v18, v18, v27
	s_delay_alu instid0(VALU_DEP_2) | instskip(NEXT) | instid1(VALU_DEP_1)
	v_fma_f32 v23, v22, v23, -v24
	v_fmac_f32_e32 v23, v22, v21
	s_delay_alu instid0(VALU_DEP_1) | instskip(NEXT) | instid1(VALU_DEP_1)
	v_add_f32_e32 v21, v24, v23
	v_sub_f32_e32 v26, v20, v21
	v_sub_f32_e32 v24, v21, v24
	s_delay_alu instid0(VALU_DEP_2) | instskip(NEXT) | instid1(VALU_DEP_1)
	v_sub_f32_e32 v20, v20, v26
	v_sub_f32_e32 v20, v20, v21
	s_delay_alu instid0(VALU_DEP_1) | instskip(SKIP_1) | instid1(VALU_DEP_1)
	v_dual_sub_f32 v21, v24, v23 :: v_dual_add_f32 v18, v18, v20
	v_add_f32_e32 v20, v25, v22
	v_dual_add_f32 v18, v21, v18 :: v_dual_sub_f32 v21, v20, v25
	s_delay_alu instid0(VALU_DEP_1) | instskip(NEXT) | instid1(VALU_DEP_1)
	v_add_f32_e32 v18, v26, v18
	v_dual_sub_f32 v21, v22, v21 :: v_dual_mul_f32 v18, v19, v18
	s_delay_alu instid0(VALU_DEP_1) | instskip(NEXT) | instid1(VALU_DEP_1)
	v_add_f32_e32 v18, v21, v18
	v_add_f32_e32 v19, v20, v18
	s_delay_alu instid0(VALU_DEP_1) | instskip(SKIP_1) | instid1(VALU_DEP_1)
	v_mul_f32_e32 v21, v19, v19
	s_wait_alu 0xfffe
	v_fmaak_f32 v22, s19, v21, 0x3ecc95a3
	v_mul_f32_e32 v23, v19, v21
	v_cmp_neq_f32_e64 s19, 0x7f800000, v14
	s_delay_alu instid0(VALU_DEP_3) | instskip(SKIP_2) | instid1(VALU_DEP_3)
	v_fmaak_f32 v21, v21, v22, 0x3f2aaada
	v_ldexp_f32 v22, v19, 1
	v_sub_f32_e32 v19, v19, v20
	v_mul_f32_e32 v21, v23, v21
	s_delay_alu instid0(VALU_DEP_2) | instskip(NEXT) | instid1(VALU_DEP_2)
	v_dual_mul_f32 v23, 0x3f317218, v17 :: v_dual_sub_f32 v18, v18, v19
	v_add_f32_e32 v20, v22, v21
	s_delay_alu instid0(VALU_DEP_2) | instskip(NEXT) | instid1(VALU_DEP_2)
	v_ldexp_f32 v18, v18, 1
	v_sub_f32_e32 v19, v20, v22
	s_delay_alu instid0(VALU_DEP_4) | instskip(NEXT) | instid1(VALU_DEP_2)
	v_fma_f32 v22, 0x3f317218, v17, -v23
	v_sub_f32_e32 v19, v21, v19
	s_delay_alu instid0(VALU_DEP_1) | instskip(NEXT) | instid1(VALU_DEP_1)
	v_dual_fmamk_f32 v17, v17, 0xb102e308, v22 :: v_dual_add_f32 v18, v18, v19
	v_add_f32_e32 v19, v23, v17
	s_delay_alu instid0(VALU_DEP_1) | instskip(NEXT) | instid1(VALU_DEP_1)
	v_sub_f32_e32 v23, v19, v23
	v_sub_f32_e32 v17, v17, v23
	s_delay_alu instid0(VALU_DEP_4) | instskip(NEXT) | instid1(VALU_DEP_1)
	v_add_f32_e32 v21, v20, v18
	v_sub_f32_e32 v20, v21, v20
	s_delay_alu instid0(VALU_DEP_1) | instskip(SKIP_1) | instid1(VALU_DEP_1)
	v_sub_f32_e32 v18, v18, v20
	v_add_f32_e32 v22, v19, v21
	v_sub_f32_e32 v24, v22, v19
	s_delay_alu instid0(VALU_DEP_1) | instskip(NEXT) | instid1(VALU_DEP_4)
	v_sub_f32_e32 v20, v21, v24
	v_add_f32_e32 v21, v17, v18
	v_sub_f32_e32 v25, v22, v24
	s_delay_alu instid0(VALU_DEP_1) | instskip(NEXT) | instid1(VALU_DEP_1)
	v_sub_f32_e32 v19, v19, v25
	v_dual_add_f32 v19, v20, v19 :: v_dual_sub_f32 v20, v21, v17
	s_delay_alu instid0(VALU_DEP_1) | instskip(SKIP_1) | instid1(VALU_DEP_2)
	v_dual_add_f32 v19, v21, v19 :: v_dual_sub_f32 v18, v18, v20
	v_sub_f32_e32 v21, v21, v20
	v_add_f32_e32 v23, v22, v19
	s_delay_alu instid0(VALU_DEP_1) | instskip(NEXT) | instid1(VALU_DEP_1)
	v_dual_sub_f32 v17, v17, v21 :: v_dual_sub_f32 v20, v23, v22
	v_dual_add_f32 v17, v18, v17 :: v_dual_sub_f32 v18, v19, v20
	s_delay_alu instid0(VALU_DEP_1) | instskip(NEXT) | instid1(VALU_DEP_1)
	v_add_f32_e32 v17, v17, v18
	v_add_f32_e32 v17, v23, v17
	s_wait_alu 0xf1ff
	s_delay_alu instid0(VALU_DEP_1) | instskip(SKIP_2) | instid1(VALU_DEP_1)
	v_cndmask_b32_e64 v17, 0x7f800000, v17, s19
	v_cmp_gt_f32_e64 s19, 0x33800000, |v14|
	s_wait_alu 0xf1ff
	v_cndmask_b32_e64 v14, v17, v14, s19
	s_delay_alu instid0(VALU_DEP_1) | instskip(NEXT) | instid1(VALU_DEP_1)
	v_add_f32_e32 v13, v13, v14
	v_cvt_f16_f32_e32 v17, v13
	s_delay_alu instid0(VALU_DEP_1)
	v_cvt_f32_f16_e32 v19, v17
	v_mov_b32_e32 v18, v17
.LBB373_36:
	s_or_b32 exec_lo, exec_lo, s20
	v_lshrrev_b32_e32 v4, 16, v4
	s_delay_alu instid0(VALU_DEP_3) | instskip(SKIP_1) | instid1(VALU_DEP_3)
	v_max_num_f32_e32 v14, v19, v19
	v_cmp_u_f16_e64 s19, v17, v17
	v_cvt_f32_f16_e32 v13, v4
	s_delay_alu instid0(VALU_DEP_1) | instskip(SKIP_2) | instid1(VALU_DEP_2)
	v_min_num_f32_e32 v20, v14, v13
	v_max_num_f32_e32 v14, v14, v13
	s_wait_alu 0xf1ff
	v_cndmask_b32_e64 v20, v20, v19, s19
	s_delay_alu instid0(VALU_DEP_2) | instskip(SKIP_2) | instid1(VALU_DEP_1)
	v_cndmask_b32_e64 v21, v14, v19, s19
	v_cmp_u_f16_e64 s19, v4, v4
	s_wait_alu 0xf1ff
	v_cndmask_b32_e64 v14, v20, v13, s19
	s_delay_alu instid0(VALU_DEP_3) | instskip(NEXT) | instid1(VALU_DEP_2)
	v_cndmask_b32_e64 v4, v21, v13, s19
	v_cmp_class_f32_e64 s21, v14, 0x1f8
	s_delay_alu instid0(VALU_DEP_2) | instskip(SKIP_1) | instid1(SALU_CYCLE_1)
	v_cmp_neq_f32_e64 s20, v14, v4
	s_or_b32 s20, s20, s21
	s_and_saveexec_b32 s21, s20
	s_cbranch_execz .LBB373_38
; %bb.37:
	v_sub_f32_e32 v14, v14, v4
	s_delay_alu instid0(VALU_DEP_1) | instskip(NEXT) | instid1(VALU_DEP_1)
	v_mul_f32_e32 v17, 0x3fb8aa3b, v14
	v_fma_f32 v18, 0x3fb8aa3b, v14, -v17
	v_rndne_f32_e32 v19, v17
	s_delay_alu instid0(VALU_DEP_1) | instskip(SKIP_1) | instid1(VALU_DEP_2)
	v_dual_sub_f32 v17, v17, v19 :: v_dual_fmamk_f32 v18, v14, 0x32a5705f, v18
	v_cmp_ngt_f32_e64 s20, 0xc2ce8ed0, v14
	v_add_f32_e32 v17, v17, v18
	v_cvt_i32_f32_e32 v18, v19
	s_delay_alu instid0(VALU_DEP_2) | instskip(NEXT) | instid1(TRANS32_DEP_1)
	v_exp_f32_e32 v17, v17
	v_ldexp_f32 v17, v17, v18
	s_delay_alu instid0(VALU_DEP_1) | instskip(SKIP_2) | instid1(VALU_DEP_1)
	v_cndmask_b32_e64 v17, 0, v17, s20
	v_cmp_nlt_f32_e64 s20, 0x42b17218, v14
	s_wait_alu 0xf1ff
	v_cndmask_b32_e64 v14, 0x7f800000, v17, s20
	s_delay_alu instid0(VALU_DEP_1) | instskip(NEXT) | instid1(VALU_DEP_1)
	v_add_f32_e32 v19, 1.0, v14
	v_cvt_f64_f32_e32 v[17:18], v19
	s_delay_alu instid0(VALU_DEP_1) | instskip(SKIP_1) | instid1(VALU_DEP_1)
	v_frexp_exp_i32_f64_e32 v17, v[17:18]
	v_frexp_mant_f32_e32 v18, v19
	v_cmp_gt_f32_e64 s20, 0x3f2aaaab, v18
	v_add_f32_e32 v18, -1.0, v19
	s_delay_alu instid0(VALU_DEP_1) | instskip(NEXT) | instid1(VALU_DEP_1)
	v_sub_f32_e32 v21, v18, v19
	v_dual_sub_f32 v18, v14, v18 :: v_dual_add_f32 v21, 1.0, v21
	s_wait_alu 0xf1ff
	v_subrev_co_ci_u32_e64 v17, null, 0, v17, s20
	s_mov_b32 s20, 0x3e9b6dac
	v_sub_nc_u32_e32 v20, 0, v17
	v_cvt_f32_i32_e32 v17, v17
	s_delay_alu instid0(VALU_DEP_2) | instskip(NEXT) | instid1(VALU_DEP_1)
	v_ldexp_f32 v19, v19, v20
	v_add_f32_e32 v22, 1.0, v19
	s_delay_alu instid0(VALU_DEP_1) | instskip(NEXT) | instid1(VALU_DEP_1)
	v_dual_add_f32 v18, v18, v21 :: v_dual_add_f32 v21, -1.0, v22
	v_ldexp_f32 v18, v18, v20
	s_delay_alu instid0(VALU_DEP_2) | instskip(NEXT) | instid1(VALU_DEP_1)
	v_dual_add_f32 v20, -1.0, v19 :: v_dual_sub_f32 v21, v19, v21
	v_add_f32_e32 v23, 1.0, v20
	s_delay_alu instid0(VALU_DEP_2) | instskip(NEXT) | instid1(VALU_DEP_2)
	v_add_f32_e32 v21, v18, v21
	v_sub_f32_e32 v19, v19, v23
	s_delay_alu instid0(VALU_DEP_1) | instskip(NEXT) | instid1(VALU_DEP_1)
	v_add_f32_e32 v18, v18, v19
	v_dual_add_f32 v24, v20, v18 :: v_dual_add_f32 v23, v22, v21
	s_delay_alu instid0(VALU_DEP_1) | instskip(NEXT) | instid1(VALU_DEP_2)
	v_sub_f32_e32 v20, v20, v24
	v_rcp_f32_e32 v19, v23
	v_sub_f32_e32 v22, v22, v23
	s_delay_alu instid0(VALU_DEP_1) | instskip(NEXT) | instid1(TRANS32_DEP_1)
	v_dual_add_f32 v18, v18, v20 :: v_dual_add_f32 v21, v21, v22
	v_mul_f32_e32 v25, v24, v19
	s_delay_alu instid0(VALU_DEP_1) | instskip(NEXT) | instid1(VALU_DEP_1)
	v_mul_f32_e32 v26, v23, v25
	v_fma_f32 v22, v25, v23, -v26
	s_delay_alu instid0(VALU_DEP_1) | instskip(NEXT) | instid1(VALU_DEP_1)
	v_fmac_f32_e32 v22, v25, v21
	v_add_f32_e32 v27, v26, v22
	s_delay_alu instid0(VALU_DEP_1) | instskip(NEXT) | instid1(VALU_DEP_1)
	v_sub_f32_e32 v28, v24, v27
	v_sub_f32_e32 v24, v24, v28
	;; [unrolled: 1-line block ×3, first 2 shown]
	s_delay_alu instid0(VALU_DEP_2) | instskip(NEXT) | instid1(VALU_DEP_2)
	v_sub_f32_e32 v24, v24, v27
	v_sub_f32_e32 v20, v20, v22
	s_delay_alu instid0(VALU_DEP_2) | instskip(NEXT) | instid1(VALU_DEP_1)
	v_add_f32_e32 v18, v18, v24
	v_add_f32_e32 v18, v20, v18
	s_delay_alu instid0(VALU_DEP_1) | instskip(NEXT) | instid1(VALU_DEP_1)
	v_add_f32_e32 v20, v28, v18
	v_mul_f32_e32 v22, v19, v20
	s_delay_alu instid0(VALU_DEP_1) | instskip(NEXT) | instid1(VALU_DEP_1)
	v_dual_sub_f32 v27, v28, v20 :: v_dual_mul_f32 v24, v23, v22
	v_add_f32_e32 v18, v18, v27
	s_delay_alu instid0(VALU_DEP_2) | instskip(NEXT) | instid1(VALU_DEP_1)
	v_fma_f32 v23, v22, v23, -v24
	v_fmac_f32_e32 v23, v22, v21
	s_delay_alu instid0(VALU_DEP_1) | instskip(NEXT) | instid1(VALU_DEP_1)
	v_add_f32_e32 v21, v24, v23
	v_sub_f32_e32 v26, v20, v21
	v_sub_f32_e32 v24, v21, v24
	s_delay_alu instid0(VALU_DEP_2) | instskip(NEXT) | instid1(VALU_DEP_1)
	v_sub_f32_e32 v20, v20, v26
	v_sub_f32_e32 v20, v20, v21
	s_delay_alu instid0(VALU_DEP_1) | instskip(SKIP_1) | instid1(VALU_DEP_1)
	v_dual_sub_f32 v21, v24, v23 :: v_dual_add_f32 v18, v18, v20
	v_add_f32_e32 v20, v25, v22
	v_dual_add_f32 v18, v21, v18 :: v_dual_sub_f32 v21, v20, v25
	s_delay_alu instid0(VALU_DEP_1) | instskip(NEXT) | instid1(VALU_DEP_1)
	v_add_f32_e32 v18, v26, v18
	v_dual_sub_f32 v21, v22, v21 :: v_dual_mul_f32 v18, v19, v18
	s_delay_alu instid0(VALU_DEP_1) | instskip(NEXT) | instid1(VALU_DEP_1)
	v_add_f32_e32 v18, v21, v18
	v_add_f32_e32 v19, v20, v18
	s_delay_alu instid0(VALU_DEP_1) | instskip(SKIP_1) | instid1(VALU_DEP_1)
	v_mul_f32_e32 v21, v19, v19
	s_wait_alu 0xfffe
	v_fmaak_f32 v22, s20, v21, 0x3ecc95a3
	v_mul_f32_e32 v23, v19, v21
	v_cmp_neq_f32_e64 s20, 0x7f800000, v14
	s_delay_alu instid0(VALU_DEP_3) | instskip(SKIP_2) | instid1(VALU_DEP_3)
	v_fmaak_f32 v21, v21, v22, 0x3f2aaada
	v_ldexp_f32 v22, v19, 1
	v_sub_f32_e32 v19, v19, v20
	v_mul_f32_e32 v21, v23, v21
	s_delay_alu instid0(VALU_DEP_2) | instskip(NEXT) | instid1(VALU_DEP_2)
	v_dual_mul_f32 v23, 0x3f317218, v17 :: v_dual_sub_f32 v18, v18, v19
	v_add_f32_e32 v20, v22, v21
	s_delay_alu instid0(VALU_DEP_2) | instskip(NEXT) | instid1(VALU_DEP_2)
	v_ldexp_f32 v18, v18, 1
	v_sub_f32_e32 v19, v20, v22
	s_delay_alu instid0(VALU_DEP_4) | instskip(NEXT) | instid1(VALU_DEP_2)
	v_fma_f32 v22, 0x3f317218, v17, -v23
	v_sub_f32_e32 v19, v21, v19
	s_delay_alu instid0(VALU_DEP_1) | instskip(NEXT) | instid1(VALU_DEP_1)
	v_dual_fmamk_f32 v17, v17, 0xb102e308, v22 :: v_dual_add_f32 v18, v18, v19
	v_add_f32_e32 v19, v23, v17
	s_delay_alu instid0(VALU_DEP_1) | instskip(NEXT) | instid1(VALU_DEP_1)
	v_sub_f32_e32 v23, v19, v23
	v_sub_f32_e32 v17, v17, v23
	s_delay_alu instid0(VALU_DEP_4) | instskip(NEXT) | instid1(VALU_DEP_1)
	v_add_f32_e32 v21, v20, v18
	v_sub_f32_e32 v20, v21, v20
	s_delay_alu instid0(VALU_DEP_1) | instskip(SKIP_1) | instid1(VALU_DEP_1)
	v_sub_f32_e32 v18, v18, v20
	v_add_f32_e32 v22, v19, v21
	v_sub_f32_e32 v24, v22, v19
	s_delay_alu instid0(VALU_DEP_1) | instskip(NEXT) | instid1(VALU_DEP_4)
	v_sub_f32_e32 v20, v21, v24
	v_add_f32_e32 v21, v17, v18
	v_sub_f32_e32 v25, v22, v24
	s_delay_alu instid0(VALU_DEP_1) | instskip(NEXT) | instid1(VALU_DEP_1)
	v_sub_f32_e32 v19, v19, v25
	v_dual_add_f32 v19, v20, v19 :: v_dual_sub_f32 v20, v21, v17
	s_delay_alu instid0(VALU_DEP_1) | instskip(SKIP_1) | instid1(VALU_DEP_2)
	v_dual_add_f32 v19, v21, v19 :: v_dual_sub_f32 v18, v18, v20
	v_sub_f32_e32 v21, v21, v20
	v_add_f32_e32 v23, v22, v19
	s_delay_alu instid0(VALU_DEP_1) | instskip(NEXT) | instid1(VALU_DEP_1)
	v_dual_sub_f32 v17, v17, v21 :: v_dual_sub_f32 v20, v23, v22
	v_dual_add_f32 v17, v18, v17 :: v_dual_sub_f32 v18, v19, v20
	s_delay_alu instid0(VALU_DEP_1) | instskip(NEXT) | instid1(VALU_DEP_1)
	v_add_f32_e32 v17, v17, v18
	v_add_f32_e32 v17, v23, v17
	s_wait_alu 0xf1ff
	s_delay_alu instid0(VALU_DEP_1) | instskip(SKIP_2) | instid1(VALU_DEP_1)
	v_cndmask_b32_e64 v17, 0x7f800000, v17, s20
	v_cmp_gt_f32_e64 s20, 0x33800000, |v14|
	s_wait_alu 0xf1ff
	v_cndmask_b32_e64 v14, v17, v14, s20
	s_delay_alu instid0(VALU_DEP_1) | instskip(NEXT) | instid1(VALU_DEP_1)
	v_add_f32_e32 v4, v4, v14
	v_cvt_f16_f32_e32 v17, v4
	s_delay_alu instid0(VALU_DEP_1)
	v_cvt_f32_f16_e32 v19, v17
	v_mov_b32_e32 v18, v17
.LBB373_38:
	s_or_b32 exec_lo, exec_lo, s21
	v_cvt_f32_f16_e32 v4, v5
	s_delay_alu instid0(VALU_DEP_3) | instskip(SKIP_1) | instid1(VALU_DEP_2)
	v_max_num_f32_e32 v14, v19, v19
	v_cmp_u_f16_e64 s20, v17, v17
	v_min_num_f32_e32 v20, v14, v4
	v_max_num_f32_e32 v14, v14, v4
	s_wait_alu 0xf1ff
	s_delay_alu instid0(VALU_DEP_2) | instskip(NEXT) | instid1(VALU_DEP_2)
	v_cndmask_b32_e64 v20, v20, v19, s20
	v_cndmask_b32_e64 v14, v14, v19, s20
	v_cmp_u_f16_e64 s20, v5, v5
	s_wait_alu 0xf1ff
	s_delay_alu instid0(VALU_DEP_1) | instskip(NEXT) | instid1(VALU_DEP_3)
	v_cndmask_b32_e64 v20, v20, v4, s20
	v_cndmask_b32_e64 v14, v14, v4, s20
	s_delay_alu instid0(VALU_DEP_2) | instskip(NEXT) | instid1(VALU_DEP_2)
	v_cmp_class_f32_e64 s22, v20, 0x1f8
	v_cmp_neq_f32_e64 s21, v20, v14
	s_or_b32 s21, s21, s22
	s_wait_alu 0xfffe
	s_and_saveexec_b32 s22, s21
	s_cbranch_execz .LBB373_40
; %bb.39:
	v_sub_f32_e32 v17, v20, v14
	s_delay_alu instid0(VALU_DEP_1) | instskip(NEXT) | instid1(VALU_DEP_1)
	v_mul_f32_e32 v18, 0x3fb8aa3b, v17
	v_fma_f32 v19, 0x3fb8aa3b, v17, -v18
	v_rndne_f32_e32 v20, v18
	s_delay_alu instid0(VALU_DEP_1) | instskip(SKIP_1) | instid1(VALU_DEP_2)
	v_dual_sub_f32 v18, v18, v20 :: v_dual_fmamk_f32 v19, v17, 0x32a5705f, v19
	v_cmp_ngt_f32_e64 s21, 0xc2ce8ed0, v17
	v_add_f32_e32 v18, v18, v19
	v_cvt_i32_f32_e32 v19, v20
	s_delay_alu instid0(VALU_DEP_2) | instskip(NEXT) | instid1(TRANS32_DEP_1)
	v_exp_f32_e32 v18, v18
	v_ldexp_f32 v18, v18, v19
	s_wait_alu 0xf1ff
	s_delay_alu instid0(VALU_DEP_1) | instskip(SKIP_2) | instid1(VALU_DEP_1)
	v_cndmask_b32_e64 v18, 0, v18, s21
	v_cmp_nlt_f32_e64 s21, 0x42b17218, v17
	s_wait_alu 0xf1ff
	v_cndmask_b32_e64 v19, 0x7f800000, v18, s21
	s_delay_alu instid0(VALU_DEP_1) | instskip(NEXT) | instid1(VALU_DEP_1)
	v_add_f32_e32 v20, 1.0, v19
	v_cvt_f64_f32_e32 v[17:18], v20
	s_delay_alu instid0(VALU_DEP_1) | instskip(SKIP_1) | instid1(VALU_DEP_1)
	v_frexp_exp_i32_f64_e32 v17, v[17:18]
	v_frexp_mant_f32_e32 v18, v20
	v_cmp_gt_f32_e64 s21, 0x3f2aaaab, v18
	v_add_f32_e32 v18, -1.0, v20
	s_delay_alu instid0(VALU_DEP_1)
	v_sub_f32_e32 v22, v18, v20
	v_sub_f32_e32 v18, v19, v18
	s_wait_alu 0xf1ff
	v_subrev_co_ci_u32_e64 v17, null, 0, v17, s21
	s_mov_b32 s21, 0x3e9b6dac
	v_sub_nc_u32_e32 v21, 0, v17
	v_cvt_f32_i32_e32 v17, v17
	s_delay_alu instid0(VALU_DEP_2) | instskip(NEXT) | instid1(VALU_DEP_1)
	v_ldexp_f32 v20, v20, v21
	v_dual_add_f32 v23, 1.0, v20 :: v_dual_add_f32 v22, 1.0, v22
	s_delay_alu instid0(VALU_DEP_1) | instskip(NEXT) | instid1(VALU_DEP_2)
	v_add_f32_e32 v18, v18, v22
	v_add_f32_e32 v22, -1.0, v23
	s_delay_alu instid0(VALU_DEP_2) | instskip(NEXT) | instid1(VALU_DEP_2)
	v_ldexp_f32 v18, v18, v21
	v_dual_add_f32 v21, -1.0, v20 :: v_dual_sub_f32 v22, v20, v22
	s_delay_alu instid0(VALU_DEP_1) | instskip(NEXT) | instid1(VALU_DEP_2)
	v_add_f32_e32 v24, 1.0, v21
	v_add_f32_e32 v22, v18, v22
	s_delay_alu instid0(VALU_DEP_2) | instskip(NEXT) | instid1(VALU_DEP_2)
	v_sub_f32_e32 v20, v20, v24
	v_add_f32_e32 v24, v23, v22
	s_delay_alu instid0(VALU_DEP_2) | instskip(NEXT) | instid1(VALU_DEP_2)
	v_add_f32_e32 v18, v18, v20
	v_rcp_f32_e32 v20, v24
	v_sub_f32_e32 v23, v23, v24
	s_delay_alu instid0(VALU_DEP_1) | instskip(NEXT) | instid1(VALU_DEP_1)
	v_dual_add_f32 v25, v21, v18 :: v_dual_add_f32 v22, v22, v23
	v_sub_f32_e32 v21, v21, v25
	s_delay_alu instid0(TRANS32_DEP_1) | instskip(NEXT) | instid1(VALU_DEP_1)
	v_mul_f32_e32 v26, v25, v20
	v_dual_add_f32 v18, v18, v21 :: v_dual_mul_f32 v27, v24, v26
	s_delay_alu instid0(VALU_DEP_1) | instskip(NEXT) | instid1(VALU_DEP_1)
	v_fma_f32 v23, v26, v24, -v27
	v_fmac_f32_e32 v23, v26, v22
	s_delay_alu instid0(VALU_DEP_1) | instskip(NEXT) | instid1(VALU_DEP_1)
	v_add_f32_e32 v28, v27, v23
	v_sub_f32_e32 v29, v25, v28
	v_sub_f32_e32 v21, v28, v27
	s_delay_alu instid0(VALU_DEP_2) | instskip(NEXT) | instid1(VALU_DEP_2)
	v_sub_f32_e32 v25, v25, v29
	v_sub_f32_e32 v21, v21, v23
	s_delay_alu instid0(VALU_DEP_2) | instskip(NEXT) | instid1(VALU_DEP_1)
	v_sub_f32_e32 v25, v25, v28
	v_add_f32_e32 v18, v18, v25
	s_delay_alu instid0(VALU_DEP_1) | instskip(NEXT) | instid1(VALU_DEP_1)
	v_add_f32_e32 v18, v21, v18
	v_add_f32_e32 v21, v29, v18
	s_delay_alu instid0(VALU_DEP_1) | instskip(NEXT) | instid1(VALU_DEP_1)
	v_mul_f32_e32 v23, v20, v21
	v_dual_sub_f32 v28, v29, v21 :: v_dual_mul_f32 v25, v24, v23
	s_delay_alu instid0(VALU_DEP_1) | instskip(NEXT) | instid1(VALU_DEP_2)
	v_add_f32_e32 v18, v18, v28
	v_fma_f32 v24, v23, v24, -v25
	s_delay_alu instid0(VALU_DEP_1) | instskip(NEXT) | instid1(VALU_DEP_1)
	v_fmac_f32_e32 v24, v23, v22
	v_add_f32_e32 v22, v25, v24
	s_delay_alu instid0(VALU_DEP_1) | instskip(SKIP_1) | instid1(VALU_DEP_2)
	v_sub_f32_e32 v27, v21, v22
	v_sub_f32_e32 v25, v22, v25
	;; [unrolled: 1-line block ×3, first 2 shown]
	s_delay_alu instid0(VALU_DEP_1) | instskip(NEXT) | instid1(VALU_DEP_3)
	v_sub_f32_e32 v21, v21, v22
	v_sub_f32_e32 v22, v25, v24
	s_delay_alu instid0(VALU_DEP_2) | instskip(SKIP_1) | instid1(VALU_DEP_2)
	v_add_f32_e32 v18, v18, v21
	v_add_f32_e32 v21, v26, v23
	;; [unrolled: 1-line block ×3, first 2 shown]
	s_delay_alu instid0(VALU_DEP_2) | instskip(NEXT) | instid1(VALU_DEP_2)
	v_sub_f32_e32 v22, v21, v26
	v_add_f32_e32 v18, v27, v18
	s_delay_alu instid0(VALU_DEP_2) | instskip(NEXT) | instid1(VALU_DEP_2)
	v_sub_f32_e32 v22, v23, v22
	v_mul_f32_e32 v18, v20, v18
	s_delay_alu instid0(VALU_DEP_1) | instskip(NEXT) | instid1(VALU_DEP_1)
	v_add_f32_e32 v18, v22, v18
	v_add_f32_e32 v20, v21, v18
	s_delay_alu instid0(VALU_DEP_1) | instskip(SKIP_1) | instid1(VALU_DEP_1)
	v_mul_f32_e32 v22, v20, v20
	s_wait_alu 0xfffe
	v_fmaak_f32 v23, s21, v22, 0x3ecc95a3
	v_mul_f32_e32 v24, v20, v22
	v_cmp_neq_f32_e64 s21, 0x7f800000, v19
	s_delay_alu instid0(VALU_DEP_3) | instskip(SKIP_2) | instid1(VALU_DEP_3)
	v_fmaak_f32 v22, v22, v23, 0x3f2aaada
	v_ldexp_f32 v23, v20, 1
	v_sub_f32_e32 v20, v20, v21
	v_mul_f32_e32 v22, v24, v22
	v_mul_f32_e32 v24, 0x3f317218, v17
	s_delay_alu instid0(VALU_DEP_2) | instskip(NEXT) | instid1(VALU_DEP_1)
	v_dual_sub_f32 v18, v18, v20 :: v_dual_add_f32 v21, v23, v22
	v_ldexp_f32 v18, v18, 1
	s_delay_alu instid0(VALU_DEP_2) | instskip(NEXT) | instid1(VALU_DEP_4)
	v_sub_f32_e32 v20, v21, v23
	v_fma_f32 v23, 0x3f317218, v17, -v24
	s_delay_alu instid0(VALU_DEP_1) | instskip(NEXT) | instid1(VALU_DEP_1)
	v_dual_sub_f32 v20, v22, v20 :: v_dual_fmamk_f32 v17, v17, 0xb102e308, v23
	v_add_f32_e32 v18, v18, v20
	s_delay_alu instid0(VALU_DEP_2) | instskip(NEXT) | instid1(VALU_DEP_2)
	v_add_f32_e32 v20, v24, v17
	v_add_f32_e32 v22, v21, v18
	s_delay_alu instid0(VALU_DEP_2) | instskip(NEXT) | instid1(VALU_DEP_2)
	v_sub_f32_e32 v24, v20, v24
	v_add_f32_e32 v23, v20, v22
	v_sub_f32_e32 v21, v22, v21
	s_delay_alu instid0(VALU_DEP_3) | instskip(NEXT) | instid1(VALU_DEP_2)
	v_sub_f32_e32 v17, v17, v24
	v_dual_sub_f32 v25, v23, v20 :: v_dual_sub_f32 v18, v18, v21
	s_delay_alu instid0(VALU_DEP_1) | instskip(NEXT) | instid1(VALU_DEP_2)
	v_sub_f32_e32 v26, v23, v25
	v_dual_sub_f32 v21, v22, v25 :: v_dual_add_f32 v22, v17, v18
	s_delay_alu instid0(VALU_DEP_2) | instskip(NEXT) | instid1(VALU_DEP_1)
	v_sub_f32_e32 v20, v20, v26
	v_dual_add_f32 v20, v21, v20 :: v_dual_sub_f32 v21, v22, v17
	s_delay_alu instid0(VALU_DEP_1) | instskip(NEXT) | instid1(VALU_DEP_2)
	v_add_f32_e32 v20, v22, v20
	v_sub_f32_e32 v22, v22, v21
	v_sub_f32_e32 v18, v18, v21
	s_delay_alu instid0(VALU_DEP_2) | instskip(NEXT) | instid1(VALU_DEP_1)
	v_dual_add_f32 v24, v23, v20 :: v_dual_sub_f32 v17, v17, v22
	v_sub_f32_e32 v21, v24, v23
	s_delay_alu instid0(VALU_DEP_2) | instskip(NEXT) | instid1(VALU_DEP_2)
	v_add_f32_e32 v17, v18, v17
	v_sub_f32_e32 v18, v20, v21
	s_delay_alu instid0(VALU_DEP_1) | instskip(NEXT) | instid1(VALU_DEP_1)
	v_add_f32_e32 v17, v17, v18
	v_add_f32_e32 v17, v24, v17
	s_wait_alu 0xf1ff
	s_delay_alu instid0(VALU_DEP_1) | instskip(SKIP_2) | instid1(VALU_DEP_1)
	v_cndmask_b32_e64 v17, 0x7f800000, v17, s21
	v_cmp_gt_f32_e64 s21, 0x33800000, |v19|
	s_wait_alu 0xf1ff
	v_cndmask_b32_e64 v17, v17, v19, s21
	s_delay_alu instid0(VALU_DEP_1) | instskip(NEXT) | instid1(VALU_DEP_1)
	v_add_f32_e32 v14, v14, v17
	v_cvt_f16_f32_e32 v17, v14
	s_delay_alu instid0(VALU_DEP_1)
	v_cvt_f32_f16_e32 v19, v17
	v_mov_b32_e32 v18, v17
.LBB373_40:
	s_or_b32 exec_lo, exec_lo, s22
	v_lshrrev_b32_e32 v5, 16, v5
	s_delay_alu instid0(VALU_DEP_3) | instskip(SKIP_1) | instid1(VALU_DEP_3)
	v_max_num_f32_e32 v20, v19, v19
	v_cmp_u_f16_e64 s21, v17, v17
	v_cvt_f32_f16_e32 v14, v5
	s_delay_alu instid0(VALU_DEP_1) | instskip(SKIP_2) | instid1(VALU_DEP_2)
	v_min_num_f32_e32 v21, v20, v14
	v_max_num_f32_e32 v20, v20, v14
	s_wait_alu 0xf1ff
	v_cndmask_b32_e64 v21, v21, v19, s21
	s_delay_alu instid0(VALU_DEP_2) | instskip(SKIP_2) | instid1(VALU_DEP_1)
	v_cndmask_b32_e64 v22, v20, v19, s21
	v_cmp_u_f16_e64 s21, v5, v5
	s_wait_alu 0xf1ff
	v_cndmask_b32_e64 v20, v21, v14, s21
	s_delay_alu instid0(VALU_DEP_3) | instskip(NEXT) | instid1(VALU_DEP_2)
	v_cndmask_b32_e64 v5, v22, v14, s21
	v_cmp_class_f32_e64 s23, v20, 0x1f8
	s_delay_alu instid0(VALU_DEP_2) | instskip(SKIP_1) | instid1(SALU_CYCLE_1)
	v_cmp_neq_f32_e64 s22, v20, v5
	s_or_b32 s22, s22, s23
	s_and_saveexec_b32 s23, s22
	s_cbranch_execz .LBB373_42
; %bb.41:
	v_sub_f32_e32 v17, v20, v5
	s_delay_alu instid0(VALU_DEP_1) | instskip(NEXT) | instid1(VALU_DEP_1)
	v_mul_f32_e32 v18, 0x3fb8aa3b, v17
	v_fma_f32 v19, 0x3fb8aa3b, v17, -v18
	v_rndne_f32_e32 v20, v18
	s_delay_alu instid0(VALU_DEP_1) | instskip(SKIP_1) | instid1(VALU_DEP_2)
	v_dual_sub_f32 v18, v18, v20 :: v_dual_fmamk_f32 v19, v17, 0x32a5705f, v19
	v_cmp_ngt_f32_e64 s22, 0xc2ce8ed0, v17
	v_add_f32_e32 v18, v18, v19
	v_cvt_i32_f32_e32 v19, v20
	s_delay_alu instid0(VALU_DEP_2) | instskip(NEXT) | instid1(TRANS32_DEP_1)
	v_exp_f32_e32 v18, v18
	v_ldexp_f32 v18, v18, v19
	s_delay_alu instid0(VALU_DEP_1) | instskip(SKIP_2) | instid1(VALU_DEP_1)
	v_cndmask_b32_e64 v18, 0, v18, s22
	v_cmp_nlt_f32_e64 s22, 0x42b17218, v17
	s_wait_alu 0xf1ff
	v_cndmask_b32_e64 v19, 0x7f800000, v18, s22
	s_delay_alu instid0(VALU_DEP_1) | instskip(NEXT) | instid1(VALU_DEP_1)
	v_add_f32_e32 v20, 1.0, v19
	v_cvt_f64_f32_e32 v[17:18], v20
	s_delay_alu instid0(VALU_DEP_1) | instskip(SKIP_1) | instid1(VALU_DEP_1)
	v_frexp_exp_i32_f64_e32 v17, v[17:18]
	v_frexp_mant_f32_e32 v18, v20
	v_cmp_gt_f32_e64 s22, 0x3f2aaaab, v18
	v_add_f32_e32 v18, -1.0, v20
	s_delay_alu instid0(VALU_DEP_1)
	v_sub_f32_e32 v22, v18, v20
	v_sub_f32_e32 v18, v19, v18
	s_wait_alu 0xf1ff
	v_subrev_co_ci_u32_e64 v17, null, 0, v17, s22
	s_mov_b32 s22, 0x3e9b6dac
	v_sub_nc_u32_e32 v21, 0, v17
	v_cvt_f32_i32_e32 v17, v17
	s_delay_alu instid0(VALU_DEP_2) | instskip(NEXT) | instid1(VALU_DEP_1)
	v_ldexp_f32 v20, v20, v21
	v_dual_add_f32 v23, 1.0, v20 :: v_dual_add_f32 v22, 1.0, v22
	s_delay_alu instid0(VALU_DEP_1) | instskip(NEXT) | instid1(VALU_DEP_2)
	v_add_f32_e32 v18, v18, v22
	v_add_f32_e32 v22, -1.0, v23
	s_delay_alu instid0(VALU_DEP_2) | instskip(NEXT) | instid1(VALU_DEP_2)
	v_ldexp_f32 v18, v18, v21
	v_dual_add_f32 v21, -1.0, v20 :: v_dual_sub_f32 v22, v20, v22
	s_delay_alu instid0(VALU_DEP_1) | instskip(NEXT) | instid1(VALU_DEP_2)
	v_add_f32_e32 v24, 1.0, v21
	v_add_f32_e32 v22, v18, v22
	s_delay_alu instid0(VALU_DEP_2) | instskip(NEXT) | instid1(VALU_DEP_2)
	v_sub_f32_e32 v20, v20, v24
	v_add_f32_e32 v24, v23, v22
	s_delay_alu instid0(VALU_DEP_2) | instskip(NEXT) | instid1(VALU_DEP_2)
	v_add_f32_e32 v18, v18, v20
	v_rcp_f32_e32 v20, v24
	v_sub_f32_e32 v23, v23, v24
	s_delay_alu instid0(VALU_DEP_1) | instskip(NEXT) | instid1(VALU_DEP_1)
	v_dual_add_f32 v25, v21, v18 :: v_dual_add_f32 v22, v22, v23
	v_sub_f32_e32 v21, v21, v25
	s_delay_alu instid0(TRANS32_DEP_1) | instskip(NEXT) | instid1(VALU_DEP_1)
	v_mul_f32_e32 v26, v25, v20
	v_dual_add_f32 v18, v18, v21 :: v_dual_mul_f32 v27, v24, v26
	s_delay_alu instid0(VALU_DEP_1) | instskip(NEXT) | instid1(VALU_DEP_1)
	v_fma_f32 v23, v26, v24, -v27
	v_fmac_f32_e32 v23, v26, v22
	s_delay_alu instid0(VALU_DEP_1) | instskip(NEXT) | instid1(VALU_DEP_1)
	v_add_f32_e32 v28, v27, v23
	v_sub_f32_e32 v29, v25, v28
	v_sub_f32_e32 v21, v28, v27
	s_delay_alu instid0(VALU_DEP_2) | instskip(NEXT) | instid1(VALU_DEP_2)
	v_sub_f32_e32 v25, v25, v29
	v_sub_f32_e32 v21, v21, v23
	s_delay_alu instid0(VALU_DEP_2) | instskip(NEXT) | instid1(VALU_DEP_1)
	v_sub_f32_e32 v25, v25, v28
	v_add_f32_e32 v18, v18, v25
	s_delay_alu instid0(VALU_DEP_1) | instskip(NEXT) | instid1(VALU_DEP_1)
	v_add_f32_e32 v18, v21, v18
	v_add_f32_e32 v21, v29, v18
	s_delay_alu instid0(VALU_DEP_1) | instskip(NEXT) | instid1(VALU_DEP_1)
	v_mul_f32_e32 v23, v20, v21
	v_dual_sub_f32 v28, v29, v21 :: v_dual_mul_f32 v25, v24, v23
	s_delay_alu instid0(VALU_DEP_1) | instskip(NEXT) | instid1(VALU_DEP_2)
	v_add_f32_e32 v18, v18, v28
	v_fma_f32 v24, v23, v24, -v25
	s_delay_alu instid0(VALU_DEP_1) | instskip(NEXT) | instid1(VALU_DEP_1)
	v_fmac_f32_e32 v24, v23, v22
	v_add_f32_e32 v22, v25, v24
	s_delay_alu instid0(VALU_DEP_1) | instskip(SKIP_1) | instid1(VALU_DEP_2)
	v_sub_f32_e32 v27, v21, v22
	v_sub_f32_e32 v25, v22, v25
	;; [unrolled: 1-line block ×3, first 2 shown]
	s_delay_alu instid0(VALU_DEP_1) | instskip(NEXT) | instid1(VALU_DEP_3)
	v_sub_f32_e32 v21, v21, v22
	v_sub_f32_e32 v22, v25, v24
	s_delay_alu instid0(VALU_DEP_2) | instskip(SKIP_1) | instid1(VALU_DEP_2)
	v_add_f32_e32 v18, v18, v21
	v_add_f32_e32 v21, v26, v23
	;; [unrolled: 1-line block ×3, first 2 shown]
	s_delay_alu instid0(VALU_DEP_2) | instskip(NEXT) | instid1(VALU_DEP_2)
	v_sub_f32_e32 v22, v21, v26
	v_add_f32_e32 v18, v27, v18
	s_delay_alu instid0(VALU_DEP_2) | instskip(NEXT) | instid1(VALU_DEP_2)
	v_sub_f32_e32 v22, v23, v22
	v_mul_f32_e32 v18, v20, v18
	s_delay_alu instid0(VALU_DEP_1) | instskip(NEXT) | instid1(VALU_DEP_1)
	v_add_f32_e32 v18, v22, v18
	v_add_f32_e32 v20, v21, v18
	s_delay_alu instid0(VALU_DEP_1) | instskip(SKIP_1) | instid1(VALU_DEP_1)
	v_mul_f32_e32 v22, v20, v20
	s_wait_alu 0xfffe
	v_fmaak_f32 v23, s22, v22, 0x3ecc95a3
	v_mul_f32_e32 v24, v20, v22
	v_cmp_neq_f32_e64 s22, 0x7f800000, v19
	s_delay_alu instid0(VALU_DEP_3) | instskip(SKIP_2) | instid1(VALU_DEP_3)
	v_fmaak_f32 v22, v22, v23, 0x3f2aaada
	v_ldexp_f32 v23, v20, 1
	v_sub_f32_e32 v20, v20, v21
	v_mul_f32_e32 v22, v24, v22
	v_mul_f32_e32 v24, 0x3f317218, v17
	s_delay_alu instid0(VALU_DEP_2) | instskip(NEXT) | instid1(VALU_DEP_1)
	v_dual_sub_f32 v18, v18, v20 :: v_dual_add_f32 v21, v23, v22
	v_ldexp_f32 v18, v18, 1
	s_delay_alu instid0(VALU_DEP_2) | instskip(NEXT) | instid1(VALU_DEP_4)
	v_sub_f32_e32 v20, v21, v23
	v_fma_f32 v23, 0x3f317218, v17, -v24
	s_delay_alu instid0(VALU_DEP_1) | instskip(NEXT) | instid1(VALU_DEP_1)
	v_dual_sub_f32 v20, v22, v20 :: v_dual_fmamk_f32 v17, v17, 0xb102e308, v23
	v_add_f32_e32 v18, v18, v20
	s_delay_alu instid0(VALU_DEP_2) | instskip(NEXT) | instid1(VALU_DEP_2)
	v_add_f32_e32 v20, v24, v17
	v_add_f32_e32 v22, v21, v18
	s_delay_alu instid0(VALU_DEP_2) | instskip(NEXT) | instid1(VALU_DEP_2)
	v_sub_f32_e32 v24, v20, v24
	v_add_f32_e32 v23, v20, v22
	v_sub_f32_e32 v21, v22, v21
	s_delay_alu instid0(VALU_DEP_3) | instskip(NEXT) | instid1(VALU_DEP_2)
	v_sub_f32_e32 v17, v17, v24
	v_dual_sub_f32 v25, v23, v20 :: v_dual_sub_f32 v18, v18, v21
	s_delay_alu instid0(VALU_DEP_1) | instskip(NEXT) | instid1(VALU_DEP_2)
	v_sub_f32_e32 v26, v23, v25
	v_dual_sub_f32 v21, v22, v25 :: v_dual_add_f32 v22, v17, v18
	s_delay_alu instid0(VALU_DEP_2) | instskip(NEXT) | instid1(VALU_DEP_1)
	v_sub_f32_e32 v20, v20, v26
	v_dual_add_f32 v20, v21, v20 :: v_dual_sub_f32 v21, v22, v17
	s_delay_alu instid0(VALU_DEP_1) | instskip(NEXT) | instid1(VALU_DEP_2)
	v_add_f32_e32 v20, v22, v20
	v_sub_f32_e32 v22, v22, v21
	v_sub_f32_e32 v18, v18, v21
	s_delay_alu instid0(VALU_DEP_2) | instskip(NEXT) | instid1(VALU_DEP_1)
	v_dual_add_f32 v24, v23, v20 :: v_dual_sub_f32 v17, v17, v22
	v_sub_f32_e32 v21, v24, v23
	s_delay_alu instid0(VALU_DEP_2) | instskip(NEXT) | instid1(VALU_DEP_2)
	v_add_f32_e32 v17, v18, v17
	v_sub_f32_e32 v18, v20, v21
	s_delay_alu instid0(VALU_DEP_1) | instskip(NEXT) | instid1(VALU_DEP_1)
	v_add_f32_e32 v17, v17, v18
	v_add_f32_e32 v17, v24, v17
	s_wait_alu 0xf1ff
	s_delay_alu instid0(VALU_DEP_1) | instskip(SKIP_2) | instid1(VALU_DEP_1)
	v_cndmask_b32_e64 v17, 0x7f800000, v17, s22
	v_cmp_gt_f32_e64 s22, 0x33800000, |v19|
	s_wait_alu 0xf1ff
	v_cndmask_b32_e64 v17, v17, v19, s22
	s_delay_alu instid0(VALU_DEP_1) | instskip(NEXT) | instid1(VALU_DEP_1)
	v_add_f32_e32 v5, v5, v17
	v_cvt_f16_f32_e32 v17, v5
	s_delay_alu instid0(VALU_DEP_1)
	v_cvt_f32_f16_e32 v19, v17
	v_mov_b32_e32 v18, v17
.LBB373_42:
	s_or_b32 exec_lo, exec_lo, s23
	v_cvt_f32_f16_e32 v5, v6
	s_delay_alu instid0(VALU_DEP_3) | instskip(SKIP_1) | instid1(VALU_DEP_2)
	v_max_num_f32_e32 v20, v19, v19
	v_cmp_u_f16_e64 s22, v17, v17
	v_min_num_f32_e32 v21, v20, v5
	v_max_num_f32_e32 v20, v20, v5
	s_wait_alu 0xf1ff
	s_delay_alu instid0(VALU_DEP_2) | instskip(NEXT) | instid1(VALU_DEP_2)
	v_cndmask_b32_e64 v21, v21, v19, s22
	v_cndmask_b32_e64 v20, v20, v19, s22
	v_cmp_u_f16_e64 s22, v6, v6
	s_wait_alu 0xf1ff
	s_delay_alu instid0(VALU_DEP_1) | instskip(NEXT) | instid1(VALU_DEP_3)
	v_cndmask_b32_e64 v21, v21, v5, s22
	v_cndmask_b32_e64 v20, v20, v5, s22
	s_delay_alu instid0(VALU_DEP_2) | instskip(NEXT) | instid1(VALU_DEP_2)
	v_cmp_class_f32_e64 s25, v21, 0x1f8
	v_cmp_neq_f32_e64 s23, v21, v20
	s_or_b32 s23, s23, s25
	s_wait_alu 0xfffe
	s_and_saveexec_b32 s25, s23
	s_cbranch_execz .LBB373_44
; %bb.43:
	v_sub_f32_e32 v17, v21, v20
	s_delay_alu instid0(VALU_DEP_1) | instskip(NEXT) | instid1(VALU_DEP_1)
	v_mul_f32_e32 v18, 0x3fb8aa3b, v17
	v_fma_f32 v19, 0x3fb8aa3b, v17, -v18
	v_rndne_f32_e32 v21, v18
	s_delay_alu instid0(VALU_DEP_1) | instskip(SKIP_1) | instid1(VALU_DEP_2)
	v_dual_sub_f32 v18, v18, v21 :: v_dual_fmamk_f32 v19, v17, 0x32a5705f, v19
	v_cmp_ngt_f32_e64 s23, 0xc2ce8ed0, v17
	v_add_f32_e32 v18, v18, v19
	v_cvt_i32_f32_e32 v19, v21
	s_delay_alu instid0(VALU_DEP_2) | instskip(NEXT) | instid1(TRANS32_DEP_1)
	v_exp_f32_e32 v18, v18
	v_ldexp_f32 v18, v18, v19
	s_wait_alu 0xf1ff
	s_delay_alu instid0(VALU_DEP_1) | instskip(SKIP_2) | instid1(VALU_DEP_1)
	v_cndmask_b32_e64 v18, 0, v18, s23
	v_cmp_nlt_f32_e64 s23, 0x42b17218, v17
	s_wait_alu 0xf1ff
	v_cndmask_b32_e64 v19, 0x7f800000, v18, s23
	s_delay_alu instid0(VALU_DEP_1) | instskip(NEXT) | instid1(VALU_DEP_1)
	v_add_f32_e32 v21, 1.0, v19
	v_cvt_f64_f32_e32 v[17:18], v21
	s_delay_alu instid0(VALU_DEP_1) | instskip(SKIP_1) | instid1(VALU_DEP_1)
	v_frexp_exp_i32_f64_e32 v17, v[17:18]
	v_frexp_mant_f32_e32 v18, v21
	v_cmp_gt_f32_e64 s23, 0x3f2aaaab, v18
	v_add_f32_e32 v18, -1.0, v21
	s_delay_alu instid0(VALU_DEP_1) | instskip(SKIP_1) | instid1(VALU_DEP_3)
	v_dual_sub_f32 v23, v18, v21 :: v_dual_sub_f32 v18, v19, v18
	s_wait_alu 0xf1ff
	v_subrev_co_ci_u32_e64 v17, null, 0, v17, s23
	s_mov_b32 s23, 0x3e9b6dac
	v_sub_nc_u32_e32 v22, 0, v17
	v_cvt_f32_i32_e32 v17, v17
	s_delay_alu instid0(VALU_DEP_2) | instskip(NEXT) | instid1(VALU_DEP_1)
	v_ldexp_f32 v21, v21, v22
	v_dual_add_f32 v23, 1.0, v23 :: v_dual_add_f32 v24, 1.0, v21
	s_delay_alu instid0(VALU_DEP_1) | instskip(NEXT) | instid1(VALU_DEP_1)
	v_dual_add_f32 v18, v18, v23 :: v_dual_add_f32 v23, -1.0, v24
	v_ldexp_f32 v18, v18, v22
	s_delay_alu instid0(VALU_DEP_2) | instskip(NEXT) | instid1(VALU_DEP_1)
	v_dual_add_f32 v22, -1.0, v21 :: v_dual_sub_f32 v23, v21, v23
	v_add_f32_e32 v25, 1.0, v22
	s_delay_alu instid0(VALU_DEP_2) | instskip(NEXT) | instid1(VALU_DEP_2)
	v_add_f32_e32 v23, v18, v23
	v_sub_f32_e32 v21, v21, v25
	s_delay_alu instid0(VALU_DEP_1) | instskip(NEXT) | instid1(VALU_DEP_1)
	v_dual_add_f32 v25, v24, v23 :: v_dual_add_f32 v18, v18, v21
	v_rcp_f32_e32 v21, v25
	v_sub_f32_e32 v24, v24, v25
	s_delay_alu instid0(VALU_DEP_1) | instskip(NEXT) | instid1(VALU_DEP_1)
	v_dual_add_f32 v26, v22, v18 :: v_dual_add_f32 v23, v23, v24
	v_sub_f32_e32 v22, v22, v26
	s_delay_alu instid0(TRANS32_DEP_1) | instskip(NEXT) | instid1(VALU_DEP_2)
	v_mul_f32_e32 v27, v26, v21
	v_add_f32_e32 v18, v18, v22
	s_delay_alu instid0(VALU_DEP_2) | instskip(NEXT) | instid1(VALU_DEP_1)
	v_mul_f32_e32 v28, v25, v27
	v_fma_f32 v24, v27, v25, -v28
	s_delay_alu instid0(VALU_DEP_1) | instskip(NEXT) | instid1(VALU_DEP_1)
	v_fmac_f32_e32 v24, v27, v23
	v_add_f32_e32 v29, v28, v24
	s_delay_alu instid0(VALU_DEP_1) | instskip(SKIP_1) | instid1(VALU_DEP_2)
	v_sub_f32_e32 v30, v26, v29
	v_sub_f32_e32 v22, v29, v28
	;; [unrolled: 1-line block ×3, first 2 shown]
	s_delay_alu instid0(VALU_DEP_2) | instskip(NEXT) | instid1(VALU_DEP_2)
	v_sub_f32_e32 v22, v22, v24
	v_sub_f32_e32 v26, v26, v29
	s_delay_alu instid0(VALU_DEP_1) | instskip(NEXT) | instid1(VALU_DEP_1)
	v_add_f32_e32 v18, v18, v26
	v_add_f32_e32 v18, v22, v18
	s_delay_alu instid0(VALU_DEP_1) | instskip(NEXT) | instid1(VALU_DEP_1)
	v_add_f32_e32 v22, v30, v18
	v_mul_f32_e32 v24, v21, v22
	s_delay_alu instid0(VALU_DEP_1) | instskip(NEXT) | instid1(VALU_DEP_1)
	v_mul_f32_e32 v26, v25, v24
	v_fma_f32 v25, v24, v25, -v26
	s_delay_alu instid0(VALU_DEP_1) | instskip(SKIP_1) | instid1(VALU_DEP_2)
	v_fmac_f32_e32 v25, v24, v23
	v_sub_f32_e32 v29, v30, v22
	v_add_f32_e32 v23, v26, v25
	s_delay_alu instid0(VALU_DEP_2) | instskip(NEXT) | instid1(VALU_DEP_2)
	v_add_f32_e32 v18, v18, v29
	v_sub_f32_e32 v28, v22, v23
	v_sub_f32_e32 v26, v23, v26
	s_delay_alu instid0(VALU_DEP_2) | instskip(NEXT) | instid1(VALU_DEP_1)
	v_sub_f32_e32 v22, v22, v28
	v_sub_f32_e32 v22, v22, v23
	s_delay_alu instid0(VALU_DEP_3) | instskip(NEXT) | instid1(VALU_DEP_2)
	v_sub_f32_e32 v23, v26, v25
	v_add_f32_e32 v18, v18, v22
	v_add_f32_e32 v22, v27, v24
	s_delay_alu instid0(VALU_DEP_1) | instskip(NEXT) | instid1(VALU_DEP_1)
	v_dual_add_f32 v18, v23, v18 :: v_dual_sub_f32 v23, v22, v27
	v_add_f32_e32 v18, v28, v18
	s_delay_alu instid0(VALU_DEP_1) | instskip(NEXT) | instid1(VALU_DEP_1)
	v_dual_sub_f32 v23, v24, v23 :: v_dual_mul_f32 v18, v21, v18
	v_add_f32_e32 v18, v23, v18
	s_delay_alu instid0(VALU_DEP_1) | instskip(NEXT) | instid1(VALU_DEP_1)
	v_add_f32_e32 v21, v22, v18
	v_mul_f32_e32 v23, v21, v21
	s_wait_alu 0xfffe
	s_delay_alu instid0(VALU_DEP_1) | instskip(SKIP_2) | instid1(VALU_DEP_3)
	v_fmaak_f32 v24, s23, v23, 0x3ecc95a3
	v_mul_f32_e32 v25, v21, v23
	v_cmp_neq_f32_e64 s23, 0x7f800000, v19
	v_fmaak_f32 v23, v23, v24, 0x3f2aaada
	v_ldexp_f32 v24, v21, 1
	v_sub_f32_e32 v21, v21, v22
	s_delay_alu instid0(VALU_DEP_3) | instskip(SKIP_1) | instid1(VALU_DEP_3)
	v_mul_f32_e32 v23, v25, v23
	v_mul_f32_e32 v25, 0x3f317218, v17
	v_sub_f32_e32 v18, v18, v21
	s_delay_alu instid0(VALU_DEP_3) | instskip(NEXT) | instid1(VALU_DEP_2)
	v_add_f32_e32 v22, v24, v23
	v_ldexp_f32 v18, v18, 1
	s_delay_alu instid0(VALU_DEP_2) | instskip(SKIP_1) | instid1(VALU_DEP_2)
	v_sub_f32_e32 v21, v22, v24
	v_fma_f32 v24, 0x3f317218, v17, -v25
	v_sub_f32_e32 v21, v23, v21
	s_delay_alu instid0(VALU_DEP_1) | instskip(NEXT) | instid1(VALU_DEP_1)
	v_dual_fmamk_f32 v17, v17, 0xb102e308, v24 :: v_dual_add_f32 v18, v18, v21
	v_add_f32_e32 v21, v25, v17
	s_delay_alu instid0(VALU_DEP_2) | instskip(NEXT) | instid1(VALU_DEP_2)
	v_add_f32_e32 v23, v22, v18
	v_sub_f32_e32 v25, v21, v25
	s_delay_alu instid0(VALU_DEP_2) | instskip(NEXT) | instid1(VALU_DEP_2)
	v_add_f32_e32 v24, v21, v23
	v_sub_f32_e32 v17, v17, v25
	s_delay_alu instid0(VALU_DEP_2) | instskip(SKIP_1) | instid1(VALU_DEP_2)
	v_sub_f32_e32 v26, v24, v21
	v_sub_f32_e32 v22, v23, v22
	;; [unrolled: 1-line block ×3, first 2 shown]
	s_delay_alu instid0(VALU_DEP_2) | instskip(NEXT) | instid1(VALU_DEP_2)
	v_sub_f32_e32 v18, v18, v22
	v_dual_sub_f32 v22, v23, v26 :: v_dual_sub_f32 v21, v21, v27
	s_delay_alu instid0(VALU_DEP_2) | instskip(NEXT) | instid1(VALU_DEP_2)
	v_add_f32_e32 v23, v17, v18
	v_add_f32_e32 v21, v22, v21
	s_delay_alu instid0(VALU_DEP_2) | instskip(NEXT) | instid1(VALU_DEP_2)
	v_sub_f32_e32 v22, v23, v17
	v_add_f32_e32 v21, v23, v21
	s_delay_alu instid0(VALU_DEP_2) | instskip(NEXT) | instid1(VALU_DEP_2)
	v_sub_f32_e32 v23, v23, v22
	v_dual_sub_f32 v18, v18, v22 :: v_dual_add_f32 v25, v24, v21
	s_delay_alu instid0(VALU_DEP_2) | instskip(NEXT) | instid1(VALU_DEP_1)
	v_sub_f32_e32 v17, v17, v23
	v_dual_sub_f32 v22, v25, v24 :: v_dual_add_f32 v17, v18, v17
	s_delay_alu instid0(VALU_DEP_1) | instskip(NEXT) | instid1(VALU_DEP_1)
	v_sub_f32_e32 v18, v21, v22
	v_add_f32_e32 v17, v17, v18
	s_delay_alu instid0(VALU_DEP_1) | instskip(SKIP_1) | instid1(VALU_DEP_1)
	v_add_f32_e32 v17, v25, v17
	s_wait_alu 0xf1ff
	v_cndmask_b32_e64 v17, 0x7f800000, v17, s23
	v_cmp_gt_f32_e64 s23, 0x33800000, |v19|
	s_wait_alu 0xf1ff
	s_delay_alu instid0(VALU_DEP_1) | instskip(NEXT) | instid1(VALU_DEP_1)
	v_cndmask_b32_e64 v17, v17, v19, s23
	v_add_f32_e32 v17, v20, v17
	s_delay_alu instid0(VALU_DEP_1) | instskip(NEXT) | instid1(VALU_DEP_1)
	v_cvt_f16_f32_e32 v17, v17
	v_cvt_f32_f16_e32 v19, v17
	v_mov_b32_e32 v18, v17
.LBB373_44:
	s_wait_alu 0xfffe
	s_or_b32 exec_lo, exec_lo, s25
	v_lshrrev_b32_e32 v20, 16, v6
	v_max_num_f32_e32 v21, v19, v19
	v_cmp_u_f16_e64 s23, v17, v17
	s_delay_alu instid0(VALU_DEP_3) | instskip(NEXT) | instid1(VALU_DEP_1)
	v_cvt_f32_f16_e32 v6, v20
	v_min_num_f32_e32 v22, v21, v6
	v_max_num_f32_e32 v21, v21, v6
	s_wait_alu 0xf1ff
	s_delay_alu instid0(VALU_DEP_2) | instskip(NEXT) | instid1(VALU_DEP_2)
	v_cndmask_b32_e64 v17, v22, v19, s23
	v_cndmask_b32_e64 v21, v21, v19, s23
	v_cmp_u_f16_e64 s23, v20, v20
	s_wait_alu 0xf1ff
	s_delay_alu instid0(VALU_DEP_1) | instskip(NEXT) | instid1(VALU_DEP_3)
	v_cndmask_b32_e64 v19, v17, v6, s23
	v_cndmask_b32_e64 v17, v21, v6, s23
	s_delay_alu instid0(VALU_DEP_2) | instskip(NEXT) | instid1(VALU_DEP_2)
	v_cmp_class_f32_e64 s26, v19, 0x1f8
	v_cmp_neq_f32_e64 s25, v19, v17
	s_or_b32 s25, s25, s26
	s_wait_alu 0xfffe
	s_and_saveexec_b32 s26, s25
	s_cbranch_execz .LBB373_46
; %bb.45:
	v_sub_f32_e32 v18, v19, v17
	s_delay_alu instid0(VALU_DEP_1) | instskip(SKIP_1) | instid1(VALU_DEP_2)
	v_mul_f32_e32 v19, 0x3fb8aa3b, v18
	v_cmp_ngt_f32_e64 s25, 0xc2ce8ed0, v18
	v_fma_f32 v20, 0x3fb8aa3b, v18, -v19
	v_rndne_f32_e32 v21, v19
	s_delay_alu instid0(VALU_DEP_1) | instskip(NEXT) | instid1(VALU_DEP_1)
	v_dual_fmamk_f32 v20, v18, 0x32a5705f, v20 :: v_dual_sub_f32 v19, v19, v21
	v_add_f32_e32 v19, v19, v20
	v_cvt_i32_f32_e32 v20, v21
	s_delay_alu instid0(VALU_DEP_2) | instskip(NEXT) | instid1(TRANS32_DEP_1)
	v_exp_f32_e32 v19, v19
	v_ldexp_f32 v19, v19, v20
	s_wait_alu 0xf1ff
	s_delay_alu instid0(VALU_DEP_1) | instskip(SKIP_2) | instid1(VALU_DEP_1)
	v_cndmask_b32_e64 v19, 0, v19, s25
	v_cmp_nlt_f32_e64 s25, 0x42b17218, v18
	s_wait_alu 0xf1ff
	v_cndmask_b32_e64 v20, 0x7f800000, v19, s25
	s_delay_alu instid0(VALU_DEP_1) | instskip(NEXT) | instid1(VALU_DEP_1)
	v_add_f32_e32 v21, 1.0, v20
	v_cvt_f64_f32_e32 v[18:19], v21
	s_delay_alu instid0(VALU_DEP_1) | instskip(SKIP_1) | instid1(VALU_DEP_1)
	v_frexp_exp_i32_f64_e32 v18, v[18:19]
	v_frexp_mant_f32_e32 v19, v21
	v_cmp_gt_f32_e64 s25, 0x3f2aaaab, v19
	v_add_f32_e32 v19, -1.0, v21
	s_delay_alu instid0(VALU_DEP_1)
	v_sub_f32_e32 v23, v19, v21
	v_sub_f32_e32 v19, v20, v19
	s_wait_alu 0xf1ff
	v_subrev_co_ci_u32_e64 v18, null, 0, v18, s25
	s_mov_b32 s25, 0x3e9b6dac
	v_sub_nc_u32_e32 v22, 0, v18
	v_cvt_f32_i32_e32 v18, v18
	s_delay_alu instid0(VALU_DEP_2) | instskip(NEXT) | instid1(VALU_DEP_1)
	v_ldexp_f32 v21, v21, v22
	v_dual_add_f32 v24, 1.0, v21 :: v_dual_add_f32 v23, 1.0, v23
	s_delay_alu instid0(VALU_DEP_1) | instskip(NEXT) | instid1(VALU_DEP_2)
	v_add_f32_e32 v19, v19, v23
	v_add_f32_e32 v23, -1.0, v24
	s_delay_alu instid0(VALU_DEP_2) | instskip(NEXT) | instid1(VALU_DEP_2)
	v_ldexp_f32 v19, v19, v22
	v_dual_add_f32 v22, -1.0, v21 :: v_dual_sub_f32 v23, v21, v23
	s_delay_alu instid0(VALU_DEP_1) | instskip(NEXT) | instid1(VALU_DEP_2)
	v_add_f32_e32 v25, 1.0, v22
	v_add_f32_e32 v23, v19, v23
	s_delay_alu instid0(VALU_DEP_2) | instskip(NEXT) | instid1(VALU_DEP_2)
	v_sub_f32_e32 v21, v21, v25
	v_add_f32_e32 v25, v24, v23
	s_delay_alu instid0(VALU_DEP_2) | instskip(NEXT) | instid1(VALU_DEP_2)
	v_add_f32_e32 v19, v19, v21
	v_rcp_f32_e32 v21, v25
	v_sub_f32_e32 v24, v24, v25
	s_delay_alu instid0(VALU_DEP_1) | instskip(NEXT) | instid1(VALU_DEP_1)
	v_dual_add_f32 v26, v22, v19 :: v_dual_add_f32 v23, v23, v24
	v_sub_f32_e32 v22, v22, v26
	s_delay_alu instid0(TRANS32_DEP_1) | instskip(NEXT) | instid1(VALU_DEP_1)
	v_mul_f32_e32 v27, v26, v21
	v_dual_add_f32 v19, v19, v22 :: v_dual_mul_f32 v28, v25, v27
	s_delay_alu instid0(VALU_DEP_1) | instskip(NEXT) | instid1(VALU_DEP_1)
	v_fma_f32 v24, v27, v25, -v28
	v_fmac_f32_e32 v24, v27, v23
	s_delay_alu instid0(VALU_DEP_1) | instskip(NEXT) | instid1(VALU_DEP_1)
	v_add_f32_e32 v29, v28, v24
	v_sub_f32_e32 v30, v26, v29
	v_sub_f32_e32 v22, v29, v28
	s_delay_alu instid0(VALU_DEP_2) | instskip(NEXT) | instid1(VALU_DEP_2)
	v_sub_f32_e32 v26, v26, v30
	v_sub_f32_e32 v22, v22, v24
	s_delay_alu instid0(VALU_DEP_2) | instskip(NEXT) | instid1(VALU_DEP_1)
	v_sub_f32_e32 v26, v26, v29
	v_add_f32_e32 v19, v19, v26
	s_delay_alu instid0(VALU_DEP_1) | instskip(NEXT) | instid1(VALU_DEP_1)
	v_add_f32_e32 v19, v22, v19
	v_add_f32_e32 v22, v30, v19
	s_delay_alu instid0(VALU_DEP_1) | instskip(NEXT) | instid1(VALU_DEP_1)
	v_mul_f32_e32 v24, v21, v22
	v_dual_sub_f32 v29, v30, v22 :: v_dual_mul_f32 v26, v25, v24
	s_delay_alu instid0(VALU_DEP_1) | instskip(NEXT) | instid1(VALU_DEP_2)
	v_add_f32_e32 v19, v19, v29
	v_fma_f32 v25, v24, v25, -v26
	s_delay_alu instid0(VALU_DEP_1) | instskip(NEXT) | instid1(VALU_DEP_1)
	v_fmac_f32_e32 v25, v24, v23
	v_add_f32_e32 v23, v26, v25
	s_delay_alu instid0(VALU_DEP_1) | instskip(SKIP_1) | instid1(VALU_DEP_2)
	v_sub_f32_e32 v28, v22, v23
	v_sub_f32_e32 v26, v23, v26
	;; [unrolled: 1-line block ×3, first 2 shown]
	s_delay_alu instid0(VALU_DEP_1) | instskip(NEXT) | instid1(VALU_DEP_3)
	v_sub_f32_e32 v22, v22, v23
	v_sub_f32_e32 v23, v26, v25
	s_delay_alu instid0(VALU_DEP_2) | instskip(SKIP_1) | instid1(VALU_DEP_2)
	v_add_f32_e32 v19, v19, v22
	v_add_f32_e32 v22, v27, v24
	v_add_f32_e32 v19, v23, v19
	s_delay_alu instid0(VALU_DEP_2) | instskip(NEXT) | instid1(VALU_DEP_2)
	v_sub_f32_e32 v23, v22, v27
	v_add_f32_e32 v19, v28, v19
	s_delay_alu instid0(VALU_DEP_2) | instskip(NEXT) | instid1(VALU_DEP_2)
	v_sub_f32_e32 v23, v24, v23
	v_mul_f32_e32 v19, v21, v19
	s_delay_alu instid0(VALU_DEP_1) | instskip(NEXT) | instid1(VALU_DEP_1)
	v_add_f32_e32 v19, v23, v19
	v_add_f32_e32 v21, v22, v19
	s_delay_alu instid0(VALU_DEP_1) | instskip(SKIP_1) | instid1(VALU_DEP_1)
	v_mul_f32_e32 v23, v21, v21
	s_wait_alu 0xfffe
	v_fmaak_f32 v24, s25, v23, 0x3ecc95a3
	v_mul_f32_e32 v25, v21, v23
	v_cmp_neq_f32_e64 s25, 0x7f800000, v20
	s_delay_alu instid0(VALU_DEP_3) | instskip(SKIP_2) | instid1(VALU_DEP_3)
	v_fmaak_f32 v23, v23, v24, 0x3f2aaada
	v_ldexp_f32 v24, v21, 1
	v_sub_f32_e32 v21, v21, v22
	v_mul_f32_e32 v23, v25, v23
	v_mul_f32_e32 v25, 0x3f317218, v18
	s_delay_alu instid0(VALU_DEP_2) | instskip(NEXT) | instid1(VALU_DEP_1)
	v_dual_sub_f32 v19, v19, v21 :: v_dual_add_f32 v22, v24, v23
	v_ldexp_f32 v19, v19, 1
	s_delay_alu instid0(VALU_DEP_2) | instskip(NEXT) | instid1(VALU_DEP_4)
	v_sub_f32_e32 v21, v22, v24
	v_fma_f32 v24, 0x3f317218, v18, -v25
	s_delay_alu instid0(VALU_DEP_1) | instskip(NEXT) | instid1(VALU_DEP_1)
	v_dual_sub_f32 v21, v23, v21 :: v_dual_fmamk_f32 v18, v18, 0xb102e308, v24
	v_add_f32_e32 v19, v19, v21
	s_delay_alu instid0(VALU_DEP_2) | instskip(NEXT) | instid1(VALU_DEP_2)
	v_add_f32_e32 v21, v25, v18
	v_add_f32_e32 v23, v22, v19
	s_delay_alu instid0(VALU_DEP_2) | instskip(NEXT) | instid1(VALU_DEP_2)
	v_sub_f32_e32 v25, v21, v25
	v_add_f32_e32 v24, v21, v23
	v_sub_f32_e32 v22, v23, v22
	s_delay_alu instid0(VALU_DEP_3) | instskip(NEXT) | instid1(VALU_DEP_2)
	v_sub_f32_e32 v18, v18, v25
	v_dual_sub_f32 v26, v24, v21 :: v_dual_sub_f32 v19, v19, v22
	s_delay_alu instid0(VALU_DEP_1) | instskip(NEXT) | instid1(VALU_DEP_2)
	v_sub_f32_e32 v27, v24, v26
	v_dual_sub_f32 v22, v23, v26 :: v_dual_add_f32 v23, v18, v19
	s_delay_alu instid0(VALU_DEP_2) | instskip(NEXT) | instid1(VALU_DEP_1)
	v_sub_f32_e32 v21, v21, v27
	v_dual_add_f32 v21, v22, v21 :: v_dual_sub_f32 v22, v23, v18
	s_delay_alu instid0(VALU_DEP_1) | instskip(NEXT) | instid1(VALU_DEP_2)
	v_add_f32_e32 v21, v23, v21
	v_sub_f32_e32 v23, v23, v22
	v_sub_f32_e32 v19, v19, v22
	s_delay_alu instid0(VALU_DEP_2) | instskip(NEXT) | instid1(VALU_DEP_1)
	v_dual_add_f32 v25, v24, v21 :: v_dual_sub_f32 v18, v18, v23
	v_sub_f32_e32 v22, v25, v24
	s_delay_alu instid0(VALU_DEP_2) | instskip(NEXT) | instid1(VALU_DEP_2)
	v_add_f32_e32 v18, v19, v18
	v_sub_f32_e32 v19, v21, v22
	s_delay_alu instid0(VALU_DEP_1) | instskip(NEXT) | instid1(VALU_DEP_1)
	v_add_f32_e32 v18, v18, v19
	v_add_f32_e32 v18, v25, v18
	s_wait_alu 0xf1ff
	s_delay_alu instid0(VALU_DEP_1) | instskip(SKIP_2) | instid1(VALU_DEP_1)
	v_cndmask_b32_e64 v18, 0x7f800000, v18, s25
	v_cmp_gt_f32_e64 s25, 0x33800000, |v20|
	s_wait_alu 0xf1ff
	v_cndmask_b32_e64 v18, v18, v20, s25
	s_delay_alu instid0(VALU_DEP_1) | instskip(NEXT) | instid1(VALU_DEP_1)
	v_add_f32_e32 v17, v17, v18
	v_cvt_f16_f32_e32 v18, v17
.LBB373_46:
	s_or_b32 exec_lo, exec_lo, s26
	s_load_b64 s[26:27], s[0:1], 0x18
	v_lshrrev_b32_e32 v17, 4, v0
	s_mov_b32 s25, exec_lo
	s_delay_alu instid0(VALU_DEP_1) | instskip(NEXT) | instid1(VALU_DEP_1)
	v_and_b32_e32 v17, 14, v17
	v_lshl_add_u32 v17, v0, 1, v17
	ds_store_b16 v17, v18
	s_wait_loadcnt_dscnt 0x0
	s_barrier_signal -1
	s_barrier_wait -1
	global_inv scope:SCOPE_SE
	v_cmpx_gt_u32_e32 32, v0
	s_cbranch_execz .LBB373_98
; %bb.47:
	v_lshrrev_b32_e32 v17, 1, v0
	v_lshlrev_b32_e32 v19, 4, v0
	s_delay_alu instid0(VALU_DEP_2) | instskip(NEXT) | instid1(VALU_DEP_1)
	v_and_b32_e32 v17, 0x7e, v17
	v_add_nc_u32_e32 v17, v17, v19
	ds_load_u16 v22, v17
	ds_load_u16 v20, v17 offset:2
	s_wait_dscnt 0x1
	v_cvt_f32_f16_e32 v19, v22
	s_wait_dscnt 0x0
	v_cvt_f32_f16_e32 v21, v20
	v_cmp_u_f16_e64 s0, v22, v22
	v_cmp_u_f16_e64 s1, v20, v20
	v_mov_b32_e32 v20, v19
	s_delay_alu instid0(VALU_DEP_4) | instskip(SKIP_1) | instid1(VALU_DEP_2)
	v_min_num_f32_e32 v23, v19, v21
	v_max_num_f32_e32 v24, v19, v21
	v_cndmask_b32_e64 v23, v23, v19, s0
	s_delay_alu instid0(VALU_DEP_2) | instskip(NEXT) | instid1(VALU_DEP_2)
	v_cndmask_b32_e64 v24, v24, v19, s0
	v_cndmask_b32_e64 v23, v23, v21, s1
	s_delay_alu instid0(VALU_DEP_2) | instskip(NEXT) | instid1(VALU_DEP_2)
	v_cndmask_b32_e64 v21, v24, v21, s1
	v_cmp_class_f32_e64 s28, v23, 0x1f8
	s_delay_alu instid0(VALU_DEP_2)
	v_cmp_neq_f32_e64 s1, v23, v21
	s_or_b32 s1, s1, s28
	s_wait_alu 0xfffe
	s_and_saveexec_b32 s28, s1
	s_cbranch_execz .LBB373_49
; %bb.48:
	v_sub_f32_e32 v20, v23, v21
	s_delay_alu instid0(VALU_DEP_1) | instskip(SKIP_1) | instid1(VALU_DEP_2)
	v_mul_f32_e32 v22, 0x3fb8aa3b, v20
	v_cmp_ngt_f32_e64 s1, 0xc2ce8ed0, v20
	v_fma_f32 v23, 0x3fb8aa3b, v20, -v22
	v_rndne_f32_e32 v24, v22
	s_delay_alu instid0(VALU_DEP_1) | instskip(NEXT) | instid1(VALU_DEP_1)
	v_dual_fmamk_f32 v23, v20, 0x32a5705f, v23 :: v_dual_sub_f32 v22, v22, v24
	v_add_f32_e32 v22, v22, v23
	v_cvt_i32_f32_e32 v23, v24
	s_delay_alu instid0(VALU_DEP_2) | instskip(NEXT) | instid1(TRANS32_DEP_1)
	v_exp_f32_e32 v22, v22
	v_ldexp_f32 v22, v22, v23
	s_wait_alu 0xf1ff
	s_delay_alu instid0(VALU_DEP_1) | instskip(SKIP_2) | instid1(VALU_DEP_1)
	v_cndmask_b32_e64 v22, 0, v22, s1
	v_cmp_nlt_f32_e64 s1, 0x42b17218, v20
	s_wait_alu 0xf1ff
	v_cndmask_b32_e64 v20, 0x7f800000, v22, s1
	s_delay_alu instid0(VALU_DEP_1) | instskip(NEXT) | instid1(VALU_DEP_1)
	v_add_f32_e32 v24, 1.0, v20
	v_cvt_f64_f32_e32 v[22:23], v24
	s_delay_alu instid0(VALU_DEP_1) | instskip(SKIP_1) | instid1(VALU_DEP_1)
	v_frexp_exp_i32_f64_e32 v22, v[22:23]
	v_frexp_mant_f32_e32 v23, v24
	v_cmp_gt_f32_e64 s1, 0x3f2aaaab, v23
	v_add_f32_e32 v23, -1.0, v24
	s_delay_alu instid0(VALU_DEP_1) | instskip(NEXT) | instid1(VALU_DEP_1)
	v_dual_sub_f32 v26, v23, v24 :: v_dual_sub_f32 v23, v20, v23
	v_add_f32_e32 v26, 1.0, v26
	s_delay_alu instid0(VALU_DEP_1)
	v_add_f32_e32 v23, v23, v26
	s_wait_alu 0xf1ff
	v_subrev_co_ci_u32_e64 v22, null, 0, v22, s1
	s_mov_b32 s1, 0x3e9b6dac
	v_sub_nc_u32_e32 v25, 0, v22
	v_cvt_f32_i32_e32 v22, v22
	s_delay_alu instid0(VALU_DEP_2) | instskip(SKIP_1) | instid1(VALU_DEP_2)
	v_ldexp_f32 v24, v24, v25
	v_ldexp_f32 v23, v23, v25
	v_add_f32_e32 v27, 1.0, v24
	s_delay_alu instid0(VALU_DEP_1) | instskip(NEXT) | instid1(VALU_DEP_1)
	v_dual_add_f32 v25, -1.0, v24 :: v_dual_add_f32 v26, -1.0, v27
	v_add_f32_e32 v28, 1.0, v25
	s_delay_alu instid0(VALU_DEP_2) | instskip(NEXT) | instid1(VALU_DEP_2)
	v_sub_f32_e32 v26, v24, v26
	v_sub_f32_e32 v24, v24, v28
	s_delay_alu instid0(VALU_DEP_2) | instskip(NEXT) | instid1(VALU_DEP_2)
	v_add_f32_e32 v26, v23, v26
	v_add_f32_e32 v23, v23, v24
	s_delay_alu instid0(VALU_DEP_1) | instskip(NEXT) | instid1(VALU_DEP_1)
	v_dual_add_f32 v29, v25, v23 :: v_dual_add_f32 v28, v27, v26
	v_sub_f32_e32 v25, v25, v29
	s_delay_alu instid0(VALU_DEP_2) | instskip(SKIP_1) | instid1(VALU_DEP_1)
	v_rcp_f32_e32 v24, v28
	v_sub_f32_e32 v27, v27, v28
	v_dual_add_f32 v23, v23, v25 :: v_dual_add_f32 v26, v26, v27
	s_delay_alu instid0(TRANS32_DEP_1) | instskip(NEXT) | instid1(VALU_DEP_1)
	v_mul_f32_e32 v30, v29, v24
	v_mul_f32_e32 v31, v28, v30
	s_delay_alu instid0(VALU_DEP_1) | instskip(NEXT) | instid1(VALU_DEP_1)
	v_fma_f32 v27, v30, v28, -v31
	v_fmac_f32_e32 v27, v30, v26
	s_delay_alu instid0(VALU_DEP_1) | instskip(NEXT) | instid1(VALU_DEP_1)
	v_add_f32_e32 v32, v31, v27
	v_sub_f32_e32 v33, v29, v32
	v_sub_f32_e32 v25, v32, v31
	s_delay_alu instid0(VALU_DEP_2) | instskip(NEXT) | instid1(VALU_DEP_2)
	v_sub_f32_e32 v29, v29, v33
	v_sub_f32_e32 v25, v25, v27
	s_delay_alu instid0(VALU_DEP_2) | instskip(NEXT) | instid1(VALU_DEP_1)
	v_sub_f32_e32 v29, v29, v32
	v_add_f32_e32 v23, v23, v29
	s_delay_alu instid0(VALU_DEP_1) | instskip(NEXT) | instid1(VALU_DEP_1)
	v_add_f32_e32 v23, v25, v23
	v_add_f32_e32 v25, v33, v23
	s_delay_alu instid0(VALU_DEP_1) | instskip(NEXT) | instid1(VALU_DEP_1)
	v_mul_f32_e32 v27, v24, v25
	v_dual_sub_f32 v32, v33, v25 :: v_dual_mul_f32 v29, v28, v27
	s_delay_alu instid0(VALU_DEP_1) | instskip(NEXT) | instid1(VALU_DEP_2)
	v_add_f32_e32 v23, v23, v32
	v_fma_f32 v28, v27, v28, -v29
	s_delay_alu instid0(VALU_DEP_1) | instskip(NEXT) | instid1(VALU_DEP_1)
	v_fmac_f32_e32 v28, v27, v26
	v_add_f32_e32 v26, v29, v28
	s_delay_alu instid0(VALU_DEP_1) | instskip(NEXT) | instid1(VALU_DEP_1)
	v_sub_f32_e32 v31, v25, v26
	v_sub_f32_e32 v25, v25, v31
	s_delay_alu instid0(VALU_DEP_1) | instskip(NEXT) | instid1(VALU_DEP_1)
	v_sub_f32_e32 v25, v25, v26
	v_add_f32_e32 v23, v23, v25
	v_add_f32_e32 v25, v30, v27
	v_sub_f32_e32 v29, v26, v29
	s_delay_alu instid0(VALU_DEP_1) | instskip(NEXT) | instid1(VALU_DEP_1)
	v_sub_f32_e32 v26, v29, v28
	v_dual_add_f32 v23, v26, v23 :: v_dual_sub_f32 v26, v25, v30
	s_delay_alu instid0(VALU_DEP_1) | instskip(NEXT) | instid1(VALU_DEP_1)
	v_add_f32_e32 v23, v31, v23
	v_dual_sub_f32 v26, v27, v26 :: v_dual_mul_f32 v23, v24, v23
	s_delay_alu instid0(VALU_DEP_1) | instskip(NEXT) | instid1(VALU_DEP_1)
	v_add_f32_e32 v23, v26, v23
	v_add_f32_e32 v24, v25, v23
	s_delay_alu instid0(VALU_DEP_1) | instskip(SKIP_1) | instid1(VALU_DEP_1)
	v_mul_f32_e32 v26, v24, v24
	s_wait_alu 0xfffe
	v_fmaak_f32 v27, s1, v26, 0x3ecc95a3
	v_mul_f32_e32 v28, v24, v26
	v_cmp_neq_f32_e64 s1, 0x7f800000, v20
	s_delay_alu instid0(VALU_DEP_3) | instskip(SKIP_2) | instid1(VALU_DEP_3)
	v_fmaak_f32 v26, v26, v27, 0x3f2aaada
	v_ldexp_f32 v27, v24, 1
	v_sub_f32_e32 v24, v24, v25
	v_mul_f32_e32 v26, v28, v26
	s_delay_alu instid0(VALU_DEP_2) | instskip(NEXT) | instid1(VALU_DEP_2)
	v_dual_mul_f32 v28, 0x3f317218, v22 :: v_dual_sub_f32 v23, v23, v24
	v_add_f32_e32 v25, v27, v26
	s_delay_alu instid0(VALU_DEP_2) | instskip(NEXT) | instid1(VALU_DEP_2)
	v_ldexp_f32 v23, v23, 1
	v_sub_f32_e32 v24, v25, v27
	s_delay_alu instid0(VALU_DEP_4) | instskip(NEXT) | instid1(VALU_DEP_2)
	v_fma_f32 v27, 0x3f317218, v22, -v28
	v_sub_f32_e32 v24, v26, v24
	s_delay_alu instid0(VALU_DEP_1) | instskip(NEXT) | instid1(VALU_DEP_1)
	v_dual_fmamk_f32 v22, v22, 0xb102e308, v27 :: v_dual_add_f32 v23, v23, v24
	v_add_f32_e32 v24, v28, v22
	s_delay_alu instid0(VALU_DEP_1) | instskip(NEXT) | instid1(VALU_DEP_1)
	v_sub_f32_e32 v28, v24, v28
	v_sub_f32_e32 v22, v22, v28
	s_delay_alu instid0(VALU_DEP_4) | instskip(NEXT) | instid1(VALU_DEP_1)
	v_add_f32_e32 v26, v25, v23
	v_sub_f32_e32 v25, v26, v25
	s_delay_alu instid0(VALU_DEP_1) | instskip(SKIP_1) | instid1(VALU_DEP_1)
	v_sub_f32_e32 v23, v23, v25
	v_add_f32_e32 v27, v24, v26
	v_sub_f32_e32 v29, v27, v24
	s_delay_alu instid0(VALU_DEP_1) | instskip(NEXT) | instid1(VALU_DEP_4)
	v_sub_f32_e32 v25, v26, v29
	v_add_f32_e32 v26, v22, v23
	v_sub_f32_e32 v30, v27, v29
	s_delay_alu instid0(VALU_DEP_1) | instskip(NEXT) | instid1(VALU_DEP_1)
	v_sub_f32_e32 v24, v24, v30
	v_dual_add_f32 v24, v25, v24 :: v_dual_sub_f32 v25, v26, v22
	s_delay_alu instid0(VALU_DEP_1) | instskip(SKIP_1) | instid1(VALU_DEP_2)
	v_dual_add_f32 v24, v26, v24 :: v_dual_sub_f32 v23, v23, v25
	v_sub_f32_e32 v26, v26, v25
	v_add_f32_e32 v28, v27, v24
	s_delay_alu instid0(VALU_DEP_1) | instskip(NEXT) | instid1(VALU_DEP_1)
	v_dual_sub_f32 v22, v22, v26 :: v_dual_sub_f32 v25, v28, v27
	v_dual_add_f32 v22, v23, v22 :: v_dual_sub_f32 v23, v24, v25
	s_delay_alu instid0(VALU_DEP_1) | instskip(NEXT) | instid1(VALU_DEP_1)
	v_add_f32_e32 v22, v22, v23
	v_add_f32_e32 v22, v28, v22
	s_wait_alu 0xf1ff
	s_delay_alu instid0(VALU_DEP_1) | instskip(SKIP_2) | instid1(VALU_DEP_1)
	v_cndmask_b32_e64 v22, 0x7f800000, v22, s1
	v_cmp_gt_f32_e64 s1, 0x33800000, |v20|
	s_wait_alu 0xf1ff
	v_cndmask_b32_e64 v20, v22, v20, s1
	s_delay_alu instid0(VALU_DEP_1) | instskip(NEXT) | instid1(VALU_DEP_1)
	v_add_f32_e32 v20, v21, v20
	v_cvt_f16_f32_e32 v22, v20
	s_delay_alu instid0(VALU_DEP_1)
	v_cvt_f32_f16_e32 v20, v22
.LBB373_49:
	s_or_b32 exec_lo, exec_lo, s28
	ds_load_u16 v21, v17 offset:4
	v_max_num_f32_e32 v23, v20, v20
	v_cmp_u_f16_e64 s1, v22, v22
	s_wait_dscnt 0x0
	v_cvt_f32_f16_e32 v24, v21
	s_delay_alu instid0(VALU_DEP_1) | instskip(SKIP_2) | instid1(VALU_DEP_2)
	v_min_num_f32_e32 v25, v23, v24
	v_max_num_f32_e32 v23, v23, v24
	s_wait_alu 0xf1ff
	v_cndmask_b32_e64 v25, v25, v20, s1
	s_delay_alu instid0(VALU_DEP_2) | instskip(SKIP_2) | instid1(VALU_DEP_1)
	v_cndmask_b32_e64 v26, v23, v20, s1
	v_cmp_u_f16_e64 s1, v21, v21
	s_wait_alu 0xf1ff
	v_cndmask_b32_e64 v23, v25, v24, s1
	s_delay_alu instid0(VALU_DEP_3) | instskip(NEXT) | instid1(VALU_DEP_2)
	v_cndmask_b32_e64 v21, v26, v24, s1
	v_cmp_class_f32_e64 s28, v23, 0x1f8
	s_delay_alu instid0(VALU_DEP_2)
	v_cmp_neq_f32_e64 s1, v23, v21
	s_or_b32 s1, s1, s28
	s_wait_alu 0xfffe
	s_and_saveexec_b32 s28, s1
	s_cbranch_execz .LBB373_51
; %bb.50:
	v_sub_f32_e32 v20, v23, v21
	s_delay_alu instid0(VALU_DEP_1) | instskip(SKIP_1) | instid1(VALU_DEP_2)
	v_mul_f32_e32 v22, 0x3fb8aa3b, v20
	v_cmp_ngt_f32_e64 s1, 0xc2ce8ed0, v20
	v_fma_f32 v23, 0x3fb8aa3b, v20, -v22
	v_rndne_f32_e32 v24, v22
	s_delay_alu instid0(VALU_DEP_1) | instskip(NEXT) | instid1(VALU_DEP_1)
	v_dual_fmamk_f32 v23, v20, 0x32a5705f, v23 :: v_dual_sub_f32 v22, v22, v24
	v_add_f32_e32 v22, v22, v23
	v_cvt_i32_f32_e32 v23, v24
	s_delay_alu instid0(VALU_DEP_2) | instskip(NEXT) | instid1(TRANS32_DEP_1)
	v_exp_f32_e32 v22, v22
	v_ldexp_f32 v22, v22, v23
	s_wait_alu 0xf1ff
	s_delay_alu instid0(VALU_DEP_1) | instskip(SKIP_2) | instid1(VALU_DEP_1)
	v_cndmask_b32_e64 v22, 0, v22, s1
	v_cmp_nlt_f32_e64 s1, 0x42b17218, v20
	s_wait_alu 0xf1ff
	v_cndmask_b32_e64 v20, 0x7f800000, v22, s1
	s_delay_alu instid0(VALU_DEP_1) | instskip(NEXT) | instid1(VALU_DEP_1)
	v_add_f32_e32 v24, 1.0, v20
	v_cvt_f64_f32_e32 v[22:23], v24
	s_delay_alu instid0(VALU_DEP_1) | instskip(SKIP_1) | instid1(VALU_DEP_1)
	v_frexp_exp_i32_f64_e32 v22, v[22:23]
	v_frexp_mant_f32_e32 v23, v24
	v_cmp_gt_f32_e64 s1, 0x3f2aaaab, v23
	v_add_f32_e32 v23, -1.0, v24
	s_delay_alu instid0(VALU_DEP_1) | instskip(NEXT) | instid1(VALU_DEP_1)
	v_dual_sub_f32 v26, v23, v24 :: v_dual_sub_f32 v23, v20, v23
	v_add_f32_e32 v26, 1.0, v26
	s_delay_alu instid0(VALU_DEP_1)
	v_add_f32_e32 v23, v23, v26
	s_wait_alu 0xf1ff
	v_subrev_co_ci_u32_e64 v22, null, 0, v22, s1
	s_mov_b32 s1, 0x3e9b6dac
	v_sub_nc_u32_e32 v25, 0, v22
	v_cvt_f32_i32_e32 v22, v22
	s_delay_alu instid0(VALU_DEP_2) | instskip(SKIP_1) | instid1(VALU_DEP_2)
	v_ldexp_f32 v24, v24, v25
	v_ldexp_f32 v23, v23, v25
	v_add_f32_e32 v27, 1.0, v24
	s_delay_alu instid0(VALU_DEP_1) | instskip(NEXT) | instid1(VALU_DEP_1)
	v_dual_add_f32 v25, -1.0, v24 :: v_dual_add_f32 v26, -1.0, v27
	v_add_f32_e32 v28, 1.0, v25
	s_delay_alu instid0(VALU_DEP_2) | instskip(NEXT) | instid1(VALU_DEP_2)
	v_sub_f32_e32 v26, v24, v26
	v_sub_f32_e32 v24, v24, v28
	s_delay_alu instid0(VALU_DEP_2) | instskip(NEXT) | instid1(VALU_DEP_2)
	v_add_f32_e32 v26, v23, v26
	v_add_f32_e32 v23, v23, v24
	s_delay_alu instid0(VALU_DEP_1) | instskip(NEXT) | instid1(VALU_DEP_1)
	v_dual_add_f32 v29, v25, v23 :: v_dual_add_f32 v28, v27, v26
	v_sub_f32_e32 v25, v25, v29
	s_delay_alu instid0(VALU_DEP_2) | instskip(SKIP_1) | instid1(VALU_DEP_1)
	v_rcp_f32_e32 v24, v28
	v_sub_f32_e32 v27, v27, v28
	v_dual_add_f32 v23, v23, v25 :: v_dual_add_f32 v26, v26, v27
	s_delay_alu instid0(TRANS32_DEP_1) | instskip(NEXT) | instid1(VALU_DEP_1)
	v_mul_f32_e32 v30, v29, v24
	v_mul_f32_e32 v31, v28, v30
	s_delay_alu instid0(VALU_DEP_1) | instskip(NEXT) | instid1(VALU_DEP_1)
	v_fma_f32 v27, v30, v28, -v31
	v_fmac_f32_e32 v27, v30, v26
	s_delay_alu instid0(VALU_DEP_1) | instskip(NEXT) | instid1(VALU_DEP_1)
	v_add_f32_e32 v32, v31, v27
	v_sub_f32_e32 v33, v29, v32
	v_sub_f32_e32 v25, v32, v31
	s_delay_alu instid0(VALU_DEP_2) | instskip(NEXT) | instid1(VALU_DEP_2)
	v_sub_f32_e32 v29, v29, v33
	v_sub_f32_e32 v25, v25, v27
	s_delay_alu instid0(VALU_DEP_2) | instskip(NEXT) | instid1(VALU_DEP_1)
	v_sub_f32_e32 v29, v29, v32
	v_add_f32_e32 v23, v23, v29
	s_delay_alu instid0(VALU_DEP_1) | instskip(NEXT) | instid1(VALU_DEP_1)
	v_add_f32_e32 v23, v25, v23
	v_add_f32_e32 v25, v33, v23
	s_delay_alu instid0(VALU_DEP_1) | instskip(NEXT) | instid1(VALU_DEP_1)
	v_mul_f32_e32 v27, v24, v25
	v_dual_sub_f32 v32, v33, v25 :: v_dual_mul_f32 v29, v28, v27
	s_delay_alu instid0(VALU_DEP_1) | instskip(NEXT) | instid1(VALU_DEP_2)
	v_add_f32_e32 v23, v23, v32
	v_fma_f32 v28, v27, v28, -v29
	s_delay_alu instid0(VALU_DEP_1) | instskip(NEXT) | instid1(VALU_DEP_1)
	v_fmac_f32_e32 v28, v27, v26
	v_add_f32_e32 v26, v29, v28
	s_delay_alu instid0(VALU_DEP_1) | instskip(NEXT) | instid1(VALU_DEP_1)
	v_sub_f32_e32 v31, v25, v26
	v_sub_f32_e32 v25, v25, v31
	s_delay_alu instid0(VALU_DEP_1) | instskip(NEXT) | instid1(VALU_DEP_1)
	v_sub_f32_e32 v25, v25, v26
	v_add_f32_e32 v23, v23, v25
	v_add_f32_e32 v25, v30, v27
	v_sub_f32_e32 v29, v26, v29
	s_delay_alu instid0(VALU_DEP_1) | instskip(NEXT) | instid1(VALU_DEP_1)
	v_sub_f32_e32 v26, v29, v28
	v_dual_add_f32 v23, v26, v23 :: v_dual_sub_f32 v26, v25, v30
	s_delay_alu instid0(VALU_DEP_1) | instskip(NEXT) | instid1(VALU_DEP_1)
	v_add_f32_e32 v23, v31, v23
	v_dual_sub_f32 v26, v27, v26 :: v_dual_mul_f32 v23, v24, v23
	s_delay_alu instid0(VALU_DEP_1) | instskip(NEXT) | instid1(VALU_DEP_1)
	v_add_f32_e32 v23, v26, v23
	v_add_f32_e32 v24, v25, v23
	s_delay_alu instid0(VALU_DEP_1) | instskip(SKIP_1) | instid1(VALU_DEP_1)
	v_mul_f32_e32 v26, v24, v24
	s_wait_alu 0xfffe
	v_fmaak_f32 v27, s1, v26, 0x3ecc95a3
	v_mul_f32_e32 v28, v24, v26
	v_cmp_neq_f32_e64 s1, 0x7f800000, v20
	s_delay_alu instid0(VALU_DEP_3) | instskip(SKIP_2) | instid1(VALU_DEP_3)
	v_fmaak_f32 v26, v26, v27, 0x3f2aaada
	v_ldexp_f32 v27, v24, 1
	v_sub_f32_e32 v24, v24, v25
	v_mul_f32_e32 v26, v28, v26
	s_delay_alu instid0(VALU_DEP_2) | instskip(NEXT) | instid1(VALU_DEP_2)
	v_dual_mul_f32 v28, 0x3f317218, v22 :: v_dual_sub_f32 v23, v23, v24
	v_add_f32_e32 v25, v27, v26
	s_delay_alu instid0(VALU_DEP_2) | instskip(NEXT) | instid1(VALU_DEP_2)
	v_ldexp_f32 v23, v23, 1
	v_sub_f32_e32 v24, v25, v27
	s_delay_alu instid0(VALU_DEP_4) | instskip(NEXT) | instid1(VALU_DEP_2)
	v_fma_f32 v27, 0x3f317218, v22, -v28
	v_sub_f32_e32 v24, v26, v24
	s_delay_alu instid0(VALU_DEP_1) | instskip(NEXT) | instid1(VALU_DEP_1)
	v_dual_fmamk_f32 v22, v22, 0xb102e308, v27 :: v_dual_add_f32 v23, v23, v24
	v_add_f32_e32 v24, v28, v22
	s_delay_alu instid0(VALU_DEP_1) | instskip(NEXT) | instid1(VALU_DEP_1)
	v_sub_f32_e32 v28, v24, v28
	v_sub_f32_e32 v22, v22, v28
	s_delay_alu instid0(VALU_DEP_4) | instskip(NEXT) | instid1(VALU_DEP_1)
	v_add_f32_e32 v26, v25, v23
	v_sub_f32_e32 v25, v26, v25
	s_delay_alu instid0(VALU_DEP_1) | instskip(SKIP_1) | instid1(VALU_DEP_1)
	v_sub_f32_e32 v23, v23, v25
	v_add_f32_e32 v27, v24, v26
	v_sub_f32_e32 v29, v27, v24
	s_delay_alu instid0(VALU_DEP_1) | instskip(NEXT) | instid1(VALU_DEP_4)
	v_sub_f32_e32 v25, v26, v29
	v_add_f32_e32 v26, v22, v23
	v_sub_f32_e32 v30, v27, v29
	s_delay_alu instid0(VALU_DEP_1) | instskip(NEXT) | instid1(VALU_DEP_1)
	v_sub_f32_e32 v24, v24, v30
	v_dual_add_f32 v24, v25, v24 :: v_dual_sub_f32 v25, v26, v22
	s_delay_alu instid0(VALU_DEP_1) | instskip(SKIP_1) | instid1(VALU_DEP_2)
	v_dual_add_f32 v24, v26, v24 :: v_dual_sub_f32 v23, v23, v25
	v_sub_f32_e32 v26, v26, v25
	v_add_f32_e32 v28, v27, v24
	s_delay_alu instid0(VALU_DEP_1) | instskip(NEXT) | instid1(VALU_DEP_1)
	v_dual_sub_f32 v22, v22, v26 :: v_dual_sub_f32 v25, v28, v27
	v_dual_add_f32 v22, v23, v22 :: v_dual_sub_f32 v23, v24, v25
	s_delay_alu instid0(VALU_DEP_1) | instskip(NEXT) | instid1(VALU_DEP_1)
	v_add_f32_e32 v22, v22, v23
	v_add_f32_e32 v22, v28, v22
	s_wait_alu 0xf1ff
	s_delay_alu instid0(VALU_DEP_1) | instskip(SKIP_2) | instid1(VALU_DEP_1)
	v_cndmask_b32_e64 v22, 0x7f800000, v22, s1
	v_cmp_gt_f32_e64 s1, 0x33800000, |v20|
	s_wait_alu 0xf1ff
	v_cndmask_b32_e64 v20, v22, v20, s1
	s_delay_alu instid0(VALU_DEP_1) | instskip(NEXT) | instid1(VALU_DEP_1)
	v_add_f32_e32 v20, v21, v20
	v_cvt_f16_f32_e32 v22, v20
	s_delay_alu instid0(VALU_DEP_1)
	v_cvt_f32_f16_e32 v20, v22
.LBB373_51:
	s_or_b32 exec_lo, exec_lo, s28
	ds_load_u16 v21, v17 offset:6
	v_max_num_f32_e32 v23, v20, v20
	v_cmp_u_f16_e64 s1, v22, v22
	s_wait_dscnt 0x0
	v_cvt_f32_f16_e32 v24, v21
	s_delay_alu instid0(VALU_DEP_1) | instskip(SKIP_2) | instid1(VALU_DEP_2)
	v_min_num_f32_e32 v25, v23, v24
	v_max_num_f32_e32 v23, v23, v24
	s_wait_alu 0xf1ff
	v_cndmask_b32_e64 v25, v25, v20, s1
	s_delay_alu instid0(VALU_DEP_2) | instskip(SKIP_2) | instid1(VALU_DEP_1)
	v_cndmask_b32_e64 v26, v23, v20, s1
	v_cmp_u_f16_e64 s1, v21, v21
	s_wait_alu 0xf1ff
	v_cndmask_b32_e64 v23, v25, v24, s1
	s_delay_alu instid0(VALU_DEP_3) | instskip(NEXT) | instid1(VALU_DEP_2)
	v_cndmask_b32_e64 v21, v26, v24, s1
	v_cmp_class_f32_e64 s28, v23, 0x1f8
	s_delay_alu instid0(VALU_DEP_2)
	v_cmp_neq_f32_e64 s1, v23, v21
	s_or_b32 s1, s1, s28
	s_wait_alu 0xfffe
	s_and_saveexec_b32 s28, s1
	s_cbranch_execz .LBB373_53
; %bb.52:
	v_sub_f32_e32 v20, v23, v21
	s_delay_alu instid0(VALU_DEP_1) | instskip(SKIP_1) | instid1(VALU_DEP_2)
	v_mul_f32_e32 v22, 0x3fb8aa3b, v20
	v_cmp_ngt_f32_e64 s1, 0xc2ce8ed0, v20
	v_fma_f32 v23, 0x3fb8aa3b, v20, -v22
	v_rndne_f32_e32 v24, v22
	s_delay_alu instid0(VALU_DEP_1) | instskip(NEXT) | instid1(VALU_DEP_1)
	v_dual_fmamk_f32 v23, v20, 0x32a5705f, v23 :: v_dual_sub_f32 v22, v22, v24
	v_add_f32_e32 v22, v22, v23
	v_cvt_i32_f32_e32 v23, v24
	s_delay_alu instid0(VALU_DEP_2) | instskip(NEXT) | instid1(TRANS32_DEP_1)
	v_exp_f32_e32 v22, v22
	v_ldexp_f32 v22, v22, v23
	s_wait_alu 0xf1ff
	s_delay_alu instid0(VALU_DEP_1) | instskip(SKIP_2) | instid1(VALU_DEP_1)
	v_cndmask_b32_e64 v22, 0, v22, s1
	v_cmp_nlt_f32_e64 s1, 0x42b17218, v20
	s_wait_alu 0xf1ff
	v_cndmask_b32_e64 v20, 0x7f800000, v22, s1
	s_delay_alu instid0(VALU_DEP_1) | instskip(NEXT) | instid1(VALU_DEP_1)
	v_add_f32_e32 v24, 1.0, v20
	v_cvt_f64_f32_e32 v[22:23], v24
	s_delay_alu instid0(VALU_DEP_1) | instskip(SKIP_1) | instid1(VALU_DEP_1)
	v_frexp_exp_i32_f64_e32 v22, v[22:23]
	v_frexp_mant_f32_e32 v23, v24
	v_cmp_gt_f32_e64 s1, 0x3f2aaaab, v23
	v_add_f32_e32 v23, -1.0, v24
	s_delay_alu instid0(VALU_DEP_1) | instskip(NEXT) | instid1(VALU_DEP_1)
	v_dual_sub_f32 v26, v23, v24 :: v_dual_sub_f32 v23, v20, v23
	v_add_f32_e32 v26, 1.0, v26
	s_delay_alu instid0(VALU_DEP_1)
	v_add_f32_e32 v23, v23, v26
	s_wait_alu 0xf1ff
	v_subrev_co_ci_u32_e64 v22, null, 0, v22, s1
	s_mov_b32 s1, 0x3e9b6dac
	v_sub_nc_u32_e32 v25, 0, v22
	v_cvt_f32_i32_e32 v22, v22
	s_delay_alu instid0(VALU_DEP_2) | instskip(SKIP_1) | instid1(VALU_DEP_2)
	v_ldexp_f32 v24, v24, v25
	v_ldexp_f32 v23, v23, v25
	v_add_f32_e32 v27, 1.0, v24
	s_delay_alu instid0(VALU_DEP_1) | instskip(NEXT) | instid1(VALU_DEP_1)
	v_dual_add_f32 v25, -1.0, v24 :: v_dual_add_f32 v26, -1.0, v27
	v_add_f32_e32 v28, 1.0, v25
	s_delay_alu instid0(VALU_DEP_2) | instskip(NEXT) | instid1(VALU_DEP_2)
	v_sub_f32_e32 v26, v24, v26
	v_sub_f32_e32 v24, v24, v28
	s_delay_alu instid0(VALU_DEP_2) | instskip(NEXT) | instid1(VALU_DEP_2)
	v_add_f32_e32 v26, v23, v26
	v_add_f32_e32 v23, v23, v24
	s_delay_alu instid0(VALU_DEP_1) | instskip(NEXT) | instid1(VALU_DEP_1)
	v_dual_add_f32 v29, v25, v23 :: v_dual_add_f32 v28, v27, v26
	v_sub_f32_e32 v25, v25, v29
	s_delay_alu instid0(VALU_DEP_2) | instskip(SKIP_1) | instid1(VALU_DEP_1)
	v_rcp_f32_e32 v24, v28
	v_sub_f32_e32 v27, v27, v28
	v_dual_add_f32 v23, v23, v25 :: v_dual_add_f32 v26, v26, v27
	s_delay_alu instid0(TRANS32_DEP_1) | instskip(NEXT) | instid1(VALU_DEP_1)
	v_mul_f32_e32 v30, v29, v24
	v_mul_f32_e32 v31, v28, v30
	s_delay_alu instid0(VALU_DEP_1) | instskip(NEXT) | instid1(VALU_DEP_1)
	v_fma_f32 v27, v30, v28, -v31
	v_fmac_f32_e32 v27, v30, v26
	s_delay_alu instid0(VALU_DEP_1) | instskip(NEXT) | instid1(VALU_DEP_1)
	v_add_f32_e32 v32, v31, v27
	v_sub_f32_e32 v33, v29, v32
	v_sub_f32_e32 v25, v32, v31
	s_delay_alu instid0(VALU_DEP_2) | instskip(NEXT) | instid1(VALU_DEP_2)
	v_sub_f32_e32 v29, v29, v33
	v_sub_f32_e32 v25, v25, v27
	s_delay_alu instid0(VALU_DEP_2) | instskip(NEXT) | instid1(VALU_DEP_1)
	v_sub_f32_e32 v29, v29, v32
	v_add_f32_e32 v23, v23, v29
	s_delay_alu instid0(VALU_DEP_1) | instskip(NEXT) | instid1(VALU_DEP_1)
	v_add_f32_e32 v23, v25, v23
	v_add_f32_e32 v25, v33, v23
	s_delay_alu instid0(VALU_DEP_1) | instskip(NEXT) | instid1(VALU_DEP_1)
	v_mul_f32_e32 v27, v24, v25
	v_dual_sub_f32 v32, v33, v25 :: v_dual_mul_f32 v29, v28, v27
	s_delay_alu instid0(VALU_DEP_1) | instskip(NEXT) | instid1(VALU_DEP_2)
	v_add_f32_e32 v23, v23, v32
	v_fma_f32 v28, v27, v28, -v29
	s_delay_alu instid0(VALU_DEP_1) | instskip(NEXT) | instid1(VALU_DEP_1)
	v_fmac_f32_e32 v28, v27, v26
	v_add_f32_e32 v26, v29, v28
	s_delay_alu instid0(VALU_DEP_1) | instskip(NEXT) | instid1(VALU_DEP_1)
	v_sub_f32_e32 v31, v25, v26
	v_sub_f32_e32 v25, v25, v31
	s_delay_alu instid0(VALU_DEP_1) | instskip(NEXT) | instid1(VALU_DEP_1)
	v_sub_f32_e32 v25, v25, v26
	v_add_f32_e32 v23, v23, v25
	v_add_f32_e32 v25, v30, v27
	v_sub_f32_e32 v29, v26, v29
	s_delay_alu instid0(VALU_DEP_1) | instskip(NEXT) | instid1(VALU_DEP_1)
	v_sub_f32_e32 v26, v29, v28
	v_dual_add_f32 v23, v26, v23 :: v_dual_sub_f32 v26, v25, v30
	s_delay_alu instid0(VALU_DEP_1) | instskip(NEXT) | instid1(VALU_DEP_1)
	v_add_f32_e32 v23, v31, v23
	v_dual_sub_f32 v26, v27, v26 :: v_dual_mul_f32 v23, v24, v23
	s_delay_alu instid0(VALU_DEP_1) | instskip(NEXT) | instid1(VALU_DEP_1)
	v_add_f32_e32 v23, v26, v23
	v_add_f32_e32 v24, v25, v23
	s_delay_alu instid0(VALU_DEP_1) | instskip(SKIP_1) | instid1(VALU_DEP_1)
	v_mul_f32_e32 v26, v24, v24
	s_wait_alu 0xfffe
	v_fmaak_f32 v27, s1, v26, 0x3ecc95a3
	v_mul_f32_e32 v28, v24, v26
	v_cmp_neq_f32_e64 s1, 0x7f800000, v20
	s_delay_alu instid0(VALU_DEP_3) | instskip(SKIP_2) | instid1(VALU_DEP_3)
	v_fmaak_f32 v26, v26, v27, 0x3f2aaada
	v_ldexp_f32 v27, v24, 1
	v_sub_f32_e32 v24, v24, v25
	v_mul_f32_e32 v26, v28, v26
	s_delay_alu instid0(VALU_DEP_2) | instskip(NEXT) | instid1(VALU_DEP_2)
	v_dual_mul_f32 v28, 0x3f317218, v22 :: v_dual_sub_f32 v23, v23, v24
	v_add_f32_e32 v25, v27, v26
	s_delay_alu instid0(VALU_DEP_2) | instskip(NEXT) | instid1(VALU_DEP_2)
	v_ldexp_f32 v23, v23, 1
	v_sub_f32_e32 v24, v25, v27
	s_delay_alu instid0(VALU_DEP_4) | instskip(NEXT) | instid1(VALU_DEP_2)
	v_fma_f32 v27, 0x3f317218, v22, -v28
	v_sub_f32_e32 v24, v26, v24
	s_delay_alu instid0(VALU_DEP_1) | instskip(NEXT) | instid1(VALU_DEP_1)
	v_dual_fmamk_f32 v22, v22, 0xb102e308, v27 :: v_dual_add_f32 v23, v23, v24
	v_add_f32_e32 v24, v28, v22
	s_delay_alu instid0(VALU_DEP_1) | instskip(NEXT) | instid1(VALU_DEP_1)
	v_sub_f32_e32 v28, v24, v28
	v_sub_f32_e32 v22, v22, v28
	s_delay_alu instid0(VALU_DEP_4) | instskip(NEXT) | instid1(VALU_DEP_1)
	v_add_f32_e32 v26, v25, v23
	v_sub_f32_e32 v25, v26, v25
	s_delay_alu instid0(VALU_DEP_1) | instskip(SKIP_1) | instid1(VALU_DEP_1)
	v_sub_f32_e32 v23, v23, v25
	v_add_f32_e32 v27, v24, v26
	v_sub_f32_e32 v29, v27, v24
	s_delay_alu instid0(VALU_DEP_1) | instskip(NEXT) | instid1(VALU_DEP_4)
	v_sub_f32_e32 v25, v26, v29
	v_add_f32_e32 v26, v22, v23
	v_sub_f32_e32 v30, v27, v29
	s_delay_alu instid0(VALU_DEP_1) | instskip(NEXT) | instid1(VALU_DEP_1)
	v_sub_f32_e32 v24, v24, v30
	v_dual_add_f32 v24, v25, v24 :: v_dual_sub_f32 v25, v26, v22
	s_delay_alu instid0(VALU_DEP_1) | instskip(SKIP_1) | instid1(VALU_DEP_2)
	v_dual_add_f32 v24, v26, v24 :: v_dual_sub_f32 v23, v23, v25
	v_sub_f32_e32 v26, v26, v25
	v_add_f32_e32 v28, v27, v24
	s_delay_alu instid0(VALU_DEP_1) | instskip(NEXT) | instid1(VALU_DEP_1)
	v_dual_sub_f32 v22, v22, v26 :: v_dual_sub_f32 v25, v28, v27
	v_dual_add_f32 v22, v23, v22 :: v_dual_sub_f32 v23, v24, v25
	s_delay_alu instid0(VALU_DEP_1) | instskip(NEXT) | instid1(VALU_DEP_1)
	v_add_f32_e32 v22, v22, v23
	v_add_f32_e32 v22, v28, v22
	s_wait_alu 0xf1ff
	s_delay_alu instid0(VALU_DEP_1) | instskip(SKIP_2) | instid1(VALU_DEP_1)
	v_cndmask_b32_e64 v22, 0x7f800000, v22, s1
	v_cmp_gt_f32_e64 s1, 0x33800000, |v20|
	s_wait_alu 0xf1ff
	v_cndmask_b32_e64 v20, v22, v20, s1
	s_delay_alu instid0(VALU_DEP_1) | instskip(NEXT) | instid1(VALU_DEP_1)
	v_add_f32_e32 v20, v21, v20
	v_cvt_f16_f32_e32 v22, v20
	s_delay_alu instid0(VALU_DEP_1)
	v_cvt_f32_f16_e32 v20, v22
.LBB373_53:
	s_or_b32 exec_lo, exec_lo, s28
	ds_load_u16 v21, v17 offset:8
	v_max_num_f32_e32 v23, v20, v20
	v_cmp_u_f16_e64 s1, v22, v22
	s_wait_dscnt 0x0
	v_cvt_f32_f16_e32 v24, v21
	s_delay_alu instid0(VALU_DEP_1) | instskip(SKIP_2) | instid1(VALU_DEP_2)
	v_min_num_f32_e32 v25, v23, v24
	v_max_num_f32_e32 v23, v23, v24
	s_wait_alu 0xf1ff
	v_cndmask_b32_e64 v25, v25, v20, s1
	s_delay_alu instid0(VALU_DEP_2) | instskip(SKIP_2) | instid1(VALU_DEP_1)
	v_cndmask_b32_e64 v26, v23, v20, s1
	v_cmp_u_f16_e64 s1, v21, v21
	s_wait_alu 0xf1ff
	v_cndmask_b32_e64 v23, v25, v24, s1
	s_delay_alu instid0(VALU_DEP_3) | instskip(NEXT) | instid1(VALU_DEP_2)
	v_cndmask_b32_e64 v21, v26, v24, s1
	v_cmp_class_f32_e64 s28, v23, 0x1f8
	s_delay_alu instid0(VALU_DEP_2)
	v_cmp_neq_f32_e64 s1, v23, v21
	s_or_b32 s1, s1, s28
	s_wait_alu 0xfffe
	s_and_saveexec_b32 s28, s1
	s_cbranch_execz .LBB373_55
; %bb.54:
	v_sub_f32_e32 v20, v23, v21
	s_delay_alu instid0(VALU_DEP_1) | instskip(SKIP_1) | instid1(VALU_DEP_2)
	v_mul_f32_e32 v22, 0x3fb8aa3b, v20
	v_cmp_ngt_f32_e64 s1, 0xc2ce8ed0, v20
	v_fma_f32 v23, 0x3fb8aa3b, v20, -v22
	v_rndne_f32_e32 v24, v22
	s_delay_alu instid0(VALU_DEP_1) | instskip(NEXT) | instid1(VALU_DEP_1)
	v_dual_fmamk_f32 v23, v20, 0x32a5705f, v23 :: v_dual_sub_f32 v22, v22, v24
	v_add_f32_e32 v22, v22, v23
	v_cvt_i32_f32_e32 v23, v24
	s_delay_alu instid0(VALU_DEP_2) | instskip(NEXT) | instid1(TRANS32_DEP_1)
	v_exp_f32_e32 v22, v22
	v_ldexp_f32 v22, v22, v23
	s_wait_alu 0xf1ff
	s_delay_alu instid0(VALU_DEP_1) | instskip(SKIP_2) | instid1(VALU_DEP_1)
	v_cndmask_b32_e64 v22, 0, v22, s1
	v_cmp_nlt_f32_e64 s1, 0x42b17218, v20
	s_wait_alu 0xf1ff
	v_cndmask_b32_e64 v20, 0x7f800000, v22, s1
	s_delay_alu instid0(VALU_DEP_1) | instskip(NEXT) | instid1(VALU_DEP_1)
	v_add_f32_e32 v24, 1.0, v20
	v_cvt_f64_f32_e32 v[22:23], v24
	s_delay_alu instid0(VALU_DEP_1) | instskip(SKIP_1) | instid1(VALU_DEP_1)
	v_frexp_exp_i32_f64_e32 v22, v[22:23]
	v_frexp_mant_f32_e32 v23, v24
	v_cmp_gt_f32_e64 s1, 0x3f2aaaab, v23
	v_add_f32_e32 v23, -1.0, v24
	s_delay_alu instid0(VALU_DEP_1) | instskip(NEXT) | instid1(VALU_DEP_1)
	v_dual_sub_f32 v26, v23, v24 :: v_dual_sub_f32 v23, v20, v23
	v_add_f32_e32 v26, 1.0, v26
	s_delay_alu instid0(VALU_DEP_1)
	v_add_f32_e32 v23, v23, v26
	s_wait_alu 0xf1ff
	v_subrev_co_ci_u32_e64 v22, null, 0, v22, s1
	s_mov_b32 s1, 0x3e9b6dac
	v_sub_nc_u32_e32 v25, 0, v22
	v_cvt_f32_i32_e32 v22, v22
	s_delay_alu instid0(VALU_DEP_2) | instskip(SKIP_1) | instid1(VALU_DEP_2)
	v_ldexp_f32 v24, v24, v25
	v_ldexp_f32 v23, v23, v25
	v_add_f32_e32 v27, 1.0, v24
	s_delay_alu instid0(VALU_DEP_1) | instskip(NEXT) | instid1(VALU_DEP_1)
	v_dual_add_f32 v25, -1.0, v24 :: v_dual_add_f32 v26, -1.0, v27
	v_add_f32_e32 v28, 1.0, v25
	s_delay_alu instid0(VALU_DEP_2) | instskip(NEXT) | instid1(VALU_DEP_2)
	v_sub_f32_e32 v26, v24, v26
	v_sub_f32_e32 v24, v24, v28
	s_delay_alu instid0(VALU_DEP_2) | instskip(NEXT) | instid1(VALU_DEP_2)
	v_add_f32_e32 v26, v23, v26
	v_add_f32_e32 v23, v23, v24
	s_delay_alu instid0(VALU_DEP_1) | instskip(NEXT) | instid1(VALU_DEP_1)
	v_dual_add_f32 v29, v25, v23 :: v_dual_add_f32 v28, v27, v26
	v_sub_f32_e32 v25, v25, v29
	s_delay_alu instid0(VALU_DEP_2) | instskip(SKIP_1) | instid1(VALU_DEP_1)
	v_rcp_f32_e32 v24, v28
	v_sub_f32_e32 v27, v27, v28
	v_dual_add_f32 v23, v23, v25 :: v_dual_add_f32 v26, v26, v27
	s_delay_alu instid0(TRANS32_DEP_1) | instskip(NEXT) | instid1(VALU_DEP_1)
	v_mul_f32_e32 v30, v29, v24
	v_mul_f32_e32 v31, v28, v30
	s_delay_alu instid0(VALU_DEP_1) | instskip(NEXT) | instid1(VALU_DEP_1)
	v_fma_f32 v27, v30, v28, -v31
	v_fmac_f32_e32 v27, v30, v26
	s_delay_alu instid0(VALU_DEP_1) | instskip(NEXT) | instid1(VALU_DEP_1)
	v_add_f32_e32 v32, v31, v27
	v_sub_f32_e32 v33, v29, v32
	v_sub_f32_e32 v25, v32, v31
	s_delay_alu instid0(VALU_DEP_2) | instskip(NEXT) | instid1(VALU_DEP_2)
	v_sub_f32_e32 v29, v29, v33
	v_sub_f32_e32 v25, v25, v27
	s_delay_alu instid0(VALU_DEP_2) | instskip(NEXT) | instid1(VALU_DEP_1)
	v_sub_f32_e32 v29, v29, v32
	v_add_f32_e32 v23, v23, v29
	s_delay_alu instid0(VALU_DEP_1) | instskip(NEXT) | instid1(VALU_DEP_1)
	v_add_f32_e32 v23, v25, v23
	v_add_f32_e32 v25, v33, v23
	s_delay_alu instid0(VALU_DEP_1) | instskip(NEXT) | instid1(VALU_DEP_1)
	v_mul_f32_e32 v27, v24, v25
	v_dual_sub_f32 v32, v33, v25 :: v_dual_mul_f32 v29, v28, v27
	s_delay_alu instid0(VALU_DEP_1) | instskip(NEXT) | instid1(VALU_DEP_2)
	v_add_f32_e32 v23, v23, v32
	v_fma_f32 v28, v27, v28, -v29
	s_delay_alu instid0(VALU_DEP_1) | instskip(NEXT) | instid1(VALU_DEP_1)
	v_fmac_f32_e32 v28, v27, v26
	v_add_f32_e32 v26, v29, v28
	s_delay_alu instid0(VALU_DEP_1) | instskip(NEXT) | instid1(VALU_DEP_1)
	v_sub_f32_e32 v31, v25, v26
	v_sub_f32_e32 v25, v25, v31
	s_delay_alu instid0(VALU_DEP_1) | instskip(NEXT) | instid1(VALU_DEP_1)
	v_sub_f32_e32 v25, v25, v26
	v_add_f32_e32 v23, v23, v25
	v_add_f32_e32 v25, v30, v27
	v_sub_f32_e32 v29, v26, v29
	s_delay_alu instid0(VALU_DEP_1) | instskip(NEXT) | instid1(VALU_DEP_1)
	v_sub_f32_e32 v26, v29, v28
	v_dual_add_f32 v23, v26, v23 :: v_dual_sub_f32 v26, v25, v30
	s_delay_alu instid0(VALU_DEP_1) | instskip(NEXT) | instid1(VALU_DEP_1)
	v_add_f32_e32 v23, v31, v23
	v_dual_sub_f32 v26, v27, v26 :: v_dual_mul_f32 v23, v24, v23
	s_delay_alu instid0(VALU_DEP_1) | instskip(NEXT) | instid1(VALU_DEP_1)
	v_add_f32_e32 v23, v26, v23
	v_add_f32_e32 v24, v25, v23
	s_delay_alu instid0(VALU_DEP_1) | instskip(SKIP_1) | instid1(VALU_DEP_1)
	v_mul_f32_e32 v26, v24, v24
	s_wait_alu 0xfffe
	v_fmaak_f32 v27, s1, v26, 0x3ecc95a3
	v_mul_f32_e32 v28, v24, v26
	v_cmp_neq_f32_e64 s1, 0x7f800000, v20
	s_delay_alu instid0(VALU_DEP_3) | instskip(SKIP_2) | instid1(VALU_DEP_3)
	v_fmaak_f32 v26, v26, v27, 0x3f2aaada
	v_ldexp_f32 v27, v24, 1
	v_sub_f32_e32 v24, v24, v25
	v_mul_f32_e32 v26, v28, v26
	s_delay_alu instid0(VALU_DEP_2) | instskip(NEXT) | instid1(VALU_DEP_2)
	v_dual_mul_f32 v28, 0x3f317218, v22 :: v_dual_sub_f32 v23, v23, v24
	v_add_f32_e32 v25, v27, v26
	s_delay_alu instid0(VALU_DEP_2) | instskip(NEXT) | instid1(VALU_DEP_2)
	v_ldexp_f32 v23, v23, 1
	v_sub_f32_e32 v24, v25, v27
	s_delay_alu instid0(VALU_DEP_4) | instskip(NEXT) | instid1(VALU_DEP_2)
	v_fma_f32 v27, 0x3f317218, v22, -v28
	v_sub_f32_e32 v24, v26, v24
	s_delay_alu instid0(VALU_DEP_1) | instskip(NEXT) | instid1(VALU_DEP_1)
	v_dual_fmamk_f32 v22, v22, 0xb102e308, v27 :: v_dual_add_f32 v23, v23, v24
	v_add_f32_e32 v24, v28, v22
	s_delay_alu instid0(VALU_DEP_1) | instskip(NEXT) | instid1(VALU_DEP_1)
	v_sub_f32_e32 v28, v24, v28
	v_sub_f32_e32 v22, v22, v28
	s_delay_alu instid0(VALU_DEP_4) | instskip(NEXT) | instid1(VALU_DEP_1)
	v_add_f32_e32 v26, v25, v23
	v_sub_f32_e32 v25, v26, v25
	s_delay_alu instid0(VALU_DEP_1) | instskip(SKIP_1) | instid1(VALU_DEP_1)
	v_sub_f32_e32 v23, v23, v25
	v_add_f32_e32 v27, v24, v26
	v_sub_f32_e32 v29, v27, v24
	s_delay_alu instid0(VALU_DEP_1) | instskip(NEXT) | instid1(VALU_DEP_4)
	v_sub_f32_e32 v25, v26, v29
	v_add_f32_e32 v26, v22, v23
	v_sub_f32_e32 v30, v27, v29
	s_delay_alu instid0(VALU_DEP_1) | instskip(NEXT) | instid1(VALU_DEP_1)
	v_sub_f32_e32 v24, v24, v30
	v_dual_add_f32 v24, v25, v24 :: v_dual_sub_f32 v25, v26, v22
	s_delay_alu instid0(VALU_DEP_1) | instskip(SKIP_1) | instid1(VALU_DEP_2)
	v_dual_add_f32 v24, v26, v24 :: v_dual_sub_f32 v23, v23, v25
	v_sub_f32_e32 v26, v26, v25
	v_add_f32_e32 v28, v27, v24
	s_delay_alu instid0(VALU_DEP_1) | instskip(NEXT) | instid1(VALU_DEP_1)
	v_dual_sub_f32 v22, v22, v26 :: v_dual_sub_f32 v25, v28, v27
	v_dual_add_f32 v22, v23, v22 :: v_dual_sub_f32 v23, v24, v25
	s_delay_alu instid0(VALU_DEP_1) | instskip(NEXT) | instid1(VALU_DEP_1)
	v_add_f32_e32 v22, v22, v23
	v_add_f32_e32 v22, v28, v22
	s_wait_alu 0xf1ff
	s_delay_alu instid0(VALU_DEP_1) | instskip(SKIP_2) | instid1(VALU_DEP_1)
	v_cndmask_b32_e64 v22, 0x7f800000, v22, s1
	v_cmp_gt_f32_e64 s1, 0x33800000, |v20|
	s_wait_alu 0xf1ff
	v_cndmask_b32_e64 v20, v22, v20, s1
	s_delay_alu instid0(VALU_DEP_1) | instskip(NEXT) | instid1(VALU_DEP_1)
	v_add_f32_e32 v20, v21, v20
	v_cvt_f16_f32_e32 v22, v20
	s_delay_alu instid0(VALU_DEP_1)
	v_cvt_f32_f16_e32 v20, v22
.LBB373_55:
	s_or_b32 exec_lo, exec_lo, s28
	ds_load_u16 v21, v17 offset:10
	v_max_num_f32_e32 v23, v20, v20
	v_cmp_u_f16_e64 s1, v22, v22
	s_wait_dscnt 0x0
	v_cvt_f32_f16_e32 v24, v21
	s_delay_alu instid0(VALU_DEP_1) | instskip(SKIP_2) | instid1(VALU_DEP_2)
	v_min_num_f32_e32 v25, v23, v24
	v_max_num_f32_e32 v23, v23, v24
	s_wait_alu 0xf1ff
	v_cndmask_b32_e64 v25, v25, v20, s1
	s_delay_alu instid0(VALU_DEP_2) | instskip(SKIP_2) | instid1(VALU_DEP_1)
	v_cndmask_b32_e64 v26, v23, v20, s1
	v_cmp_u_f16_e64 s1, v21, v21
	s_wait_alu 0xf1ff
	v_cndmask_b32_e64 v23, v25, v24, s1
	s_delay_alu instid0(VALU_DEP_3) | instskip(NEXT) | instid1(VALU_DEP_2)
	v_cndmask_b32_e64 v21, v26, v24, s1
	v_cmp_class_f32_e64 s28, v23, 0x1f8
	s_delay_alu instid0(VALU_DEP_2)
	v_cmp_neq_f32_e64 s1, v23, v21
	s_or_b32 s1, s1, s28
	s_wait_alu 0xfffe
	s_and_saveexec_b32 s28, s1
	s_cbranch_execz .LBB373_57
; %bb.56:
	v_sub_f32_e32 v20, v23, v21
	s_delay_alu instid0(VALU_DEP_1) | instskip(SKIP_1) | instid1(VALU_DEP_2)
	v_mul_f32_e32 v22, 0x3fb8aa3b, v20
	v_cmp_ngt_f32_e64 s1, 0xc2ce8ed0, v20
	v_fma_f32 v23, 0x3fb8aa3b, v20, -v22
	v_rndne_f32_e32 v24, v22
	s_delay_alu instid0(VALU_DEP_1) | instskip(NEXT) | instid1(VALU_DEP_1)
	v_dual_fmamk_f32 v23, v20, 0x32a5705f, v23 :: v_dual_sub_f32 v22, v22, v24
	v_add_f32_e32 v22, v22, v23
	v_cvt_i32_f32_e32 v23, v24
	s_delay_alu instid0(VALU_DEP_2) | instskip(NEXT) | instid1(TRANS32_DEP_1)
	v_exp_f32_e32 v22, v22
	v_ldexp_f32 v22, v22, v23
	s_wait_alu 0xf1ff
	s_delay_alu instid0(VALU_DEP_1) | instskip(SKIP_2) | instid1(VALU_DEP_1)
	v_cndmask_b32_e64 v22, 0, v22, s1
	v_cmp_nlt_f32_e64 s1, 0x42b17218, v20
	s_wait_alu 0xf1ff
	v_cndmask_b32_e64 v20, 0x7f800000, v22, s1
	s_delay_alu instid0(VALU_DEP_1) | instskip(NEXT) | instid1(VALU_DEP_1)
	v_add_f32_e32 v24, 1.0, v20
	v_cvt_f64_f32_e32 v[22:23], v24
	s_delay_alu instid0(VALU_DEP_1) | instskip(SKIP_1) | instid1(VALU_DEP_1)
	v_frexp_exp_i32_f64_e32 v22, v[22:23]
	v_frexp_mant_f32_e32 v23, v24
	v_cmp_gt_f32_e64 s1, 0x3f2aaaab, v23
	v_add_f32_e32 v23, -1.0, v24
	s_delay_alu instid0(VALU_DEP_1) | instskip(NEXT) | instid1(VALU_DEP_1)
	v_dual_sub_f32 v26, v23, v24 :: v_dual_sub_f32 v23, v20, v23
	v_add_f32_e32 v26, 1.0, v26
	s_delay_alu instid0(VALU_DEP_1)
	v_add_f32_e32 v23, v23, v26
	s_wait_alu 0xf1ff
	v_subrev_co_ci_u32_e64 v22, null, 0, v22, s1
	s_mov_b32 s1, 0x3e9b6dac
	v_sub_nc_u32_e32 v25, 0, v22
	v_cvt_f32_i32_e32 v22, v22
	s_delay_alu instid0(VALU_DEP_2) | instskip(SKIP_1) | instid1(VALU_DEP_2)
	v_ldexp_f32 v24, v24, v25
	v_ldexp_f32 v23, v23, v25
	v_add_f32_e32 v27, 1.0, v24
	s_delay_alu instid0(VALU_DEP_1) | instskip(NEXT) | instid1(VALU_DEP_1)
	v_dual_add_f32 v25, -1.0, v24 :: v_dual_add_f32 v26, -1.0, v27
	v_add_f32_e32 v28, 1.0, v25
	s_delay_alu instid0(VALU_DEP_2) | instskip(NEXT) | instid1(VALU_DEP_2)
	v_sub_f32_e32 v26, v24, v26
	v_sub_f32_e32 v24, v24, v28
	s_delay_alu instid0(VALU_DEP_2) | instskip(NEXT) | instid1(VALU_DEP_2)
	v_add_f32_e32 v26, v23, v26
	v_add_f32_e32 v23, v23, v24
	s_delay_alu instid0(VALU_DEP_1) | instskip(NEXT) | instid1(VALU_DEP_1)
	v_dual_add_f32 v29, v25, v23 :: v_dual_add_f32 v28, v27, v26
	v_sub_f32_e32 v25, v25, v29
	s_delay_alu instid0(VALU_DEP_2) | instskip(SKIP_1) | instid1(VALU_DEP_1)
	v_rcp_f32_e32 v24, v28
	v_sub_f32_e32 v27, v27, v28
	v_dual_add_f32 v23, v23, v25 :: v_dual_add_f32 v26, v26, v27
	s_delay_alu instid0(TRANS32_DEP_1) | instskip(NEXT) | instid1(VALU_DEP_1)
	v_mul_f32_e32 v30, v29, v24
	v_mul_f32_e32 v31, v28, v30
	s_delay_alu instid0(VALU_DEP_1) | instskip(NEXT) | instid1(VALU_DEP_1)
	v_fma_f32 v27, v30, v28, -v31
	v_fmac_f32_e32 v27, v30, v26
	s_delay_alu instid0(VALU_DEP_1) | instskip(NEXT) | instid1(VALU_DEP_1)
	v_add_f32_e32 v32, v31, v27
	v_sub_f32_e32 v33, v29, v32
	v_sub_f32_e32 v25, v32, v31
	s_delay_alu instid0(VALU_DEP_2) | instskip(NEXT) | instid1(VALU_DEP_2)
	v_sub_f32_e32 v29, v29, v33
	v_sub_f32_e32 v25, v25, v27
	s_delay_alu instid0(VALU_DEP_2) | instskip(NEXT) | instid1(VALU_DEP_1)
	v_sub_f32_e32 v29, v29, v32
	v_add_f32_e32 v23, v23, v29
	s_delay_alu instid0(VALU_DEP_1) | instskip(NEXT) | instid1(VALU_DEP_1)
	v_add_f32_e32 v23, v25, v23
	v_add_f32_e32 v25, v33, v23
	s_delay_alu instid0(VALU_DEP_1) | instskip(NEXT) | instid1(VALU_DEP_1)
	v_mul_f32_e32 v27, v24, v25
	v_dual_sub_f32 v32, v33, v25 :: v_dual_mul_f32 v29, v28, v27
	s_delay_alu instid0(VALU_DEP_1) | instskip(NEXT) | instid1(VALU_DEP_2)
	v_add_f32_e32 v23, v23, v32
	v_fma_f32 v28, v27, v28, -v29
	s_delay_alu instid0(VALU_DEP_1) | instskip(NEXT) | instid1(VALU_DEP_1)
	v_fmac_f32_e32 v28, v27, v26
	v_add_f32_e32 v26, v29, v28
	s_delay_alu instid0(VALU_DEP_1) | instskip(NEXT) | instid1(VALU_DEP_1)
	v_sub_f32_e32 v31, v25, v26
	v_sub_f32_e32 v25, v25, v31
	s_delay_alu instid0(VALU_DEP_1) | instskip(NEXT) | instid1(VALU_DEP_1)
	v_sub_f32_e32 v25, v25, v26
	v_add_f32_e32 v23, v23, v25
	v_add_f32_e32 v25, v30, v27
	v_sub_f32_e32 v29, v26, v29
	s_delay_alu instid0(VALU_DEP_1) | instskip(NEXT) | instid1(VALU_DEP_1)
	v_sub_f32_e32 v26, v29, v28
	v_dual_add_f32 v23, v26, v23 :: v_dual_sub_f32 v26, v25, v30
	s_delay_alu instid0(VALU_DEP_1) | instskip(NEXT) | instid1(VALU_DEP_1)
	v_add_f32_e32 v23, v31, v23
	v_dual_sub_f32 v26, v27, v26 :: v_dual_mul_f32 v23, v24, v23
	s_delay_alu instid0(VALU_DEP_1) | instskip(NEXT) | instid1(VALU_DEP_1)
	v_add_f32_e32 v23, v26, v23
	v_add_f32_e32 v24, v25, v23
	s_delay_alu instid0(VALU_DEP_1) | instskip(SKIP_1) | instid1(VALU_DEP_1)
	v_mul_f32_e32 v26, v24, v24
	s_wait_alu 0xfffe
	v_fmaak_f32 v27, s1, v26, 0x3ecc95a3
	v_mul_f32_e32 v28, v24, v26
	v_cmp_neq_f32_e64 s1, 0x7f800000, v20
	s_delay_alu instid0(VALU_DEP_3) | instskip(SKIP_2) | instid1(VALU_DEP_3)
	v_fmaak_f32 v26, v26, v27, 0x3f2aaada
	v_ldexp_f32 v27, v24, 1
	v_sub_f32_e32 v24, v24, v25
	v_mul_f32_e32 v26, v28, v26
	s_delay_alu instid0(VALU_DEP_2) | instskip(NEXT) | instid1(VALU_DEP_2)
	v_dual_mul_f32 v28, 0x3f317218, v22 :: v_dual_sub_f32 v23, v23, v24
	v_add_f32_e32 v25, v27, v26
	s_delay_alu instid0(VALU_DEP_2) | instskip(NEXT) | instid1(VALU_DEP_2)
	v_ldexp_f32 v23, v23, 1
	v_sub_f32_e32 v24, v25, v27
	s_delay_alu instid0(VALU_DEP_4) | instskip(NEXT) | instid1(VALU_DEP_2)
	v_fma_f32 v27, 0x3f317218, v22, -v28
	v_sub_f32_e32 v24, v26, v24
	s_delay_alu instid0(VALU_DEP_1) | instskip(NEXT) | instid1(VALU_DEP_1)
	v_dual_fmamk_f32 v22, v22, 0xb102e308, v27 :: v_dual_add_f32 v23, v23, v24
	v_add_f32_e32 v24, v28, v22
	s_delay_alu instid0(VALU_DEP_1) | instskip(NEXT) | instid1(VALU_DEP_1)
	v_sub_f32_e32 v28, v24, v28
	v_sub_f32_e32 v22, v22, v28
	s_delay_alu instid0(VALU_DEP_4) | instskip(NEXT) | instid1(VALU_DEP_1)
	v_add_f32_e32 v26, v25, v23
	v_sub_f32_e32 v25, v26, v25
	s_delay_alu instid0(VALU_DEP_1) | instskip(SKIP_1) | instid1(VALU_DEP_1)
	v_sub_f32_e32 v23, v23, v25
	v_add_f32_e32 v27, v24, v26
	v_sub_f32_e32 v29, v27, v24
	s_delay_alu instid0(VALU_DEP_1) | instskip(NEXT) | instid1(VALU_DEP_4)
	v_sub_f32_e32 v25, v26, v29
	v_add_f32_e32 v26, v22, v23
	v_sub_f32_e32 v30, v27, v29
	s_delay_alu instid0(VALU_DEP_1) | instskip(NEXT) | instid1(VALU_DEP_1)
	v_sub_f32_e32 v24, v24, v30
	v_dual_add_f32 v24, v25, v24 :: v_dual_sub_f32 v25, v26, v22
	s_delay_alu instid0(VALU_DEP_1) | instskip(SKIP_1) | instid1(VALU_DEP_2)
	v_dual_add_f32 v24, v26, v24 :: v_dual_sub_f32 v23, v23, v25
	v_sub_f32_e32 v26, v26, v25
	v_add_f32_e32 v28, v27, v24
	s_delay_alu instid0(VALU_DEP_1) | instskip(NEXT) | instid1(VALU_DEP_1)
	v_dual_sub_f32 v22, v22, v26 :: v_dual_sub_f32 v25, v28, v27
	v_dual_add_f32 v22, v23, v22 :: v_dual_sub_f32 v23, v24, v25
	s_delay_alu instid0(VALU_DEP_1) | instskip(NEXT) | instid1(VALU_DEP_1)
	v_add_f32_e32 v22, v22, v23
	v_add_f32_e32 v22, v28, v22
	s_wait_alu 0xf1ff
	s_delay_alu instid0(VALU_DEP_1) | instskip(SKIP_2) | instid1(VALU_DEP_1)
	v_cndmask_b32_e64 v22, 0x7f800000, v22, s1
	v_cmp_gt_f32_e64 s1, 0x33800000, |v20|
	s_wait_alu 0xf1ff
	v_cndmask_b32_e64 v20, v22, v20, s1
	s_delay_alu instid0(VALU_DEP_1) | instskip(NEXT) | instid1(VALU_DEP_1)
	v_add_f32_e32 v20, v21, v20
	v_cvt_f16_f32_e32 v22, v20
	s_delay_alu instid0(VALU_DEP_1)
	v_cvt_f32_f16_e32 v20, v22
.LBB373_57:
	s_or_b32 exec_lo, exec_lo, s28
	ds_load_u16 v21, v17 offset:12
	v_max_num_f32_e32 v23, v20, v20
	v_cmp_u_f16_e64 s1, v22, v22
	s_wait_dscnt 0x0
	v_cvt_f32_f16_e32 v24, v21
	s_delay_alu instid0(VALU_DEP_1) | instskip(SKIP_2) | instid1(VALU_DEP_2)
	v_min_num_f32_e32 v25, v23, v24
	v_max_num_f32_e32 v23, v23, v24
	s_wait_alu 0xf1ff
	v_cndmask_b32_e64 v25, v25, v20, s1
	s_delay_alu instid0(VALU_DEP_2) | instskip(SKIP_2) | instid1(VALU_DEP_1)
	v_cndmask_b32_e64 v26, v23, v20, s1
	v_cmp_u_f16_e64 s1, v21, v21
	s_wait_alu 0xf1ff
	v_cndmask_b32_e64 v23, v25, v24, s1
	s_delay_alu instid0(VALU_DEP_3) | instskip(NEXT) | instid1(VALU_DEP_2)
	v_cndmask_b32_e64 v21, v26, v24, s1
	v_cmp_class_f32_e64 s28, v23, 0x1f8
	s_delay_alu instid0(VALU_DEP_2)
	v_cmp_neq_f32_e64 s1, v23, v21
	s_or_b32 s1, s1, s28
	s_wait_alu 0xfffe
	s_and_saveexec_b32 s28, s1
	s_cbranch_execz .LBB373_59
; %bb.58:
	v_sub_f32_e32 v20, v23, v21
	s_delay_alu instid0(VALU_DEP_1) | instskip(SKIP_1) | instid1(VALU_DEP_2)
	v_mul_f32_e32 v22, 0x3fb8aa3b, v20
	v_cmp_ngt_f32_e64 s1, 0xc2ce8ed0, v20
	v_fma_f32 v23, 0x3fb8aa3b, v20, -v22
	v_rndne_f32_e32 v24, v22
	s_delay_alu instid0(VALU_DEP_1) | instskip(NEXT) | instid1(VALU_DEP_1)
	v_dual_fmamk_f32 v23, v20, 0x32a5705f, v23 :: v_dual_sub_f32 v22, v22, v24
	v_add_f32_e32 v22, v22, v23
	v_cvt_i32_f32_e32 v23, v24
	s_delay_alu instid0(VALU_DEP_2) | instskip(NEXT) | instid1(TRANS32_DEP_1)
	v_exp_f32_e32 v22, v22
	v_ldexp_f32 v22, v22, v23
	s_wait_alu 0xf1ff
	s_delay_alu instid0(VALU_DEP_1) | instskip(SKIP_2) | instid1(VALU_DEP_1)
	v_cndmask_b32_e64 v22, 0, v22, s1
	v_cmp_nlt_f32_e64 s1, 0x42b17218, v20
	s_wait_alu 0xf1ff
	v_cndmask_b32_e64 v20, 0x7f800000, v22, s1
	s_delay_alu instid0(VALU_DEP_1) | instskip(NEXT) | instid1(VALU_DEP_1)
	v_add_f32_e32 v24, 1.0, v20
	v_cvt_f64_f32_e32 v[22:23], v24
	s_delay_alu instid0(VALU_DEP_1) | instskip(SKIP_1) | instid1(VALU_DEP_1)
	v_frexp_exp_i32_f64_e32 v22, v[22:23]
	v_frexp_mant_f32_e32 v23, v24
	v_cmp_gt_f32_e64 s1, 0x3f2aaaab, v23
	v_add_f32_e32 v23, -1.0, v24
	s_delay_alu instid0(VALU_DEP_1) | instskip(NEXT) | instid1(VALU_DEP_1)
	v_dual_sub_f32 v26, v23, v24 :: v_dual_sub_f32 v23, v20, v23
	v_add_f32_e32 v26, 1.0, v26
	s_delay_alu instid0(VALU_DEP_1)
	v_add_f32_e32 v23, v23, v26
	s_wait_alu 0xf1ff
	v_subrev_co_ci_u32_e64 v22, null, 0, v22, s1
	s_mov_b32 s1, 0x3e9b6dac
	v_sub_nc_u32_e32 v25, 0, v22
	v_cvt_f32_i32_e32 v22, v22
	s_delay_alu instid0(VALU_DEP_2) | instskip(SKIP_1) | instid1(VALU_DEP_2)
	v_ldexp_f32 v24, v24, v25
	v_ldexp_f32 v23, v23, v25
	v_add_f32_e32 v27, 1.0, v24
	s_delay_alu instid0(VALU_DEP_1) | instskip(NEXT) | instid1(VALU_DEP_1)
	v_dual_add_f32 v25, -1.0, v24 :: v_dual_add_f32 v26, -1.0, v27
	v_add_f32_e32 v28, 1.0, v25
	s_delay_alu instid0(VALU_DEP_2) | instskip(NEXT) | instid1(VALU_DEP_2)
	v_sub_f32_e32 v26, v24, v26
	v_sub_f32_e32 v24, v24, v28
	s_delay_alu instid0(VALU_DEP_2) | instskip(NEXT) | instid1(VALU_DEP_2)
	v_add_f32_e32 v26, v23, v26
	v_add_f32_e32 v23, v23, v24
	s_delay_alu instid0(VALU_DEP_1) | instskip(NEXT) | instid1(VALU_DEP_1)
	v_dual_add_f32 v29, v25, v23 :: v_dual_add_f32 v28, v27, v26
	v_sub_f32_e32 v25, v25, v29
	s_delay_alu instid0(VALU_DEP_2) | instskip(SKIP_1) | instid1(VALU_DEP_1)
	v_rcp_f32_e32 v24, v28
	v_sub_f32_e32 v27, v27, v28
	v_dual_add_f32 v23, v23, v25 :: v_dual_add_f32 v26, v26, v27
	s_delay_alu instid0(TRANS32_DEP_1) | instskip(NEXT) | instid1(VALU_DEP_1)
	v_mul_f32_e32 v30, v29, v24
	v_mul_f32_e32 v31, v28, v30
	s_delay_alu instid0(VALU_DEP_1) | instskip(NEXT) | instid1(VALU_DEP_1)
	v_fma_f32 v27, v30, v28, -v31
	v_fmac_f32_e32 v27, v30, v26
	s_delay_alu instid0(VALU_DEP_1) | instskip(NEXT) | instid1(VALU_DEP_1)
	v_add_f32_e32 v32, v31, v27
	v_sub_f32_e32 v33, v29, v32
	v_sub_f32_e32 v25, v32, v31
	s_delay_alu instid0(VALU_DEP_2) | instskip(NEXT) | instid1(VALU_DEP_2)
	v_sub_f32_e32 v29, v29, v33
	v_sub_f32_e32 v25, v25, v27
	s_delay_alu instid0(VALU_DEP_2) | instskip(NEXT) | instid1(VALU_DEP_1)
	v_sub_f32_e32 v29, v29, v32
	v_add_f32_e32 v23, v23, v29
	s_delay_alu instid0(VALU_DEP_1) | instskip(NEXT) | instid1(VALU_DEP_1)
	v_add_f32_e32 v23, v25, v23
	v_add_f32_e32 v25, v33, v23
	s_delay_alu instid0(VALU_DEP_1) | instskip(NEXT) | instid1(VALU_DEP_1)
	v_mul_f32_e32 v27, v24, v25
	v_dual_sub_f32 v32, v33, v25 :: v_dual_mul_f32 v29, v28, v27
	s_delay_alu instid0(VALU_DEP_1) | instskip(NEXT) | instid1(VALU_DEP_2)
	v_add_f32_e32 v23, v23, v32
	v_fma_f32 v28, v27, v28, -v29
	s_delay_alu instid0(VALU_DEP_1) | instskip(NEXT) | instid1(VALU_DEP_1)
	v_fmac_f32_e32 v28, v27, v26
	v_add_f32_e32 v26, v29, v28
	s_delay_alu instid0(VALU_DEP_1) | instskip(NEXT) | instid1(VALU_DEP_1)
	v_sub_f32_e32 v31, v25, v26
	v_sub_f32_e32 v25, v25, v31
	s_delay_alu instid0(VALU_DEP_1) | instskip(NEXT) | instid1(VALU_DEP_1)
	v_sub_f32_e32 v25, v25, v26
	v_add_f32_e32 v23, v23, v25
	v_add_f32_e32 v25, v30, v27
	v_sub_f32_e32 v29, v26, v29
	s_delay_alu instid0(VALU_DEP_1) | instskip(NEXT) | instid1(VALU_DEP_1)
	v_sub_f32_e32 v26, v29, v28
	v_dual_add_f32 v23, v26, v23 :: v_dual_sub_f32 v26, v25, v30
	s_delay_alu instid0(VALU_DEP_1) | instskip(NEXT) | instid1(VALU_DEP_1)
	v_add_f32_e32 v23, v31, v23
	v_dual_sub_f32 v26, v27, v26 :: v_dual_mul_f32 v23, v24, v23
	s_delay_alu instid0(VALU_DEP_1) | instskip(NEXT) | instid1(VALU_DEP_1)
	v_add_f32_e32 v23, v26, v23
	v_add_f32_e32 v24, v25, v23
	s_delay_alu instid0(VALU_DEP_1) | instskip(SKIP_1) | instid1(VALU_DEP_1)
	v_mul_f32_e32 v26, v24, v24
	s_wait_alu 0xfffe
	v_fmaak_f32 v27, s1, v26, 0x3ecc95a3
	v_mul_f32_e32 v28, v24, v26
	v_cmp_neq_f32_e64 s1, 0x7f800000, v20
	s_delay_alu instid0(VALU_DEP_3) | instskip(SKIP_2) | instid1(VALU_DEP_3)
	v_fmaak_f32 v26, v26, v27, 0x3f2aaada
	v_ldexp_f32 v27, v24, 1
	v_sub_f32_e32 v24, v24, v25
	v_mul_f32_e32 v26, v28, v26
	s_delay_alu instid0(VALU_DEP_2) | instskip(NEXT) | instid1(VALU_DEP_2)
	v_dual_mul_f32 v28, 0x3f317218, v22 :: v_dual_sub_f32 v23, v23, v24
	v_add_f32_e32 v25, v27, v26
	s_delay_alu instid0(VALU_DEP_2) | instskip(NEXT) | instid1(VALU_DEP_2)
	v_ldexp_f32 v23, v23, 1
	v_sub_f32_e32 v24, v25, v27
	s_delay_alu instid0(VALU_DEP_4) | instskip(NEXT) | instid1(VALU_DEP_2)
	v_fma_f32 v27, 0x3f317218, v22, -v28
	v_sub_f32_e32 v24, v26, v24
	s_delay_alu instid0(VALU_DEP_1) | instskip(NEXT) | instid1(VALU_DEP_1)
	v_dual_fmamk_f32 v22, v22, 0xb102e308, v27 :: v_dual_add_f32 v23, v23, v24
	v_add_f32_e32 v24, v28, v22
	s_delay_alu instid0(VALU_DEP_1) | instskip(NEXT) | instid1(VALU_DEP_1)
	v_sub_f32_e32 v28, v24, v28
	v_sub_f32_e32 v22, v22, v28
	s_delay_alu instid0(VALU_DEP_4) | instskip(NEXT) | instid1(VALU_DEP_1)
	v_add_f32_e32 v26, v25, v23
	v_sub_f32_e32 v25, v26, v25
	s_delay_alu instid0(VALU_DEP_1) | instskip(SKIP_1) | instid1(VALU_DEP_1)
	v_sub_f32_e32 v23, v23, v25
	v_add_f32_e32 v27, v24, v26
	v_sub_f32_e32 v29, v27, v24
	s_delay_alu instid0(VALU_DEP_1) | instskip(NEXT) | instid1(VALU_DEP_4)
	v_sub_f32_e32 v25, v26, v29
	v_add_f32_e32 v26, v22, v23
	v_sub_f32_e32 v30, v27, v29
	s_delay_alu instid0(VALU_DEP_1) | instskip(NEXT) | instid1(VALU_DEP_1)
	v_sub_f32_e32 v24, v24, v30
	v_dual_add_f32 v24, v25, v24 :: v_dual_sub_f32 v25, v26, v22
	s_delay_alu instid0(VALU_DEP_1) | instskip(SKIP_1) | instid1(VALU_DEP_2)
	v_dual_add_f32 v24, v26, v24 :: v_dual_sub_f32 v23, v23, v25
	v_sub_f32_e32 v26, v26, v25
	v_add_f32_e32 v28, v27, v24
	s_delay_alu instid0(VALU_DEP_1) | instskip(NEXT) | instid1(VALU_DEP_1)
	v_dual_sub_f32 v22, v22, v26 :: v_dual_sub_f32 v25, v28, v27
	v_dual_add_f32 v22, v23, v22 :: v_dual_sub_f32 v23, v24, v25
	s_delay_alu instid0(VALU_DEP_1) | instskip(NEXT) | instid1(VALU_DEP_1)
	v_add_f32_e32 v22, v22, v23
	v_add_f32_e32 v22, v28, v22
	s_wait_alu 0xf1ff
	s_delay_alu instid0(VALU_DEP_1) | instskip(SKIP_2) | instid1(VALU_DEP_1)
	v_cndmask_b32_e64 v22, 0x7f800000, v22, s1
	v_cmp_gt_f32_e64 s1, 0x33800000, |v20|
	s_wait_alu 0xf1ff
	v_cndmask_b32_e64 v20, v22, v20, s1
	s_delay_alu instid0(VALU_DEP_1) | instskip(NEXT) | instid1(VALU_DEP_1)
	v_add_f32_e32 v20, v21, v20
	v_cvt_f16_f32_e32 v22, v20
	s_delay_alu instid0(VALU_DEP_1)
	v_cvt_f32_f16_e32 v20, v22
.LBB373_59:
	s_or_b32 exec_lo, exec_lo, s28
	ds_load_u16 v21, v17 offset:14
	v_max_num_f32_e32 v23, v20, v20
	v_cmp_u_f16_e64 s1, v22, v22
	s_wait_dscnt 0x0
	v_cvt_f32_f16_e32 v24, v21
	s_delay_alu instid0(VALU_DEP_1) | instskip(SKIP_2) | instid1(VALU_DEP_2)
	v_min_num_f32_e32 v25, v23, v24
	v_max_num_f32_e32 v23, v23, v24
	s_wait_alu 0xf1ff
	v_cndmask_b32_e64 v25, v25, v20, s1
	s_delay_alu instid0(VALU_DEP_2) | instskip(SKIP_2) | instid1(VALU_DEP_1)
	v_cndmask_b32_e64 v20, v23, v20, s1
	v_cmp_u_f16_e64 s1, v21, v21
	s_wait_alu 0xf1ff
	v_cndmask_b32_e64 v21, v25, v24, s1
	s_delay_alu instid0(VALU_DEP_3) | instskip(NEXT) | instid1(VALU_DEP_2)
	v_cndmask_b32_e64 v20, v20, v24, s1
	v_cmp_class_f32_e64 s28, v21, 0x1f8
	s_delay_alu instid0(VALU_DEP_2)
	v_cmp_neq_f32_e64 s1, v21, v20
	s_or_b32 s1, s1, s28
	s_wait_alu 0xfffe
	s_and_saveexec_b32 s28, s1
	s_cbranch_execz .LBB373_61
; %bb.60:
	v_sub_f32_e32 v21, v21, v20
	s_delay_alu instid0(VALU_DEP_1) | instskip(NEXT) | instid1(VALU_DEP_1)
	v_mul_f32_e32 v22, 0x3fb8aa3b, v21
	v_fma_f32 v23, 0x3fb8aa3b, v21, -v22
	v_rndne_f32_e32 v24, v22
	s_delay_alu instid0(VALU_DEP_1) | instskip(NEXT) | instid1(VALU_DEP_1)
	v_dual_fmamk_f32 v23, v21, 0x32a5705f, v23 :: v_dual_sub_f32 v22, v22, v24
	v_add_f32_e32 v22, v22, v23
	v_cvt_i32_f32_e32 v23, v24
	v_cmp_ngt_f32_e64 s1, 0xc2ce8ed0, v21
	s_delay_alu instid0(VALU_DEP_3) | instskip(NEXT) | instid1(TRANS32_DEP_1)
	v_exp_f32_e32 v22, v22
	v_ldexp_f32 v22, v22, v23
	s_wait_alu 0xf1ff
	s_delay_alu instid0(VALU_DEP_1) | instskip(SKIP_2) | instid1(VALU_DEP_1)
	v_cndmask_b32_e64 v22, 0, v22, s1
	v_cmp_nlt_f32_e64 s1, 0x42b17218, v21
	s_wait_alu 0xf1ff
	v_cndmask_b32_e64 v23, 0x7f800000, v22, s1
	s_delay_alu instid0(VALU_DEP_1) | instskip(NEXT) | instid1(VALU_DEP_1)
	v_add_f32_e32 v24, 1.0, v23
	v_cvt_f64_f32_e32 v[21:22], v24
	s_delay_alu instid0(VALU_DEP_1) | instskip(SKIP_1) | instid1(VALU_DEP_1)
	v_frexp_exp_i32_f64_e32 v21, v[21:22]
	v_frexp_mant_f32_e32 v22, v24
	v_cmp_gt_f32_e64 s1, 0x3f2aaaab, v22
	v_add_f32_e32 v22, -1.0, v24
	s_delay_alu instid0(VALU_DEP_1) | instskip(SKIP_1) | instid1(VALU_DEP_3)
	v_sub_f32_e32 v26, v22, v24
	s_wait_alu 0xf1ff
	v_subrev_co_ci_u32_e64 v21, null, 0, v21, s1
	s_mov_b32 s1, 0x3e9b6dac
	v_sub_nc_u32_e32 v25, 0, v21
	v_cvt_f32_i32_e32 v21, v21
	s_delay_alu instid0(VALU_DEP_2) | instskip(NEXT) | instid1(VALU_DEP_1)
	v_ldexp_f32 v24, v24, v25
	v_dual_sub_f32 v22, v23, v22 :: v_dual_add_f32 v27, 1.0, v24
	v_add_f32_e32 v26, 1.0, v26
	s_delay_alu instid0(VALU_DEP_1) | instskip(NEXT) | instid1(VALU_DEP_3)
	v_add_f32_e32 v22, v22, v26
	v_add_f32_e32 v26, -1.0, v27
	s_delay_alu instid0(VALU_DEP_2) | instskip(NEXT) | instid1(VALU_DEP_2)
	v_ldexp_f32 v22, v22, v25
	v_dual_add_f32 v25, -1.0, v24 :: v_dual_sub_f32 v26, v24, v26
	s_delay_alu instid0(VALU_DEP_1) | instskip(NEXT) | instid1(VALU_DEP_2)
	v_add_f32_e32 v28, 1.0, v25
	v_add_f32_e32 v26, v22, v26
	s_delay_alu instid0(VALU_DEP_2) | instskip(NEXT) | instid1(VALU_DEP_2)
	v_sub_f32_e32 v24, v24, v28
	v_add_f32_e32 v28, v27, v26
	s_delay_alu instid0(VALU_DEP_2) | instskip(NEXT) | instid1(VALU_DEP_2)
	v_add_f32_e32 v22, v22, v24
	v_rcp_f32_e32 v24, v28
	v_sub_f32_e32 v27, v27, v28
	s_delay_alu instid0(VALU_DEP_1) | instskip(NEXT) | instid1(VALU_DEP_1)
	v_dual_add_f32 v29, v25, v22 :: v_dual_add_f32 v26, v26, v27
	v_sub_f32_e32 v25, v25, v29
	s_delay_alu instid0(TRANS32_DEP_1) | instskip(NEXT) | instid1(VALU_DEP_1)
	v_mul_f32_e32 v30, v29, v24
	v_dual_add_f32 v22, v22, v25 :: v_dual_mul_f32 v31, v28, v30
	s_delay_alu instid0(VALU_DEP_1) | instskip(NEXT) | instid1(VALU_DEP_1)
	v_fma_f32 v27, v30, v28, -v31
	v_fmac_f32_e32 v27, v30, v26
	s_delay_alu instid0(VALU_DEP_1) | instskip(NEXT) | instid1(VALU_DEP_1)
	v_add_f32_e32 v32, v31, v27
	v_sub_f32_e32 v33, v29, v32
	v_sub_f32_e32 v25, v32, v31
	s_delay_alu instid0(VALU_DEP_2) | instskip(NEXT) | instid1(VALU_DEP_2)
	v_sub_f32_e32 v29, v29, v33
	v_sub_f32_e32 v25, v25, v27
	s_delay_alu instid0(VALU_DEP_2) | instskip(NEXT) | instid1(VALU_DEP_1)
	v_sub_f32_e32 v29, v29, v32
	v_add_f32_e32 v22, v22, v29
	s_delay_alu instid0(VALU_DEP_1) | instskip(NEXT) | instid1(VALU_DEP_1)
	v_add_f32_e32 v22, v25, v22
	v_add_f32_e32 v25, v33, v22
	s_delay_alu instid0(VALU_DEP_1) | instskip(NEXT) | instid1(VALU_DEP_1)
	v_mul_f32_e32 v27, v24, v25
	v_dual_sub_f32 v32, v33, v25 :: v_dual_mul_f32 v29, v28, v27
	s_delay_alu instid0(VALU_DEP_1) | instskip(NEXT) | instid1(VALU_DEP_2)
	v_add_f32_e32 v22, v22, v32
	v_fma_f32 v28, v27, v28, -v29
	s_delay_alu instid0(VALU_DEP_1) | instskip(NEXT) | instid1(VALU_DEP_1)
	v_fmac_f32_e32 v28, v27, v26
	v_add_f32_e32 v26, v29, v28
	s_delay_alu instid0(VALU_DEP_1) | instskip(SKIP_1) | instid1(VALU_DEP_2)
	v_sub_f32_e32 v31, v25, v26
	v_sub_f32_e32 v29, v26, v29
	;; [unrolled: 1-line block ×3, first 2 shown]
	s_delay_alu instid0(VALU_DEP_1) | instskip(NEXT) | instid1(VALU_DEP_3)
	v_sub_f32_e32 v25, v25, v26
	v_sub_f32_e32 v26, v29, v28
	s_delay_alu instid0(VALU_DEP_2) | instskip(SKIP_1) | instid1(VALU_DEP_2)
	v_add_f32_e32 v22, v22, v25
	v_add_f32_e32 v25, v30, v27
	;; [unrolled: 1-line block ×3, first 2 shown]
	s_delay_alu instid0(VALU_DEP_2) | instskip(NEXT) | instid1(VALU_DEP_2)
	v_sub_f32_e32 v26, v25, v30
	v_add_f32_e32 v22, v31, v22
	s_delay_alu instid0(VALU_DEP_2) | instskip(NEXT) | instid1(VALU_DEP_2)
	v_sub_f32_e32 v26, v27, v26
	v_mul_f32_e32 v22, v24, v22
	s_delay_alu instid0(VALU_DEP_1) | instskip(NEXT) | instid1(VALU_DEP_1)
	v_add_f32_e32 v22, v26, v22
	v_add_f32_e32 v24, v25, v22
	s_delay_alu instid0(VALU_DEP_1) | instskip(SKIP_1) | instid1(VALU_DEP_1)
	v_mul_f32_e32 v26, v24, v24
	s_wait_alu 0xfffe
	v_fmaak_f32 v27, s1, v26, 0x3ecc95a3
	v_mul_f32_e32 v28, v24, v26
	v_cmp_neq_f32_e64 s1, 0x7f800000, v23
	s_delay_alu instid0(VALU_DEP_3) | instskip(SKIP_2) | instid1(VALU_DEP_3)
	v_fmaak_f32 v26, v26, v27, 0x3f2aaada
	v_ldexp_f32 v27, v24, 1
	v_sub_f32_e32 v24, v24, v25
	v_mul_f32_e32 v26, v28, v26
	v_mul_f32_e32 v28, 0x3f317218, v21
	s_delay_alu instid0(VALU_DEP_2) | instskip(NEXT) | instid1(VALU_DEP_1)
	v_dual_sub_f32 v22, v22, v24 :: v_dual_add_f32 v25, v27, v26
	v_ldexp_f32 v22, v22, 1
	s_delay_alu instid0(VALU_DEP_2) | instskip(NEXT) | instid1(VALU_DEP_4)
	v_sub_f32_e32 v24, v25, v27
	v_fma_f32 v27, 0x3f317218, v21, -v28
	s_delay_alu instid0(VALU_DEP_1) | instskip(NEXT) | instid1(VALU_DEP_1)
	v_dual_sub_f32 v24, v26, v24 :: v_dual_fmamk_f32 v21, v21, 0xb102e308, v27
	v_add_f32_e32 v22, v22, v24
	s_delay_alu instid0(VALU_DEP_2) | instskip(NEXT) | instid1(VALU_DEP_2)
	v_add_f32_e32 v24, v28, v21
	v_add_f32_e32 v26, v25, v22
	s_delay_alu instid0(VALU_DEP_2) | instskip(NEXT) | instid1(VALU_DEP_2)
	v_sub_f32_e32 v28, v24, v28
	v_add_f32_e32 v27, v24, v26
	v_sub_f32_e32 v25, v26, v25
	s_delay_alu instid0(VALU_DEP_3) | instskip(NEXT) | instid1(VALU_DEP_2)
	v_sub_f32_e32 v21, v21, v28
	v_dual_sub_f32 v29, v27, v24 :: v_dual_sub_f32 v22, v22, v25
	s_delay_alu instid0(VALU_DEP_1) | instskip(NEXT) | instid1(VALU_DEP_2)
	v_sub_f32_e32 v30, v27, v29
	v_dual_sub_f32 v25, v26, v29 :: v_dual_add_f32 v26, v21, v22
	s_delay_alu instid0(VALU_DEP_2) | instskip(NEXT) | instid1(VALU_DEP_1)
	v_sub_f32_e32 v24, v24, v30
	v_dual_add_f32 v24, v25, v24 :: v_dual_sub_f32 v25, v26, v21
	s_delay_alu instid0(VALU_DEP_1) | instskip(NEXT) | instid1(VALU_DEP_2)
	v_add_f32_e32 v24, v26, v24
	v_sub_f32_e32 v26, v26, v25
	v_sub_f32_e32 v22, v22, v25
	s_delay_alu instid0(VALU_DEP_2) | instskip(NEXT) | instid1(VALU_DEP_1)
	v_dual_add_f32 v28, v27, v24 :: v_dual_sub_f32 v21, v21, v26
	v_sub_f32_e32 v25, v28, v27
	s_delay_alu instid0(VALU_DEP_2) | instskip(NEXT) | instid1(VALU_DEP_2)
	v_add_f32_e32 v21, v22, v21
	v_sub_f32_e32 v22, v24, v25
	s_delay_alu instid0(VALU_DEP_1) | instskip(NEXT) | instid1(VALU_DEP_1)
	v_add_f32_e32 v21, v21, v22
	v_add_f32_e32 v21, v28, v21
	s_wait_alu 0xf1ff
	s_delay_alu instid0(VALU_DEP_1) | instskip(SKIP_2) | instid1(VALU_DEP_1)
	v_cndmask_b32_e64 v21, 0x7f800000, v21, s1
	v_cmp_gt_f32_e64 s1, 0x33800000, |v23|
	s_wait_alu 0xf1ff
	v_cndmask_b32_e64 v21, v21, v23, s1
	s_delay_alu instid0(VALU_DEP_1) | instskip(NEXT) | instid1(VALU_DEP_1)
	v_add_f32_e32 v20, v20, v21
	v_cvt_f16_f32_e32 v22, v20
.LBB373_61:
	s_or_b32 exec_lo, exec_lo, s28
	v_mbcnt_lo_u32_b32 v20, -1, 0
	s_delay_alu instid0(VALU_DEP_2) | instskip(SKIP_1) | instid1(VALU_DEP_2)
	v_and_b32_e32 v23, 0xffff, v22
	s_mov_b32 s28, exec_lo
	v_and_b32_e32 v21, 15, v20
	s_delay_alu instid0(VALU_DEP_2) | instskip(NEXT) | instid1(VALU_DEP_2)
	v_mov_b32_dpp v24, v23 row_shr:1 row_mask:0xf bank_mask:0xf
	v_cmpx_ne_u32_e32 0, v21
	s_xor_b32 s28, exec_lo, s28
	s_cbranch_execz .LBB373_65
; %bb.62:
	s_delay_alu instid0(VALU_DEP_2) | instskip(SKIP_2) | instid1(VALU_DEP_2)
	v_cvt_f32_f16_e32 v23, v24
	v_cvt_f32_f16_e32 v25, v22
	v_cmp_u_f16_e64 s1, v24, v24
	v_min_num_f32_e32 v26, v23, v25
	v_max_num_f32_e32 v27, v23, v25
	s_wait_alu 0xf1ff
	s_delay_alu instid0(VALU_DEP_2) | instskip(NEXT) | instid1(VALU_DEP_2)
	v_cndmask_b32_e64 v26, v26, v23, s1
	v_cndmask_b32_e64 v27, v27, v23, s1
	v_cmp_u_f16_e64 s1, v22, v22
	s_wait_alu 0xf1ff
	s_delay_alu instid0(VALU_DEP_1) | instskip(NEXT) | instid1(VALU_DEP_3)
	v_cndmask_b32_e64 v23, v26, v25, s1
	v_cndmask_b32_e64 v22, v27, v25, s1
	s_delay_alu instid0(VALU_DEP_2) | instskip(NEXT) | instid1(VALU_DEP_2)
	v_cmp_class_f32_e64 s29, v23, 0x1f8
	v_cmp_neq_f32_e64 s1, v23, v22
	s_or_b32 s1, s1, s29
	s_wait_alu 0xfffe
	s_and_saveexec_b32 s29, s1
	s_cbranch_execz .LBB373_64
; %bb.63:
	v_sub_f32_e32 v23, v23, v22
	s_delay_alu instid0(VALU_DEP_1) | instskip(NEXT) | instid1(VALU_DEP_1)
	v_mul_f32_e32 v24, 0x3fb8aa3b, v23
	v_fma_f32 v25, 0x3fb8aa3b, v23, -v24
	v_rndne_f32_e32 v26, v24
	s_delay_alu instid0(VALU_DEP_1) | instskip(NEXT) | instid1(VALU_DEP_1)
	v_dual_fmamk_f32 v25, v23, 0x32a5705f, v25 :: v_dual_sub_f32 v24, v24, v26
	v_add_f32_e32 v24, v24, v25
	v_cvt_i32_f32_e32 v25, v26
	v_cmp_ngt_f32_e64 s1, 0xc2ce8ed0, v23
	s_delay_alu instid0(VALU_DEP_3) | instskip(NEXT) | instid1(TRANS32_DEP_1)
	v_exp_f32_e32 v24, v24
	v_ldexp_f32 v24, v24, v25
	s_wait_alu 0xf1ff
	s_delay_alu instid0(VALU_DEP_1) | instskip(SKIP_2) | instid1(VALU_DEP_1)
	v_cndmask_b32_e64 v24, 0, v24, s1
	v_cmp_nlt_f32_e64 s1, 0x42b17218, v23
	s_wait_alu 0xf1ff
	v_cndmask_b32_e64 v25, 0x7f800000, v24, s1
	s_delay_alu instid0(VALU_DEP_1) | instskip(NEXT) | instid1(VALU_DEP_1)
	v_add_f32_e32 v26, 1.0, v25
	v_cvt_f64_f32_e32 v[23:24], v26
	s_delay_alu instid0(VALU_DEP_1) | instskip(SKIP_1) | instid1(VALU_DEP_1)
	v_frexp_exp_i32_f64_e32 v23, v[23:24]
	v_frexp_mant_f32_e32 v24, v26
	v_cmp_gt_f32_e64 s1, 0x3f2aaaab, v24
	v_add_f32_e32 v24, -1.0, v26
	s_delay_alu instid0(VALU_DEP_1) | instskip(SKIP_1) | instid1(VALU_DEP_3)
	v_sub_f32_e32 v28, v24, v26
	s_wait_alu 0xf1ff
	v_subrev_co_ci_u32_e64 v23, null, 0, v23, s1
	s_mov_b32 s1, 0x3e9b6dac
	v_sub_nc_u32_e32 v27, 0, v23
	v_cvt_f32_i32_e32 v23, v23
	s_delay_alu instid0(VALU_DEP_2) | instskip(NEXT) | instid1(VALU_DEP_1)
	v_ldexp_f32 v26, v26, v27
	v_dual_sub_f32 v24, v25, v24 :: v_dual_add_f32 v29, 1.0, v26
	v_add_f32_e32 v28, 1.0, v28
	s_delay_alu instid0(VALU_DEP_1) | instskip(NEXT) | instid1(VALU_DEP_3)
	v_add_f32_e32 v24, v24, v28
	v_add_f32_e32 v28, -1.0, v29
	s_delay_alu instid0(VALU_DEP_2) | instskip(NEXT) | instid1(VALU_DEP_2)
	v_ldexp_f32 v24, v24, v27
	v_dual_add_f32 v27, -1.0, v26 :: v_dual_sub_f32 v28, v26, v28
	s_delay_alu instid0(VALU_DEP_1) | instskip(NEXT) | instid1(VALU_DEP_2)
	v_add_f32_e32 v30, 1.0, v27
	v_add_f32_e32 v28, v24, v28
	s_delay_alu instid0(VALU_DEP_2) | instskip(NEXT) | instid1(VALU_DEP_2)
	v_sub_f32_e32 v26, v26, v30
	v_add_f32_e32 v30, v29, v28
	s_delay_alu instid0(VALU_DEP_2) | instskip(NEXT) | instid1(VALU_DEP_2)
	v_add_f32_e32 v24, v24, v26
	v_rcp_f32_e32 v26, v30
	v_sub_f32_e32 v29, v29, v30
	s_delay_alu instid0(VALU_DEP_1) | instskip(NEXT) | instid1(VALU_DEP_1)
	v_dual_add_f32 v31, v27, v24 :: v_dual_add_f32 v28, v28, v29
	v_sub_f32_e32 v27, v27, v31
	s_delay_alu instid0(TRANS32_DEP_1) | instskip(NEXT) | instid1(VALU_DEP_1)
	v_mul_f32_e32 v32, v31, v26
	v_dual_add_f32 v24, v24, v27 :: v_dual_mul_f32 v33, v30, v32
	s_delay_alu instid0(VALU_DEP_1) | instskip(NEXT) | instid1(VALU_DEP_1)
	v_fma_f32 v29, v32, v30, -v33
	v_fmac_f32_e32 v29, v32, v28
	s_delay_alu instid0(VALU_DEP_1) | instskip(NEXT) | instid1(VALU_DEP_1)
	v_add_f32_e32 v34, v33, v29
	v_sub_f32_e32 v35, v31, v34
	v_sub_f32_e32 v27, v34, v33
	s_delay_alu instid0(VALU_DEP_2) | instskip(NEXT) | instid1(VALU_DEP_2)
	v_sub_f32_e32 v31, v31, v35
	v_sub_f32_e32 v27, v27, v29
	s_delay_alu instid0(VALU_DEP_2) | instskip(NEXT) | instid1(VALU_DEP_1)
	v_sub_f32_e32 v31, v31, v34
	v_add_f32_e32 v24, v24, v31
	s_delay_alu instid0(VALU_DEP_1) | instskip(NEXT) | instid1(VALU_DEP_1)
	v_add_f32_e32 v24, v27, v24
	v_add_f32_e32 v27, v35, v24
	s_delay_alu instid0(VALU_DEP_1) | instskip(NEXT) | instid1(VALU_DEP_1)
	v_mul_f32_e32 v29, v26, v27
	v_dual_sub_f32 v34, v35, v27 :: v_dual_mul_f32 v31, v30, v29
	s_delay_alu instid0(VALU_DEP_1) | instskip(NEXT) | instid1(VALU_DEP_2)
	v_add_f32_e32 v24, v24, v34
	v_fma_f32 v30, v29, v30, -v31
	s_delay_alu instid0(VALU_DEP_1) | instskip(NEXT) | instid1(VALU_DEP_1)
	v_fmac_f32_e32 v30, v29, v28
	v_add_f32_e32 v28, v31, v30
	s_delay_alu instid0(VALU_DEP_1) | instskip(SKIP_1) | instid1(VALU_DEP_2)
	v_sub_f32_e32 v33, v27, v28
	v_sub_f32_e32 v31, v28, v31
	;; [unrolled: 1-line block ×3, first 2 shown]
	s_delay_alu instid0(VALU_DEP_1) | instskip(NEXT) | instid1(VALU_DEP_3)
	v_sub_f32_e32 v27, v27, v28
	v_sub_f32_e32 v28, v31, v30
	s_delay_alu instid0(VALU_DEP_2) | instskip(SKIP_1) | instid1(VALU_DEP_2)
	v_add_f32_e32 v24, v24, v27
	v_add_f32_e32 v27, v32, v29
	;; [unrolled: 1-line block ×3, first 2 shown]
	s_delay_alu instid0(VALU_DEP_2) | instskip(NEXT) | instid1(VALU_DEP_2)
	v_sub_f32_e32 v28, v27, v32
	v_add_f32_e32 v24, v33, v24
	s_delay_alu instid0(VALU_DEP_2) | instskip(NEXT) | instid1(VALU_DEP_2)
	v_sub_f32_e32 v28, v29, v28
	v_mul_f32_e32 v24, v26, v24
	s_delay_alu instid0(VALU_DEP_1) | instskip(NEXT) | instid1(VALU_DEP_1)
	v_add_f32_e32 v24, v28, v24
	v_add_f32_e32 v26, v27, v24
	s_delay_alu instid0(VALU_DEP_1) | instskip(SKIP_1) | instid1(VALU_DEP_1)
	v_mul_f32_e32 v28, v26, v26
	s_wait_alu 0xfffe
	v_fmaak_f32 v29, s1, v28, 0x3ecc95a3
	v_mul_f32_e32 v30, v26, v28
	v_cmp_neq_f32_e64 s1, 0x7f800000, v25
	s_delay_alu instid0(VALU_DEP_3) | instskip(SKIP_2) | instid1(VALU_DEP_3)
	v_fmaak_f32 v28, v28, v29, 0x3f2aaada
	v_ldexp_f32 v29, v26, 1
	v_sub_f32_e32 v26, v26, v27
	v_mul_f32_e32 v28, v30, v28
	v_mul_f32_e32 v30, 0x3f317218, v23
	s_delay_alu instid0(VALU_DEP_2) | instskip(NEXT) | instid1(VALU_DEP_1)
	v_dual_sub_f32 v24, v24, v26 :: v_dual_add_f32 v27, v29, v28
	v_ldexp_f32 v24, v24, 1
	s_delay_alu instid0(VALU_DEP_2) | instskip(NEXT) | instid1(VALU_DEP_4)
	v_sub_f32_e32 v26, v27, v29
	v_fma_f32 v29, 0x3f317218, v23, -v30
	s_delay_alu instid0(VALU_DEP_1) | instskip(NEXT) | instid1(VALU_DEP_1)
	v_dual_sub_f32 v26, v28, v26 :: v_dual_fmamk_f32 v23, v23, 0xb102e308, v29
	v_add_f32_e32 v24, v24, v26
	s_delay_alu instid0(VALU_DEP_2) | instskip(NEXT) | instid1(VALU_DEP_2)
	v_add_f32_e32 v26, v30, v23
	v_add_f32_e32 v28, v27, v24
	s_delay_alu instid0(VALU_DEP_2) | instskip(NEXT) | instid1(VALU_DEP_2)
	v_sub_f32_e32 v30, v26, v30
	v_add_f32_e32 v29, v26, v28
	v_sub_f32_e32 v27, v28, v27
	s_delay_alu instid0(VALU_DEP_3) | instskip(NEXT) | instid1(VALU_DEP_2)
	v_sub_f32_e32 v23, v23, v30
	v_dual_sub_f32 v31, v29, v26 :: v_dual_sub_f32 v24, v24, v27
	s_delay_alu instid0(VALU_DEP_1) | instskip(NEXT) | instid1(VALU_DEP_2)
	v_sub_f32_e32 v32, v29, v31
	v_dual_sub_f32 v27, v28, v31 :: v_dual_add_f32 v28, v23, v24
	s_delay_alu instid0(VALU_DEP_2) | instskip(NEXT) | instid1(VALU_DEP_1)
	v_sub_f32_e32 v26, v26, v32
	v_dual_add_f32 v26, v27, v26 :: v_dual_sub_f32 v27, v28, v23
	s_delay_alu instid0(VALU_DEP_1) | instskip(NEXT) | instid1(VALU_DEP_2)
	v_add_f32_e32 v26, v28, v26
	v_sub_f32_e32 v28, v28, v27
	v_sub_f32_e32 v24, v24, v27
	s_delay_alu instid0(VALU_DEP_2) | instskip(NEXT) | instid1(VALU_DEP_1)
	v_dual_add_f32 v30, v29, v26 :: v_dual_sub_f32 v23, v23, v28
	v_sub_f32_e32 v27, v30, v29
	s_delay_alu instid0(VALU_DEP_2) | instskip(NEXT) | instid1(VALU_DEP_2)
	v_add_f32_e32 v23, v24, v23
	v_sub_f32_e32 v24, v26, v27
	s_delay_alu instid0(VALU_DEP_1) | instskip(NEXT) | instid1(VALU_DEP_1)
	v_add_f32_e32 v23, v23, v24
	v_add_f32_e32 v23, v30, v23
	s_wait_alu 0xf1ff
	s_delay_alu instid0(VALU_DEP_1) | instskip(SKIP_2) | instid1(VALU_DEP_1)
	v_cndmask_b32_e64 v23, 0x7f800000, v23, s1
	v_cmp_gt_f32_e64 s1, 0x33800000, |v25|
	s_wait_alu 0xf1ff
	v_cndmask_b32_e64 v23, v23, v25, s1
	s_delay_alu instid0(VALU_DEP_1) | instskip(NEXT) | instid1(VALU_DEP_1)
	v_add_f32_e32 v22, v22, v23
	v_cvt_f16_f32_e32 v24, v22
.LBB373_64:
	s_or_b32 exec_lo, exec_lo, s29
	s_delay_alu instid0(VALU_DEP_1)
	v_dual_mov_b32 v22, v24 :: v_dual_and_b32 v23, 0xffff, v24
.LBB373_65:
	s_or_b32 exec_lo, exec_lo, s28
	s_delay_alu instid0(VALU_DEP_1)
	v_mov_b32_dpp v24, v23 row_shr:2 row_mask:0xf bank_mask:0xf
	s_mov_b32 s28, exec_lo
	v_cmpx_lt_u32_e32 1, v21
	s_cbranch_execz .LBB373_69
; %bb.66:
	s_delay_alu instid0(VALU_DEP_2) | instskip(SKIP_2) | instid1(VALU_DEP_2)
	v_cvt_f32_f16_e32 v23, v24
	v_cvt_f32_f16_e32 v25, v22
	v_cmp_u_f16_e64 s1, v24, v24
	v_min_num_f32_e32 v26, v23, v25
	v_max_num_f32_e32 v27, v23, v25
	s_wait_alu 0xf1ff
	s_delay_alu instid0(VALU_DEP_2) | instskip(NEXT) | instid1(VALU_DEP_2)
	v_cndmask_b32_e64 v26, v26, v23, s1
	v_cndmask_b32_e64 v27, v27, v23, s1
	v_cmp_u_f16_e64 s1, v22, v22
	s_wait_alu 0xf1ff
	s_delay_alu instid0(VALU_DEP_1) | instskip(NEXT) | instid1(VALU_DEP_3)
	v_cndmask_b32_e64 v23, v26, v25, s1
	v_cndmask_b32_e64 v22, v27, v25, s1
	s_delay_alu instid0(VALU_DEP_2) | instskip(NEXT) | instid1(VALU_DEP_2)
	v_cmp_class_f32_e64 s29, v23, 0x1f8
	v_cmp_neq_f32_e64 s1, v23, v22
	s_or_b32 s1, s1, s29
	s_wait_alu 0xfffe
	s_and_saveexec_b32 s29, s1
	s_cbranch_execz .LBB373_68
; %bb.67:
	v_sub_f32_e32 v23, v23, v22
	s_delay_alu instid0(VALU_DEP_1) | instskip(NEXT) | instid1(VALU_DEP_1)
	v_mul_f32_e32 v24, 0x3fb8aa3b, v23
	v_fma_f32 v25, 0x3fb8aa3b, v23, -v24
	v_rndne_f32_e32 v26, v24
	s_delay_alu instid0(VALU_DEP_1) | instskip(NEXT) | instid1(VALU_DEP_1)
	v_dual_fmamk_f32 v25, v23, 0x32a5705f, v25 :: v_dual_sub_f32 v24, v24, v26
	v_add_f32_e32 v24, v24, v25
	v_cvt_i32_f32_e32 v25, v26
	v_cmp_ngt_f32_e64 s1, 0xc2ce8ed0, v23
	s_delay_alu instid0(VALU_DEP_3) | instskip(NEXT) | instid1(TRANS32_DEP_1)
	v_exp_f32_e32 v24, v24
	v_ldexp_f32 v24, v24, v25
	s_wait_alu 0xf1ff
	s_delay_alu instid0(VALU_DEP_1) | instskip(SKIP_2) | instid1(VALU_DEP_1)
	v_cndmask_b32_e64 v24, 0, v24, s1
	v_cmp_nlt_f32_e64 s1, 0x42b17218, v23
	s_wait_alu 0xf1ff
	v_cndmask_b32_e64 v25, 0x7f800000, v24, s1
	s_delay_alu instid0(VALU_DEP_1) | instskip(NEXT) | instid1(VALU_DEP_1)
	v_add_f32_e32 v26, 1.0, v25
	v_cvt_f64_f32_e32 v[23:24], v26
	s_delay_alu instid0(VALU_DEP_1) | instskip(SKIP_1) | instid1(VALU_DEP_1)
	v_frexp_exp_i32_f64_e32 v23, v[23:24]
	v_frexp_mant_f32_e32 v24, v26
	v_cmp_gt_f32_e64 s1, 0x3f2aaaab, v24
	v_add_f32_e32 v24, -1.0, v26
	s_delay_alu instid0(VALU_DEP_1) | instskip(SKIP_1) | instid1(VALU_DEP_3)
	v_sub_f32_e32 v28, v24, v26
	s_wait_alu 0xf1ff
	v_subrev_co_ci_u32_e64 v23, null, 0, v23, s1
	s_mov_b32 s1, 0x3e9b6dac
	v_sub_nc_u32_e32 v27, 0, v23
	v_cvt_f32_i32_e32 v23, v23
	s_delay_alu instid0(VALU_DEP_2) | instskip(NEXT) | instid1(VALU_DEP_1)
	v_ldexp_f32 v26, v26, v27
	v_dual_sub_f32 v24, v25, v24 :: v_dual_add_f32 v29, 1.0, v26
	v_add_f32_e32 v28, 1.0, v28
	s_delay_alu instid0(VALU_DEP_1) | instskip(NEXT) | instid1(VALU_DEP_3)
	v_add_f32_e32 v24, v24, v28
	v_add_f32_e32 v28, -1.0, v29
	s_delay_alu instid0(VALU_DEP_2) | instskip(NEXT) | instid1(VALU_DEP_2)
	v_ldexp_f32 v24, v24, v27
	v_dual_add_f32 v27, -1.0, v26 :: v_dual_sub_f32 v28, v26, v28
	s_delay_alu instid0(VALU_DEP_1) | instskip(NEXT) | instid1(VALU_DEP_2)
	v_add_f32_e32 v30, 1.0, v27
	v_add_f32_e32 v28, v24, v28
	s_delay_alu instid0(VALU_DEP_2) | instskip(NEXT) | instid1(VALU_DEP_2)
	v_sub_f32_e32 v26, v26, v30
	v_add_f32_e32 v30, v29, v28
	s_delay_alu instid0(VALU_DEP_2) | instskip(NEXT) | instid1(VALU_DEP_2)
	v_add_f32_e32 v24, v24, v26
	v_rcp_f32_e32 v26, v30
	v_sub_f32_e32 v29, v29, v30
	s_delay_alu instid0(VALU_DEP_1) | instskip(NEXT) | instid1(VALU_DEP_1)
	v_dual_add_f32 v31, v27, v24 :: v_dual_add_f32 v28, v28, v29
	v_sub_f32_e32 v27, v27, v31
	s_delay_alu instid0(TRANS32_DEP_1) | instskip(NEXT) | instid1(VALU_DEP_1)
	v_mul_f32_e32 v32, v31, v26
	v_dual_add_f32 v24, v24, v27 :: v_dual_mul_f32 v33, v30, v32
	s_delay_alu instid0(VALU_DEP_1) | instskip(NEXT) | instid1(VALU_DEP_1)
	v_fma_f32 v29, v32, v30, -v33
	v_fmac_f32_e32 v29, v32, v28
	s_delay_alu instid0(VALU_DEP_1) | instskip(NEXT) | instid1(VALU_DEP_1)
	v_add_f32_e32 v34, v33, v29
	v_sub_f32_e32 v35, v31, v34
	v_sub_f32_e32 v27, v34, v33
	s_delay_alu instid0(VALU_DEP_2) | instskip(NEXT) | instid1(VALU_DEP_2)
	v_sub_f32_e32 v31, v31, v35
	v_sub_f32_e32 v27, v27, v29
	s_delay_alu instid0(VALU_DEP_2) | instskip(NEXT) | instid1(VALU_DEP_1)
	v_sub_f32_e32 v31, v31, v34
	v_add_f32_e32 v24, v24, v31
	s_delay_alu instid0(VALU_DEP_1) | instskip(NEXT) | instid1(VALU_DEP_1)
	v_add_f32_e32 v24, v27, v24
	v_add_f32_e32 v27, v35, v24
	s_delay_alu instid0(VALU_DEP_1) | instskip(NEXT) | instid1(VALU_DEP_1)
	v_mul_f32_e32 v29, v26, v27
	v_dual_sub_f32 v34, v35, v27 :: v_dual_mul_f32 v31, v30, v29
	s_delay_alu instid0(VALU_DEP_1) | instskip(NEXT) | instid1(VALU_DEP_2)
	v_add_f32_e32 v24, v24, v34
	v_fma_f32 v30, v29, v30, -v31
	s_delay_alu instid0(VALU_DEP_1) | instskip(NEXT) | instid1(VALU_DEP_1)
	v_fmac_f32_e32 v30, v29, v28
	v_add_f32_e32 v28, v31, v30
	s_delay_alu instid0(VALU_DEP_1) | instskip(SKIP_1) | instid1(VALU_DEP_2)
	v_sub_f32_e32 v33, v27, v28
	v_sub_f32_e32 v31, v28, v31
	;; [unrolled: 1-line block ×3, first 2 shown]
	s_delay_alu instid0(VALU_DEP_1) | instskip(NEXT) | instid1(VALU_DEP_3)
	v_sub_f32_e32 v27, v27, v28
	v_sub_f32_e32 v28, v31, v30
	s_delay_alu instid0(VALU_DEP_2) | instskip(SKIP_1) | instid1(VALU_DEP_2)
	v_add_f32_e32 v24, v24, v27
	v_add_f32_e32 v27, v32, v29
	;; [unrolled: 1-line block ×3, first 2 shown]
	s_delay_alu instid0(VALU_DEP_2) | instskip(NEXT) | instid1(VALU_DEP_2)
	v_sub_f32_e32 v28, v27, v32
	v_add_f32_e32 v24, v33, v24
	s_delay_alu instid0(VALU_DEP_2) | instskip(NEXT) | instid1(VALU_DEP_2)
	v_sub_f32_e32 v28, v29, v28
	v_mul_f32_e32 v24, v26, v24
	s_delay_alu instid0(VALU_DEP_1) | instskip(NEXT) | instid1(VALU_DEP_1)
	v_add_f32_e32 v24, v28, v24
	v_add_f32_e32 v26, v27, v24
	s_delay_alu instid0(VALU_DEP_1) | instskip(SKIP_1) | instid1(VALU_DEP_1)
	v_mul_f32_e32 v28, v26, v26
	s_wait_alu 0xfffe
	v_fmaak_f32 v29, s1, v28, 0x3ecc95a3
	v_mul_f32_e32 v30, v26, v28
	v_cmp_neq_f32_e64 s1, 0x7f800000, v25
	s_delay_alu instid0(VALU_DEP_3) | instskip(SKIP_2) | instid1(VALU_DEP_3)
	v_fmaak_f32 v28, v28, v29, 0x3f2aaada
	v_ldexp_f32 v29, v26, 1
	v_sub_f32_e32 v26, v26, v27
	v_mul_f32_e32 v28, v30, v28
	v_mul_f32_e32 v30, 0x3f317218, v23
	s_delay_alu instid0(VALU_DEP_2) | instskip(NEXT) | instid1(VALU_DEP_1)
	v_dual_sub_f32 v24, v24, v26 :: v_dual_add_f32 v27, v29, v28
	v_ldexp_f32 v24, v24, 1
	s_delay_alu instid0(VALU_DEP_2) | instskip(NEXT) | instid1(VALU_DEP_4)
	v_sub_f32_e32 v26, v27, v29
	v_fma_f32 v29, 0x3f317218, v23, -v30
	s_delay_alu instid0(VALU_DEP_1) | instskip(NEXT) | instid1(VALU_DEP_1)
	v_dual_sub_f32 v26, v28, v26 :: v_dual_fmamk_f32 v23, v23, 0xb102e308, v29
	v_add_f32_e32 v24, v24, v26
	s_delay_alu instid0(VALU_DEP_2) | instskip(NEXT) | instid1(VALU_DEP_2)
	v_add_f32_e32 v26, v30, v23
	v_add_f32_e32 v28, v27, v24
	s_delay_alu instid0(VALU_DEP_2) | instskip(NEXT) | instid1(VALU_DEP_2)
	v_sub_f32_e32 v30, v26, v30
	v_add_f32_e32 v29, v26, v28
	v_sub_f32_e32 v27, v28, v27
	s_delay_alu instid0(VALU_DEP_3) | instskip(NEXT) | instid1(VALU_DEP_2)
	v_sub_f32_e32 v23, v23, v30
	v_dual_sub_f32 v31, v29, v26 :: v_dual_sub_f32 v24, v24, v27
	s_delay_alu instid0(VALU_DEP_1) | instskip(NEXT) | instid1(VALU_DEP_2)
	v_sub_f32_e32 v32, v29, v31
	v_dual_sub_f32 v27, v28, v31 :: v_dual_add_f32 v28, v23, v24
	s_delay_alu instid0(VALU_DEP_2) | instskip(NEXT) | instid1(VALU_DEP_1)
	v_sub_f32_e32 v26, v26, v32
	v_dual_add_f32 v26, v27, v26 :: v_dual_sub_f32 v27, v28, v23
	s_delay_alu instid0(VALU_DEP_1) | instskip(NEXT) | instid1(VALU_DEP_2)
	v_add_f32_e32 v26, v28, v26
	v_sub_f32_e32 v28, v28, v27
	v_sub_f32_e32 v24, v24, v27
	s_delay_alu instid0(VALU_DEP_2) | instskip(NEXT) | instid1(VALU_DEP_1)
	v_dual_add_f32 v30, v29, v26 :: v_dual_sub_f32 v23, v23, v28
	v_sub_f32_e32 v27, v30, v29
	s_delay_alu instid0(VALU_DEP_2) | instskip(NEXT) | instid1(VALU_DEP_2)
	v_add_f32_e32 v23, v24, v23
	v_sub_f32_e32 v24, v26, v27
	s_delay_alu instid0(VALU_DEP_1) | instskip(NEXT) | instid1(VALU_DEP_1)
	v_add_f32_e32 v23, v23, v24
	v_add_f32_e32 v23, v30, v23
	s_wait_alu 0xf1ff
	s_delay_alu instid0(VALU_DEP_1) | instskip(SKIP_2) | instid1(VALU_DEP_1)
	v_cndmask_b32_e64 v23, 0x7f800000, v23, s1
	v_cmp_gt_f32_e64 s1, 0x33800000, |v25|
	s_wait_alu 0xf1ff
	v_cndmask_b32_e64 v23, v23, v25, s1
	s_delay_alu instid0(VALU_DEP_1) | instskip(NEXT) | instid1(VALU_DEP_1)
	v_add_f32_e32 v22, v22, v23
	v_cvt_f16_f32_e32 v24, v22
.LBB373_68:
	s_or_b32 exec_lo, exec_lo, s29
	s_delay_alu instid0(VALU_DEP_1)
	v_dual_mov_b32 v22, v24 :: v_dual_and_b32 v23, 0xffff, v24
.LBB373_69:
	s_or_b32 exec_lo, exec_lo, s28
	s_delay_alu instid0(VALU_DEP_1)
	v_mov_b32_dpp v24, v23 row_shr:4 row_mask:0xf bank_mask:0xf
	s_mov_b32 s28, exec_lo
	v_cmpx_lt_u32_e32 3, v21
	s_cbranch_execz .LBB373_73
; %bb.70:
	s_delay_alu instid0(VALU_DEP_2) | instskip(SKIP_2) | instid1(VALU_DEP_2)
	v_cvt_f32_f16_e32 v23, v24
	v_cvt_f32_f16_e32 v25, v22
	v_cmp_u_f16_e64 s1, v24, v24
	v_min_num_f32_e32 v26, v23, v25
	v_max_num_f32_e32 v27, v23, v25
	s_wait_alu 0xf1ff
	s_delay_alu instid0(VALU_DEP_2) | instskip(NEXT) | instid1(VALU_DEP_2)
	v_cndmask_b32_e64 v26, v26, v23, s1
	v_cndmask_b32_e64 v27, v27, v23, s1
	v_cmp_u_f16_e64 s1, v22, v22
	s_wait_alu 0xf1ff
	s_delay_alu instid0(VALU_DEP_1) | instskip(NEXT) | instid1(VALU_DEP_3)
	v_cndmask_b32_e64 v23, v26, v25, s1
	v_cndmask_b32_e64 v22, v27, v25, s1
	s_delay_alu instid0(VALU_DEP_2) | instskip(NEXT) | instid1(VALU_DEP_2)
	v_cmp_class_f32_e64 s29, v23, 0x1f8
	v_cmp_neq_f32_e64 s1, v23, v22
	s_or_b32 s1, s1, s29
	s_wait_alu 0xfffe
	s_and_saveexec_b32 s29, s1
	s_cbranch_execz .LBB373_72
; %bb.71:
	v_sub_f32_e32 v23, v23, v22
	s_delay_alu instid0(VALU_DEP_1) | instskip(NEXT) | instid1(VALU_DEP_1)
	v_mul_f32_e32 v24, 0x3fb8aa3b, v23
	v_fma_f32 v25, 0x3fb8aa3b, v23, -v24
	v_rndne_f32_e32 v26, v24
	s_delay_alu instid0(VALU_DEP_1) | instskip(NEXT) | instid1(VALU_DEP_1)
	v_dual_fmamk_f32 v25, v23, 0x32a5705f, v25 :: v_dual_sub_f32 v24, v24, v26
	v_add_f32_e32 v24, v24, v25
	v_cvt_i32_f32_e32 v25, v26
	v_cmp_ngt_f32_e64 s1, 0xc2ce8ed0, v23
	s_delay_alu instid0(VALU_DEP_3) | instskip(NEXT) | instid1(TRANS32_DEP_1)
	v_exp_f32_e32 v24, v24
	v_ldexp_f32 v24, v24, v25
	s_wait_alu 0xf1ff
	s_delay_alu instid0(VALU_DEP_1) | instskip(SKIP_2) | instid1(VALU_DEP_1)
	v_cndmask_b32_e64 v24, 0, v24, s1
	v_cmp_nlt_f32_e64 s1, 0x42b17218, v23
	s_wait_alu 0xf1ff
	v_cndmask_b32_e64 v25, 0x7f800000, v24, s1
	s_delay_alu instid0(VALU_DEP_1) | instskip(NEXT) | instid1(VALU_DEP_1)
	v_add_f32_e32 v26, 1.0, v25
	v_cvt_f64_f32_e32 v[23:24], v26
	s_delay_alu instid0(VALU_DEP_1) | instskip(SKIP_1) | instid1(VALU_DEP_1)
	v_frexp_exp_i32_f64_e32 v23, v[23:24]
	v_frexp_mant_f32_e32 v24, v26
	v_cmp_gt_f32_e64 s1, 0x3f2aaaab, v24
	v_add_f32_e32 v24, -1.0, v26
	s_delay_alu instid0(VALU_DEP_1) | instskip(SKIP_1) | instid1(VALU_DEP_3)
	v_sub_f32_e32 v28, v24, v26
	s_wait_alu 0xf1ff
	v_subrev_co_ci_u32_e64 v23, null, 0, v23, s1
	s_mov_b32 s1, 0x3e9b6dac
	v_sub_nc_u32_e32 v27, 0, v23
	v_cvt_f32_i32_e32 v23, v23
	s_delay_alu instid0(VALU_DEP_2) | instskip(NEXT) | instid1(VALU_DEP_1)
	v_ldexp_f32 v26, v26, v27
	v_dual_sub_f32 v24, v25, v24 :: v_dual_add_f32 v29, 1.0, v26
	v_add_f32_e32 v28, 1.0, v28
	s_delay_alu instid0(VALU_DEP_1) | instskip(NEXT) | instid1(VALU_DEP_3)
	v_add_f32_e32 v24, v24, v28
	v_add_f32_e32 v28, -1.0, v29
	s_delay_alu instid0(VALU_DEP_2) | instskip(NEXT) | instid1(VALU_DEP_2)
	v_ldexp_f32 v24, v24, v27
	v_dual_add_f32 v27, -1.0, v26 :: v_dual_sub_f32 v28, v26, v28
	s_delay_alu instid0(VALU_DEP_1) | instskip(NEXT) | instid1(VALU_DEP_2)
	v_add_f32_e32 v30, 1.0, v27
	v_add_f32_e32 v28, v24, v28
	s_delay_alu instid0(VALU_DEP_2) | instskip(NEXT) | instid1(VALU_DEP_2)
	v_sub_f32_e32 v26, v26, v30
	v_add_f32_e32 v30, v29, v28
	s_delay_alu instid0(VALU_DEP_2) | instskip(NEXT) | instid1(VALU_DEP_2)
	v_add_f32_e32 v24, v24, v26
	v_rcp_f32_e32 v26, v30
	v_sub_f32_e32 v29, v29, v30
	s_delay_alu instid0(VALU_DEP_1) | instskip(NEXT) | instid1(VALU_DEP_1)
	v_dual_add_f32 v31, v27, v24 :: v_dual_add_f32 v28, v28, v29
	v_sub_f32_e32 v27, v27, v31
	s_delay_alu instid0(TRANS32_DEP_1) | instskip(NEXT) | instid1(VALU_DEP_1)
	v_mul_f32_e32 v32, v31, v26
	v_dual_add_f32 v24, v24, v27 :: v_dual_mul_f32 v33, v30, v32
	s_delay_alu instid0(VALU_DEP_1) | instskip(NEXT) | instid1(VALU_DEP_1)
	v_fma_f32 v29, v32, v30, -v33
	v_fmac_f32_e32 v29, v32, v28
	s_delay_alu instid0(VALU_DEP_1) | instskip(NEXT) | instid1(VALU_DEP_1)
	v_add_f32_e32 v34, v33, v29
	v_sub_f32_e32 v35, v31, v34
	v_sub_f32_e32 v27, v34, v33
	s_delay_alu instid0(VALU_DEP_2) | instskip(NEXT) | instid1(VALU_DEP_2)
	v_sub_f32_e32 v31, v31, v35
	v_sub_f32_e32 v27, v27, v29
	s_delay_alu instid0(VALU_DEP_2) | instskip(NEXT) | instid1(VALU_DEP_1)
	v_sub_f32_e32 v31, v31, v34
	v_add_f32_e32 v24, v24, v31
	s_delay_alu instid0(VALU_DEP_1) | instskip(NEXT) | instid1(VALU_DEP_1)
	v_add_f32_e32 v24, v27, v24
	v_add_f32_e32 v27, v35, v24
	s_delay_alu instid0(VALU_DEP_1) | instskip(NEXT) | instid1(VALU_DEP_1)
	v_mul_f32_e32 v29, v26, v27
	v_dual_sub_f32 v34, v35, v27 :: v_dual_mul_f32 v31, v30, v29
	s_delay_alu instid0(VALU_DEP_1) | instskip(NEXT) | instid1(VALU_DEP_2)
	v_add_f32_e32 v24, v24, v34
	v_fma_f32 v30, v29, v30, -v31
	s_delay_alu instid0(VALU_DEP_1) | instskip(NEXT) | instid1(VALU_DEP_1)
	v_fmac_f32_e32 v30, v29, v28
	v_add_f32_e32 v28, v31, v30
	s_delay_alu instid0(VALU_DEP_1) | instskip(SKIP_1) | instid1(VALU_DEP_2)
	v_sub_f32_e32 v33, v27, v28
	v_sub_f32_e32 v31, v28, v31
	;; [unrolled: 1-line block ×3, first 2 shown]
	s_delay_alu instid0(VALU_DEP_1) | instskip(NEXT) | instid1(VALU_DEP_3)
	v_sub_f32_e32 v27, v27, v28
	v_sub_f32_e32 v28, v31, v30
	s_delay_alu instid0(VALU_DEP_2) | instskip(SKIP_1) | instid1(VALU_DEP_2)
	v_add_f32_e32 v24, v24, v27
	v_add_f32_e32 v27, v32, v29
	v_add_f32_e32 v24, v28, v24
	s_delay_alu instid0(VALU_DEP_2) | instskip(NEXT) | instid1(VALU_DEP_2)
	v_sub_f32_e32 v28, v27, v32
	v_add_f32_e32 v24, v33, v24
	s_delay_alu instid0(VALU_DEP_2) | instskip(NEXT) | instid1(VALU_DEP_2)
	v_sub_f32_e32 v28, v29, v28
	v_mul_f32_e32 v24, v26, v24
	s_delay_alu instid0(VALU_DEP_1) | instskip(NEXT) | instid1(VALU_DEP_1)
	v_add_f32_e32 v24, v28, v24
	v_add_f32_e32 v26, v27, v24
	s_delay_alu instid0(VALU_DEP_1) | instskip(SKIP_1) | instid1(VALU_DEP_1)
	v_mul_f32_e32 v28, v26, v26
	s_wait_alu 0xfffe
	v_fmaak_f32 v29, s1, v28, 0x3ecc95a3
	v_mul_f32_e32 v30, v26, v28
	v_cmp_neq_f32_e64 s1, 0x7f800000, v25
	s_delay_alu instid0(VALU_DEP_3) | instskip(SKIP_2) | instid1(VALU_DEP_3)
	v_fmaak_f32 v28, v28, v29, 0x3f2aaada
	v_ldexp_f32 v29, v26, 1
	v_sub_f32_e32 v26, v26, v27
	v_mul_f32_e32 v28, v30, v28
	v_mul_f32_e32 v30, 0x3f317218, v23
	s_delay_alu instid0(VALU_DEP_2) | instskip(NEXT) | instid1(VALU_DEP_1)
	v_dual_sub_f32 v24, v24, v26 :: v_dual_add_f32 v27, v29, v28
	v_ldexp_f32 v24, v24, 1
	s_delay_alu instid0(VALU_DEP_2) | instskip(NEXT) | instid1(VALU_DEP_4)
	v_sub_f32_e32 v26, v27, v29
	v_fma_f32 v29, 0x3f317218, v23, -v30
	s_delay_alu instid0(VALU_DEP_1) | instskip(NEXT) | instid1(VALU_DEP_1)
	v_dual_sub_f32 v26, v28, v26 :: v_dual_fmamk_f32 v23, v23, 0xb102e308, v29
	v_add_f32_e32 v24, v24, v26
	s_delay_alu instid0(VALU_DEP_2) | instskip(NEXT) | instid1(VALU_DEP_2)
	v_add_f32_e32 v26, v30, v23
	v_add_f32_e32 v28, v27, v24
	s_delay_alu instid0(VALU_DEP_2) | instskip(NEXT) | instid1(VALU_DEP_2)
	v_sub_f32_e32 v30, v26, v30
	v_add_f32_e32 v29, v26, v28
	v_sub_f32_e32 v27, v28, v27
	s_delay_alu instid0(VALU_DEP_3) | instskip(NEXT) | instid1(VALU_DEP_2)
	v_sub_f32_e32 v23, v23, v30
	v_dual_sub_f32 v31, v29, v26 :: v_dual_sub_f32 v24, v24, v27
	s_delay_alu instid0(VALU_DEP_1) | instskip(NEXT) | instid1(VALU_DEP_2)
	v_sub_f32_e32 v32, v29, v31
	v_dual_sub_f32 v27, v28, v31 :: v_dual_add_f32 v28, v23, v24
	s_delay_alu instid0(VALU_DEP_2) | instskip(NEXT) | instid1(VALU_DEP_1)
	v_sub_f32_e32 v26, v26, v32
	v_dual_add_f32 v26, v27, v26 :: v_dual_sub_f32 v27, v28, v23
	s_delay_alu instid0(VALU_DEP_1) | instskip(NEXT) | instid1(VALU_DEP_2)
	v_add_f32_e32 v26, v28, v26
	v_sub_f32_e32 v28, v28, v27
	v_sub_f32_e32 v24, v24, v27
	s_delay_alu instid0(VALU_DEP_2) | instskip(NEXT) | instid1(VALU_DEP_1)
	v_dual_add_f32 v30, v29, v26 :: v_dual_sub_f32 v23, v23, v28
	v_sub_f32_e32 v27, v30, v29
	s_delay_alu instid0(VALU_DEP_2) | instskip(NEXT) | instid1(VALU_DEP_2)
	v_add_f32_e32 v23, v24, v23
	v_sub_f32_e32 v24, v26, v27
	s_delay_alu instid0(VALU_DEP_1) | instskip(NEXT) | instid1(VALU_DEP_1)
	v_add_f32_e32 v23, v23, v24
	v_add_f32_e32 v23, v30, v23
	s_wait_alu 0xf1ff
	s_delay_alu instid0(VALU_DEP_1) | instskip(SKIP_2) | instid1(VALU_DEP_1)
	v_cndmask_b32_e64 v23, 0x7f800000, v23, s1
	v_cmp_gt_f32_e64 s1, 0x33800000, |v25|
	s_wait_alu 0xf1ff
	v_cndmask_b32_e64 v23, v23, v25, s1
	s_delay_alu instid0(VALU_DEP_1) | instskip(NEXT) | instid1(VALU_DEP_1)
	v_add_f32_e32 v22, v22, v23
	v_cvt_f16_f32_e32 v24, v22
.LBB373_72:
	s_or_b32 exec_lo, exec_lo, s29
	s_delay_alu instid0(VALU_DEP_1)
	v_dual_mov_b32 v22, v24 :: v_dual_and_b32 v23, 0xffff, v24
.LBB373_73:
	s_or_b32 exec_lo, exec_lo, s28
	s_delay_alu instid0(VALU_DEP_1)
	v_mov_b32_dpp v24, v23 row_shr:8 row_mask:0xf bank_mask:0xf
	s_mov_b32 s28, exec_lo
	v_cmpx_lt_u32_e32 7, v21
	s_cbranch_execz .LBB373_77
; %bb.74:
	s_delay_alu instid0(VALU_DEP_2) | instskip(SKIP_2) | instid1(VALU_DEP_2)
	v_cvt_f32_f16_e32 v21, v24
	v_cvt_f32_f16_e32 v23, v22
	v_cmp_u_f16_e64 s1, v24, v24
	v_min_num_f32_e32 v25, v21, v23
	v_max_num_f32_e32 v26, v21, v23
	s_wait_alu 0xf1ff
	s_delay_alu instid0(VALU_DEP_2) | instskip(NEXT) | instid1(VALU_DEP_2)
	v_cndmask_b32_e64 v25, v25, v21, s1
	v_cndmask_b32_e64 v21, v26, v21, s1
	v_cmp_u_f16_e64 s1, v22, v22
	s_wait_alu 0xf1ff
	s_delay_alu instid0(VALU_DEP_1) | instskip(NEXT) | instid1(VALU_DEP_3)
	v_cndmask_b32_e64 v22, v25, v23, s1
	v_cndmask_b32_e64 v21, v21, v23, s1
	s_delay_alu instid0(VALU_DEP_2) | instskip(NEXT) | instid1(VALU_DEP_2)
	v_cmp_class_f32_e64 s29, v22, 0x1f8
	v_cmp_neq_f32_e64 s1, v22, v21
	s_or_b32 s1, s1, s29
	s_wait_alu 0xfffe
	s_and_saveexec_b32 s29, s1
	s_cbranch_execz .LBB373_76
; %bb.75:
	v_sub_f32_e32 v22, v22, v21
	s_delay_alu instid0(VALU_DEP_1) | instskip(NEXT) | instid1(VALU_DEP_1)
	v_mul_f32_e32 v23, 0x3fb8aa3b, v22
	v_fma_f32 v24, 0x3fb8aa3b, v22, -v23
	v_rndne_f32_e32 v25, v23
	s_delay_alu instid0(VALU_DEP_1) | instskip(NEXT) | instid1(VALU_DEP_1)
	v_dual_fmamk_f32 v24, v22, 0x32a5705f, v24 :: v_dual_sub_f32 v23, v23, v25
	v_add_f32_e32 v23, v23, v24
	v_cvt_i32_f32_e32 v24, v25
	v_cmp_ngt_f32_e64 s1, 0xc2ce8ed0, v22
	s_delay_alu instid0(VALU_DEP_3) | instskip(NEXT) | instid1(TRANS32_DEP_1)
	v_exp_f32_e32 v23, v23
	v_ldexp_f32 v23, v23, v24
	s_wait_alu 0xf1ff
	s_delay_alu instid0(VALU_DEP_1) | instskip(SKIP_2) | instid1(VALU_DEP_1)
	v_cndmask_b32_e64 v23, 0, v23, s1
	v_cmp_nlt_f32_e64 s1, 0x42b17218, v22
	s_wait_alu 0xf1ff
	v_cndmask_b32_e64 v24, 0x7f800000, v23, s1
	s_delay_alu instid0(VALU_DEP_1) | instskip(NEXT) | instid1(VALU_DEP_1)
	v_add_f32_e32 v25, 1.0, v24
	v_cvt_f64_f32_e32 v[22:23], v25
	s_delay_alu instid0(VALU_DEP_1) | instskip(SKIP_1) | instid1(VALU_DEP_1)
	v_frexp_exp_i32_f64_e32 v22, v[22:23]
	v_frexp_mant_f32_e32 v23, v25
	v_cmp_gt_f32_e64 s1, 0x3f2aaaab, v23
	v_add_f32_e32 v23, -1.0, v25
	s_delay_alu instid0(VALU_DEP_1) | instskip(SKIP_1) | instid1(VALU_DEP_3)
	v_sub_f32_e32 v27, v23, v25
	s_wait_alu 0xf1ff
	v_subrev_co_ci_u32_e64 v22, null, 0, v22, s1
	s_mov_b32 s1, 0x3e9b6dac
	v_sub_nc_u32_e32 v26, 0, v22
	v_cvt_f32_i32_e32 v22, v22
	s_delay_alu instid0(VALU_DEP_2) | instskip(NEXT) | instid1(VALU_DEP_1)
	v_ldexp_f32 v25, v25, v26
	v_dual_sub_f32 v23, v24, v23 :: v_dual_add_f32 v28, 1.0, v25
	v_add_f32_e32 v27, 1.0, v27
	s_delay_alu instid0(VALU_DEP_1) | instskip(NEXT) | instid1(VALU_DEP_3)
	v_add_f32_e32 v23, v23, v27
	v_add_f32_e32 v27, -1.0, v28
	s_delay_alu instid0(VALU_DEP_2) | instskip(NEXT) | instid1(VALU_DEP_2)
	v_ldexp_f32 v23, v23, v26
	v_dual_add_f32 v26, -1.0, v25 :: v_dual_sub_f32 v27, v25, v27
	s_delay_alu instid0(VALU_DEP_1) | instskip(NEXT) | instid1(VALU_DEP_2)
	v_add_f32_e32 v29, 1.0, v26
	v_add_f32_e32 v27, v23, v27
	s_delay_alu instid0(VALU_DEP_2) | instskip(NEXT) | instid1(VALU_DEP_2)
	v_sub_f32_e32 v25, v25, v29
	v_add_f32_e32 v29, v28, v27
	s_delay_alu instid0(VALU_DEP_2) | instskip(NEXT) | instid1(VALU_DEP_2)
	v_add_f32_e32 v23, v23, v25
	v_rcp_f32_e32 v25, v29
	v_sub_f32_e32 v28, v28, v29
	s_delay_alu instid0(VALU_DEP_1) | instskip(NEXT) | instid1(VALU_DEP_1)
	v_dual_add_f32 v30, v26, v23 :: v_dual_add_f32 v27, v27, v28
	v_sub_f32_e32 v26, v26, v30
	s_delay_alu instid0(TRANS32_DEP_1) | instskip(NEXT) | instid1(VALU_DEP_1)
	v_mul_f32_e32 v31, v30, v25
	v_dual_add_f32 v23, v23, v26 :: v_dual_mul_f32 v32, v29, v31
	s_delay_alu instid0(VALU_DEP_1) | instskip(NEXT) | instid1(VALU_DEP_1)
	v_fma_f32 v28, v31, v29, -v32
	v_fmac_f32_e32 v28, v31, v27
	s_delay_alu instid0(VALU_DEP_1) | instskip(NEXT) | instid1(VALU_DEP_1)
	v_add_f32_e32 v33, v32, v28
	v_sub_f32_e32 v34, v30, v33
	v_sub_f32_e32 v26, v33, v32
	s_delay_alu instid0(VALU_DEP_2) | instskip(NEXT) | instid1(VALU_DEP_2)
	v_sub_f32_e32 v30, v30, v34
	v_sub_f32_e32 v26, v26, v28
	s_delay_alu instid0(VALU_DEP_2) | instskip(NEXT) | instid1(VALU_DEP_1)
	v_sub_f32_e32 v30, v30, v33
	v_add_f32_e32 v23, v23, v30
	s_delay_alu instid0(VALU_DEP_1) | instskip(NEXT) | instid1(VALU_DEP_1)
	v_add_f32_e32 v23, v26, v23
	v_add_f32_e32 v26, v34, v23
	s_delay_alu instid0(VALU_DEP_1) | instskip(NEXT) | instid1(VALU_DEP_1)
	v_mul_f32_e32 v28, v25, v26
	v_dual_sub_f32 v33, v34, v26 :: v_dual_mul_f32 v30, v29, v28
	s_delay_alu instid0(VALU_DEP_1) | instskip(NEXT) | instid1(VALU_DEP_2)
	v_add_f32_e32 v23, v23, v33
	v_fma_f32 v29, v28, v29, -v30
	s_delay_alu instid0(VALU_DEP_1) | instskip(NEXT) | instid1(VALU_DEP_1)
	v_fmac_f32_e32 v29, v28, v27
	v_add_f32_e32 v27, v30, v29
	s_delay_alu instid0(VALU_DEP_1) | instskip(SKIP_1) | instid1(VALU_DEP_2)
	v_sub_f32_e32 v32, v26, v27
	v_sub_f32_e32 v30, v27, v30
	;; [unrolled: 1-line block ×3, first 2 shown]
	s_delay_alu instid0(VALU_DEP_1) | instskip(NEXT) | instid1(VALU_DEP_3)
	v_sub_f32_e32 v26, v26, v27
	v_sub_f32_e32 v27, v30, v29
	s_delay_alu instid0(VALU_DEP_2) | instskip(SKIP_1) | instid1(VALU_DEP_2)
	v_add_f32_e32 v23, v23, v26
	v_add_f32_e32 v26, v31, v28
	v_add_f32_e32 v23, v27, v23
	s_delay_alu instid0(VALU_DEP_2) | instskip(NEXT) | instid1(VALU_DEP_2)
	v_sub_f32_e32 v27, v26, v31
	v_add_f32_e32 v23, v32, v23
	s_delay_alu instid0(VALU_DEP_2) | instskip(NEXT) | instid1(VALU_DEP_2)
	v_sub_f32_e32 v27, v28, v27
	v_mul_f32_e32 v23, v25, v23
	s_delay_alu instid0(VALU_DEP_1) | instskip(NEXT) | instid1(VALU_DEP_1)
	v_add_f32_e32 v23, v27, v23
	v_add_f32_e32 v25, v26, v23
	s_delay_alu instid0(VALU_DEP_1) | instskip(SKIP_1) | instid1(VALU_DEP_1)
	v_mul_f32_e32 v27, v25, v25
	s_wait_alu 0xfffe
	v_fmaak_f32 v28, s1, v27, 0x3ecc95a3
	v_mul_f32_e32 v29, v25, v27
	v_cmp_neq_f32_e64 s1, 0x7f800000, v24
	s_delay_alu instid0(VALU_DEP_3) | instskip(SKIP_2) | instid1(VALU_DEP_3)
	v_fmaak_f32 v27, v27, v28, 0x3f2aaada
	v_ldexp_f32 v28, v25, 1
	v_sub_f32_e32 v25, v25, v26
	v_mul_f32_e32 v27, v29, v27
	v_mul_f32_e32 v29, 0x3f317218, v22
	s_delay_alu instid0(VALU_DEP_2) | instskip(NEXT) | instid1(VALU_DEP_1)
	v_dual_sub_f32 v23, v23, v25 :: v_dual_add_f32 v26, v28, v27
	v_ldexp_f32 v23, v23, 1
	s_delay_alu instid0(VALU_DEP_2) | instskip(NEXT) | instid1(VALU_DEP_4)
	v_sub_f32_e32 v25, v26, v28
	v_fma_f32 v28, 0x3f317218, v22, -v29
	s_delay_alu instid0(VALU_DEP_1) | instskip(NEXT) | instid1(VALU_DEP_1)
	v_dual_sub_f32 v25, v27, v25 :: v_dual_fmamk_f32 v22, v22, 0xb102e308, v28
	v_add_f32_e32 v23, v23, v25
	s_delay_alu instid0(VALU_DEP_2) | instskip(NEXT) | instid1(VALU_DEP_2)
	v_add_f32_e32 v25, v29, v22
	v_add_f32_e32 v27, v26, v23
	s_delay_alu instid0(VALU_DEP_2) | instskip(NEXT) | instid1(VALU_DEP_2)
	v_sub_f32_e32 v29, v25, v29
	v_add_f32_e32 v28, v25, v27
	v_sub_f32_e32 v26, v27, v26
	s_delay_alu instid0(VALU_DEP_3) | instskip(NEXT) | instid1(VALU_DEP_2)
	v_sub_f32_e32 v22, v22, v29
	v_dual_sub_f32 v30, v28, v25 :: v_dual_sub_f32 v23, v23, v26
	s_delay_alu instid0(VALU_DEP_1) | instskip(NEXT) | instid1(VALU_DEP_2)
	v_sub_f32_e32 v31, v28, v30
	v_dual_sub_f32 v26, v27, v30 :: v_dual_add_f32 v27, v22, v23
	s_delay_alu instid0(VALU_DEP_2) | instskip(NEXT) | instid1(VALU_DEP_1)
	v_sub_f32_e32 v25, v25, v31
	v_dual_add_f32 v25, v26, v25 :: v_dual_sub_f32 v26, v27, v22
	s_delay_alu instid0(VALU_DEP_1) | instskip(NEXT) | instid1(VALU_DEP_2)
	v_add_f32_e32 v25, v27, v25
	v_sub_f32_e32 v27, v27, v26
	v_sub_f32_e32 v23, v23, v26
	s_delay_alu instid0(VALU_DEP_2) | instskip(NEXT) | instid1(VALU_DEP_1)
	v_dual_add_f32 v29, v28, v25 :: v_dual_sub_f32 v22, v22, v27
	v_sub_f32_e32 v26, v29, v28
	s_delay_alu instid0(VALU_DEP_2) | instskip(NEXT) | instid1(VALU_DEP_2)
	v_add_f32_e32 v22, v23, v22
	v_sub_f32_e32 v23, v25, v26
	s_delay_alu instid0(VALU_DEP_1) | instskip(NEXT) | instid1(VALU_DEP_1)
	v_add_f32_e32 v22, v22, v23
	v_add_f32_e32 v22, v29, v22
	s_wait_alu 0xf1ff
	s_delay_alu instid0(VALU_DEP_1) | instskip(SKIP_2) | instid1(VALU_DEP_1)
	v_cndmask_b32_e64 v22, 0x7f800000, v22, s1
	v_cmp_gt_f32_e64 s1, 0x33800000, |v24|
	s_wait_alu 0xf1ff
	v_cndmask_b32_e64 v22, v22, v24, s1
	s_delay_alu instid0(VALU_DEP_1) | instskip(NEXT) | instid1(VALU_DEP_1)
	v_add_f32_e32 v21, v21, v22
	v_cvt_f16_f32_e32 v24, v21
.LBB373_76:
	s_or_b32 exec_lo, exec_lo, s29
	s_delay_alu instid0(VALU_DEP_1)
	v_dual_mov_b32 v22, v24 :: v_dual_and_b32 v23, 0xffff, v24
.LBB373_77:
	s_or_b32 exec_lo, exec_lo, s28
	ds_swizzle_b32 v23, v23 offset:swizzle(BROADCAST,32,15)
	v_and_b32_e32 v21, 16, v20
	s_mov_b32 s28, exec_lo
	s_delay_alu instid0(VALU_DEP_1)
	v_cmpx_ne_u32_e32 0, v21
	s_cbranch_execz .LBB373_81
; %bb.78:
	s_wait_dscnt 0x0
	v_cvt_f32_f16_e32 v21, v23
	v_cvt_f32_f16_e32 v24, v22
	v_cmp_u_f16_e64 s1, v23, v23
	s_delay_alu instid0(VALU_DEP_2) | instskip(SKIP_2) | instid1(VALU_DEP_2)
	v_min_num_f32_e32 v25, v21, v24
	v_max_num_f32_e32 v26, v21, v24
	s_wait_alu 0xf1ff
	v_cndmask_b32_e64 v25, v25, v21, s1
	s_delay_alu instid0(VALU_DEP_2) | instskip(SKIP_2) | instid1(VALU_DEP_1)
	v_cndmask_b32_e64 v21, v26, v21, s1
	v_cmp_u_f16_e64 s1, v22, v22
	s_wait_alu 0xf1ff
	v_cndmask_b32_e64 v22, v25, v24, s1
	s_delay_alu instid0(VALU_DEP_3) | instskip(NEXT) | instid1(VALU_DEP_2)
	v_cndmask_b32_e64 v21, v21, v24, s1
	v_cmp_class_f32_e64 s29, v22, 0x1f8
	s_delay_alu instid0(VALU_DEP_2)
	v_cmp_neq_f32_e64 s1, v22, v21
	s_or_b32 s1, s1, s29
	s_wait_alu 0xfffe
	s_and_saveexec_b32 s29, s1
	s_cbranch_execz .LBB373_80
; %bb.79:
	v_sub_f32_e32 v22, v22, v21
	s_delay_alu instid0(VALU_DEP_1) | instskip(NEXT) | instid1(VALU_DEP_1)
	v_mul_f32_e32 v23, 0x3fb8aa3b, v22
	v_fma_f32 v24, 0x3fb8aa3b, v22, -v23
	v_rndne_f32_e32 v25, v23
	s_delay_alu instid0(VALU_DEP_1) | instskip(NEXT) | instid1(VALU_DEP_1)
	v_dual_fmamk_f32 v24, v22, 0x32a5705f, v24 :: v_dual_sub_f32 v23, v23, v25
	v_add_f32_e32 v23, v23, v24
	v_cvt_i32_f32_e32 v24, v25
	v_cmp_ngt_f32_e64 s1, 0xc2ce8ed0, v22
	s_delay_alu instid0(VALU_DEP_3) | instskip(NEXT) | instid1(TRANS32_DEP_1)
	v_exp_f32_e32 v23, v23
	v_ldexp_f32 v23, v23, v24
	s_wait_alu 0xf1ff
	s_delay_alu instid0(VALU_DEP_1) | instskip(SKIP_2) | instid1(VALU_DEP_1)
	v_cndmask_b32_e64 v23, 0, v23, s1
	v_cmp_nlt_f32_e64 s1, 0x42b17218, v22
	s_wait_alu 0xf1ff
	v_cndmask_b32_e64 v24, 0x7f800000, v23, s1
	s_delay_alu instid0(VALU_DEP_1) | instskip(NEXT) | instid1(VALU_DEP_1)
	v_add_f32_e32 v25, 1.0, v24
	v_cvt_f64_f32_e32 v[22:23], v25
	s_delay_alu instid0(VALU_DEP_1) | instskip(SKIP_1) | instid1(VALU_DEP_1)
	v_frexp_exp_i32_f64_e32 v22, v[22:23]
	v_frexp_mant_f32_e32 v23, v25
	v_cmp_gt_f32_e64 s1, 0x3f2aaaab, v23
	v_add_f32_e32 v23, -1.0, v25
	s_delay_alu instid0(VALU_DEP_1) | instskip(SKIP_1) | instid1(VALU_DEP_3)
	v_sub_f32_e32 v27, v23, v25
	s_wait_alu 0xf1ff
	v_subrev_co_ci_u32_e64 v22, null, 0, v22, s1
	s_mov_b32 s1, 0x3e9b6dac
	v_sub_nc_u32_e32 v26, 0, v22
	v_cvt_f32_i32_e32 v22, v22
	s_delay_alu instid0(VALU_DEP_2) | instskip(NEXT) | instid1(VALU_DEP_1)
	v_ldexp_f32 v25, v25, v26
	v_dual_sub_f32 v23, v24, v23 :: v_dual_add_f32 v28, 1.0, v25
	v_add_f32_e32 v27, 1.0, v27
	s_delay_alu instid0(VALU_DEP_1) | instskip(NEXT) | instid1(VALU_DEP_3)
	v_add_f32_e32 v23, v23, v27
	v_add_f32_e32 v27, -1.0, v28
	s_delay_alu instid0(VALU_DEP_2) | instskip(NEXT) | instid1(VALU_DEP_2)
	v_ldexp_f32 v23, v23, v26
	v_dual_add_f32 v26, -1.0, v25 :: v_dual_sub_f32 v27, v25, v27
	s_delay_alu instid0(VALU_DEP_1) | instskip(NEXT) | instid1(VALU_DEP_2)
	v_add_f32_e32 v29, 1.0, v26
	v_add_f32_e32 v27, v23, v27
	s_delay_alu instid0(VALU_DEP_2) | instskip(NEXT) | instid1(VALU_DEP_2)
	v_sub_f32_e32 v25, v25, v29
	v_add_f32_e32 v29, v28, v27
	s_delay_alu instid0(VALU_DEP_2) | instskip(NEXT) | instid1(VALU_DEP_2)
	v_add_f32_e32 v23, v23, v25
	v_rcp_f32_e32 v25, v29
	v_sub_f32_e32 v28, v28, v29
	s_delay_alu instid0(VALU_DEP_1) | instskip(NEXT) | instid1(VALU_DEP_1)
	v_dual_add_f32 v30, v26, v23 :: v_dual_add_f32 v27, v27, v28
	v_sub_f32_e32 v26, v26, v30
	s_delay_alu instid0(TRANS32_DEP_1) | instskip(NEXT) | instid1(VALU_DEP_1)
	v_mul_f32_e32 v31, v30, v25
	v_dual_add_f32 v23, v23, v26 :: v_dual_mul_f32 v32, v29, v31
	s_delay_alu instid0(VALU_DEP_1) | instskip(NEXT) | instid1(VALU_DEP_1)
	v_fma_f32 v28, v31, v29, -v32
	v_fmac_f32_e32 v28, v31, v27
	s_delay_alu instid0(VALU_DEP_1) | instskip(NEXT) | instid1(VALU_DEP_1)
	v_add_f32_e32 v33, v32, v28
	v_sub_f32_e32 v34, v30, v33
	v_sub_f32_e32 v26, v33, v32
	s_delay_alu instid0(VALU_DEP_2) | instskip(NEXT) | instid1(VALU_DEP_2)
	v_sub_f32_e32 v30, v30, v34
	v_sub_f32_e32 v26, v26, v28
	s_delay_alu instid0(VALU_DEP_2) | instskip(NEXT) | instid1(VALU_DEP_1)
	v_sub_f32_e32 v30, v30, v33
	v_add_f32_e32 v23, v23, v30
	s_delay_alu instid0(VALU_DEP_1) | instskip(NEXT) | instid1(VALU_DEP_1)
	v_add_f32_e32 v23, v26, v23
	v_add_f32_e32 v26, v34, v23
	s_delay_alu instid0(VALU_DEP_1) | instskip(NEXT) | instid1(VALU_DEP_1)
	v_mul_f32_e32 v28, v25, v26
	v_dual_sub_f32 v33, v34, v26 :: v_dual_mul_f32 v30, v29, v28
	s_delay_alu instid0(VALU_DEP_1) | instskip(NEXT) | instid1(VALU_DEP_2)
	v_add_f32_e32 v23, v23, v33
	v_fma_f32 v29, v28, v29, -v30
	s_delay_alu instid0(VALU_DEP_1) | instskip(NEXT) | instid1(VALU_DEP_1)
	v_fmac_f32_e32 v29, v28, v27
	v_add_f32_e32 v27, v30, v29
	s_delay_alu instid0(VALU_DEP_1) | instskip(SKIP_1) | instid1(VALU_DEP_2)
	v_sub_f32_e32 v32, v26, v27
	v_sub_f32_e32 v30, v27, v30
	;; [unrolled: 1-line block ×3, first 2 shown]
	s_delay_alu instid0(VALU_DEP_1) | instskip(NEXT) | instid1(VALU_DEP_3)
	v_sub_f32_e32 v26, v26, v27
	v_sub_f32_e32 v27, v30, v29
	s_delay_alu instid0(VALU_DEP_2) | instskip(SKIP_1) | instid1(VALU_DEP_2)
	v_add_f32_e32 v23, v23, v26
	v_add_f32_e32 v26, v31, v28
	;; [unrolled: 1-line block ×3, first 2 shown]
	s_delay_alu instid0(VALU_DEP_2) | instskip(NEXT) | instid1(VALU_DEP_2)
	v_sub_f32_e32 v27, v26, v31
	v_add_f32_e32 v23, v32, v23
	s_delay_alu instid0(VALU_DEP_2) | instskip(NEXT) | instid1(VALU_DEP_2)
	v_sub_f32_e32 v27, v28, v27
	v_mul_f32_e32 v23, v25, v23
	s_delay_alu instid0(VALU_DEP_1) | instskip(NEXT) | instid1(VALU_DEP_1)
	v_add_f32_e32 v23, v27, v23
	v_add_f32_e32 v25, v26, v23
	s_delay_alu instid0(VALU_DEP_1) | instskip(SKIP_1) | instid1(VALU_DEP_1)
	v_mul_f32_e32 v27, v25, v25
	s_wait_alu 0xfffe
	v_fmaak_f32 v28, s1, v27, 0x3ecc95a3
	v_mul_f32_e32 v29, v25, v27
	v_cmp_neq_f32_e64 s1, 0x7f800000, v24
	s_delay_alu instid0(VALU_DEP_3) | instskip(SKIP_2) | instid1(VALU_DEP_3)
	v_fmaak_f32 v27, v27, v28, 0x3f2aaada
	v_ldexp_f32 v28, v25, 1
	v_sub_f32_e32 v25, v25, v26
	v_mul_f32_e32 v27, v29, v27
	v_mul_f32_e32 v29, 0x3f317218, v22
	s_delay_alu instid0(VALU_DEP_2) | instskip(NEXT) | instid1(VALU_DEP_1)
	v_dual_sub_f32 v23, v23, v25 :: v_dual_add_f32 v26, v28, v27
	v_ldexp_f32 v23, v23, 1
	s_delay_alu instid0(VALU_DEP_2) | instskip(NEXT) | instid1(VALU_DEP_4)
	v_sub_f32_e32 v25, v26, v28
	v_fma_f32 v28, 0x3f317218, v22, -v29
	s_delay_alu instid0(VALU_DEP_1) | instskip(NEXT) | instid1(VALU_DEP_1)
	v_dual_sub_f32 v25, v27, v25 :: v_dual_fmamk_f32 v22, v22, 0xb102e308, v28
	v_add_f32_e32 v23, v23, v25
	s_delay_alu instid0(VALU_DEP_2) | instskip(NEXT) | instid1(VALU_DEP_2)
	v_add_f32_e32 v25, v29, v22
	v_add_f32_e32 v27, v26, v23
	s_delay_alu instid0(VALU_DEP_2) | instskip(NEXT) | instid1(VALU_DEP_2)
	v_sub_f32_e32 v29, v25, v29
	v_add_f32_e32 v28, v25, v27
	v_sub_f32_e32 v26, v27, v26
	s_delay_alu instid0(VALU_DEP_3) | instskip(NEXT) | instid1(VALU_DEP_2)
	v_sub_f32_e32 v22, v22, v29
	v_dual_sub_f32 v30, v28, v25 :: v_dual_sub_f32 v23, v23, v26
	s_delay_alu instid0(VALU_DEP_1) | instskip(NEXT) | instid1(VALU_DEP_2)
	v_sub_f32_e32 v31, v28, v30
	v_dual_sub_f32 v26, v27, v30 :: v_dual_add_f32 v27, v22, v23
	s_delay_alu instid0(VALU_DEP_2) | instskip(NEXT) | instid1(VALU_DEP_1)
	v_sub_f32_e32 v25, v25, v31
	v_dual_add_f32 v25, v26, v25 :: v_dual_sub_f32 v26, v27, v22
	s_delay_alu instid0(VALU_DEP_1) | instskip(NEXT) | instid1(VALU_DEP_2)
	v_add_f32_e32 v25, v27, v25
	v_sub_f32_e32 v27, v27, v26
	v_sub_f32_e32 v23, v23, v26
	s_delay_alu instid0(VALU_DEP_2) | instskip(NEXT) | instid1(VALU_DEP_1)
	v_dual_add_f32 v29, v28, v25 :: v_dual_sub_f32 v22, v22, v27
	v_sub_f32_e32 v26, v29, v28
	s_delay_alu instid0(VALU_DEP_2) | instskip(NEXT) | instid1(VALU_DEP_2)
	v_add_f32_e32 v22, v23, v22
	v_sub_f32_e32 v23, v25, v26
	s_delay_alu instid0(VALU_DEP_1) | instskip(NEXT) | instid1(VALU_DEP_1)
	v_add_f32_e32 v22, v22, v23
	v_add_f32_e32 v22, v29, v22
	s_wait_alu 0xf1ff
	s_delay_alu instid0(VALU_DEP_1) | instskip(SKIP_2) | instid1(VALU_DEP_1)
	v_cndmask_b32_e64 v22, 0x7f800000, v22, s1
	v_cmp_gt_f32_e64 s1, 0x33800000, |v24|
	s_wait_alu 0xf1ff
	v_cndmask_b32_e64 v22, v22, v24, s1
	s_delay_alu instid0(VALU_DEP_1) | instskip(NEXT) | instid1(VALU_DEP_1)
	v_add_f32_e32 v21, v21, v22
	v_cvt_f16_f32_e32 v23, v21
.LBB373_80:
	s_or_b32 exec_lo, exec_lo, s29
	s_delay_alu instid0(VALU_DEP_1)
	v_mov_b32_e32 v22, v23
.LBB373_81:
	s_or_b32 exec_lo, exec_lo, s28
	v_add_nc_u32_e32 v21, -1, v20
	s_delay_alu instid0(VALU_DEP_1) | instskip(SKIP_1) | instid1(VALU_DEP_1)
	v_cmp_gt_i32_e64 s1, 0, v21
	s_wait_alu 0xf1ff
	v_cndmask_b32_e64 v20, v21, v20, s1
	v_and_b32_e32 v21, 0xffff, v22
	s_delay_alu instid0(VALU_DEP_2)
	v_lshlrev_b32_e32 v20, 2, v20
	ds_bpermute_b32 v20, v20, v21
	v_max_num_f32_e32 v21, v19, v19
	s_wait_dscnt 0x0
	v_cvt_f32_f16_e32 v22, v20
	v_cmp_u_f16_e64 s1, v20, v20
	s_delay_alu instid0(VALU_DEP_2) | instskip(SKIP_2) | instid1(VALU_DEP_2)
	v_min_num_f32_e32 v23, v22, v21
	v_max_num_f32_e32 v21, v22, v21
	s_wait_alu 0xf1ff
	v_cndmask_b32_e64 v23, v23, v22, s1
	s_delay_alu instid0(VALU_DEP_2) | instskip(NEXT) | instid1(VALU_DEP_2)
	v_cndmask_b32_e64 v22, v21, v22, s1
	v_cndmask_b32_e64 v21, v23, v19, s0
	s_delay_alu instid0(VALU_DEP_2) | instskip(NEXT) | instid1(VALU_DEP_2)
	v_cndmask_b32_e64 v19, v22, v19, s0
	v_cmp_class_f32_e64 s1, v21, 0x1f8
	s_delay_alu instid0(VALU_DEP_2)
	v_cmp_neq_f32_e64 s0, v21, v19
	s_or_b32 s0, s0, s1
	s_wait_alu 0xfffe
	s_and_saveexec_b32 s1, s0
	s_cbranch_execz .LBB373_83
; %bb.82:
	v_sub_f32_e32 v20, v21, v19
	s_delay_alu instid0(VALU_DEP_1) | instskip(SKIP_1) | instid1(VALU_DEP_2)
	v_mul_f32_e32 v21, 0x3fb8aa3b, v20
	v_cmp_ngt_f32_e64 s0, 0xc2ce8ed0, v20
	v_fma_f32 v22, 0x3fb8aa3b, v20, -v21
	v_rndne_f32_e32 v23, v21
	s_delay_alu instid0(VALU_DEP_1) | instskip(NEXT) | instid1(VALU_DEP_1)
	v_dual_fmamk_f32 v22, v20, 0x32a5705f, v22 :: v_dual_sub_f32 v21, v21, v23
	v_add_f32_e32 v21, v21, v22
	v_cvt_i32_f32_e32 v22, v23
	s_delay_alu instid0(VALU_DEP_2) | instskip(NEXT) | instid1(TRANS32_DEP_1)
	v_exp_f32_e32 v21, v21
	v_ldexp_f32 v21, v21, v22
	s_wait_alu 0xf1ff
	s_delay_alu instid0(VALU_DEP_1) | instskip(SKIP_2) | instid1(VALU_DEP_1)
	v_cndmask_b32_e64 v21, 0, v21, s0
	v_cmp_nlt_f32_e64 s0, 0x42b17218, v20
	s_wait_alu 0xf1ff
	v_cndmask_b32_e64 v22, 0x7f800000, v21, s0
	s_delay_alu instid0(VALU_DEP_1) | instskip(NEXT) | instid1(VALU_DEP_1)
	v_add_f32_e32 v23, 1.0, v22
	v_cvt_f64_f32_e32 v[20:21], v23
	s_delay_alu instid0(VALU_DEP_1) | instskip(SKIP_1) | instid1(VALU_DEP_1)
	v_frexp_exp_i32_f64_e32 v20, v[20:21]
	v_frexp_mant_f32_e32 v21, v23
	v_cmp_gt_f32_e64 s0, 0x3f2aaaab, v21
	v_add_f32_e32 v21, -1.0, v23
	s_delay_alu instid0(VALU_DEP_1)
	v_sub_f32_e32 v25, v21, v23
	v_sub_f32_e32 v21, v22, v21
	s_wait_alu 0xf1ff
	v_subrev_co_ci_u32_e64 v20, null, 0, v20, s0
	s_mov_b32 s0, 0x3e9b6dac
	v_sub_nc_u32_e32 v24, 0, v20
	v_cvt_f32_i32_e32 v20, v20
	s_delay_alu instid0(VALU_DEP_2) | instskip(NEXT) | instid1(VALU_DEP_1)
	v_ldexp_f32 v23, v23, v24
	v_dual_add_f32 v26, 1.0, v23 :: v_dual_add_f32 v25, 1.0, v25
	s_delay_alu instid0(VALU_DEP_1) | instskip(NEXT) | instid1(VALU_DEP_2)
	v_add_f32_e32 v21, v21, v25
	v_add_f32_e32 v25, -1.0, v26
	s_delay_alu instid0(VALU_DEP_2) | instskip(NEXT) | instid1(VALU_DEP_2)
	v_ldexp_f32 v21, v21, v24
	v_dual_add_f32 v24, -1.0, v23 :: v_dual_sub_f32 v25, v23, v25
	s_delay_alu instid0(VALU_DEP_1) | instskip(NEXT) | instid1(VALU_DEP_2)
	v_add_f32_e32 v27, 1.0, v24
	v_add_f32_e32 v25, v21, v25
	s_delay_alu instid0(VALU_DEP_2) | instskip(NEXT) | instid1(VALU_DEP_2)
	v_sub_f32_e32 v23, v23, v27
	v_add_f32_e32 v27, v26, v25
	s_delay_alu instid0(VALU_DEP_2) | instskip(NEXT) | instid1(VALU_DEP_2)
	v_add_f32_e32 v21, v21, v23
	v_rcp_f32_e32 v23, v27
	v_sub_f32_e32 v26, v26, v27
	s_delay_alu instid0(VALU_DEP_1) | instskip(NEXT) | instid1(VALU_DEP_1)
	v_dual_add_f32 v28, v24, v21 :: v_dual_add_f32 v25, v25, v26
	v_sub_f32_e32 v24, v24, v28
	s_delay_alu instid0(TRANS32_DEP_1) | instskip(NEXT) | instid1(VALU_DEP_1)
	v_mul_f32_e32 v29, v28, v23
	v_dual_add_f32 v21, v21, v24 :: v_dual_mul_f32 v30, v27, v29
	s_delay_alu instid0(VALU_DEP_1) | instskip(NEXT) | instid1(VALU_DEP_1)
	v_fma_f32 v26, v29, v27, -v30
	v_fmac_f32_e32 v26, v29, v25
	s_delay_alu instid0(VALU_DEP_1) | instskip(NEXT) | instid1(VALU_DEP_1)
	v_add_f32_e32 v31, v30, v26
	v_sub_f32_e32 v32, v28, v31
	v_sub_f32_e32 v24, v31, v30
	s_delay_alu instid0(VALU_DEP_2) | instskip(NEXT) | instid1(VALU_DEP_2)
	v_sub_f32_e32 v28, v28, v32
	v_sub_f32_e32 v24, v24, v26
	s_delay_alu instid0(VALU_DEP_2) | instskip(NEXT) | instid1(VALU_DEP_1)
	v_sub_f32_e32 v28, v28, v31
	v_add_f32_e32 v21, v21, v28
	s_delay_alu instid0(VALU_DEP_1) | instskip(NEXT) | instid1(VALU_DEP_1)
	v_add_f32_e32 v21, v24, v21
	v_add_f32_e32 v24, v32, v21
	s_delay_alu instid0(VALU_DEP_1) | instskip(NEXT) | instid1(VALU_DEP_1)
	v_mul_f32_e32 v26, v23, v24
	v_dual_sub_f32 v31, v32, v24 :: v_dual_mul_f32 v28, v27, v26
	s_delay_alu instid0(VALU_DEP_1) | instskip(NEXT) | instid1(VALU_DEP_2)
	v_add_f32_e32 v21, v21, v31
	v_fma_f32 v27, v26, v27, -v28
	s_delay_alu instid0(VALU_DEP_1) | instskip(NEXT) | instid1(VALU_DEP_1)
	v_fmac_f32_e32 v27, v26, v25
	v_add_f32_e32 v25, v28, v27
	s_delay_alu instid0(VALU_DEP_1) | instskip(SKIP_1) | instid1(VALU_DEP_2)
	v_sub_f32_e32 v30, v24, v25
	v_sub_f32_e32 v28, v25, v28
	;; [unrolled: 1-line block ×3, first 2 shown]
	s_delay_alu instid0(VALU_DEP_1) | instskip(NEXT) | instid1(VALU_DEP_3)
	v_sub_f32_e32 v24, v24, v25
	v_sub_f32_e32 v25, v28, v27
	s_delay_alu instid0(VALU_DEP_2) | instskip(SKIP_1) | instid1(VALU_DEP_2)
	v_add_f32_e32 v21, v21, v24
	v_add_f32_e32 v24, v29, v26
	;; [unrolled: 1-line block ×3, first 2 shown]
	s_delay_alu instid0(VALU_DEP_2) | instskip(NEXT) | instid1(VALU_DEP_2)
	v_sub_f32_e32 v25, v24, v29
	v_add_f32_e32 v21, v30, v21
	s_delay_alu instid0(VALU_DEP_2) | instskip(NEXT) | instid1(VALU_DEP_2)
	v_sub_f32_e32 v25, v26, v25
	v_mul_f32_e32 v21, v23, v21
	s_delay_alu instid0(VALU_DEP_1) | instskip(NEXT) | instid1(VALU_DEP_1)
	v_add_f32_e32 v21, v25, v21
	v_add_f32_e32 v23, v24, v21
	s_delay_alu instid0(VALU_DEP_1) | instskip(SKIP_1) | instid1(VALU_DEP_1)
	v_mul_f32_e32 v25, v23, v23
	s_wait_alu 0xfffe
	v_fmaak_f32 v26, s0, v25, 0x3ecc95a3
	v_mul_f32_e32 v27, v23, v25
	v_cmp_neq_f32_e64 s0, 0x7f800000, v22
	s_delay_alu instid0(VALU_DEP_3) | instskip(SKIP_2) | instid1(VALU_DEP_3)
	v_fmaak_f32 v25, v25, v26, 0x3f2aaada
	v_ldexp_f32 v26, v23, 1
	v_sub_f32_e32 v23, v23, v24
	v_mul_f32_e32 v25, v27, v25
	v_mul_f32_e32 v27, 0x3f317218, v20
	s_delay_alu instid0(VALU_DEP_2) | instskip(NEXT) | instid1(VALU_DEP_1)
	v_dual_sub_f32 v21, v21, v23 :: v_dual_add_f32 v24, v26, v25
	v_ldexp_f32 v21, v21, 1
	s_delay_alu instid0(VALU_DEP_2) | instskip(NEXT) | instid1(VALU_DEP_4)
	v_sub_f32_e32 v23, v24, v26
	v_fma_f32 v26, 0x3f317218, v20, -v27
	s_delay_alu instid0(VALU_DEP_1) | instskip(NEXT) | instid1(VALU_DEP_1)
	v_dual_sub_f32 v23, v25, v23 :: v_dual_fmamk_f32 v20, v20, 0xb102e308, v26
	v_add_f32_e32 v21, v21, v23
	s_delay_alu instid0(VALU_DEP_2) | instskip(NEXT) | instid1(VALU_DEP_2)
	v_add_f32_e32 v23, v27, v20
	v_add_f32_e32 v25, v24, v21
	s_delay_alu instid0(VALU_DEP_2) | instskip(NEXT) | instid1(VALU_DEP_2)
	v_sub_f32_e32 v27, v23, v27
	v_add_f32_e32 v26, v23, v25
	v_sub_f32_e32 v24, v25, v24
	s_delay_alu instid0(VALU_DEP_3) | instskip(NEXT) | instid1(VALU_DEP_2)
	v_sub_f32_e32 v20, v20, v27
	v_dual_sub_f32 v28, v26, v23 :: v_dual_sub_f32 v21, v21, v24
	s_delay_alu instid0(VALU_DEP_1) | instskip(NEXT) | instid1(VALU_DEP_2)
	v_sub_f32_e32 v29, v26, v28
	v_dual_sub_f32 v24, v25, v28 :: v_dual_add_f32 v25, v20, v21
	s_delay_alu instid0(VALU_DEP_2) | instskip(NEXT) | instid1(VALU_DEP_1)
	v_sub_f32_e32 v23, v23, v29
	v_dual_add_f32 v23, v24, v23 :: v_dual_sub_f32 v24, v25, v20
	s_delay_alu instid0(VALU_DEP_1) | instskip(NEXT) | instid1(VALU_DEP_2)
	v_add_f32_e32 v23, v25, v23
	v_sub_f32_e32 v25, v25, v24
	v_sub_f32_e32 v21, v21, v24
	s_delay_alu instid0(VALU_DEP_2) | instskip(NEXT) | instid1(VALU_DEP_1)
	v_dual_add_f32 v27, v26, v23 :: v_dual_sub_f32 v20, v20, v25
	v_sub_f32_e32 v24, v27, v26
	s_delay_alu instid0(VALU_DEP_2) | instskip(NEXT) | instid1(VALU_DEP_2)
	v_add_f32_e32 v20, v21, v20
	v_sub_f32_e32 v21, v23, v24
	s_delay_alu instid0(VALU_DEP_1) | instskip(NEXT) | instid1(VALU_DEP_1)
	v_add_f32_e32 v20, v20, v21
	v_add_f32_e32 v20, v27, v20
	s_wait_alu 0xf1ff
	s_delay_alu instid0(VALU_DEP_1) | instskip(SKIP_2) | instid1(VALU_DEP_1)
	v_cndmask_b32_e64 v20, 0x7f800000, v20, s0
	v_cmp_gt_f32_e64 s0, 0x33800000, |v22|
	s_wait_alu 0xf1ff
	v_cndmask_b32_e64 v20, v20, v22, s0
	s_delay_alu instid0(VALU_DEP_1) | instskip(NEXT) | instid1(VALU_DEP_1)
	v_add_f32_e32 v19, v19, v20
	v_cvt_f16_f32_e32 v20, v19
.LBB373_83:
	s_wait_alu 0xfffe
	s_or_b32 exec_lo, exec_lo, s1
	v_cmp_eq_u32_e64 s0, 0, v0
	; wave barrier
	s_wait_alu 0xf1ff
	s_delay_alu instid0(VALU_DEP_1)
	v_cndmask_b32_e64 v18, v20, v18, s0
	ds_store_b16 v17, v18
	; wave barrier
	ds_load_u16 v20, v17 offset:2
	v_cvt_f32_f16_e32 v19, v18
	v_cmp_u_f16_e64 s0, v18, v18
	s_wait_dscnt 0x0
	v_cvt_f32_f16_e32 v22, v20
	s_delay_alu instid0(VALU_DEP_1) | instskip(SKIP_2) | instid1(VALU_DEP_2)
	v_min_num_f32_e32 v21, v19, v22
	v_max_num_f32_e32 v23, v19, v22
	s_wait_alu 0xf1ff
	v_cndmask_b32_e64 v21, v21, v19, s0
	s_delay_alu instid0(VALU_DEP_2) | instskip(SKIP_2) | instid1(VALU_DEP_1)
	v_cndmask_b32_e64 v23, v23, v19, s0
	v_cmp_u_f16_e64 s0, v20, v20
	s_wait_alu 0xf1ff
	v_cndmask_b32_e64 v21, v21, v22, s0
	s_delay_alu instid0(VALU_DEP_3) | instskip(NEXT) | instid1(VALU_DEP_2)
	v_cndmask_b32_e64 v20, v23, v22, s0
	v_cmp_class_f32_e64 s1, v21, 0x1f8
	s_delay_alu instid0(VALU_DEP_2)
	v_cmp_neq_f32_e64 s0, v21, v20
	s_or_b32 s0, s0, s1
	s_wait_alu 0xfffe
	s_and_saveexec_b32 s1, s0
	s_cbranch_execz .LBB373_85
; %bb.84:
	v_sub_f32_e32 v18, v21, v20
	s_delay_alu instid0(VALU_DEP_1) | instskip(NEXT) | instid1(VALU_DEP_1)
	v_mul_f32_e32 v19, 0x3fb8aa3b, v18
	v_fma_f32 v21, 0x3fb8aa3b, v18, -v19
	v_rndne_f32_e32 v22, v19
	s_delay_alu instid0(VALU_DEP_1) | instskip(NEXT) | instid1(VALU_DEP_3)
	v_sub_f32_e32 v19, v19, v22
	v_fmamk_f32 v21, v18, 0x32a5705f, v21
	v_cmp_ngt_f32_e64 s0, 0xc2ce8ed0, v18
	s_delay_alu instid0(VALU_DEP_2) | instskip(SKIP_1) | instid1(VALU_DEP_2)
	v_add_f32_e32 v19, v19, v21
	v_cvt_i32_f32_e32 v21, v22
	v_exp_f32_e32 v19, v19
	s_delay_alu instid0(TRANS32_DEP_1) | instskip(SKIP_1) | instid1(VALU_DEP_1)
	v_ldexp_f32 v19, v19, v21
	s_wait_alu 0xf1ff
	v_cndmask_b32_e64 v19, 0, v19, s0
	v_cmp_nlt_f32_e64 s0, 0x42b17218, v18
	s_wait_alu 0xf1ff
	s_delay_alu instid0(VALU_DEP_1) | instskip(NEXT) | instid1(VALU_DEP_1)
	v_cndmask_b32_e64 v21, 0x7f800000, v19, s0
	v_add_f32_e32 v22, 1.0, v21
	s_delay_alu instid0(VALU_DEP_1) | instskip(NEXT) | instid1(VALU_DEP_1)
	v_cvt_f64_f32_e32 v[18:19], v22
	v_frexp_exp_i32_f64_e32 v18, v[18:19]
	v_frexp_mant_f32_e32 v19, v22
	s_delay_alu instid0(VALU_DEP_1) | instskip(SKIP_1) | instid1(VALU_DEP_1)
	v_cmp_gt_f32_e64 s0, 0x3f2aaaab, v19
	v_add_f32_e32 v19, -1.0, v22
	v_sub_f32_e32 v24, v19, v22
	s_delay_alu instid0(VALU_DEP_1)
	v_add_f32_e32 v24, 1.0, v24
	s_wait_alu 0xf1ff
	v_subrev_co_ci_u32_e64 v18, null, 0, v18, s0
	s_mov_b32 s0, 0x3e9b6dac
	v_sub_nc_u32_e32 v23, 0, v18
	v_cvt_f32_i32_e32 v18, v18
	s_delay_alu instid0(VALU_DEP_2) | instskip(SKIP_1) | instid1(VALU_DEP_1)
	v_ldexp_f32 v22, v22, v23
	v_sub_f32_e32 v19, v21, v19
	v_add_f32_e32 v19, v19, v24
	s_delay_alu instid0(VALU_DEP_1) | instskip(NEXT) | instid1(VALU_DEP_4)
	v_ldexp_f32 v19, v19, v23
	v_add_f32_e32 v23, -1.0, v22
	s_delay_alu instid0(VALU_DEP_1) | instskip(NEXT) | instid1(VALU_DEP_1)
	v_dual_add_f32 v25, 1.0, v22 :: v_dual_add_f32 v26, 1.0, v23
	v_add_f32_e32 v24, -1.0, v25
	s_delay_alu instid0(VALU_DEP_1) | instskip(NEXT) | instid1(VALU_DEP_3)
	v_sub_f32_e32 v24, v22, v24
	v_sub_f32_e32 v22, v22, v26
	s_delay_alu instid0(VALU_DEP_2) | instskip(NEXT) | instid1(VALU_DEP_1)
	v_add_f32_e32 v24, v19, v24
	v_dual_add_f32 v19, v19, v22 :: v_dual_add_f32 v26, v25, v24
	s_delay_alu instid0(VALU_DEP_1) | instskip(SKIP_1) | instid1(VALU_DEP_1)
	v_rcp_f32_e32 v22, v26
	v_sub_f32_e32 v25, v25, v26
	v_dual_add_f32 v27, v23, v19 :: v_dual_add_f32 v24, v24, v25
	s_delay_alu instid0(VALU_DEP_1) | instskip(NEXT) | instid1(TRANS32_DEP_1)
	v_sub_f32_e32 v23, v23, v27
	v_mul_f32_e32 v28, v27, v22
	s_delay_alu instid0(VALU_DEP_2) | instskip(NEXT) | instid1(VALU_DEP_2)
	v_add_f32_e32 v19, v19, v23
	v_mul_f32_e32 v29, v26, v28
	s_delay_alu instid0(VALU_DEP_1) | instskip(NEXT) | instid1(VALU_DEP_1)
	v_fma_f32 v25, v28, v26, -v29
	v_fmac_f32_e32 v25, v28, v24
	s_delay_alu instid0(VALU_DEP_1) | instskip(NEXT) | instid1(VALU_DEP_1)
	v_add_f32_e32 v30, v29, v25
	v_sub_f32_e32 v31, v27, v30
	v_sub_f32_e32 v23, v30, v29
	s_delay_alu instid0(VALU_DEP_2) | instskip(NEXT) | instid1(VALU_DEP_2)
	v_sub_f32_e32 v27, v27, v31
	v_sub_f32_e32 v23, v23, v25
	s_delay_alu instid0(VALU_DEP_2) | instskip(NEXT) | instid1(VALU_DEP_1)
	v_sub_f32_e32 v27, v27, v30
	v_add_f32_e32 v19, v19, v27
	s_delay_alu instid0(VALU_DEP_1) | instskip(NEXT) | instid1(VALU_DEP_1)
	v_add_f32_e32 v19, v23, v19
	v_add_f32_e32 v23, v31, v19
	s_delay_alu instid0(VALU_DEP_1) | instskip(NEXT) | instid1(VALU_DEP_1)
	v_mul_f32_e32 v25, v22, v23
	v_mul_f32_e32 v27, v26, v25
	s_delay_alu instid0(VALU_DEP_1) | instskip(NEXT) | instid1(VALU_DEP_1)
	v_fma_f32 v26, v25, v26, -v27
	v_fmac_f32_e32 v26, v25, v24
	v_sub_f32_e32 v30, v31, v23
	s_delay_alu instid0(VALU_DEP_2) | instskip(NEXT) | instid1(VALU_DEP_2)
	v_add_f32_e32 v24, v27, v26
	v_add_f32_e32 v19, v19, v30
	s_delay_alu instid0(VALU_DEP_2) | instskip(SKIP_1) | instid1(VALU_DEP_2)
	v_sub_f32_e32 v29, v23, v24
	v_sub_f32_e32 v27, v24, v27
	;; [unrolled: 1-line block ×3, first 2 shown]
	s_delay_alu instid0(VALU_DEP_1) | instskip(NEXT) | instid1(VALU_DEP_3)
	v_sub_f32_e32 v23, v23, v24
	v_sub_f32_e32 v24, v27, v26
	s_delay_alu instid0(VALU_DEP_2) | instskip(SKIP_1) | instid1(VALU_DEP_1)
	v_add_f32_e32 v19, v19, v23
	v_add_f32_e32 v23, v28, v25
	v_dual_add_f32 v19, v24, v19 :: v_dual_sub_f32 v24, v23, v28
	s_delay_alu instid0(VALU_DEP_1) | instskip(NEXT) | instid1(VALU_DEP_1)
	v_add_f32_e32 v19, v29, v19
	v_dual_sub_f32 v24, v25, v24 :: v_dual_mul_f32 v19, v22, v19
	s_delay_alu instid0(VALU_DEP_1) | instskip(NEXT) | instid1(VALU_DEP_1)
	v_add_f32_e32 v19, v24, v19
	v_add_f32_e32 v22, v23, v19
	s_delay_alu instid0(VALU_DEP_1) | instskip(SKIP_1) | instid1(VALU_DEP_1)
	v_mul_f32_e32 v24, v22, v22
	s_wait_alu 0xfffe
	v_fmaak_f32 v25, s0, v24, 0x3ecc95a3
	v_mul_f32_e32 v26, v22, v24
	v_cmp_neq_f32_e64 s0, 0x7f800000, v21
	s_delay_alu instid0(VALU_DEP_3) | instskip(SKIP_2) | instid1(VALU_DEP_3)
	v_fmaak_f32 v24, v24, v25, 0x3f2aaada
	v_ldexp_f32 v25, v22, 1
	v_sub_f32_e32 v22, v22, v23
	v_mul_f32_e32 v24, v26, v24
	v_mul_f32_e32 v26, 0x3f317218, v18
	s_delay_alu instid0(VALU_DEP_3) | instskip(NEXT) | instid1(VALU_DEP_3)
	v_sub_f32_e32 v19, v19, v22
	v_add_f32_e32 v23, v25, v24
	s_delay_alu instid0(VALU_DEP_2) | instskip(NEXT) | instid1(VALU_DEP_2)
	v_ldexp_f32 v19, v19, 1
	v_sub_f32_e32 v22, v23, v25
	v_fma_f32 v25, 0x3f317218, v18, -v26
	s_delay_alu instid0(VALU_DEP_2) | instskip(NEXT) | instid1(VALU_DEP_1)
	v_sub_f32_e32 v22, v24, v22
	v_dual_fmamk_f32 v18, v18, 0xb102e308, v25 :: v_dual_add_f32 v19, v19, v22
	s_delay_alu instid0(VALU_DEP_1) | instskip(NEXT) | instid1(VALU_DEP_2)
	v_add_f32_e32 v22, v26, v18
	v_add_f32_e32 v24, v23, v19
	s_delay_alu instid0(VALU_DEP_2) | instskip(NEXT) | instid1(VALU_DEP_2)
	v_sub_f32_e32 v26, v22, v26
	v_add_f32_e32 v25, v22, v24
	s_delay_alu instid0(VALU_DEP_2) | instskip(NEXT) | instid1(VALU_DEP_2)
	v_dual_sub_f32 v23, v24, v23 :: v_dual_sub_f32 v18, v18, v26
	v_sub_f32_e32 v27, v25, v22
	s_delay_alu instid0(VALU_DEP_2) | instskip(NEXT) | instid1(VALU_DEP_2)
	v_sub_f32_e32 v19, v19, v23
	v_sub_f32_e32 v28, v25, v27
	;; [unrolled: 1-line block ×3, first 2 shown]
	s_delay_alu instid0(VALU_DEP_3) | instskip(NEXT) | instid1(VALU_DEP_3)
	v_add_f32_e32 v24, v18, v19
	v_sub_f32_e32 v22, v22, v28
	s_delay_alu instid0(VALU_DEP_1) | instskip(NEXT) | instid1(VALU_DEP_3)
	v_add_f32_e32 v22, v23, v22
	v_sub_f32_e32 v23, v24, v18
	s_delay_alu instid0(VALU_DEP_2) | instskip(NEXT) | instid1(VALU_DEP_2)
	v_add_f32_e32 v22, v24, v22
	v_sub_f32_e32 v24, v24, v23
	s_delay_alu instid0(VALU_DEP_1) | instskip(NEXT) | instid1(VALU_DEP_1)
	v_dual_sub_f32 v19, v19, v23 :: v_dual_sub_f32 v18, v18, v24
	v_add_f32_e32 v18, v19, v18
	s_delay_alu instid0(VALU_DEP_4) | instskip(NEXT) | instid1(VALU_DEP_1)
	v_add_f32_e32 v26, v25, v22
	v_sub_f32_e32 v23, v26, v25
	s_delay_alu instid0(VALU_DEP_1) | instskip(NEXT) | instid1(VALU_DEP_1)
	v_sub_f32_e32 v19, v22, v23
	v_add_f32_e32 v18, v18, v19
	s_delay_alu instid0(VALU_DEP_1) | instskip(SKIP_1) | instid1(VALU_DEP_1)
	v_add_f32_e32 v18, v26, v18
	s_wait_alu 0xf1ff
	v_cndmask_b32_e64 v18, 0x7f800000, v18, s0
	v_cmp_gt_f32_e64 s0, 0x33800000, |v21|
	s_wait_alu 0xf1ff
	s_delay_alu instid0(VALU_DEP_1) | instskip(NEXT) | instid1(VALU_DEP_1)
	v_cndmask_b32_e64 v18, v18, v21, s0
	v_add_f32_e32 v18, v20, v18
	s_delay_alu instid0(VALU_DEP_1) | instskip(NEXT) | instid1(VALU_DEP_1)
	v_cvt_f16_f32_e32 v18, v18
	v_cvt_f32_f16_e32 v19, v18
.LBB373_85:
	s_wait_alu 0xfffe
	s_or_b32 exec_lo, exec_lo, s1
	ds_load_u16 v20, v17 offset:4
	v_max_num_f32_e32 v21, v19, v19
	v_cmp_u_f16_e64 s0, v18, v18
	ds_store_b16 v17, v18 offset:2
	s_wait_dscnt 0x1
	v_cvt_f32_f16_e32 v22, v20
	s_delay_alu instid0(VALU_DEP_1) | instskip(SKIP_2) | instid1(VALU_DEP_2)
	v_min_num_f32_e32 v23, v21, v22
	v_max_num_f32_e32 v21, v21, v22
	s_wait_alu 0xf1ff
	v_cndmask_b32_e64 v23, v23, v19, s0
	s_delay_alu instid0(VALU_DEP_2) | instskip(SKIP_2) | instid1(VALU_DEP_1)
	v_cndmask_b32_e64 v24, v21, v19, s0
	v_cmp_u_f16_e64 s0, v20, v20
	s_wait_alu 0xf1ff
	v_cndmask_b32_e64 v21, v23, v22, s0
	s_delay_alu instid0(VALU_DEP_3) | instskip(NEXT) | instid1(VALU_DEP_2)
	v_cndmask_b32_e64 v20, v24, v22, s0
	v_cmp_class_f32_e64 s1, v21, 0x1f8
	s_delay_alu instid0(VALU_DEP_2)
	v_cmp_neq_f32_e64 s0, v21, v20
	s_or_b32 s0, s0, s1
	s_wait_alu 0xfffe
	s_and_saveexec_b32 s1, s0
	s_cbranch_execz .LBB373_87
; %bb.86:
	v_sub_f32_e32 v18, v21, v20
	s_delay_alu instid0(VALU_DEP_1) | instskip(NEXT) | instid1(VALU_DEP_1)
	v_mul_f32_e32 v19, 0x3fb8aa3b, v18
	v_fma_f32 v21, 0x3fb8aa3b, v18, -v19
	v_rndne_f32_e32 v22, v19
	s_delay_alu instid0(VALU_DEP_1) | instskip(NEXT) | instid1(VALU_DEP_3)
	v_sub_f32_e32 v19, v19, v22
	v_fmamk_f32 v21, v18, 0x32a5705f, v21
	v_cmp_ngt_f32_e64 s0, 0xc2ce8ed0, v18
	s_delay_alu instid0(VALU_DEP_2) | instskip(SKIP_1) | instid1(VALU_DEP_2)
	v_add_f32_e32 v19, v19, v21
	v_cvt_i32_f32_e32 v21, v22
	v_exp_f32_e32 v19, v19
	s_delay_alu instid0(TRANS32_DEP_1) | instskip(SKIP_1) | instid1(VALU_DEP_1)
	v_ldexp_f32 v19, v19, v21
	s_wait_alu 0xf1ff
	v_cndmask_b32_e64 v19, 0, v19, s0
	v_cmp_nlt_f32_e64 s0, 0x42b17218, v18
	s_wait_alu 0xf1ff
	s_delay_alu instid0(VALU_DEP_1) | instskip(NEXT) | instid1(VALU_DEP_1)
	v_cndmask_b32_e64 v21, 0x7f800000, v19, s0
	v_add_f32_e32 v22, 1.0, v21
	s_delay_alu instid0(VALU_DEP_1) | instskip(NEXT) | instid1(VALU_DEP_1)
	v_cvt_f64_f32_e32 v[18:19], v22
	v_frexp_exp_i32_f64_e32 v18, v[18:19]
	v_frexp_mant_f32_e32 v19, v22
	s_delay_alu instid0(VALU_DEP_1) | instskip(SKIP_1) | instid1(VALU_DEP_1)
	v_cmp_gt_f32_e64 s0, 0x3f2aaaab, v19
	v_add_f32_e32 v19, -1.0, v22
	v_sub_f32_e32 v24, v19, v22
	s_delay_alu instid0(VALU_DEP_1)
	v_add_f32_e32 v24, 1.0, v24
	s_wait_alu 0xf1ff
	v_subrev_co_ci_u32_e64 v18, null, 0, v18, s0
	s_mov_b32 s0, 0x3e9b6dac
	v_sub_nc_u32_e32 v23, 0, v18
	v_cvt_f32_i32_e32 v18, v18
	s_delay_alu instid0(VALU_DEP_2) | instskip(SKIP_1) | instid1(VALU_DEP_1)
	v_ldexp_f32 v22, v22, v23
	v_sub_f32_e32 v19, v21, v19
	v_add_f32_e32 v19, v19, v24
	s_delay_alu instid0(VALU_DEP_1) | instskip(NEXT) | instid1(VALU_DEP_4)
	v_ldexp_f32 v19, v19, v23
	v_add_f32_e32 v23, -1.0, v22
	s_delay_alu instid0(VALU_DEP_1) | instskip(NEXT) | instid1(VALU_DEP_1)
	v_dual_add_f32 v25, 1.0, v22 :: v_dual_add_f32 v26, 1.0, v23
	v_add_f32_e32 v24, -1.0, v25
	s_delay_alu instid0(VALU_DEP_1) | instskip(NEXT) | instid1(VALU_DEP_3)
	v_sub_f32_e32 v24, v22, v24
	v_sub_f32_e32 v22, v22, v26
	s_delay_alu instid0(VALU_DEP_2) | instskip(NEXT) | instid1(VALU_DEP_1)
	v_add_f32_e32 v24, v19, v24
	v_dual_add_f32 v19, v19, v22 :: v_dual_add_f32 v26, v25, v24
	s_delay_alu instid0(VALU_DEP_1) | instskip(SKIP_1) | instid1(VALU_DEP_1)
	v_rcp_f32_e32 v22, v26
	v_sub_f32_e32 v25, v25, v26
	v_dual_add_f32 v27, v23, v19 :: v_dual_add_f32 v24, v24, v25
	s_delay_alu instid0(VALU_DEP_1) | instskip(NEXT) | instid1(TRANS32_DEP_1)
	v_sub_f32_e32 v23, v23, v27
	v_mul_f32_e32 v28, v27, v22
	s_delay_alu instid0(VALU_DEP_2) | instskip(NEXT) | instid1(VALU_DEP_2)
	v_add_f32_e32 v19, v19, v23
	v_mul_f32_e32 v29, v26, v28
	s_delay_alu instid0(VALU_DEP_1) | instskip(NEXT) | instid1(VALU_DEP_1)
	v_fma_f32 v25, v28, v26, -v29
	v_fmac_f32_e32 v25, v28, v24
	s_delay_alu instid0(VALU_DEP_1) | instskip(NEXT) | instid1(VALU_DEP_1)
	v_add_f32_e32 v30, v29, v25
	v_sub_f32_e32 v31, v27, v30
	v_sub_f32_e32 v23, v30, v29
	s_delay_alu instid0(VALU_DEP_2) | instskip(NEXT) | instid1(VALU_DEP_2)
	v_sub_f32_e32 v27, v27, v31
	v_sub_f32_e32 v23, v23, v25
	s_delay_alu instid0(VALU_DEP_2) | instskip(NEXT) | instid1(VALU_DEP_1)
	v_sub_f32_e32 v27, v27, v30
	v_add_f32_e32 v19, v19, v27
	s_delay_alu instid0(VALU_DEP_1) | instskip(NEXT) | instid1(VALU_DEP_1)
	v_add_f32_e32 v19, v23, v19
	v_add_f32_e32 v23, v31, v19
	s_delay_alu instid0(VALU_DEP_1) | instskip(NEXT) | instid1(VALU_DEP_1)
	v_mul_f32_e32 v25, v22, v23
	v_mul_f32_e32 v27, v26, v25
	s_delay_alu instid0(VALU_DEP_1) | instskip(NEXT) | instid1(VALU_DEP_1)
	v_fma_f32 v26, v25, v26, -v27
	v_fmac_f32_e32 v26, v25, v24
	v_sub_f32_e32 v30, v31, v23
	s_delay_alu instid0(VALU_DEP_2) | instskip(NEXT) | instid1(VALU_DEP_2)
	v_add_f32_e32 v24, v27, v26
	v_add_f32_e32 v19, v19, v30
	s_delay_alu instid0(VALU_DEP_2) | instskip(SKIP_1) | instid1(VALU_DEP_2)
	v_sub_f32_e32 v29, v23, v24
	v_sub_f32_e32 v27, v24, v27
	;; [unrolled: 1-line block ×3, first 2 shown]
	s_delay_alu instid0(VALU_DEP_1) | instskip(NEXT) | instid1(VALU_DEP_3)
	v_sub_f32_e32 v23, v23, v24
	v_sub_f32_e32 v24, v27, v26
	s_delay_alu instid0(VALU_DEP_2) | instskip(SKIP_1) | instid1(VALU_DEP_1)
	v_add_f32_e32 v19, v19, v23
	v_add_f32_e32 v23, v28, v25
	v_dual_add_f32 v19, v24, v19 :: v_dual_sub_f32 v24, v23, v28
	s_delay_alu instid0(VALU_DEP_1) | instskip(NEXT) | instid1(VALU_DEP_1)
	v_add_f32_e32 v19, v29, v19
	v_dual_sub_f32 v24, v25, v24 :: v_dual_mul_f32 v19, v22, v19
	s_delay_alu instid0(VALU_DEP_1) | instskip(NEXT) | instid1(VALU_DEP_1)
	v_add_f32_e32 v19, v24, v19
	v_add_f32_e32 v22, v23, v19
	s_delay_alu instid0(VALU_DEP_1) | instskip(SKIP_1) | instid1(VALU_DEP_1)
	v_mul_f32_e32 v24, v22, v22
	s_wait_alu 0xfffe
	v_fmaak_f32 v25, s0, v24, 0x3ecc95a3
	v_mul_f32_e32 v26, v22, v24
	v_cmp_neq_f32_e64 s0, 0x7f800000, v21
	s_delay_alu instid0(VALU_DEP_3) | instskip(SKIP_2) | instid1(VALU_DEP_3)
	v_fmaak_f32 v24, v24, v25, 0x3f2aaada
	v_ldexp_f32 v25, v22, 1
	v_sub_f32_e32 v22, v22, v23
	v_mul_f32_e32 v24, v26, v24
	v_mul_f32_e32 v26, 0x3f317218, v18
	s_delay_alu instid0(VALU_DEP_3) | instskip(NEXT) | instid1(VALU_DEP_3)
	v_sub_f32_e32 v19, v19, v22
	v_add_f32_e32 v23, v25, v24
	s_delay_alu instid0(VALU_DEP_2) | instskip(NEXT) | instid1(VALU_DEP_2)
	v_ldexp_f32 v19, v19, 1
	v_sub_f32_e32 v22, v23, v25
	v_fma_f32 v25, 0x3f317218, v18, -v26
	s_delay_alu instid0(VALU_DEP_2) | instskip(NEXT) | instid1(VALU_DEP_1)
	v_sub_f32_e32 v22, v24, v22
	v_dual_fmamk_f32 v18, v18, 0xb102e308, v25 :: v_dual_add_f32 v19, v19, v22
	s_delay_alu instid0(VALU_DEP_1) | instskip(NEXT) | instid1(VALU_DEP_2)
	v_add_f32_e32 v22, v26, v18
	v_add_f32_e32 v24, v23, v19
	s_delay_alu instid0(VALU_DEP_2) | instskip(NEXT) | instid1(VALU_DEP_2)
	v_sub_f32_e32 v26, v22, v26
	v_add_f32_e32 v25, v22, v24
	s_delay_alu instid0(VALU_DEP_2) | instskip(NEXT) | instid1(VALU_DEP_2)
	v_dual_sub_f32 v23, v24, v23 :: v_dual_sub_f32 v18, v18, v26
	v_sub_f32_e32 v27, v25, v22
	s_delay_alu instid0(VALU_DEP_2) | instskip(NEXT) | instid1(VALU_DEP_2)
	v_sub_f32_e32 v19, v19, v23
	v_sub_f32_e32 v28, v25, v27
	;; [unrolled: 1-line block ×3, first 2 shown]
	s_delay_alu instid0(VALU_DEP_3) | instskip(NEXT) | instid1(VALU_DEP_3)
	v_add_f32_e32 v24, v18, v19
	v_sub_f32_e32 v22, v22, v28
	s_delay_alu instid0(VALU_DEP_1) | instskip(NEXT) | instid1(VALU_DEP_3)
	v_add_f32_e32 v22, v23, v22
	v_sub_f32_e32 v23, v24, v18
	s_delay_alu instid0(VALU_DEP_2) | instskip(NEXT) | instid1(VALU_DEP_2)
	v_add_f32_e32 v22, v24, v22
	v_sub_f32_e32 v24, v24, v23
	s_delay_alu instid0(VALU_DEP_1) | instskip(NEXT) | instid1(VALU_DEP_1)
	v_dual_sub_f32 v19, v19, v23 :: v_dual_sub_f32 v18, v18, v24
	v_add_f32_e32 v18, v19, v18
	s_delay_alu instid0(VALU_DEP_4) | instskip(NEXT) | instid1(VALU_DEP_1)
	v_add_f32_e32 v26, v25, v22
	v_sub_f32_e32 v23, v26, v25
	s_delay_alu instid0(VALU_DEP_1) | instskip(NEXT) | instid1(VALU_DEP_1)
	v_sub_f32_e32 v19, v22, v23
	v_add_f32_e32 v18, v18, v19
	s_delay_alu instid0(VALU_DEP_1) | instskip(SKIP_1) | instid1(VALU_DEP_1)
	v_add_f32_e32 v18, v26, v18
	s_wait_alu 0xf1ff
	v_cndmask_b32_e64 v18, 0x7f800000, v18, s0
	v_cmp_gt_f32_e64 s0, 0x33800000, |v21|
	s_wait_alu 0xf1ff
	s_delay_alu instid0(VALU_DEP_1) | instskip(NEXT) | instid1(VALU_DEP_1)
	v_cndmask_b32_e64 v18, v18, v21, s0
	v_add_f32_e32 v18, v20, v18
	s_delay_alu instid0(VALU_DEP_1) | instskip(NEXT) | instid1(VALU_DEP_1)
	v_cvt_f16_f32_e32 v18, v18
	v_cvt_f32_f16_e32 v19, v18
.LBB373_87:
	s_wait_alu 0xfffe
	s_or_b32 exec_lo, exec_lo, s1
	ds_load_u16 v20, v17 offset:6
	v_max_num_f32_e32 v21, v19, v19
	v_cmp_u_f16_e64 s0, v18, v18
	ds_store_b16 v17, v18 offset:4
	s_wait_dscnt 0x1
	v_cvt_f32_f16_e32 v22, v20
	s_delay_alu instid0(VALU_DEP_1) | instskip(SKIP_2) | instid1(VALU_DEP_2)
	v_min_num_f32_e32 v23, v21, v22
	v_max_num_f32_e32 v21, v21, v22
	s_wait_alu 0xf1ff
	v_cndmask_b32_e64 v23, v23, v19, s0
	s_delay_alu instid0(VALU_DEP_2) | instskip(SKIP_2) | instid1(VALU_DEP_1)
	v_cndmask_b32_e64 v24, v21, v19, s0
	v_cmp_u_f16_e64 s0, v20, v20
	s_wait_alu 0xf1ff
	v_cndmask_b32_e64 v21, v23, v22, s0
	s_delay_alu instid0(VALU_DEP_3) | instskip(NEXT) | instid1(VALU_DEP_2)
	v_cndmask_b32_e64 v20, v24, v22, s0
	v_cmp_class_f32_e64 s1, v21, 0x1f8
	s_delay_alu instid0(VALU_DEP_2)
	v_cmp_neq_f32_e64 s0, v21, v20
	s_or_b32 s0, s0, s1
	s_wait_alu 0xfffe
	s_and_saveexec_b32 s1, s0
	s_cbranch_execz .LBB373_89
; %bb.88:
	v_sub_f32_e32 v18, v21, v20
	s_delay_alu instid0(VALU_DEP_1) | instskip(NEXT) | instid1(VALU_DEP_1)
	v_mul_f32_e32 v19, 0x3fb8aa3b, v18
	v_fma_f32 v21, 0x3fb8aa3b, v18, -v19
	v_rndne_f32_e32 v22, v19
	s_delay_alu instid0(VALU_DEP_1) | instskip(NEXT) | instid1(VALU_DEP_3)
	v_sub_f32_e32 v19, v19, v22
	v_fmamk_f32 v21, v18, 0x32a5705f, v21
	v_cmp_ngt_f32_e64 s0, 0xc2ce8ed0, v18
	s_delay_alu instid0(VALU_DEP_2) | instskip(SKIP_1) | instid1(VALU_DEP_2)
	v_add_f32_e32 v19, v19, v21
	v_cvt_i32_f32_e32 v21, v22
	v_exp_f32_e32 v19, v19
	s_delay_alu instid0(TRANS32_DEP_1) | instskip(SKIP_1) | instid1(VALU_DEP_1)
	v_ldexp_f32 v19, v19, v21
	s_wait_alu 0xf1ff
	v_cndmask_b32_e64 v19, 0, v19, s0
	v_cmp_nlt_f32_e64 s0, 0x42b17218, v18
	s_wait_alu 0xf1ff
	s_delay_alu instid0(VALU_DEP_1) | instskip(NEXT) | instid1(VALU_DEP_1)
	v_cndmask_b32_e64 v21, 0x7f800000, v19, s0
	v_add_f32_e32 v22, 1.0, v21
	s_delay_alu instid0(VALU_DEP_1) | instskip(NEXT) | instid1(VALU_DEP_1)
	v_cvt_f64_f32_e32 v[18:19], v22
	v_frexp_exp_i32_f64_e32 v18, v[18:19]
	v_frexp_mant_f32_e32 v19, v22
	s_delay_alu instid0(VALU_DEP_1) | instskip(SKIP_1) | instid1(VALU_DEP_1)
	v_cmp_gt_f32_e64 s0, 0x3f2aaaab, v19
	v_add_f32_e32 v19, -1.0, v22
	v_sub_f32_e32 v24, v19, v22
	s_delay_alu instid0(VALU_DEP_1)
	v_add_f32_e32 v24, 1.0, v24
	s_wait_alu 0xf1ff
	v_subrev_co_ci_u32_e64 v18, null, 0, v18, s0
	s_mov_b32 s0, 0x3e9b6dac
	v_sub_nc_u32_e32 v23, 0, v18
	v_cvt_f32_i32_e32 v18, v18
	s_delay_alu instid0(VALU_DEP_2) | instskip(SKIP_1) | instid1(VALU_DEP_1)
	v_ldexp_f32 v22, v22, v23
	v_sub_f32_e32 v19, v21, v19
	v_add_f32_e32 v19, v19, v24
	s_delay_alu instid0(VALU_DEP_1) | instskip(NEXT) | instid1(VALU_DEP_4)
	v_ldexp_f32 v19, v19, v23
	v_add_f32_e32 v23, -1.0, v22
	s_delay_alu instid0(VALU_DEP_1) | instskip(NEXT) | instid1(VALU_DEP_1)
	v_dual_add_f32 v25, 1.0, v22 :: v_dual_add_f32 v26, 1.0, v23
	v_add_f32_e32 v24, -1.0, v25
	s_delay_alu instid0(VALU_DEP_1) | instskip(NEXT) | instid1(VALU_DEP_3)
	v_sub_f32_e32 v24, v22, v24
	v_sub_f32_e32 v22, v22, v26
	s_delay_alu instid0(VALU_DEP_2) | instskip(NEXT) | instid1(VALU_DEP_1)
	v_add_f32_e32 v24, v19, v24
	v_dual_add_f32 v19, v19, v22 :: v_dual_add_f32 v26, v25, v24
	s_delay_alu instid0(VALU_DEP_1) | instskip(SKIP_1) | instid1(VALU_DEP_1)
	v_rcp_f32_e32 v22, v26
	v_sub_f32_e32 v25, v25, v26
	v_dual_add_f32 v27, v23, v19 :: v_dual_add_f32 v24, v24, v25
	s_delay_alu instid0(VALU_DEP_1) | instskip(NEXT) | instid1(TRANS32_DEP_1)
	v_sub_f32_e32 v23, v23, v27
	v_mul_f32_e32 v28, v27, v22
	s_delay_alu instid0(VALU_DEP_2) | instskip(NEXT) | instid1(VALU_DEP_2)
	v_add_f32_e32 v19, v19, v23
	v_mul_f32_e32 v29, v26, v28
	s_delay_alu instid0(VALU_DEP_1) | instskip(NEXT) | instid1(VALU_DEP_1)
	v_fma_f32 v25, v28, v26, -v29
	v_fmac_f32_e32 v25, v28, v24
	s_delay_alu instid0(VALU_DEP_1) | instskip(NEXT) | instid1(VALU_DEP_1)
	v_add_f32_e32 v30, v29, v25
	v_sub_f32_e32 v31, v27, v30
	v_sub_f32_e32 v23, v30, v29
	s_delay_alu instid0(VALU_DEP_2) | instskip(NEXT) | instid1(VALU_DEP_2)
	v_sub_f32_e32 v27, v27, v31
	v_sub_f32_e32 v23, v23, v25
	s_delay_alu instid0(VALU_DEP_2) | instskip(NEXT) | instid1(VALU_DEP_1)
	v_sub_f32_e32 v27, v27, v30
	v_add_f32_e32 v19, v19, v27
	s_delay_alu instid0(VALU_DEP_1) | instskip(NEXT) | instid1(VALU_DEP_1)
	v_add_f32_e32 v19, v23, v19
	v_add_f32_e32 v23, v31, v19
	s_delay_alu instid0(VALU_DEP_1) | instskip(NEXT) | instid1(VALU_DEP_1)
	v_mul_f32_e32 v25, v22, v23
	v_mul_f32_e32 v27, v26, v25
	s_delay_alu instid0(VALU_DEP_1) | instskip(NEXT) | instid1(VALU_DEP_1)
	v_fma_f32 v26, v25, v26, -v27
	v_fmac_f32_e32 v26, v25, v24
	v_sub_f32_e32 v30, v31, v23
	s_delay_alu instid0(VALU_DEP_2) | instskip(NEXT) | instid1(VALU_DEP_2)
	v_add_f32_e32 v24, v27, v26
	v_add_f32_e32 v19, v19, v30
	s_delay_alu instid0(VALU_DEP_2) | instskip(SKIP_1) | instid1(VALU_DEP_2)
	v_sub_f32_e32 v29, v23, v24
	v_sub_f32_e32 v27, v24, v27
	;; [unrolled: 1-line block ×3, first 2 shown]
	s_delay_alu instid0(VALU_DEP_1) | instskip(NEXT) | instid1(VALU_DEP_3)
	v_sub_f32_e32 v23, v23, v24
	v_sub_f32_e32 v24, v27, v26
	s_delay_alu instid0(VALU_DEP_2) | instskip(SKIP_1) | instid1(VALU_DEP_1)
	v_add_f32_e32 v19, v19, v23
	v_add_f32_e32 v23, v28, v25
	v_dual_add_f32 v19, v24, v19 :: v_dual_sub_f32 v24, v23, v28
	s_delay_alu instid0(VALU_DEP_1) | instskip(NEXT) | instid1(VALU_DEP_1)
	v_add_f32_e32 v19, v29, v19
	v_dual_sub_f32 v24, v25, v24 :: v_dual_mul_f32 v19, v22, v19
	s_delay_alu instid0(VALU_DEP_1) | instskip(NEXT) | instid1(VALU_DEP_1)
	v_add_f32_e32 v19, v24, v19
	v_add_f32_e32 v22, v23, v19
	s_delay_alu instid0(VALU_DEP_1) | instskip(SKIP_1) | instid1(VALU_DEP_1)
	v_mul_f32_e32 v24, v22, v22
	s_wait_alu 0xfffe
	v_fmaak_f32 v25, s0, v24, 0x3ecc95a3
	v_mul_f32_e32 v26, v22, v24
	v_cmp_neq_f32_e64 s0, 0x7f800000, v21
	s_delay_alu instid0(VALU_DEP_3) | instskip(SKIP_2) | instid1(VALU_DEP_3)
	v_fmaak_f32 v24, v24, v25, 0x3f2aaada
	v_ldexp_f32 v25, v22, 1
	v_sub_f32_e32 v22, v22, v23
	v_mul_f32_e32 v24, v26, v24
	v_mul_f32_e32 v26, 0x3f317218, v18
	s_delay_alu instid0(VALU_DEP_3) | instskip(NEXT) | instid1(VALU_DEP_3)
	v_sub_f32_e32 v19, v19, v22
	v_add_f32_e32 v23, v25, v24
	s_delay_alu instid0(VALU_DEP_2) | instskip(NEXT) | instid1(VALU_DEP_2)
	v_ldexp_f32 v19, v19, 1
	v_sub_f32_e32 v22, v23, v25
	v_fma_f32 v25, 0x3f317218, v18, -v26
	s_delay_alu instid0(VALU_DEP_2) | instskip(NEXT) | instid1(VALU_DEP_1)
	v_sub_f32_e32 v22, v24, v22
	v_dual_fmamk_f32 v18, v18, 0xb102e308, v25 :: v_dual_add_f32 v19, v19, v22
	s_delay_alu instid0(VALU_DEP_1) | instskip(NEXT) | instid1(VALU_DEP_2)
	v_add_f32_e32 v22, v26, v18
	v_add_f32_e32 v24, v23, v19
	s_delay_alu instid0(VALU_DEP_2) | instskip(NEXT) | instid1(VALU_DEP_2)
	v_sub_f32_e32 v26, v22, v26
	v_add_f32_e32 v25, v22, v24
	s_delay_alu instid0(VALU_DEP_2) | instskip(NEXT) | instid1(VALU_DEP_2)
	v_dual_sub_f32 v23, v24, v23 :: v_dual_sub_f32 v18, v18, v26
	v_sub_f32_e32 v27, v25, v22
	s_delay_alu instid0(VALU_DEP_2) | instskip(NEXT) | instid1(VALU_DEP_2)
	v_sub_f32_e32 v19, v19, v23
	v_sub_f32_e32 v28, v25, v27
	;; [unrolled: 1-line block ×3, first 2 shown]
	s_delay_alu instid0(VALU_DEP_3) | instskip(NEXT) | instid1(VALU_DEP_3)
	v_add_f32_e32 v24, v18, v19
	v_sub_f32_e32 v22, v22, v28
	s_delay_alu instid0(VALU_DEP_1) | instskip(NEXT) | instid1(VALU_DEP_3)
	v_add_f32_e32 v22, v23, v22
	v_sub_f32_e32 v23, v24, v18
	s_delay_alu instid0(VALU_DEP_2) | instskip(NEXT) | instid1(VALU_DEP_2)
	v_add_f32_e32 v22, v24, v22
	v_sub_f32_e32 v24, v24, v23
	s_delay_alu instid0(VALU_DEP_1) | instskip(NEXT) | instid1(VALU_DEP_1)
	v_dual_sub_f32 v19, v19, v23 :: v_dual_sub_f32 v18, v18, v24
	v_add_f32_e32 v18, v19, v18
	s_delay_alu instid0(VALU_DEP_4) | instskip(NEXT) | instid1(VALU_DEP_1)
	v_add_f32_e32 v26, v25, v22
	v_sub_f32_e32 v23, v26, v25
	s_delay_alu instid0(VALU_DEP_1) | instskip(NEXT) | instid1(VALU_DEP_1)
	v_sub_f32_e32 v19, v22, v23
	v_add_f32_e32 v18, v18, v19
	s_delay_alu instid0(VALU_DEP_1) | instskip(SKIP_1) | instid1(VALU_DEP_1)
	v_add_f32_e32 v18, v26, v18
	s_wait_alu 0xf1ff
	v_cndmask_b32_e64 v18, 0x7f800000, v18, s0
	v_cmp_gt_f32_e64 s0, 0x33800000, |v21|
	s_wait_alu 0xf1ff
	s_delay_alu instid0(VALU_DEP_1) | instskip(NEXT) | instid1(VALU_DEP_1)
	v_cndmask_b32_e64 v18, v18, v21, s0
	v_add_f32_e32 v18, v20, v18
	s_delay_alu instid0(VALU_DEP_1) | instskip(NEXT) | instid1(VALU_DEP_1)
	v_cvt_f16_f32_e32 v18, v18
	v_cvt_f32_f16_e32 v19, v18
.LBB373_89:
	s_wait_alu 0xfffe
	s_or_b32 exec_lo, exec_lo, s1
	ds_load_u16 v20, v17 offset:8
	v_max_num_f32_e32 v21, v19, v19
	v_cmp_u_f16_e64 s0, v18, v18
	ds_store_b16 v17, v18 offset:6
	s_wait_dscnt 0x1
	v_cvt_f32_f16_e32 v22, v20
	s_delay_alu instid0(VALU_DEP_1) | instskip(SKIP_2) | instid1(VALU_DEP_2)
	v_min_num_f32_e32 v23, v21, v22
	v_max_num_f32_e32 v21, v21, v22
	s_wait_alu 0xf1ff
	v_cndmask_b32_e64 v23, v23, v19, s0
	s_delay_alu instid0(VALU_DEP_2) | instskip(SKIP_2) | instid1(VALU_DEP_1)
	v_cndmask_b32_e64 v24, v21, v19, s0
	v_cmp_u_f16_e64 s0, v20, v20
	s_wait_alu 0xf1ff
	v_cndmask_b32_e64 v21, v23, v22, s0
	s_delay_alu instid0(VALU_DEP_3) | instskip(NEXT) | instid1(VALU_DEP_2)
	v_cndmask_b32_e64 v20, v24, v22, s0
	v_cmp_class_f32_e64 s1, v21, 0x1f8
	s_delay_alu instid0(VALU_DEP_2)
	v_cmp_neq_f32_e64 s0, v21, v20
	s_or_b32 s0, s0, s1
	s_wait_alu 0xfffe
	s_and_saveexec_b32 s1, s0
	s_cbranch_execz .LBB373_91
; %bb.90:
	v_sub_f32_e32 v18, v21, v20
	s_delay_alu instid0(VALU_DEP_1) | instskip(NEXT) | instid1(VALU_DEP_1)
	v_mul_f32_e32 v19, 0x3fb8aa3b, v18
	v_fma_f32 v21, 0x3fb8aa3b, v18, -v19
	v_rndne_f32_e32 v22, v19
	s_delay_alu instid0(VALU_DEP_1) | instskip(NEXT) | instid1(VALU_DEP_3)
	v_sub_f32_e32 v19, v19, v22
	v_fmamk_f32 v21, v18, 0x32a5705f, v21
	v_cmp_ngt_f32_e64 s0, 0xc2ce8ed0, v18
	s_delay_alu instid0(VALU_DEP_2) | instskip(SKIP_1) | instid1(VALU_DEP_2)
	v_add_f32_e32 v19, v19, v21
	v_cvt_i32_f32_e32 v21, v22
	v_exp_f32_e32 v19, v19
	s_delay_alu instid0(TRANS32_DEP_1) | instskip(SKIP_1) | instid1(VALU_DEP_1)
	v_ldexp_f32 v19, v19, v21
	s_wait_alu 0xf1ff
	v_cndmask_b32_e64 v19, 0, v19, s0
	v_cmp_nlt_f32_e64 s0, 0x42b17218, v18
	s_wait_alu 0xf1ff
	s_delay_alu instid0(VALU_DEP_1) | instskip(NEXT) | instid1(VALU_DEP_1)
	v_cndmask_b32_e64 v21, 0x7f800000, v19, s0
	v_add_f32_e32 v22, 1.0, v21
	s_delay_alu instid0(VALU_DEP_1) | instskip(NEXT) | instid1(VALU_DEP_1)
	v_cvt_f64_f32_e32 v[18:19], v22
	v_frexp_exp_i32_f64_e32 v18, v[18:19]
	v_frexp_mant_f32_e32 v19, v22
	s_delay_alu instid0(VALU_DEP_1) | instskip(SKIP_1) | instid1(VALU_DEP_1)
	v_cmp_gt_f32_e64 s0, 0x3f2aaaab, v19
	v_add_f32_e32 v19, -1.0, v22
	v_sub_f32_e32 v24, v19, v22
	s_delay_alu instid0(VALU_DEP_1)
	v_add_f32_e32 v24, 1.0, v24
	s_wait_alu 0xf1ff
	v_subrev_co_ci_u32_e64 v18, null, 0, v18, s0
	s_mov_b32 s0, 0x3e9b6dac
	v_sub_nc_u32_e32 v23, 0, v18
	v_cvt_f32_i32_e32 v18, v18
	s_delay_alu instid0(VALU_DEP_2) | instskip(SKIP_1) | instid1(VALU_DEP_1)
	v_ldexp_f32 v22, v22, v23
	v_sub_f32_e32 v19, v21, v19
	v_add_f32_e32 v19, v19, v24
	s_delay_alu instid0(VALU_DEP_1) | instskip(NEXT) | instid1(VALU_DEP_4)
	v_ldexp_f32 v19, v19, v23
	v_add_f32_e32 v23, -1.0, v22
	s_delay_alu instid0(VALU_DEP_1) | instskip(NEXT) | instid1(VALU_DEP_1)
	v_dual_add_f32 v25, 1.0, v22 :: v_dual_add_f32 v26, 1.0, v23
	v_add_f32_e32 v24, -1.0, v25
	s_delay_alu instid0(VALU_DEP_1) | instskip(NEXT) | instid1(VALU_DEP_3)
	v_sub_f32_e32 v24, v22, v24
	v_sub_f32_e32 v22, v22, v26
	s_delay_alu instid0(VALU_DEP_2) | instskip(NEXT) | instid1(VALU_DEP_1)
	v_add_f32_e32 v24, v19, v24
	v_dual_add_f32 v19, v19, v22 :: v_dual_add_f32 v26, v25, v24
	s_delay_alu instid0(VALU_DEP_1) | instskip(SKIP_1) | instid1(VALU_DEP_1)
	v_rcp_f32_e32 v22, v26
	v_sub_f32_e32 v25, v25, v26
	v_dual_add_f32 v27, v23, v19 :: v_dual_add_f32 v24, v24, v25
	s_delay_alu instid0(VALU_DEP_1) | instskip(NEXT) | instid1(TRANS32_DEP_1)
	v_sub_f32_e32 v23, v23, v27
	v_mul_f32_e32 v28, v27, v22
	s_delay_alu instid0(VALU_DEP_2) | instskip(NEXT) | instid1(VALU_DEP_2)
	v_add_f32_e32 v19, v19, v23
	v_mul_f32_e32 v29, v26, v28
	s_delay_alu instid0(VALU_DEP_1) | instskip(NEXT) | instid1(VALU_DEP_1)
	v_fma_f32 v25, v28, v26, -v29
	v_fmac_f32_e32 v25, v28, v24
	s_delay_alu instid0(VALU_DEP_1) | instskip(NEXT) | instid1(VALU_DEP_1)
	v_add_f32_e32 v30, v29, v25
	v_sub_f32_e32 v31, v27, v30
	v_sub_f32_e32 v23, v30, v29
	s_delay_alu instid0(VALU_DEP_2) | instskip(NEXT) | instid1(VALU_DEP_2)
	v_sub_f32_e32 v27, v27, v31
	v_sub_f32_e32 v23, v23, v25
	s_delay_alu instid0(VALU_DEP_2) | instskip(NEXT) | instid1(VALU_DEP_1)
	v_sub_f32_e32 v27, v27, v30
	v_add_f32_e32 v19, v19, v27
	s_delay_alu instid0(VALU_DEP_1) | instskip(NEXT) | instid1(VALU_DEP_1)
	v_add_f32_e32 v19, v23, v19
	v_add_f32_e32 v23, v31, v19
	s_delay_alu instid0(VALU_DEP_1) | instskip(NEXT) | instid1(VALU_DEP_1)
	v_mul_f32_e32 v25, v22, v23
	v_mul_f32_e32 v27, v26, v25
	s_delay_alu instid0(VALU_DEP_1) | instskip(NEXT) | instid1(VALU_DEP_1)
	v_fma_f32 v26, v25, v26, -v27
	v_fmac_f32_e32 v26, v25, v24
	v_sub_f32_e32 v30, v31, v23
	s_delay_alu instid0(VALU_DEP_2) | instskip(NEXT) | instid1(VALU_DEP_2)
	v_add_f32_e32 v24, v27, v26
	v_add_f32_e32 v19, v19, v30
	s_delay_alu instid0(VALU_DEP_2) | instskip(SKIP_1) | instid1(VALU_DEP_2)
	v_sub_f32_e32 v29, v23, v24
	v_sub_f32_e32 v27, v24, v27
	;; [unrolled: 1-line block ×3, first 2 shown]
	s_delay_alu instid0(VALU_DEP_1) | instskip(NEXT) | instid1(VALU_DEP_3)
	v_sub_f32_e32 v23, v23, v24
	v_sub_f32_e32 v24, v27, v26
	s_delay_alu instid0(VALU_DEP_2) | instskip(SKIP_1) | instid1(VALU_DEP_1)
	v_add_f32_e32 v19, v19, v23
	v_add_f32_e32 v23, v28, v25
	v_dual_add_f32 v19, v24, v19 :: v_dual_sub_f32 v24, v23, v28
	s_delay_alu instid0(VALU_DEP_1) | instskip(NEXT) | instid1(VALU_DEP_1)
	v_add_f32_e32 v19, v29, v19
	v_dual_sub_f32 v24, v25, v24 :: v_dual_mul_f32 v19, v22, v19
	s_delay_alu instid0(VALU_DEP_1) | instskip(NEXT) | instid1(VALU_DEP_1)
	v_add_f32_e32 v19, v24, v19
	v_add_f32_e32 v22, v23, v19
	s_delay_alu instid0(VALU_DEP_1) | instskip(SKIP_1) | instid1(VALU_DEP_1)
	v_mul_f32_e32 v24, v22, v22
	s_wait_alu 0xfffe
	v_fmaak_f32 v25, s0, v24, 0x3ecc95a3
	v_mul_f32_e32 v26, v22, v24
	v_cmp_neq_f32_e64 s0, 0x7f800000, v21
	s_delay_alu instid0(VALU_DEP_3) | instskip(SKIP_2) | instid1(VALU_DEP_3)
	v_fmaak_f32 v24, v24, v25, 0x3f2aaada
	v_ldexp_f32 v25, v22, 1
	v_sub_f32_e32 v22, v22, v23
	v_mul_f32_e32 v24, v26, v24
	v_mul_f32_e32 v26, 0x3f317218, v18
	s_delay_alu instid0(VALU_DEP_3) | instskip(NEXT) | instid1(VALU_DEP_3)
	v_sub_f32_e32 v19, v19, v22
	v_add_f32_e32 v23, v25, v24
	s_delay_alu instid0(VALU_DEP_2) | instskip(NEXT) | instid1(VALU_DEP_2)
	v_ldexp_f32 v19, v19, 1
	v_sub_f32_e32 v22, v23, v25
	v_fma_f32 v25, 0x3f317218, v18, -v26
	s_delay_alu instid0(VALU_DEP_2) | instskip(NEXT) | instid1(VALU_DEP_1)
	v_sub_f32_e32 v22, v24, v22
	v_dual_fmamk_f32 v18, v18, 0xb102e308, v25 :: v_dual_add_f32 v19, v19, v22
	s_delay_alu instid0(VALU_DEP_1) | instskip(NEXT) | instid1(VALU_DEP_2)
	v_add_f32_e32 v22, v26, v18
	v_add_f32_e32 v24, v23, v19
	s_delay_alu instid0(VALU_DEP_2) | instskip(NEXT) | instid1(VALU_DEP_2)
	v_sub_f32_e32 v26, v22, v26
	v_add_f32_e32 v25, v22, v24
	s_delay_alu instid0(VALU_DEP_2) | instskip(NEXT) | instid1(VALU_DEP_2)
	v_dual_sub_f32 v23, v24, v23 :: v_dual_sub_f32 v18, v18, v26
	v_sub_f32_e32 v27, v25, v22
	s_delay_alu instid0(VALU_DEP_2) | instskip(NEXT) | instid1(VALU_DEP_2)
	v_sub_f32_e32 v19, v19, v23
	v_sub_f32_e32 v28, v25, v27
	;; [unrolled: 1-line block ×3, first 2 shown]
	s_delay_alu instid0(VALU_DEP_3) | instskip(NEXT) | instid1(VALU_DEP_3)
	v_add_f32_e32 v24, v18, v19
	v_sub_f32_e32 v22, v22, v28
	s_delay_alu instid0(VALU_DEP_1) | instskip(NEXT) | instid1(VALU_DEP_3)
	v_add_f32_e32 v22, v23, v22
	v_sub_f32_e32 v23, v24, v18
	s_delay_alu instid0(VALU_DEP_2) | instskip(NEXT) | instid1(VALU_DEP_2)
	v_add_f32_e32 v22, v24, v22
	v_sub_f32_e32 v24, v24, v23
	s_delay_alu instid0(VALU_DEP_1) | instskip(NEXT) | instid1(VALU_DEP_1)
	v_dual_sub_f32 v19, v19, v23 :: v_dual_sub_f32 v18, v18, v24
	v_add_f32_e32 v18, v19, v18
	s_delay_alu instid0(VALU_DEP_4) | instskip(NEXT) | instid1(VALU_DEP_1)
	v_add_f32_e32 v26, v25, v22
	v_sub_f32_e32 v23, v26, v25
	s_delay_alu instid0(VALU_DEP_1) | instskip(NEXT) | instid1(VALU_DEP_1)
	v_sub_f32_e32 v19, v22, v23
	v_add_f32_e32 v18, v18, v19
	s_delay_alu instid0(VALU_DEP_1) | instskip(SKIP_1) | instid1(VALU_DEP_1)
	v_add_f32_e32 v18, v26, v18
	s_wait_alu 0xf1ff
	v_cndmask_b32_e64 v18, 0x7f800000, v18, s0
	v_cmp_gt_f32_e64 s0, 0x33800000, |v21|
	s_wait_alu 0xf1ff
	s_delay_alu instid0(VALU_DEP_1) | instskip(NEXT) | instid1(VALU_DEP_1)
	v_cndmask_b32_e64 v18, v18, v21, s0
	v_add_f32_e32 v18, v20, v18
	s_delay_alu instid0(VALU_DEP_1) | instskip(NEXT) | instid1(VALU_DEP_1)
	v_cvt_f16_f32_e32 v18, v18
	v_cvt_f32_f16_e32 v19, v18
.LBB373_91:
	s_wait_alu 0xfffe
	s_or_b32 exec_lo, exec_lo, s1
	ds_load_u16 v20, v17 offset:10
	v_max_num_f32_e32 v21, v19, v19
	v_cmp_u_f16_e64 s0, v18, v18
	ds_store_b16 v17, v18 offset:8
	s_wait_dscnt 0x1
	v_cvt_f32_f16_e32 v22, v20
	s_delay_alu instid0(VALU_DEP_1) | instskip(SKIP_2) | instid1(VALU_DEP_2)
	v_min_num_f32_e32 v23, v21, v22
	v_max_num_f32_e32 v21, v21, v22
	s_wait_alu 0xf1ff
	v_cndmask_b32_e64 v23, v23, v19, s0
	s_delay_alu instid0(VALU_DEP_2) | instskip(SKIP_2) | instid1(VALU_DEP_1)
	v_cndmask_b32_e64 v24, v21, v19, s0
	v_cmp_u_f16_e64 s0, v20, v20
	s_wait_alu 0xf1ff
	v_cndmask_b32_e64 v21, v23, v22, s0
	s_delay_alu instid0(VALU_DEP_3) | instskip(NEXT) | instid1(VALU_DEP_2)
	v_cndmask_b32_e64 v20, v24, v22, s0
	v_cmp_class_f32_e64 s1, v21, 0x1f8
	s_delay_alu instid0(VALU_DEP_2)
	v_cmp_neq_f32_e64 s0, v21, v20
	s_or_b32 s0, s0, s1
	s_wait_alu 0xfffe
	s_and_saveexec_b32 s1, s0
	s_cbranch_execz .LBB373_93
; %bb.92:
	v_sub_f32_e32 v18, v21, v20
	s_delay_alu instid0(VALU_DEP_1) | instskip(NEXT) | instid1(VALU_DEP_1)
	v_mul_f32_e32 v19, 0x3fb8aa3b, v18
	v_fma_f32 v21, 0x3fb8aa3b, v18, -v19
	v_rndne_f32_e32 v22, v19
	s_delay_alu instid0(VALU_DEP_1) | instskip(NEXT) | instid1(VALU_DEP_3)
	v_sub_f32_e32 v19, v19, v22
	v_fmamk_f32 v21, v18, 0x32a5705f, v21
	v_cmp_ngt_f32_e64 s0, 0xc2ce8ed0, v18
	s_delay_alu instid0(VALU_DEP_2) | instskip(SKIP_1) | instid1(VALU_DEP_2)
	v_add_f32_e32 v19, v19, v21
	v_cvt_i32_f32_e32 v21, v22
	v_exp_f32_e32 v19, v19
	s_delay_alu instid0(TRANS32_DEP_1) | instskip(SKIP_1) | instid1(VALU_DEP_1)
	v_ldexp_f32 v19, v19, v21
	s_wait_alu 0xf1ff
	v_cndmask_b32_e64 v19, 0, v19, s0
	v_cmp_nlt_f32_e64 s0, 0x42b17218, v18
	s_wait_alu 0xf1ff
	s_delay_alu instid0(VALU_DEP_1) | instskip(NEXT) | instid1(VALU_DEP_1)
	v_cndmask_b32_e64 v21, 0x7f800000, v19, s0
	v_add_f32_e32 v22, 1.0, v21
	s_delay_alu instid0(VALU_DEP_1) | instskip(NEXT) | instid1(VALU_DEP_1)
	v_cvt_f64_f32_e32 v[18:19], v22
	v_frexp_exp_i32_f64_e32 v18, v[18:19]
	v_frexp_mant_f32_e32 v19, v22
	s_delay_alu instid0(VALU_DEP_1) | instskip(SKIP_1) | instid1(VALU_DEP_1)
	v_cmp_gt_f32_e64 s0, 0x3f2aaaab, v19
	v_add_f32_e32 v19, -1.0, v22
	v_sub_f32_e32 v24, v19, v22
	s_delay_alu instid0(VALU_DEP_1)
	v_add_f32_e32 v24, 1.0, v24
	s_wait_alu 0xf1ff
	v_subrev_co_ci_u32_e64 v18, null, 0, v18, s0
	s_mov_b32 s0, 0x3e9b6dac
	v_sub_nc_u32_e32 v23, 0, v18
	v_cvt_f32_i32_e32 v18, v18
	s_delay_alu instid0(VALU_DEP_2) | instskip(SKIP_1) | instid1(VALU_DEP_1)
	v_ldexp_f32 v22, v22, v23
	v_sub_f32_e32 v19, v21, v19
	v_add_f32_e32 v19, v19, v24
	s_delay_alu instid0(VALU_DEP_1) | instskip(NEXT) | instid1(VALU_DEP_4)
	v_ldexp_f32 v19, v19, v23
	v_add_f32_e32 v23, -1.0, v22
	s_delay_alu instid0(VALU_DEP_1) | instskip(NEXT) | instid1(VALU_DEP_1)
	v_dual_add_f32 v25, 1.0, v22 :: v_dual_add_f32 v26, 1.0, v23
	v_add_f32_e32 v24, -1.0, v25
	s_delay_alu instid0(VALU_DEP_1) | instskip(NEXT) | instid1(VALU_DEP_3)
	v_sub_f32_e32 v24, v22, v24
	v_sub_f32_e32 v22, v22, v26
	s_delay_alu instid0(VALU_DEP_2) | instskip(NEXT) | instid1(VALU_DEP_1)
	v_add_f32_e32 v24, v19, v24
	v_dual_add_f32 v19, v19, v22 :: v_dual_add_f32 v26, v25, v24
	s_delay_alu instid0(VALU_DEP_1) | instskip(SKIP_1) | instid1(VALU_DEP_1)
	v_rcp_f32_e32 v22, v26
	v_sub_f32_e32 v25, v25, v26
	v_dual_add_f32 v27, v23, v19 :: v_dual_add_f32 v24, v24, v25
	s_delay_alu instid0(VALU_DEP_1) | instskip(NEXT) | instid1(TRANS32_DEP_1)
	v_sub_f32_e32 v23, v23, v27
	v_mul_f32_e32 v28, v27, v22
	s_delay_alu instid0(VALU_DEP_2) | instskip(NEXT) | instid1(VALU_DEP_2)
	v_add_f32_e32 v19, v19, v23
	v_mul_f32_e32 v29, v26, v28
	s_delay_alu instid0(VALU_DEP_1) | instskip(NEXT) | instid1(VALU_DEP_1)
	v_fma_f32 v25, v28, v26, -v29
	v_fmac_f32_e32 v25, v28, v24
	s_delay_alu instid0(VALU_DEP_1) | instskip(NEXT) | instid1(VALU_DEP_1)
	v_add_f32_e32 v30, v29, v25
	v_sub_f32_e32 v31, v27, v30
	v_sub_f32_e32 v23, v30, v29
	s_delay_alu instid0(VALU_DEP_2) | instskip(NEXT) | instid1(VALU_DEP_2)
	v_sub_f32_e32 v27, v27, v31
	v_sub_f32_e32 v23, v23, v25
	s_delay_alu instid0(VALU_DEP_2) | instskip(NEXT) | instid1(VALU_DEP_1)
	v_sub_f32_e32 v27, v27, v30
	v_add_f32_e32 v19, v19, v27
	s_delay_alu instid0(VALU_DEP_1) | instskip(NEXT) | instid1(VALU_DEP_1)
	v_add_f32_e32 v19, v23, v19
	v_add_f32_e32 v23, v31, v19
	s_delay_alu instid0(VALU_DEP_1) | instskip(NEXT) | instid1(VALU_DEP_1)
	v_mul_f32_e32 v25, v22, v23
	v_mul_f32_e32 v27, v26, v25
	s_delay_alu instid0(VALU_DEP_1) | instskip(NEXT) | instid1(VALU_DEP_1)
	v_fma_f32 v26, v25, v26, -v27
	v_fmac_f32_e32 v26, v25, v24
	v_sub_f32_e32 v30, v31, v23
	s_delay_alu instid0(VALU_DEP_2) | instskip(NEXT) | instid1(VALU_DEP_2)
	v_add_f32_e32 v24, v27, v26
	v_add_f32_e32 v19, v19, v30
	s_delay_alu instid0(VALU_DEP_2) | instskip(SKIP_1) | instid1(VALU_DEP_2)
	v_sub_f32_e32 v29, v23, v24
	v_sub_f32_e32 v27, v24, v27
	v_sub_f32_e32 v23, v23, v29
	s_delay_alu instid0(VALU_DEP_1) | instskip(NEXT) | instid1(VALU_DEP_3)
	v_sub_f32_e32 v23, v23, v24
	v_sub_f32_e32 v24, v27, v26
	s_delay_alu instid0(VALU_DEP_2) | instskip(SKIP_1) | instid1(VALU_DEP_1)
	v_add_f32_e32 v19, v19, v23
	v_add_f32_e32 v23, v28, v25
	v_dual_add_f32 v19, v24, v19 :: v_dual_sub_f32 v24, v23, v28
	s_delay_alu instid0(VALU_DEP_1) | instskip(NEXT) | instid1(VALU_DEP_1)
	v_add_f32_e32 v19, v29, v19
	v_dual_sub_f32 v24, v25, v24 :: v_dual_mul_f32 v19, v22, v19
	s_delay_alu instid0(VALU_DEP_1) | instskip(NEXT) | instid1(VALU_DEP_1)
	v_add_f32_e32 v19, v24, v19
	v_add_f32_e32 v22, v23, v19
	s_delay_alu instid0(VALU_DEP_1) | instskip(SKIP_1) | instid1(VALU_DEP_1)
	v_mul_f32_e32 v24, v22, v22
	s_wait_alu 0xfffe
	v_fmaak_f32 v25, s0, v24, 0x3ecc95a3
	v_mul_f32_e32 v26, v22, v24
	v_cmp_neq_f32_e64 s0, 0x7f800000, v21
	s_delay_alu instid0(VALU_DEP_3) | instskip(SKIP_2) | instid1(VALU_DEP_3)
	v_fmaak_f32 v24, v24, v25, 0x3f2aaada
	v_ldexp_f32 v25, v22, 1
	v_sub_f32_e32 v22, v22, v23
	v_mul_f32_e32 v24, v26, v24
	v_mul_f32_e32 v26, 0x3f317218, v18
	s_delay_alu instid0(VALU_DEP_3) | instskip(NEXT) | instid1(VALU_DEP_3)
	v_sub_f32_e32 v19, v19, v22
	v_add_f32_e32 v23, v25, v24
	s_delay_alu instid0(VALU_DEP_2) | instskip(NEXT) | instid1(VALU_DEP_2)
	v_ldexp_f32 v19, v19, 1
	v_sub_f32_e32 v22, v23, v25
	v_fma_f32 v25, 0x3f317218, v18, -v26
	s_delay_alu instid0(VALU_DEP_2) | instskip(NEXT) | instid1(VALU_DEP_1)
	v_sub_f32_e32 v22, v24, v22
	v_dual_fmamk_f32 v18, v18, 0xb102e308, v25 :: v_dual_add_f32 v19, v19, v22
	s_delay_alu instid0(VALU_DEP_1) | instskip(NEXT) | instid1(VALU_DEP_2)
	v_add_f32_e32 v22, v26, v18
	v_add_f32_e32 v24, v23, v19
	s_delay_alu instid0(VALU_DEP_2) | instskip(NEXT) | instid1(VALU_DEP_2)
	v_sub_f32_e32 v26, v22, v26
	v_add_f32_e32 v25, v22, v24
	s_delay_alu instid0(VALU_DEP_2) | instskip(NEXT) | instid1(VALU_DEP_2)
	v_dual_sub_f32 v23, v24, v23 :: v_dual_sub_f32 v18, v18, v26
	v_sub_f32_e32 v27, v25, v22
	s_delay_alu instid0(VALU_DEP_2) | instskip(NEXT) | instid1(VALU_DEP_2)
	v_sub_f32_e32 v19, v19, v23
	v_sub_f32_e32 v28, v25, v27
	;; [unrolled: 1-line block ×3, first 2 shown]
	s_delay_alu instid0(VALU_DEP_3) | instskip(NEXT) | instid1(VALU_DEP_3)
	v_add_f32_e32 v24, v18, v19
	v_sub_f32_e32 v22, v22, v28
	s_delay_alu instid0(VALU_DEP_1) | instskip(NEXT) | instid1(VALU_DEP_3)
	v_add_f32_e32 v22, v23, v22
	v_sub_f32_e32 v23, v24, v18
	s_delay_alu instid0(VALU_DEP_2) | instskip(NEXT) | instid1(VALU_DEP_2)
	v_add_f32_e32 v22, v24, v22
	v_sub_f32_e32 v24, v24, v23
	s_delay_alu instid0(VALU_DEP_1) | instskip(NEXT) | instid1(VALU_DEP_1)
	v_dual_sub_f32 v19, v19, v23 :: v_dual_sub_f32 v18, v18, v24
	v_add_f32_e32 v18, v19, v18
	s_delay_alu instid0(VALU_DEP_4) | instskip(NEXT) | instid1(VALU_DEP_1)
	v_add_f32_e32 v26, v25, v22
	v_sub_f32_e32 v23, v26, v25
	s_delay_alu instid0(VALU_DEP_1) | instskip(NEXT) | instid1(VALU_DEP_1)
	v_sub_f32_e32 v19, v22, v23
	v_add_f32_e32 v18, v18, v19
	s_delay_alu instid0(VALU_DEP_1) | instskip(SKIP_1) | instid1(VALU_DEP_1)
	v_add_f32_e32 v18, v26, v18
	s_wait_alu 0xf1ff
	v_cndmask_b32_e64 v18, 0x7f800000, v18, s0
	v_cmp_gt_f32_e64 s0, 0x33800000, |v21|
	s_wait_alu 0xf1ff
	s_delay_alu instid0(VALU_DEP_1) | instskip(NEXT) | instid1(VALU_DEP_1)
	v_cndmask_b32_e64 v18, v18, v21, s0
	v_add_f32_e32 v18, v20, v18
	s_delay_alu instid0(VALU_DEP_1) | instskip(NEXT) | instid1(VALU_DEP_1)
	v_cvt_f16_f32_e32 v18, v18
	v_cvt_f32_f16_e32 v19, v18
.LBB373_93:
	s_wait_alu 0xfffe
	s_or_b32 exec_lo, exec_lo, s1
	ds_load_u16 v20, v17 offset:12
	v_max_num_f32_e32 v21, v19, v19
	v_cmp_u_f16_e64 s0, v18, v18
	ds_store_b16 v17, v18 offset:10
	s_wait_dscnt 0x1
	v_cvt_f32_f16_e32 v22, v20
	s_delay_alu instid0(VALU_DEP_1) | instskip(SKIP_2) | instid1(VALU_DEP_2)
	v_min_num_f32_e32 v23, v21, v22
	v_max_num_f32_e32 v21, v21, v22
	s_wait_alu 0xf1ff
	v_cndmask_b32_e64 v23, v23, v19, s0
	s_delay_alu instid0(VALU_DEP_2) | instskip(SKIP_2) | instid1(VALU_DEP_1)
	v_cndmask_b32_e64 v24, v21, v19, s0
	v_cmp_u_f16_e64 s0, v20, v20
	s_wait_alu 0xf1ff
	v_cndmask_b32_e64 v21, v23, v22, s0
	s_delay_alu instid0(VALU_DEP_3) | instskip(NEXT) | instid1(VALU_DEP_2)
	v_cndmask_b32_e64 v20, v24, v22, s0
	v_cmp_class_f32_e64 s1, v21, 0x1f8
	s_delay_alu instid0(VALU_DEP_2)
	v_cmp_neq_f32_e64 s0, v21, v20
	s_or_b32 s0, s0, s1
	s_wait_alu 0xfffe
	s_and_saveexec_b32 s1, s0
	s_cbranch_execz .LBB373_95
; %bb.94:
	v_sub_f32_e32 v18, v21, v20
	s_delay_alu instid0(VALU_DEP_1) | instskip(NEXT) | instid1(VALU_DEP_1)
	v_mul_f32_e32 v19, 0x3fb8aa3b, v18
	v_fma_f32 v21, 0x3fb8aa3b, v18, -v19
	v_rndne_f32_e32 v22, v19
	s_delay_alu instid0(VALU_DEP_1) | instskip(NEXT) | instid1(VALU_DEP_3)
	v_sub_f32_e32 v19, v19, v22
	v_fmamk_f32 v21, v18, 0x32a5705f, v21
	v_cmp_ngt_f32_e64 s0, 0xc2ce8ed0, v18
	s_delay_alu instid0(VALU_DEP_2) | instskip(SKIP_1) | instid1(VALU_DEP_2)
	v_add_f32_e32 v19, v19, v21
	v_cvt_i32_f32_e32 v21, v22
	v_exp_f32_e32 v19, v19
	s_delay_alu instid0(TRANS32_DEP_1) | instskip(SKIP_1) | instid1(VALU_DEP_1)
	v_ldexp_f32 v19, v19, v21
	s_wait_alu 0xf1ff
	v_cndmask_b32_e64 v19, 0, v19, s0
	v_cmp_nlt_f32_e64 s0, 0x42b17218, v18
	s_wait_alu 0xf1ff
	s_delay_alu instid0(VALU_DEP_1) | instskip(NEXT) | instid1(VALU_DEP_1)
	v_cndmask_b32_e64 v21, 0x7f800000, v19, s0
	v_add_f32_e32 v22, 1.0, v21
	s_delay_alu instid0(VALU_DEP_1) | instskip(NEXT) | instid1(VALU_DEP_1)
	v_cvt_f64_f32_e32 v[18:19], v22
	v_frexp_exp_i32_f64_e32 v18, v[18:19]
	v_frexp_mant_f32_e32 v19, v22
	s_delay_alu instid0(VALU_DEP_1) | instskip(SKIP_1) | instid1(VALU_DEP_1)
	v_cmp_gt_f32_e64 s0, 0x3f2aaaab, v19
	v_add_f32_e32 v19, -1.0, v22
	v_sub_f32_e32 v24, v19, v22
	s_delay_alu instid0(VALU_DEP_1)
	v_add_f32_e32 v24, 1.0, v24
	s_wait_alu 0xf1ff
	v_subrev_co_ci_u32_e64 v18, null, 0, v18, s0
	s_mov_b32 s0, 0x3e9b6dac
	v_sub_nc_u32_e32 v23, 0, v18
	v_cvt_f32_i32_e32 v18, v18
	s_delay_alu instid0(VALU_DEP_2) | instskip(SKIP_1) | instid1(VALU_DEP_1)
	v_ldexp_f32 v22, v22, v23
	v_sub_f32_e32 v19, v21, v19
	v_add_f32_e32 v19, v19, v24
	s_delay_alu instid0(VALU_DEP_1) | instskip(NEXT) | instid1(VALU_DEP_4)
	v_ldexp_f32 v19, v19, v23
	v_add_f32_e32 v23, -1.0, v22
	s_delay_alu instid0(VALU_DEP_1) | instskip(NEXT) | instid1(VALU_DEP_1)
	v_dual_add_f32 v25, 1.0, v22 :: v_dual_add_f32 v26, 1.0, v23
	v_add_f32_e32 v24, -1.0, v25
	s_delay_alu instid0(VALU_DEP_1) | instskip(NEXT) | instid1(VALU_DEP_3)
	v_sub_f32_e32 v24, v22, v24
	v_sub_f32_e32 v22, v22, v26
	s_delay_alu instid0(VALU_DEP_2) | instskip(NEXT) | instid1(VALU_DEP_1)
	v_add_f32_e32 v24, v19, v24
	v_dual_add_f32 v19, v19, v22 :: v_dual_add_f32 v26, v25, v24
	s_delay_alu instid0(VALU_DEP_1) | instskip(SKIP_1) | instid1(VALU_DEP_1)
	v_rcp_f32_e32 v22, v26
	v_sub_f32_e32 v25, v25, v26
	v_dual_add_f32 v27, v23, v19 :: v_dual_add_f32 v24, v24, v25
	s_delay_alu instid0(VALU_DEP_1) | instskip(NEXT) | instid1(TRANS32_DEP_1)
	v_sub_f32_e32 v23, v23, v27
	v_mul_f32_e32 v28, v27, v22
	s_delay_alu instid0(VALU_DEP_2) | instskip(NEXT) | instid1(VALU_DEP_2)
	v_add_f32_e32 v19, v19, v23
	v_mul_f32_e32 v29, v26, v28
	s_delay_alu instid0(VALU_DEP_1) | instskip(NEXT) | instid1(VALU_DEP_1)
	v_fma_f32 v25, v28, v26, -v29
	v_fmac_f32_e32 v25, v28, v24
	s_delay_alu instid0(VALU_DEP_1) | instskip(NEXT) | instid1(VALU_DEP_1)
	v_add_f32_e32 v30, v29, v25
	v_sub_f32_e32 v31, v27, v30
	v_sub_f32_e32 v23, v30, v29
	s_delay_alu instid0(VALU_DEP_2) | instskip(NEXT) | instid1(VALU_DEP_2)
	v_sub_f32_e32 v27, v27, v31
	v_sub_f32_e32 v23, v23, v25
	s_delay_alu instid0(VALU_DEP_2) | instskip(NEXT) | instid1(VALU_DEP_1)
	v_sub_f32_e32 v27, v27, v30
	v_add_f32_e32 v19, v19, v27
	s_delay_alu instid0(VALU_DEP_1) | instskip(NEXT) | instid1(VALU_DEP_1)
	v_add_f32_e32 v19, v23, v19
	v_add_f32_e32 v23, v31, v19
	s_delay_alu instid0(VALU_DEP_1) | instskip(NEXT) | instid1(VALU_DEP_1)
	v_mul_f32_e32 v25, v22, v23
	v_mul_f32_e32 v27, v26, v25
	s_delay_alu instid0(VALU_DEP_1) | instskip(NEXT) | instid1(VALU_DEP_1)
	v_fma_f32 v26, v25, v26, -v27
	v_fmac_f32_e32 v26, v25, v24
	v_sub_f32_e32 v30, v31, v23
	s_delay_alu instid0(VALU_DEP_2) | instskip(NEXT) | instid1(VALU_DEP_2)
	v_add_f32_e32 v24, v27, v26
	v_add_f32_e32 v19, v19, v30
	s_delay_alu instid0(VALU_DEP_2) | instskip(SKIP_1) | instid1(VALU_DEP_2)
	v_sub_f32_e32 v29, v23, v24
	v_sub_f32_e32 v27, v24, v27
	;; [unrolled: 1-line block ×3, first 2 shown]
	s_delay_alu instid0(VALU_DEP_1) | instskip(NEXT) | instid1(VALU_DEP_3)
	v_sub_f32_e32 v23, v23, v24
	v_sub_f32_e32 v24, v27, v26
	s_delay_alu instid0(VALU_DEP_2) | instskip(SKIP_1) | instid1(VALU_DEP_1)
	v_add_f32_e32 v19, v19, v23
	v_add_f32_e32 v23, v28, v25
	v_dual_add_f32 v19, v24, v19 :: v_dual_sub_f32 v24, v23, v28
	s_delay_alu instid0(VALU_DEP_1) | instskip(NEXT) | instid1(VALU_DEP_1)
	v_add_f32_e32 v19, v29, v19
	v_dual_sub_f32 v24, v25, v24 :: v_dual_mul_f32 v19, v22, v19
	s_delay_alu instid0(VALU_DEP_1) | instskip(NEXT) | instid1(VALU_DEP_1)
	v_add_f32_e32 v19, v24, v19
	v_add_f32_e32 v22, v23, v19
	s_delay_alu instid0(VALU_DEP_1) | instskip(SKIP_1) | instid1(VALU_DEP_1)
	v_mul_f32_e32 v24, v22, v22
	s_wait_alu 0xfffe
	v_fmaak_f32 v25, s0, v24, 0x3ecc95a3
	v_mul_f32_e32 v26, v22, v24
	v_cmp_neq_f32_e64 s0, 0x7f800000, v21
	s_delay_alu instid0(VALU_DEP_3) | instskip(SKIP_2) | instid1(VALU_DEP_3)
	v_fmaak_f32 v24, v24, v25, 0x3f2aaada
	v_ldexp_f32 v25, v22, 1
	v_sub_f32_e32 v22, v22, v23
	v_mul_f32_e32 v24, v26, v24
	v_mul_f32_e32 v26, 0x3f317218, v18
	s_delay_alu instid0(VALU_DEP_3) | instskip(NEXT) | instid1(VALU_DEP_3)
	v_sub_f32_e32 v19, v19, v22
	v_add_f32_e32 v23, v25, v24
	s_delay_alu instid0(VALU_DEP_2) | instskip(NEXT) | instid1(VALU_DEP_2)
	v_ldexp_f32 v19, v19, 1
	v_sub_f32_e32 v22, v23, v25
	v_fma_f32 v25, 0x3f317218, v18, -v26
	s_delay_alu instid0(VALU_DEP_2) | instskip(NEXT) | instid1(VALU_DEP_1)
	v_sub_f32_e32 v22, v24, v22
	v_dual_fmamk_f32 v18, v18, 0xb102e308, v25 :: v_dual_add_f32 v19, v19, v22
	s_delay_alu instid0(VALU_DEP_1) | instskip(NEXT) | instid1(VALU_DEP_2)
	v_add_f32_e32 v22, v26, v18
	v_add_f32_e32 v24, v23, v19
	s_delay_alu instid0(VALU_DEP_2) | instskip(NEXT) | instid1(VALU_DEP_2)
	v_sub_f32_e32 v26, v22, v26
	v_add_f32_e32 v25, v22, v24
	s_delay_alu instid0(VALU_DEP_2) | instskip(NEXT) | instid1(VALU_DEP_2)
	v_dual_sub_f32 v23, v24, v23 :: v_dual_sub_f32 v18, v18, v26
	v_sub_f32_e32 v27, v25, v22
	s_delay_alu instid0(VALU_DEP_2) | instskip(NEXT) | instid1(VALU_DEP_2)
	v_sub_f32_e32 v19, v19, v23
	v_sub_f32_e32 v28, v25, v27
	;; [unrolled: 1-line block ×3, first 2 shown]
	s_delay_alu instid0(VALU_DEP_3) | instskip(NEXT) | instid1(VALU_DEP_3)
	v_add_f32_e32 v24, v18, v19
	v_sub_f32_e32 v22, v22, v28
	s_delay_alu instid0(VALU_DEP_1) | instskip(NEXT) | instid1(VALU_DEP_3)
	v_add_f32_e32 v22, v23, v22
	v_sub_f32_e32 v23, v24, v18
	s_delay_alu instid0(VALU_DEP_2) | instskip(NEXT) | instid1(VALU_DEP_2)
	v_add_f32_e32 v22, v24, v22
	v_sub_f32_e32 v24, v24, v23
	s_delay_alu instid0(VALU_DEP_1) | instskip(NEXT) | instid1(VALU_DEP_1)
	v_dual_sub_f32 v19, v19, v23 :: v_dual_sub_f32 v18, v18, v24
	v_add_f32_e32 v18, v19, v18
	s_delay_alu instid0(VALU_DEP_4) | instskip(NEXT) | instid1(VALU_DEP_1)
	v_add_f32_e32 v26, v25, v22
	v_sub_f32_e32 v23, v26, v25
	s_delay_alu instid0(VALU_DEP_1) | instskip(NEXT) | instid1(VALU_DEP_1)
	v_sub_f32_e32 v19, v22, v23
	v_add_f32_e32 v18, v18, v19
	s_delay_alu instid0(VALU_DEP_1) | instskip(SKIP_1) | instid1(VALU_DEP_1)
	v_add_f32_e32 v18, v26, v18
	s_wait_alu 0xf1ff
	v_cndmask_b32_e64 v18, 0x7f800000, v18, s0
	v_cmp_gt_f32_e64 s0, 0x33800000, |v21|
	s_wait_alu 0xf1ff
	s_delay_alu instid0(VALU_DEP_1) | instskip(NEXT) | instid1(VALU_DEP_1)
	v_cndmask_b32_e64 v18, v18, v21, s0
	v_add_f32_e32 v18, v20, v18
	s_delay_alu instid0(VALU_DEP_1) | instskip(NEXT) | instid1(VALU_DEP_1)
	v_cvt_f16_f32_e32 v18, v18
	v_cvt_f32_f16_e32 v19, v18
.LBB373_95:
	s_wait_alu 0xfffe
	s_or_b32 exec_lo, exec_lo, s1
	ds_load_u16 v20, v17 offset:14
	v_max_num_f32_e32 v21, v19, v19
	v_cmp_u_f16_e64 s0, v18, v18
	ds_store_b16 v17, v18 offset:12
	s_wait_dscnt 0x1
	v_cvt_f32_f16_e32 v22, v20
	s_delay_alu instid0(VALU_DEP_1) | instskip(SKIP_2) | instid1(VALU_DEP_2)
	v_min_num_f32_e32 v23, v21, v22
	v_max_num_f32_e32 v21, v21, v22
	s_wait_alu 0xf1ff
	v_cndmask_b32_e64 v23, v23, v19, s0
	s_delay_alu instid0(VALU_DEP_2) | instskip(SKIP_2) | instid1(VALU_DEP_1)
	v_cndmask_b32_e64 v19, v21, v19, s0
	v_cmp_u_f16_e64 s0, v20, v20
	s_wait_alu 0xf1ff
	v_cndmask_b32_e64 v20, v23, v22, s0
	s_delay_alu instid0(VALU_DEP_3) | instskip(NEXT) | instid1(VALU_DEP_2)
	v_cndmask_b32_e64 v19, v19, v22, s0
	v_cmp_class_f32_e64 s1, v20, 0x1f8
	s_delay_alu instid0(VALU_DEP_2)
	v_cmp_neq_f32_e64 s0, v20, v19
	s_or_b32 s0, s0, s1
	s_wait_alu 0xfffe
	s_and_saveexec_b32 s1, s0
	s_cbranch_execz .LBB373_97
; %bb.96:
	v_sub_f32_e32 v18, v20, v19
	s_delay_alu instid0(VALU_DEP_1) | instskip(SKIP_1) | instid1(VALU_DEP_2)
	v_mul_f32_e32 v20, 0x3fb8aa3b, v18
	v_cmp_ngt_f32_e64 s0, 0xc2ce8ed0, v18
	v_fma_f32 v21, 0x3fb8aa3b, v18, -v20
	v_rndne_f32_e32 v22, v20
	s_delay_alu instid0(VALU_DEP_1) | instskip(NEXT) | instid1(VALU_DEP_1)
	v_dual_fmamk_f32 v21, v18, 0x32a5705f, v21 :: v_dual_sub_f32 v20, v20, v22
	v_add_f32_e32 v20, v20, v21
	v_cvt_i32_f32_e32 v21, v22
	s_delay_alu instid0(VALU_DEP_2) | instskip(NEXT) | instid1(TRANS32_DEP_1)
	v_exp_f32_e32 v20, v20
	v_ldexp_f32 v20, v20, v21
	s_wait_alu 0xf1ff
	s_delay_alu instid0(VALU_DEP_1) | instskip(SKIP_2) | instid1(VALU_DEP_1)
	v_cndmask_b32_e64 v20, 0, v20, s0
	v_cmp_nlt_f32_e64 s0, 0x42b17218, v18
	s_wait_alu 0xf1ff
	v_cndmask_b32_e64 v18, 0x7f800000, v20, s0
	s_delay_alu instid0(VALU_DEP_1) | instskip(NEXT) | instid1(VALU_DEP_1)
	v_add_f32_e32 v22, 1.0, v18
	v_cvt_f64_f32_e32 v[20:21], v22
	s_delay_alu instid0(VALU_DEP_1) | instskip(SKIP_1) | instid1(VALU_DEP_1)
	v_frexp_exp_i32_f64_e32 v20, v[20:21]
	v_frexp_mant_f32_e32 v21, v22
	v_cmp_gt_f32_e64 s0, 0x3f2aaaab, v21
	v_add_f32_e32 v21, -1.0, v22
	s_delay_alu instid0(VALU_DEP_1) | instskip(NEXT) | instid1(VALU_DEP_1)
	v_dual_sub_f32 v24, v21, v22 :: v_dual_sub_f32 v21, v18, v21
	v_add_f32_e32 v24, 1.0, v24
	s_delay_alu instid0(VALU_DEP_1)
	v_add_f32_e32 v21, v21, v24
	s_wait_alu 0xf1ff
	v_subrev_co_ci_u32_e64 v20, null, 0, v20, s0
	s_mov_b32 s0, 0x3e9b6dac
	v_sub_nc_u32_e32 v23, 0, v20
	v_cvt_f32_i32_e32 v20, v20
	s_delay_alu instid0(VALU_DEP_2) | instskip(SKIP_1) | instid1(VALU_DEP_2)
	v_ldexp_f32 v22, v22, v23
	v_ldexp_f32 v21, v21, v23
	v_add_f32_e32 v25, 1.0, v22
	s_delay_alu instid0(VALU_DEP_1) | instskip(NEXT) | instid1(VALU_DEP_1)
	v_dual_add_f32 v23, -1.0, v22 :: v_dual_add_f32 v24, -1.0, v25
	v_add_f32_e32 v26, 1.0, v23
	s_delay_alu instid0(VALU_DEP_2) | instskip(NEXT) | instid1(VALU_DEP_2)
	v_sub_f32_e32 v24, v22, v24
	v_sub_f32_e32 v22, v22, v26
	s_delay_alu instid0(VALU_DEP_2) | instskip(NEXT) | instid1(VALU_DEP_2)
	v_add_f32_e32 v24, v21, v24
	v_add_f32_e32 v21, v21, v22
	s_delay_alu instid0(VALU_DEP_1) | instskip(NEXT) | instid1(VALU_DEP_1)
	v_dual_add_f32 v27, v23, v21 :: v_dual_add_f32 v26, v25, v24
	v_sub_f32_e32 v23, v23, v27
	s_delay_alu instid0(VALU_DEP_2) | instskip(SKIP_1) | instid1(VALU_DEP_1)
	v_rcp_f32_e32 v22, v26
	v_sub_f32_e32 v25, v25, v26
	v_dual_add_f32 v21, v21, v23 :: v_dual_add_f32 v24, v24, v25
	s_delay_alu instid0(TRANS32_DEP_1) | instskip(NEXT) | instid1(VALU_DEP_1)
	v_mul_f32_e32 v28, v27, v22
	v_mul_f32_e32 v29, v26, v28
	s_delay_alu instid0(VALU_DEP_1) | instskip(NEXT) | instid1(VALU_DEP_1)
	v_fma_f32 v25, v28, v26, -v29
	v_fmac_f32_e32 v25, v28, v24
	s_delay_alu instid0(VALU_DEP_1) | instskip(NEXT) | instid1(VALU_DEP_1)
	v_add_f32_e32 v30, v29, v25
	v_sub_f32_e32 v31, v27, v30
	v_sub_f32_e32 v23, v30, v29
	s_delay_alu instid0(VALU_DEP_2) | instskip(NEXT) | instid1(VALU_DEP_2)
	v_sub_f32_e32 v27, v27, v31
	v_sub_f32_e32 v23, v23, v25
	s_delay_alu instid0(VALU_DEP_2) | instskip(NEXT) | instid1(VALU_DEP_1)
	v_sub_f32_e32 v27, v27, v30
	v_add_f32_e32 v21, v21, v27
	s_delay_alu instid0(VALU_DEP_1) | instskip(NEXT) | instid1(VALU_DEP_1)
	v_add_f32_e32 v21, v23, v21
	v_add_f32_e32 v23, v31, v21
	s_delay_alu instid0(VALU_DEP_1) | instskip(NEXT) | instid1(VALU_DEP_1)
	v_mul_f32_e32 v25, v22, v23
	v_dual_sub_f32 v30, v31, v23 :: v_dual_mul_f32 v27, v26, v25
	s_delay_alu instid0(VALU_DEP_1) | instskip(NEXT) | instid1(VALU_DEP_2)
	v_add_f32_e32 v21, v21, v30
	v_fma_f32 v26, v25, v26, -v27
	s_delay_alu instid0(VALU_DEP_1) | instskip(NEXT) | instid1(VALU_DEP_1)
	v_fmac_f32_e32 v26, v25, v24
	v_add_f32_e32 v24, v27, v26
	s_delay_alu instid0(VALU_DEP_1) | instskip(NEXT) | instid1(VALU_DEP_1)
	v_sub_f32_e32 v29, v23, v24
	v_sub_f32_e32 v23, v23, v29
	s_delay_alu instid0(VALU_DEP_1) | instskip(NEXT) | instid1(VALU_DEP_1)
	v_sub_f32_e32 v23, v23, v24
	v_add_f32_e32 v21, v21, v23
	v_add_f32_e32 v23, v28, v25
	v_sub_f32_e32 v27, v24, v27
	s_delay_alu instid0(VALU_DEP_1) | instskip(NEXT) | instid1(VALU_DEP_1)
	v_sub_f32_e32 v24, v27, v26
	v_dual_add_f32 v21, v24, v21 :: v_dual_sub_f32 v24, v23, v28
	s_delay_alu instid0(VALU_DEP_1) | instskip(NEXT) | instid1(VALU_DEP_1)
	v_add_f32_e32 v21, v29, v21
	v_dual_sub_f32 v24, v25, v24 :: v_dual_mul_f32 v21, v22, v21
	s_delay_alu instid0(VALU_DEP_1) | instskip(NEXT) | instid1(VALU_DEP_1)
	v_add_f32_e32 v21, v24, v21
	v_add_f32_e32 v22, v23, v21
	s_delay_alu instid0(VALU_DEP_1) | instskip(SKIP_1) | instid1(VALU_DEP_1)
	v_mul_f32_e32 v24, v22, v22
	s_wait_alu 0xfffe
	v_fmaak_f32 v25, s0, v24, 0x3ecc95a3
	v_mul_f32_e32 v26, v22, v24
	v_cmp_neq_f32_e64 s0, 0x7f800000, v18
	s_delay_alu instid0(VALU_DEP_3) | instskip(SKIP_2) | instid1(VALU_DEP_3)
	v_fmaak_f32 v24, v24, v25, 0x3f2aaada
	v_ldexp_f32 v25, v22, 1
	v_sub_f32_e32 v22, v22, v23
	v_mul_f32_e32 v24, v26, v24
	s_delay_alu instid0(VALU_DEP_2) | instskip(NEXT) | instid1(VALU_DEP_2)
	v_dual_mul_f32 v26, 0x3f317218, v20 :: v_dual_sub_f32 v21, v21, v22
	v_add_f32_e32 v23, v25, v24
	s_delay_alu instid0(VALU_DEP_2) | instskip(NEXT) | instid1(VALU_DEP_2)
	v_ldexp_f32 v21, v21, 1
	v_sub_f32_e32 v22, v23, v25
	s_delay_alu instid0(VALU_DEP_4) | instskip(NEXT) | instid1(VALU_DEP_2)
	v_fma_f32 v25, 0x3f317218, v20, -v26
	v_sub_f32_e32 v22, v24, v22
	s_delay_alu instid0(VALU_DEP_1) | instskip(NEXT) | instid1(VALU_DEP_1)
	v_dual_fmamk_f32 v20, v20, 0xb102e308, v25 :: v_dual_add_f32 v21, v21, v22
	v_add_f32_e32 v22, v26, v20
	s_delay_alu instid0(VALU_DEP_1) | instskip(NEXT) | instid1(VALU_DEP_1)
	v_sub_f32_e32 v26, v22, v26
	v_sub_f32_e32 v20, v20, v26
	s_delay_alu instid0(VALU_DEP_4) | instskip(NEXT) | instid1(VALU_DEP_1)
	v_add_f32_e32 v24, v23, v21
	v_sub_f32_e32 v23, v24, v23
	s_delay_alu instid0(VALU_DEP_1) | instskip(SKIP_1) | instid1(VALU_DEP_1)
	v_sub_f32_e32 v21, v21, v23
	v_add_f32_e32 v25, v22, v24
	v_sub_f32_e32 v27, v25, v22
	s_delay_alu instid0(VALU_DEP_1) | instskip(NEXT) | instid1(VALU_DEP_4)
	v_sub_f32_e32 v23, v24, v27
	v_add_f32_e32 v24, v20, v21
	v_sub_f32_e32 v28, v25, v27
	s_delay_alu instid0(VALU_DEP_1) | instskip(NEXT) | instid1(VALU_DEP_1)
	v_sub_f32_e32 v22, v22, v28
	v_dual_add_f32 v22, v23, v22 :: v_dual_sub_f32 v23, v24, v20
	s_delay_alu instid0(VALU_DEP_1) | instskip(SKIP_1) | instid1(VALU_DEP_2)
	v_dual_add_f32 v22, v24, v22 :: v_dual_sub_f32 v21, v21, v23
	v_sub_f32_e32 v24, v24, v23
	v_add_f32_e32 v26, v25, v22
	s_delay_alu instid0(VALU_DEP_1) | instskip(NEXT) | instid1(VALU_DEP_1)
	v_dual_sub_f32 v20, v20, v24 :: v_dual_sub_f32 v23, v26, v25
	v_dual_add_f32 v20, v21, v20 :: v_dual_sub_f32 v21, v22, v23
	s_delay_alu instid0(VALU_DEP_1) | instskip(NEXT) | instid1(VALU_DEP_1)
	v_add_f32_e32 v20, v20, v21
	v_add_f32_e32 v20, v26, v20
	s_wait_alu 0xf1ff
	s_delay_alu instid0(VALU_DEP_1) | instskip(SKIP_2) | instid1(VALU_DEP_1)
	v_cndmask_b32_e64 v20, 0x7f800000, v20, s0
	v_cmp_gt_f32_e64 s0, 0x33800000, |v18|
	s_wait_alu 0xf1ff
	v_cndmask_b32_e64 v18, v20, v18, s0
	s_delay_alu instid0(VALU_DEP_1) | instskip(NEXT) | instid1(VALU_DEP_1)
	v_add_f32_e32 v18, v19, v18
	v_cvt_f16_f32_e32 v18, v18
.LBB373_97:
	s_wait_alu 0xfffe
	s_or_b32 exec_lo, exec_lo, s1
	ds_store_b16 v17, v18 offset:14
.LBB373_98:
	s_wait_alu 0xfffe
	s_or_b32 exec_lo, exec_lo, s25
	v_mul_u32_u24_e32 v17, 22, v0
	v_mov_b32_e32 v18, v1
	s_mov_b32 s1, exec_lo
	s_wait_loadcnt_dscnt 0x0
	s_barrier_signal -1
	s_barrier_wait -1
	global_inv scope:SCOPE_SE
	v_cmpx_ne_u32_e32 0, v0
	s_cbranch_execz .LBB373_102
; %bb.99:
	v_add_nc_u32_e32 v1, -1, v0
	s_delay_alu instid0(VALU_DEP_1) | instskip(NEXT) | instid1(VALU_DEP_1)
	v_lshrrev_b32_e32 v15, 4, v1
	v_and_b32_e32 v15, 0xffffffe, v15
	s_delay_alu instid0(VALU_DEP_1)
	v_lshl_add_u32 v1, v1, 1, v15
	v_max_num_f32_e32 v15, v8, v8
	ds_load_u16 v1, v1
	s_wait_dscnt 0x0
	v_cvt_f32_f16_e32 v19, v1
	v_cmp_u_f16_e64 s0, v1, v1
	s_delay_alu instid0(VALU_DEP_2) | instskip(SKIP_2) | instid1(VALU_DEP_2)
	v_min_num_f32_e32 v16, v19, v15
	v_max_num_f32_e32 v15, v19, v15
	s_wait_alu 0xf1ff
	v_cndmask_b32_e64 v16, v16, v19, s0
	s_delay_alu instid0(VALU_DEP_2) | instskip(NEXT) | instid1(VALU_DEP_2)
	v_cndmask_b32_e64 v18, v15, v19, s0
	v_cndmask_b32_e64 v15, v16, v8, s24
	s_delay_alu instid0(VALU_DEP_2) | instskip(NEXT) | instid1(VALU_DEP_2)
	v_cndmask_b32_e64 v8, v18, v8, s24
	v_cmp_class_f32_e64 s24, v15, 0x1f8
	s_delay_alu instid0(VALU_DEP_2)
	v_cmp_neq_f32_e64 s0, v15, v8
	s_or_b32 s0, s0, s24
	s_wait_alu 0xfffe
	s_and_saveexec_b32 s24, s0
	s_cbranch_execz .LBB373_101
; %bb.100:
	v_sub_f32_e32 v1, v15, v8
	s_delay_alu instid0(VALU_DEP_1) | instskip(SKIP_1) | instid1(VALU_DEP_2)
	v_mul_f32_e32 v15, 0x3fb8aa3b, v1
	v_cmp_ngt_f32_e64 s0, 0xc2ce8ed0, v1
	v_fma_f32 v16, 0x3fb8aa3b, v1, -v15
	v_rndne_f32_e32 v18, v15
	s_delay_alu instid0(VALU_DEP_1) | instskip(NEXT) | instid1(VALU_DEP_1)
	v_dual_fmamk_f32 v16, v1, 0x32a5705f, v16 :: v_dual_sub_f32 v15, v15, v18
	v_add_f32_e32 v15, v15, v16
	v_cvt_i32_f32_e32 v16, v18
	s_delay_alu instid0(VALU_DEP_2) | instskip(NEXT) | instid1(TRANS32_DEP_1)
	v_exp_f32_e32 v15, v15
	v_ldexp_f32 v15, v15, v16
	s_wait_alu 0xf1ff
	s_delay_alu instid0(VALU_DEP_1) | instskip(SKIP_2) | instid1(VALU_DEP_1)
	v_cndmask_b32_e64 v15, 0, v15, s0
	v_cmp_nlt_f32_e64 s0, 0x42b17218, v1
	s_wait_alu 0xf1ff
	v_cndmask_b32_e64 v1, 0x7f800000, v15, s0
	s_delay_alu instid0(VALU_DEP_1) | instskip(NEXT) | instid1(VALU_DEP_1)
	v_add_f32_e32 v18, 1.0, v1
	v_cvt_f64_f32_e32 v[15:16], v18
	s_delay_alu instid0(VALU_DEP_1) | instskip(SKIP_1) | instid1(VALU_DEP_1)
	v_frexp_exp_i32_f64_e32 v15, v[15:16]
	v_frexp_mant_f32_e32 v16, v18
	v_cmp_gt_f32_e64 s0, 0x3f2aaaab, v16
	v_add_f32_e32 v16, -1.0, v18
	s_delay_alu instid0(VALU_DEP_1) | instskip(SKIP_1) | instid1(VALU_DEP_3)
	v_sub_f32_e32 v20, v16, v18
	s_wait_alu 0xf1ff
	v_subrev_co_ci_u32_e64 v15, null, 0, v15, s0
	s_mov_b32 s0, 0x3e9b6dac
	v_sub_nc_u32_e32 v19, 0, v15
	v_cvt_f32_i32_e32 v15, v15
	s_delay_alu instid0(VALU_DEP_2) | instskip(SKIP_1) | instid1(VALU_DEP_2)
	v_ldexp_f32 v18, v18, v19
	v_sub_f32_e32 v16, v1, v16
	v_dual_add_f32 v20, 1.0, v20 :: v_dual_add_f32 v21, 1.0, v18
	s_delay_alu instid0(VALU_DEP_1) | instskip(NEXT) | instid1(VALU_DEP_1)
	v_add_f32_e32 v16, v16, v20
	v_ldexp_f32 v16, v16, v19
	s_delay_alu instid0(VALU_DEP_3) | instskip(NEXT) | instid1(VALU_DEP_1)
	v_dual_add_f32 v19, -1.0, v18 :: v_dual_add_f32 v20, -1.0, v21
	v_add_f32_e32 v22, 1.0, v19
	s_delay_alu instid0(VALU_DEP_2) | instskip(NEXT) | instid1(VALU_DEP_2)
	v_sub_f32_e32 v20, v18, v20
	v_sub_f32_e32 v18, v18, v22
	s_delay_alu instid0(VALU_DEP_2) | instskip(NEXT) | instid1(VALU_DEP_2)
	v_add_f32_e32 v20, v16, v20
	v_add_f32_e32 v16, v16, v18
	s_delay_alu instid0(VALU_DEP_1) | instskip(NEXT) | instid1(VALU_DEP_1)
	v_add_f32_e32 v23, v19, v16
	v_dual_sub_f32 v19, v19, v23 :: v_dual_add_f32 v22, v21, v20
	s_delay_alu instid0(VALU_DEP_1) | instskip(SKIP_1) | instid1(VALU_DEP_1)
	v_rcp_f32_e32 v18, v22
	v_sub_f32_e32 v21, v21, v22
	v_add_f32_e32 v20, v20, v21
	s_delay_alu instid0(TRANS32_DEP_1) | instskip(NEXT) | instid1(VALU_DEP_1)
	v_mul_f32_e32 v24, v23, v18
	v_mul_f32_e32 v25, v22, v24
	s_delay_alu instid0(VALU_DEP_1) | instskip(NEXT) | instid1(VALU_DEP_1)
	v_fma_f32 v21, v24, v22, -v25
	v_fmac_f32_e32 v21, v24, v20
	v_add_f32_e32 v16, v16, v19
	s_delay_alu instid0(VALU_DEP_2) | instskip(NEXT) | instid1(VALU_DEP_1)
	v_add_f32_e32 v26, v25, v21
	v_sub_f32_e32 v27, v23, v26
	v_sub_f32_e32 v19, v26, v25
	s_delay_alu instid0(VALU_DEP_2) | instskip(NEXT) | instid1(VALU_DEP_2)
	v_sub_f32_e32 v23, v23, v27
	v_sub_f32_e32 v19, v19, v21
	s_delay_alu instid0(VALU_DEP_2) | instskip(NEXT) | instid1(VALU_DEP_1)
	v_sub_f32_e32 v23, v23, v26
	v_add_f32_e32 v16, v16, v23
	s_delay_alu instid0(VALU_DEP_1) | instskip(NEXT) | instid1(VALU_DEP_1)
	v_add_f32_e32 v16, v19, v16
	v_add_f32_e32 v19, v27, v16
	s_delay_alu instid0(VALU_DEP_1) | instskip(NEXT) | instid1(VALU_DEP_1)
	v_mul_f32_e32 v21, v18, v19
	v_dual_sub_f32 v26, v27, v19 :: v_dual_mul_f32 v23, v22, v21
	s_delay_alu instid0(VALU_DEP_1) | instskip(NEXT) | instid1(VALU_DEP_1)
	v_fma_f32 v22, v21, v22, -v23
	v_fmac_f32_e32 v22, v21, v20
	s_delay_alu instid0(VALU_DEP_1) | instskip(NEXT) | instid1(VALU_DEP_1)
	v_add_f32_e32 v20, v23, v22
	v_sub_f32_e32 v23, v20, v23
	v_dual_sub_f32 v25, v19, v20 :: v_dual_add_f32 v16, v16, v26
	s_delay_alu instid0(VALU_DEP_1) | instskip(NEXT) | instid1(VALU_DEP_1)
	v_sub_f32_e32 v19, v19, v25
	v_sub_f32_e32 v19, v19, v20
	s_delay_alu instid0(VALU_DEP_4) | instskip(NEXT) | instid1(VALU_DEP_2)
	v_sub_f32_e32 v20, v23, v22
	v_add_f32_e32 v16, v16, v19
	v_add_f32_e32 v19, v24, v21
	s_delay_alu instid0(VALU_DEP_2) | instskip(NEXT) | instid1(VALU_DEP_2)
	v_add_f32_e32 v16, v20, v16
	v_sub_f32_e32 v20, v19, v24
	s_delay_alu instid0(VALU_DEP_2) | instskip(NEXT) | instid1(VALU_DEP_2)
	v_add_f32_e32 v16, v25, v16
	v_sub_f32_e32 v20, v21, v20
	s_delay_alu instid0(VALU_DEP_2) | instskip(NEXT) | instid1(VALU_DEP_1)
	v_mul_f32_e32 v16, v18, v16
	v_add_f32_e32 v16, v20, v16
	s_delay_alu instid0(VALU_DEP_1) | instskip(NEXT) | instid1(VALU_DEP_1)
	v_add_f32_e32 v18, v19, v16
	v_mul_f32_e32 v20, v18, v18
	s_wait_alu 0xfffe
	s_delay_alu instid0(VALU_DEP_1) | instskip(SKIP_2) | instid1(VALU_DEP_3)
	v_fmaak_f32 v21, s0, v20, 0x3ecc95a3
	v_mul_f32_e32 v22, v18, v20
	v_cmp_neq_f32_e64 s0, 0x7f800000, v1
	v_fmaak_f32 v20, v20, v21, 0x3f2aaada
	v_ldexp_f32 v21, v18, 1
	v_sub_f32_e32 v18, v18, v19
	s_delay_alu instid0(VALU_DEP_3) | instskip(NEXT) | instid1(VALU_DEP_1)
	v_mul_f32_e32 v20, v22, v20
	v_dual_sub_f32 v16, v16, v18 :: v_dual_add_f32 v19, v21, v20
	s_delay_alu instid0(VALU_DEP_1) | instskip(NEXT) | instid1(VALU_DEP_2)
	v_ldexp_f32 v16, v16, 1
	v_sub_f32_e32 v18, v19, v21
	s_delay_alu instid0(VALU_DEP_1) | instskip(NEXT) | instid1(VALU_DEP_1)
	v_sub_f32_e32 v18, v20, v18
	v_add_f32_e32 v16, v16, v18
	s_delay_alu instid0(VALU_DEP_1) | instskip(SKIP_1) | instid1(VALU_DEP_2)
	v_add_f32_e32 v20, v19, v16
	v_mul_f32_e32 v22, 0x3f317218, v15
	v_sub_f32_e32 v19, v20, v19
	s_delay_alu instid0(VALU_DEP_2) | instskip(NEXT) | instid1(VALU_DEP_1)
	v_fma_f32 v21, 0x3f317218, v15, -v22
	v_dual_sub_f32 v16, v16, v19 :: v_dual_fmamk_f32 v15, v15, 0xb102e308, v21
	s_delay_alu instid0(VALU_DEP_1) | instskip(NEXT) | instid1(VALU_DEP_1)
	v_add_f32_e32 v18, v22, v15
	v_add_f32_e32 v21, v18, v20
	v_sub_f32_e32 v22, v18, v22
	s_delay_alu instid0(VALU_DEP_2) | instskip(NEXT) | instid1(VALU_DEP_1)
	v_sub_f32_e32 v23, v21, v18
	v_dual_sub_f32 v15, v15, v22 :: v_dual_sub_f32 v24, v21, v23
	s_delay_alu instid0(VALU_DEP_1) | instskip(NEXT) | instid1(VALU_DEP_2)
	v_dual_sub_f32 v19, v20, v23 :: v_dual_add_f32 v20, v15, v16
	v_sub_f32_e32 v18, v18, v24
	s_delay_alu instid0(VALU_DEP_1) | instskip(NEXT) | instid1(VALU_DEP_1)
	v_dual_add_f32 v18, v19, v18 :: v_dual_sub_f32 v19, v20, v15
	v_add_f32_e32 v18, v20, v18
	s_delay_alu instid0(VALU_DEP_2) | instskip(SKIP_1) | instid1(VALU_DEP_2)
	v_sub_f32_e32 v20, v20, v19
	v_sub_f32_e32 v16, v16, v19
	v_dual_add_f32 v22, v21, v18 :: v_dual_sub_f32 v15, v15, v20
	s_delay_alu instid0(VALU_DEP_1) | instskip(NEXT) | instid1(VALU_DEP_2)
	v_sub_f32_e32 v19, v22, v21
	v_add_f32_e32 v15, v16, v15
	s_delay_alu instid0(VALU_DEP_2) | instskip(NEXT) | instid1(VALU_DEP_1)
	v_sub_f32_e32 v16, v18, v19
	v_add_f32_e32 v15, v15, v16
	s_delay_alu instid0(VALU_DEP_1) | instskip(SKIP_1) | instid1(VALU_DEP_1)
	v_add_f32_e32 v15, v22, v15
	s_wait_alu 0xf1ff
	v_cndmask_b32_e64 v15, 0x7f800000, v15, s0
	v_cmp_gt_f32_e64 s0, 0x33800000, |v1|
	s_wait_alu 0xf1ff
	s_delay_alu instid0(VALU_DEP_1) | instskip(NEXT) | instid1(VALU_DEP_1)
	v_cndmask_b32_e64 v1, v15, v1, s0
	v_add_f32_e32 v1, v8, v1
	s_delay_alu instid0(VALU_DEP_1) | instskip(NEXT) | instid1(VALU_DEP_1)
	v_cvt_f16_f32_e32 v1, v1
	v_cvt_f32_f16_e32 v19, v1
.LBB373_101:
	s_wait_alu 0xfffe
	s_or_b32 exec_lo, exec_lo, s24
	v_max_num_f32_e32 v8, v9, v9
	s_delay_alu instid0(VALU_DEP_2) | instskip(SKIP_2) | instid1(VALU_DEP_2)
	v_max_num_f32_e32 v16, v19, v19
	v_mov_b32_e32 v18, v1
	;;#ASMSTART
	;;#ASMEND
	v_min_num_f32_e32 v15, v16, v8
	v_max_num_f32_e32 v16, v16, v8
	v_mov_b32_e32 v8, v19
.LBB373_102:
	s_wait_alu 0xfffe
	s_or_b32 exec_lo, exec_lo, s1
	v_cmp_u_f16_e64 s0, v18, v18
	s_wait_alu 0xf1ff
	s_delay_alu instid0(VALU_DEP_1) | instskip(SKIP_1) | instid1(VALU_DEP_2)
	v_cndmask_b32_e64 v15, v15, v8, s0
	v_cndmask_b32_e64 v19, v16, v8, s0
	;; [unrolled: 1-line block ×3, first 2 shown]
	s_delay_alu instid0(VALU_DEP_2) | instskip(SKIP_1) | instid1(VALU_DEP_3)
	v_cndmask_b32_e64 v15, v19, v9, s13
	v_mov_b32_e32 v9, v1
	v_cmp_class_f32_e64 s1, v16, 0x1f8
	s_delay_alu instid0(VALU_DEP_3)
	v_cmp_neq_f32_e64 s0, v16, v15
	s_or_b32 s0, s0, s1
	s_wait_alu 0xfffe
	s_and_saveexec_b32 s1, s0
	s_cbranch_execz .LBB373_104
; %bb.103:
	v_sub_f32_e32 v8, v16, v15
	s_delay_alu instid0(VALU_DEP_1) | instskip(NEXT) | instid1(VALU_DEP_1)
	v_mul_f32_e32 v9, 0x3fb8aa3b, v8
	v_fma_f32 v16, 0x3fb8aa3b, v8, -v9
	v_rndne_f32_e32 v18, v9
	s_delay_alu instid0(VALU_DEP_1) | instskip(SKIP_1) | instid1(VALU_DEP_2)
	v_dual_sub_f32 v9, v9, v18 :: v_dual_fmamk_f32 v16, v8, 0x32a5705f, v16
	v_cmp_ngt_f32_e64 s0, 0xc2ce8ed0, v8
	v_add_f32_e32 v9, v9, v16
	v_cvt_i32_f32_e32 v16, v18
	s_delay_alu instid0(VALU_DEP_2) | instskip(NEXT) | instid1(TRANS32_DEP_1)
	v_exp_f32_e32 v9, v9
	v_ldexp_f32 v9, v9, v16
	s_wait_alu 0xf1ff
	s_delay_alu instid0(VALU_DEP_1) | instskip(SKIP_2) | instid1(VALU_DEP_1)
	v_cndmask_b32_e64 v9, 0, v9, s0
	v_cmp_nlt_f32_e64 s0, 0x42b17218, v8
	s_wait_alu 0xf1ff
	v_cndmask_b32_e64 v16, 0x7f800000, v9, s0
	s_delay_alu instid0(VALU_DEP_1) | instskip(NEXT) | instid1(VALU_DEP_1)
	v_add_f32_e32 v18, 1.0, v16
	v_cvt_f64_f32_e32 v[8:9], v18
	s_delay_alu instid0(VALU_DEP_1) | instskip(SKIP_1) | instid1(VALU_DEP_1)
	v_frexp_exp_i32_f64_e32 v8, v[8:9]
	v_frexp_mant_f32_e32 v9, v18
	v_cmp_gt_f32_e64 s0, 0x3f2aaaab, v9
	v_add_f32_e32 v9, -1.0, v18
	s_delay_alu instid0(VALU_DEP_1) | instskip(SKIP_1) | instid1(VALU_DEP_3)
	v_dual_sub_f32 v20, v9, v18 :: v_dual_sub_f32 v9, v16, v9
	s_wait_alu 0xf1ff
	v_subrev_co_ci_u32_e64 v8, null, 0, v8, s0
	s_mov_b32 s0, 0x3e9b6dac
	v_sub_nc_u32_e32 v19, 0, v8
	v_cvt_f32_i32_e32 v8, v8
	s_delay_alu instid0(VALU_DEP_2) | instskip(NEXT) | instid1(VALU_DEP_1)
	v_ldexp_f32 v18, v18, v19
	v_dual_add_f32 v20, 1.0, v20 :: v_dual_add_f32 v21, 1.0, v18
	s_delay_alu instid0(VALU_DEP_1) | instskip(NEXT) | instid1(VALU_DEP_1)
	v_dual_add_f32 v9, v9, v20 :: v_dual_add_f32 v20, -1.0, v21
	v_ldexp_f32 v9, v9, v19
	s_delay_alu instid0(VALU_DEP_2) | instskip(NEXT) | instid1(VALU_DEP_1)
	v_dual_add_f32 v19, -1.0, v18 :: v_dual_sub_f32 v20, v18, v20
	v_add_f32_e32 v22, 1.0, v19
	s_delay_alu instid0(VALU_DEP_2) | instskip(NEXT) | instid1(VALU_DEP_2)
	v_add_f32_e32 v20, v9, v20
	v_sub_f32_e32 v18, v18, v22
	s_delay_alu instid0(VALU_DEP_1) | instskip(NEXT) | instid1(VALU_DEP_1)
	v_add_f32_e32 v9, v9, v18
	v_dual_add_f32 v23, v19, v9 :: v_dual_add_f32 v22, v21, v20
	s_delay_alu instid0(VALU_DEP_1) | instskip(NEXT) | instid1(VALU_DEP_2)
	v_sub_f32_e32 v19, v19, v23
	v_rcp_f32_e32 v18, v22
	v_sub_f32_e32 v21, v21, v22
	s_delay_alu instid0(VALU_DEP_1) | instskip(NEXT) | instid1(TRANS32_DEP_1)
	v_dual_add_f32 v20, v20, v21 :: v_dual_add_f32 v9, v9, v19
	v_mul_f32_e32 v24, v23, v18
	s_delay_alu instid0(VALU_DEP_1) | instskip(NEXT) | instid1(VALU_DEP_1)
	v_mul_f32_e32 v25, v22, v24
	v_fma_f32 v21, v24, v22, -v25
	s_delay_alu instid0(VALU_DEP_1) | instskip(NEXT) | instid1(VALU_DEP_1)
	v_fmac_f32_e32 v21, v24, v20
	v_add_f32_e32 v26, v25, v21
	s_delay_alu instid0(VALU_DEP_1) | instskip(NEXT) | instid1(VALU_DEP_1)
	v_sub_f32_e32 v27, v23, v26
	v_sub_f32_e32 v23, v23, v27
	v_sub_f32_e32 v19, v26, v25
	s_delay_alu instid0(VALU_DEP_2) | instskip(NEXT) | instid1(VALU_DEP_2)
	v_sub_f32_e32 v23, v23, v26
	v_sub_f32_e32 v19, v19, v21
	s_delay_alu instid0(VALU_DEP_2) | instskip(NEXT) | instid1(VALU_DEP_1)
	v_add_f32_e32 v9, v9, v23
	v_add_f32_e32 v9, v19, v9
	s_delay_alu instid0(VALU_DEP_1) | instskip(NEXT) | instid1(VALU_DEP_1)
	v_add_f32_e32 v19, v27, v9
	v_mul_f32_e32 v21, v18, v19
	s_delay_alu instid0(VALU_DEP_1) | instskip(NEXT) | instid1(VALU_DEP_1)
	v_dual_sub_f32 v26, v27, v19 :: v_dual_mul_f32 v23, v22, v21
	v_add_f32_e32 v9, v9, v26
	s_delay_alu instid0(VALU_DEP_2) | instskip(NEXT) | instid1(VALU_DEP_1)
	v_fma_f32 v22, v21, v22, -v23
	v_fmac_f32_e32 v22, v21, v20
	s_delay_alu instid0(VALU_DEP_1) | instskip(NEXT) | instid1(VALU_DEP_1)
	v_add_f32_e32 v20, v23, v22
	v_sub_f32_e32 v25, v19, v20
	v_sub_f32_e32 v23, v20, v23
	s_delay_alu instid0(VALU_DEP_2) | instskip(NEXT) | instid1(VALU_DEP_1)
	v_sub_f32_e32 v19, v19, v25
	v_sub_f32_e32 v19, v19, v20
	s_delay_alu instid0(VALU_DEP_1) | instskip(SKIP_1) | instid1(VALU_DEP_1)
	v_dual_sub_f32 v20, v23, v22 :: v_dual_add_f32 v9, v9, v19
	v_add_f32_e32 v19, v24, v21
	v_dual_add_f32 v9, v20, v9 :: v_dual_sub_f32 v20, v19, v24
	s_delay_alu instid0(VALU_DEP_1) | instskip(NEXT) | instid1(VALU_DEP_1)
	v_add_f32_e32 v9, v25, v9
	v_dual_sub_f32 v20, v21, v20 :: v_dual_mul_f32 v9, v18, v9
	s_delay_alu instid0(VALU_DEP_1) | instskip(NEXT) | instid1(VALU_DEP_1)
	v_add_f32_e32 v9, v20, v9
	v_add_f32_e32 v18, v19, v9
	s_delay_alu instid0(VALU_DEP_1) | instskip(SKIP_1) | instid1(VALU_DEP_1)
	v_mul_f32_e32 v20, v18, v18
	s_wait_alu 0xfffe
	v_fmaak_f32 v21, s0, v20, 0x3ecc95a3
	v_mul_f32_e32 v22, v18, v20
	v_cmp_neq_f32_e64 s0, 0x7f800000, v16
	s_delay_alu instid0(VALU_DEP_3) | instskip(SKIP_2) | instid1(VALU_DEP_3)
	v_fmaak_f32 v20, v20, v21, 0x3f2aaada
	v_ldexp_f32 v21, v18, 1
	v_sub_f32_e32 v18, v18, v19
	v_mul_f32_e32 v20, v22, v20
	s_delay_alu instid0(VALU_DEP_2) | instskip(NEXT) | instid1(VALU_DEP_2)
	v_dual_mul_f32 v22, 0x3f317218, v8 :: v_dual_sub_f32 v9, v9, v18
	v_add_f32_e32 v19, v21, v20
	s_delay_alu instid0(VALU_DEP_2) | instskip(NEXT) | instid1(VALU_DEP_2)
	v_ldexp_f32 v9, v9, 1
	v_sub_f32_e32 v18, v19, v21
	s_delay_alu instid0(VALU_DEP_4) | instskip(NEXT) | instid1(VALU_DEP_2)
	v_fma_f32 v21, 0x3f317218, v8, -v22
	v_sub_f32_e32 v18, v20, v18
	s_delay_alu instid0(VALU_DEP_1) | instskip(NEXT) | instid1(VALU_DEP_1)
	v_dual_fmamk_f32 v8, v8, 0xb102e308, v21 :: v_dual_add_f32 v9, v9, v18
	v_add_f32_e32 v18, v22, v8
	s_delay_alu instid0(VALU_DEP_2) | instskip(NEXT) | instid1(VALU_DEP_2)
	v_add_f32_e32 v20, v19, v9
	v_sub_f32_e32 v22, v18, v22
	s_delay_alu instid0(VALU_DEP_2) | instskip(SKIP_1) | instid1(VALU_DEP_3)
	v_add_f32_e32 v21, v18, v20
	v_sub_f32_e32 v19, v20, v19
	v_sub_f32_e32 v8, v8, v22
	s_delay_alu instid0(VALU_DEP_3) | instskip(NEXT) | instid1(VALU_DEP_3)
	v_sub_f32_e32 v23, v21, v18
	v_sub_f32_e32 v9, v9, v19
	s_delay_alu instid0(VALU_DEP_2) | instskip(SKIP_1) | instid1(VALU_DEP_3)
	v_sub_f32_e32 v24, v21, v23
	v_sub_f32_e32 v19, v20, v23
	v_add_f32_e32 v20, v8, v9
	s_delay_alu instid0(VALU_DEP_3) | instskip(NEXT) | instid1(VALU_DEP_1)
	v_sub_f32_e32 v18, v18, v24
	v_dual_add_f32 v18, v19, v18 :: v_dual_sub_f32 v19, v20, v8
	s_delay_alu instid0(VALU_DEP_1) | instskip(NEXT) | instid1(VALU_DEP_2)
	v_add_f32_e32 v18, v20, v18
	v_sub_f32_e32 v20, v20, v19
	v_sub_f32_e32 v9, v9, v19
	s_delay_alu instid0(VALU_DEP_3) | instskip(NEXT) | instid1(VALU_DEP_1)
	v_add_f32_e32 v22, v21, v18
	v_dual_sub_f32 v8, v8, v20 :: v_dual_sub_f32 v19, v22, v21
	s_delay_alu instid0(VALU_DEP_1) | instskip(NEXT) | instid1(VALU_DEP_1)
	v_dual_add_f32 v8, v9, v8 :: v_dual_sub_f32 v9, v18, v19
	v_add_f32_e32 v8, v8, v9
	s_delay_alu instid0(VALU_DEP_1) | instskip(SKIP_1) | instid1(VALU_DEP_1)
	v_add_f32_e32 v8, v22, v8
	s_wait_alu 0xf1ff
	v_cndmask_b32_e64 v8, 0x7f800000, v8, s0
	v_cmp_gt_f32_e64 s0, 0x33800000, |v16|
	s_wait_alu 0xf1ff
	s_delay_alu instid0(VALU_DEP_1) | instskip(NEXT) | instid1(VALU_DEP_1)
	v_cndmask_b32_e64 v8, v8, v16, s0
	v_add_f32_e32 v8, v15, v8
	s_delay_alu instid0(VALU_DEP_1) | instskip(NEXT) | instid1(VALU_DEP_1)
	v_cvt_f16_f32_e32 v18, v8
	v_cvt_f32_f16_e32 v8, v18
	v_mov_b32_e32 v9, v18
.LBB373_104:
	s_wait_alu 0xfffe
	s_or_b32 exec_lo, exec_lo, s1
	s_delay_alu instid0(VALU_DEP_2) | instskip(SKIP_1) | instid1(VALU_DEP_2)
	v_dual_max_num_f32 v15, v10, v10 :: v_dual_max_num_f32 v16, v8, v8
	v_cmp_u_f16_e64 s0, v18, v18
	v_min_num_f32_e32 v19, v16, v15
	v_max_num_f32_e32 v15, v16, v15
	s_wait_alu 0xf1ff
	s_delay_alu instid0(VALU_DEP_2) | instskip(NEXT) | instid1(VALU_DEP_2)
	v_cndmask_b32_e64 v16, v19, v8, s0
	v_cndmask_b32_e64 v15, v15, v8, s0
	s_delay_alu instid0(VALU_DEP_2) | instskip(NEXT) | instid1(VALU_DEP_2)
	v_cndmask_b32_e64 v16, v16, v10, s14
	v_cndmask_b32_e64 v15, v15, v10, s14
	v_mov_b32_e32 v10, v9
	s_delay_alu instid0(VALU_DEP_3) | instskip(NEXT) | instid1(VALU_DEP_3)
	v_cmp_class_f32_e64 s1, v16, 0x1f8
	v_cmp_neq_f32_e64 s0, v16, v15
	s_or_b32 s0, s0, s1
	s_wait_alu 0xfffe
	s_and_saveexec_b32 s1, s0
	s_cbranch_execz .LBB373_106
; %bb.105:
	v_sub_f32_e32 v8, v16, v15
	s_delay_alu instid0(VALU_DEP_1) | instskip(SKIP_1) | instid1(VALU_DEP_2)
	v_mul_f32_e32 v10, 0x3fb8aa3b, v8
	v_cmp_ngt_f32_e64 s0, 0xc2ce8ed0, v8
	v_fma_f32 v16, 0x3fb8aa3b, v8, -v10
	v_rndne_f32_e32 v18, v10
	s_delay_alu instid0(VALU_DEP_2) | instskip(NEXT) | instid1(VALU_DEP_2)
	v_fmamk_f32 v16, v8, 0x32a5705f, v16
	v_sub_f32_e32 v10, v10, v18
	s_delay_alu instid0(VALU_DEP_1) | instskip(SKIP_1) | instid1(VALU_DEP_2)
	v_add_f32_e32 v10, v10, v16
	v_cvt_i32_f32_e32 v16, v18
	v_exp_f32_e32 v10, v10
	s_delay_alu instid0(TRANS32_DEP_1) | instskip(SKIP_1) | instid1(VALU_DEP_1)
	v_ldexp_f32 v10, v10, v16
	s_wait_alu 0xf1ff
	v_cndmask_b32_e64 v10, 0, v10, s0
	v_cmp_nlt_f32_e64 s0, 0x42b17218, v8
	s_wait_alu 0xf1ff
	s_delay_alu instid0(VALU_DEP_1) | instskip(NEXT) | instid1(VALU_DEP_1)
	v_cndmask_b32_e64 v8, 0x7f800000, v10, s0
	v_add_f32_e32 v10, 1.0, v8
	s_delay_alu instid0(VALU_DEP_1) | instskip(NEXT) | instid1(VALU_DEP_1)
	v_cvt_f64_f32_e32 v[18:19], v10
	v_frexp_exp_i32_f64_e32 v16, v[18:19]
	v_frexp_mant_f32_e32 v18, v10
	s_delay_alu instid0(VALU_DEP_1) | instskip(SKIP_1) | instid1(VALU_DEP_1)
	v_cmp_gt_f32_e64 s0, 0x3f2aaaab, v18
	v_add_f32_e32 v18, -1.0, v10
	v_sub_f32_e32 v20, v18, v10
	v_sub_f32_e32 v18, v8, v18
	s_delay_alu instid0(VALU_DEP_2) | instskip(NEXT) | instid1(VALU_DEP_1)
	v_add_f32_e32 v20, 1.0, v20
	v_add_f32_e32 v18, v18, v20
	s_wait_alu 0xf1ff
	v_subrev_co_ci_u32_e64 v16, null, 0, v16, s0
	s_mov_b32 s0, 0x3e9b6dac
	v_sub_nc_u32_e32 v19, 0, v16
	v_cvt_f32_i32_e32 v16, v16
	s_delay_alu instid0(VALU_DEP_2) | instskip(SKIP_1) | instid1(VALU_DEP_2)
	v_ldexp_f32 v10, v10, v19
	v_ldexp_f32 v18, v18, v19
	v_add_f32_e32 v21, 1.0, v10
	s_delay_alu instid0(VALU_DEP_1) | instskip(NEXT) | instid1(VALU_DEP_1)
	v_dual_add_f32 v19, -1.0, v10 :: v_dual_add_f32 v20, -1.0, v21
	v_add_f32_e32 v22, 1.0, v19
	s_delay_alu instid0(VALU_DEP_2) | instskip(NEXT) | instid1(VALU_DEP_2)
	v_sub_f32_e32 v20, v10, v20
	v_sub_f32_e32 v10, v10, v22
	s_delay_alu instid0(VALU_DEP_2) | instskip(NEXT) | instid1(VALU_DEP_2)
	v_add_f32_e32 v20, v18, v20
	v_add_f32_e32 v10, v18, v10
	s_delay_alu instid0(VALU_DEP_1) | instskip(NEXT) | instid1(VALU_DEP_1)
	v_dual_add_f32 v22, v21, v20 :: v_dual_add_f32 v23, v19, v10
	v_rcp_f32_e32 v18, v22
	v_sub_f32_e32 v21, v21, v22
	s_delay_alu instid0(VALU_DEP_1) | instskip(NEXT) | instid1(TRANS32_DEP_1)
	v_dual_sub_f32 v19, v19, v23 :: v_dual_add_f32 v20, v20, v21
	v_mul_f32_e32 v24, v23, v18
	s_delay_alu instid0(VALU_DEP_2) | instskip(NEXT) | instid1(VALU_DEP_2)
	v_add_f32_e32 v10, v10, v19
	v_mul_f32_e32 v25, v22, v24
	s_delay_alu instid0(VALU_DEP_1) | instskip(NEXT) | instid1(VALU_DEP_1)
	v_fma_f32 v21, v24, v22, -v25
	v_fmac_f32_e32 v21, v24, v20
	s_delay_alu instid0(VALU_DEP_1) | instskip(NEXT) | instid1(VALU_DEP_1)
	v_add_f32_e32 v26, v25, v21
	v_sub_f32_e32 v27, v23, v26
	v_sub_f32_e32 v19, v26, v25
	s_delay_alu instid0(VALU_DEP_2) | instskip(NEXT) | instid1(VALU_DEP_2)
	v_sub_f32_e32 v23, v23, v27
	v_sub_f32_e32 v19, v19, v21
	s_delay_alu instid0(VALU_DEP_2) | instskip(NEXT) | instid1(VALU_DEP_1)
	v_sub_f32_e32 v23, v23, v26
	v_add_f32_e32 v10, v10, v23
	s_delay_alu instid0(VALU_DEP_1) | instskip(NEXT) | instid1(VALU_DEP_1)
	v_add_f32_e32 v10, v19, v10
	v_add_f32_e32 v19, v27, v10
	s_delay_alu instid0(VALU_DEP_1) | instskip(NEXT) | instid1(VALU_DEP_1)
	v_mul_f32_e32 v21, v18, v19
	v_dual_sub_f32 v26, v27, v19 :: v_dual_mul_f32 v23, v22, v21
	s_delay_alu instid0(VALU_DEP_1) | instskip(NEXT) | instid1(VALU_DEP_2)
	v_add_f32_e32 v10, v10, v26
	v_fma_f32 v22, v21, v22, -v23
	s_delay_alu instid0(VALU_DEP_1) | instskip(NEXT) | instid1(VALU_DEP_1)
	v_fmac_f32_e32 v22, v21, v20
	v_add_f32_e32 v20, v23, v22
	s_delay_alu instid0(VALU_DEP_1) | instskip(SKIP_1) | instid1(VALU_DEP_2)
	v_sub_f32_e32 v25, v19, v20
	v_sub_f32_e32 v23, v20, v23
	;; [unrolled: 1-line block ×3, first 2 shown]
	s_delay_alu instid0(VALU_DEP_1) | instskip(NEXT) | instid1(VALU_DEP_3)
	v_sub_f32_e32 v19, v19, v20
	v_sub_f32_e32 v20, v23, v22
	s_delay_alu instid0(VALU_DEP_2) | instskip(NEXT) | instid1(VALU_DEP_1)
	v_dual_add_f32 v10, v10, v19 :: v_dual_add_f32 v19, v24, v21
	v_add_f32_e32 v10, v20, v10
	s_delay_alu instid0(VALU_DEP_2) | instskip(NEXT) | instid1(VALU_DEP_2)
	v_sub_f32_e32 v20, v19, v24
	v_add_f32_e32 v10, v25, v10
	s_delay_alu instid0(VALU_DEP_2) | instskip(NEXT) | instid1(VALU_DEP_2)
	v_sub_f32_e32 v20, v21, v20
	v_mul_f32_e32 v10, v18, v10
	s_delay_alu instid0(VALU_DEP_1) | instskip(NEXT) | instid1(VALU_DEP_1)
	v_add_f32_e32 v10, v20, v10
	v_add_f32_e32 v18, v19, v10
	s_delay_alu instid0(VALU_DEP_1) | instskip(SKIP_1) | instid1(VALU_DEP_1)
	v_mul_f32_e32 v20, v18, v18
	s_wait_alu 0xfffe
	v_fmaak_f32 v21, s0, v20, 0x3ecc95a3
	v_mul_f32_e32 v22, v18, v20
	v_cmp_neq_f32_e64 s0, 0x7f800000, v8
	s_delay_alu instid0(VALU_DEP_3) | instskip(SKIP_2) | instid1(VALU_DEP_3)
	v_fmaak_f32 v20, v20, v21, 0x3f2aaada
	v_ldexp_f32 v21, v18, 1
	v_sub_f32_e32 v18, v18, v19
	v_mul_f32_e32 v20, v22, v20
	v_mul_f32_e32 v22, 0x3f317218, v16
	s_delay_alu instid0(VALU_DEP_2) | instskip(NEXT) | instid1(VALU_DEP_1)
	v_dual_sub_f32 v10, v10, v18 :: v_dual_add_f32 v19, v21, v20
	v_ldexp_f32 v10, v10, 1
	s_delay_alu instid0(VALU_DEP_2) | instskip(NEXT) | instid1(VALU_DEP_4)
	v_sub_f32_e32 v18, v19, v21
	v_fma_f32 v21, 0x3f317218, v16, -v22
	s_delay_alu instid0(VALU_DEP_2) | instskip(NEXT) | instid1(VALU_DEP_2)
	v_sub_f32_e32 v18, v20, v18
	v_fmamk_f32 v16, v16, 0xb102e308, v21
	s_delay_alu instid0(VALU_DEP_2) | instskip(NEXT) | instid1(VALU_DEP_2)
	v_add_f32_e32 v10, v10, v18
	v_add_f32_e32 v18, v22, v16
	s_delay_alu instid0(VALU_DEP_2) | instskip(NEXT) | instid1(VALU_DEP_2)
	v_add_f32_e32 v20, v19, v10
	v_sub_f32_e32 v22, v18, v22
	s_delay_alu instid0(VALU_DEP_2) | instskip(SKIP_1) | instid1(VALU_DEP_3)
	v_add_f32_e32 v21, v18, v20
	v_sub_f32_e32 v19, v20, v19
	v_sub_f32_e32 v16, v16, v22
	s_delay_alu instid0(VALU_DEP_2) | instskip(NEXT) | instid1(VALU_DEP_1)
	v_dual_sub_f32 v23, v21, v18 :: v_dual_sub_f32 v10, v10, v19
	v_sub_f32_e32 v24, v21, v23
	v_sub_f32_e32 v19, v20, v23
	s_delay_alu instid0(VALU_DEP_3) | instskip(NEXT) | instid1(VALU_DEP_3)
	v_add_f32_e32 v20, v16, v10
	v_sub_f32_e32 v18, v18, v24
	s_delay_alu instid0(VALU_DEP_1) | instskip(NEXT) | instid1(VALU_DEP_1)
	v_dual_add_f32 v18, v19, v18 :: v_dual_sub_f32 v19, v20, v16
	v_add_f32_e32 v18, v20, v18
	s_delay_alu instid0(VALU_DEP_2) | instskip(SKIP_1) | instid1(VALU_DEP_3)
	v_sub_f32_e32 v20, v20, v19
	v_sub_f32_e32 v10, v10, v19
	v_add_f32_e32 v22, v21, v18
	s_delay_alu instid0(VALU_DEP_1) | instskip(NEXT) | instid1(VALU_DEP_1)
	v_dual_sub_f32 v16, v16, v20 :: v_dual_sub_f32 v19, v22, v21
	v_add_f32_e32 v10, v10, v16
	s_delay_alu instid0(VALU_DEP_2) | instskip(NEXT) | instid1(VALU_DEP_1)
	v_sub_f32_e32 v16, v18, v19
	v_add_f32_e32 v10, v10, v16
	s_delay_alu instid0(VALU_DEP_1) | instskip(SKIP_1) | instid1(VALU_DEP_1)
	v_add_f32_e32 v10, v22, v10
	s_wait_alu 0xf1ff
	v_cndmask_b32_e64 v10, 0x7f800000, v10, s0
	v_cmp_gt_f32_e64 s0, 0x33800000, |v8|
	s_wait_alu 0xf1ff
	s_delay_alu instid0(VALU_DEP_1) | instskip(NEXT) | instid1(VALU_DEP_1)
	v_cndmask_b32_e64 v8, v10, v8, s0
	v_add_f32_e32 v8, v15, v8
	s_delay_alu instid0(VALU_DEP_1) | instskip(NEXT) | instid1(VALU_DEP_1)
	v_cvt_f16_f32_e32 v18, v8
	v_cvt_f32_f16_e32 v8, v18
	v_mov_b32_e32 v10, v18
.LBB373_106:
	s_wait_alu 0xfffe
	s_or_b32 exec_lo, exec_lo, s1
	s_delay_alu instid0(VALU_DEP_2) | instskip(SKIP_1) | instid1(VALU_DEP_2)
	v_dual_max_num_f32 v15, v11, v11 :: v_dual_max_num_f32 v16, v8, v8
	v_cmp_u_f16_e64 s0, v18, v18
	v_min_num_f32_e32 v19, v16, v15
	v_max_num_f32_e32 v15, v16, v15
	s_wait_alu 0xf1ff
	s_delay_alu instid0(VALU_DEP_2) | instskip(NEXT) | instid1(VALU_DEP_2)
	v_cndmask_b32_e64 v16, v19, v8, s0
	v_cndmask_b32_e64 v15, v15, v8, s0
	s_delay_alu instid0(VALU_DEP_2) | instskip(NEXT) | instid1(VALU_DEP_2)
	v_cndmask_b32_e64 v16, v16, v11, s15
	v_cndmask_b32_e64 v15, v15, v11, s15
	v_mov_b32_e32 v11, v10
	s_delay_alu instid0(VALU_DEP_3) | instskip(NEXT) | instid1(VALU_DEP_3)
	v_cmp_class_f32_e64 s1, v16, 0x1f8
	v_cmp_neq_f32_e64 s0, v16, v15
	s_or_b32 s0, s0, s1
	s_wait_alu 0xfffe
	s_and_saveexec_b32 s1, s0
	s_cbranch_execz .LBB373_108
; %bb.107:
	v_sub_f32_e32 v8, v16, v15
	s_delay_alu instid0(VALU_DEP_1) | instskip(NEXT) | instid1(VALU_DEP_1)
	v_mul_f32_e32 v11, 0x3fb8aa3b, v8
	v_fma_f32 v16, 0x3fb8aa3b, v8, -v11
	v_rndne_f32_e32 v18, v11
	s_delay_alu instid0(VALU_DEP_1) | instskip(SKIP_1) | instid1(VALU_DEP_2)
	v_dual_sub_f32 v11, v11, v18 :: v_dual_fmamk_f32 v16, v8, 0x32a5705f, v16
	v_cmp_ngt_f32_e64 s0, 0xc2ce8ed0, v8
	v_add_f32_e32 v11, v11, v16
	v_cvt_i32_f32_e32 v16, v18
	s_delay_alu instid0(VALU_DEP_2) | instskip(NEXT) | instid1(TRANS32_DEP_1)
	v_exp_f32_e32 v11, v11
	v_ldexp_f32 v11, v11, v16
	s_wait_alu 0xf1ff
	s_delay_alu instid0(VALU_DEP_1) | instskip(SKIP_2) | instid1(VALU_DEP_1)
	v_cndmask_b32_e64 v11, 0, v11, s0
	v_cmp_nlt_f32_e64 s0, 0x42b17218, v8
	s_wait_alu 0xf1ff
	v_cndmask_b32_e64 v8, 0x7f800000, v11, s0
	s_delay_alu instid0(VALU_DEP_1) | instskip(NEXT) | instid1(VALU_DEP_1)
	v_add_f32_e32 v11, 1.0, v8
	v_cvt_f64_f32_e32 v[18:19], v11
	s_delay_alu instid0(VALU_DEP_1) | instskip(SKIP_1) | instid1(VALU_DEP_1)
	v_frexp_exp_i32_f64_e32 v16, v[18:19]
	v_frexp_mant_f32_e32 v18, v11
	v_cmp_gt_f32_e64 s0, 0x3f2aaaab, v18
	v_add_f32_e32 v18, -1.0, v11
	s_delay_alu instid0(VALU_DEP_1)
	v_sub_f32_e32 v20, v18, v11
	v_sub_f32_e32 v18, v8, v18
	s_wait_alu 0xf1ff
	v_subrev_co_ci_u32_e64 v16, null, 0, v16, s0
	s_mov_b32 s0, 0x3e9b6dac
	v_sub_nc_u32_e32 v19, 0, v16
	v_cvt_f32_i32_e32 v16, v16
	s_delay_alu instid0(VALU_DEP_2) | instskip(NEXT) | instid1(VALU_DEP_1)
	v_ldexp_f32 v11, v11, v19
	v_dual_add_f32 v20, 1.0, v20 :: v_dual_add_f32 v21, 1.0, v11
	s_delay_alu instid0(VALU_DEP_1) | instskip(NEXT) | instid1(VALU_DEP_2)
	v_add_f32_e32 v18, v18, v20
	v_add_f32_e32 v20, -1.0, v21
	s_delay_alu instid0(VALU_DEP_2) | instskip(NEXT) | instid1(VALU_DEP_2)
	v_ldexp_f32 v18, v18, v19
	v_dual_add_f32 v19, -1.0, v11 :: v_dual_sub_f32 v20, v11, v20
	s_delay_alu instid0(VALU_DEP_1) | instskip(NEXT) | instid1(VALU_DEP_1)
	v_add_f32_e32 v22, 1.0, v19
	v_sub_f32_e32 v11, v11, v22
	s_delay_alu instid0(VALU_DEP_1) | instskip(NEXT) | instid1(VALU_DEP_1)
	v_add_f32_e32 v11, v18, v11
	v_dual_add_f32 v20, v18, v20 :: v_dual_add_f32 v23, v19, v11
	s_delay_alu instid0(VALU_DEP_1) | instskip(NEXT) | instid1(VALU_DEP_1)
	v_dual_add_f32 v22, v21, v20 :: v_dual_sub_f32 v19, v19, v23
	v_rcp_f32_e32 v18, v22
	v_sub_f32_e32 v21, v21, v22
	s_delay_alu instid0(VALU_DEP_1) | instskip(NEXT) | instid1(TRANS32_DEP_1)
	v_dual_add_f32 v11, v11, v19 :: v_dual_add_f32 v20, v20, v21
	v_mul_f32_e32 v24, v23, v18
	s_delay_alu instid0(VALU_DEP_1) | instskip(NEXT) | instid1(VALU_DEP_1)
	v_mul_f32_e32 v25, v22, v24
	v_fma_f32 v21, v24, v22, -v25
	s_delay_alu instid0(VALU_DEP_1) | instskip(NEXT) | instid1(VALU_DEP_1)
	v_fmac_f32_e32 v21, v24, v20
	v_add_f32_e32 v26, v25, v21
	s_delay_alu instid0(VALU_DEP_1) | instskip(SKIP_1) | instid1(VALU_DEP_2)
	v_sub_f32_e32 v27, v23, v26
	v_sub_f32_e32 v19, v26, v25
	;; [unrolled: 1-line block ×3, first 2 shown]
	s_delay_alu instid0(VALU_DEP_2) | instskip(NEXT) | instid1(VALU_DEP_2)
	v_sub_f32_e32 v19, v19, v21
	v_sub_f32_e32 v23, v23, v26
	s_delay_alu instid0(VALU_DEP_1) | instskip(NEXT) | instid1(VALU_DEP_1)
	v_add_f32_e32 v11, v11, v23
	v_add_f32_e32 v11, v19, v11
	s_delay_alu instid0(VALU_DEP_1) | instskip(NEXT) | instid1(VALU_DEP_1)
	v_add_f32_e32 v19, v27, v11
	v_mul_f32_e32 v21, v18, v19
	s_delay_alu instid0(VALU_DEP_1) | instskip(NEXT) | instid1(VALU_DEP_1)
	v_dual_sub_f32 v26, v27, v19 :: v_dual_mul_f32 v23, v22, v21
	v_add_f32_e32 v11, v11, v26
	s_delay_alu instid0(VALU_DEP_2) | instskip(NEXT) | instid1(VALU_DEP_1)
	v_fma_f32 v22, v21, v22, -v23
	v_fmac_f32_e32 v22, v21, v20
	s_delay_alu instid0(VALU_DEP_1) | instskip(NEXT) | instid1(VALU_DEP_1)
	v_add_f32_e32 v20, v23, v22
	v_sub_f32_e32 v25, v19, v20
	s_delay_alu instid0(VALU_DEP_1) | instskip(NEXT) | instid1(VALU_DEP_1)
	v_sub_f32_e32 v19, v19, v25
	v_sub_f32_e32 v19, v19, v20
	s_delay_alu instid0(VALU_DEP_1) | instskip(SKIP_2) | instid1(VALU_DEP_1)
	v_add_f32_e32 v11, v11, v19
	v_add_f32_e32 v19, v24, v21
	v_sub_f32_e32 v23, v20, v23
	v_sub_f32_e32 v20, v23, v22
	s_delay_alu instid0(VALU_DEP_1) | instskip(NEXT) | instid1(VALU_DEP_1)
	v_dual_add_f32 v11, v20, v11 :: v_dual_sub_f32 v20, v19, v24
	v_add_f32_e32 v11, v25, v11
	s_delay_alu instid0(VALU_DEP_1) | instskip(NEXT) | instid1(VALU_DEP_1)
	v_dual_sub_f32 v20, v21, v20 :: v_dual_mul_f32 v11, v18, v11
	v_add_f32_e32 v11, v20, v11
	s_delay_alu instid0(VALU_DEP_1) | instskip(NEXT) | instid1(VALU_DEP_1)
	v_add_f32_e32 v18, v19, v11
	v_mul_f32_e32 v20, v18, v18
	s_wait_alu 0xfffe
	s_delay_alu instid0(VALU_DEP_1) | instskip(SKIP_2) | instid1(VALU_DEP_3)
	v_fmaak_f32 v21, s0, v20, 0x3ecc95a3
	v_mul_f32_e32 v22, v18, v20
	v_cmp_neq_f32_e64 s0, 0x7f800000, v8
	v_fmaak_f32 v20, v20, v21, 0x3f2aaada
	v_ldexp_f32 v21, v18, 1
	v_sub_f32_e32 v18, v18, v19
	s_delay_alu instid0(VALU_DEP_3) | instskip(NEXT) | instid1(VALU_DEP_2)
	v_mul_f32_e32 v20, v22, v20
	v_dual_mul_f32 v22, 0x3f317218, v16 :: v_dual_sub_f32 v11, v11, v18
	s_delay_alu instid0(VALU_DEP_2) | instskip(NEXT) | instid1(VALU_DEP_2)
	v_add_f32_e32 v19, v21, v20
	v_ldexp_f32 v11, v11, 1
	s_delay_alu instid0(VALU_DEP_2) | instskip(NEXT) | instid1(VALU_DEP_4)
	v_sub_f32_e32 v18, v19, v21
	v_fma_f32 v21, 0x3f317218, v16, -v22
	s_delay_alu instid0(VALU_DEP_2) | instskip(NEXT) | instid1(VALU_DEP_1)
	v_sub_f32_e32 v18, v20, v18
	v_dual_fmamk_f32 v16, v16, 0xb102e308, v21 :: v_dual_add_f32 v11, v11, v18
	s_delay_alu instid0(VALU_DEP_1) | instskip(NEXT) | instid1(VALU_DEP_2)
	v_add_f32_e32 v18, v22, v16
	v_add_f32_e32 v20, v19, v11
	s_delay_alu instid0(VALU_DEP_2) | instskip(NEXT) | instid1(VALU_DEP_1)
	v_sub_f32_e32 v22, v18, v22
	v_dual_add_f32 v21, v18, v20 :: v_dual_sub_f32 v16, v16, v22
	s_delay_alu instid0(VALU_DEP_1) | instskip(SKIP_1) | instid1(VALU_DEP_2)
	v_sub_f32_e32 v23, v21, v18
	v_sub_f32_e32 v19, v20, v19
	;; [unrolled: 1-line block ×3, first 2 shown]
	s_delay_alu instid0(VALU_DEP_2) | instskip(NEXT) | instid1(VALU_DEP_2)
	v_sub_f32_e32 v11, v11, v19
	v_dual_sub_f32 v19, v20, v23 :: v_dual_sub_f32 v18, v18, v24
	s_delay_alu instid0(VALU_DEP_2) | instskip(NEXT) | instid1(VALU_DEP_1)
	v_add_f32_e32 v20, v16, v11
	v_dual_add_f32 v18, v19, v18 :: v_dual_sub_f32 v19, v20, v16
	s_delay_alu instid0(VALU_DEP_1) | instskip(NEXT) | instid1(VALU_DEP_2)
	v_add_f32_e32 v18, v20, v18
	v_sub_f32_e32 v20, v20, v19
	s_delay_alu instid0(VALU_DEP_2) | instskip(NEXT) | instid1(VALU_DEP_1)
	v_dual_sub_f32 v11, v11, v19 :: v_dual_add_f32 v22, v21, v18
	v_dual_sub_f32 v16, v16, v20 :: v_dual_sub_f32 v19, v22, v21
	s_delay_alu instid0(VALU_DEP_1) | instskip(NEXT) | instid1(VALU_DEP_1)
	v_dual_add_f32 v11, v11, v16 :: v_dual_sub_f32 v16, v18, v19
	v_add_f32_e32 v11, v11, v16
	s_delay_alu instid0(VALU_DEP_1) | instskip(SKIP_1) | instid1(VALU_DEP_1)
	v_add_f32_e32 v11, v22, v11
	s_wait_alu 0xf1ff
	v_cndmask_b32_e64 v11, 0x7f800000, v11, s0
	v_cmp_gt_f32_e64 s0, 0x33800000, |v8|
	s_wait_alu 0xf1ff
	s_delay_alu instid0(VALU_DEP_1) | instskip(NEXT) | instid1(VALU_DEP_1)
	v_cndmask_b32_e64 v8, v11, v8, s0
	v_add_f32_e32 v8, v15, v8
	s_delay_alu instid0(VALU_DEP_1) | instskip(NEXT) | instid1(VALU_DEP_1)
	v_cvt_f16_f32_e32 v18, v8
	v_cvt_f32_f16_e32 v8, v18
	v_mov_b32_e32 v11, v18
.LBB373_108:
	s_wait_alu 0xfffe
	s_or_b32 exec_lo, exec_lo, s1
	s_delay_alu instid0(VALU_DEP_2) | instskip(SKIP_1) | instid1(VALU_DEP_2)
	v_dual_max_num_f32 v15, v2, v2 :: v_dual_max_num_f32 v16, v8, v8
	v_cmp_u_f16_e64 s0, v18, v18
	v_min_num_f32_e32 v19, v16, v15
	v_max_num_f32_e32 v15, v16, v15
	s_wait_alu 0xf1ff
	s_delay_alu instid0(VALU_DEP_2) | instskip(NEXT) | instid1(VALU_DEP_2)
	v_cndmask_b32_e64 v16, v19, v8, s0
	v_cndmask_b32_e64 v15, v15, v8, s0
	s_delay_alu instid0(VALU_DEP_2) | instskip(NEXT) | instid1(VALU_DEP_2)
	v_cndmask_b32_e64 v16, v16, v2, s16
	v_cndmask_b32_e64 v15, v15, v2, s16
	v_mov_b32_e32 v2, v11
	s_delay_alu instid0(VALU_DEP_3) | instskip(NEXT) | instid1(VALU_DEP_3)
	v_cmp_class_f32_e64 s1, v16, 0x1f8
	v_cmp_neq_f32_e64 s0, v16, v15
	s_or_b32 s0, s0, s1
	s_wait_alu 0xfffe
	s_and_saveexec_b32 s1, s0
	s_cbranch_execz .LBB373_110
; %bb.109:
	v_sub_f32_e32 v2, v16, v15
	s_delay_alu instid0(VALU_DEP_1) | instskip(SKIP_1) | instid1(VALU_DEP_2)
	v_mul_f32_e32 v8, 0x3fb8aa3b, v2
	v_cmp_ngt_f32_e64 s0, 0xc2ce8ed0, v2
	v_fma_f32 v16, 0x3fb8aa3b, v2, -v8
	v_rndne_f32_e32 v18, v8
	s_delay_alu instid0(VALU_DEP_2) | instskip(NEXT) | instid1(VALU_DEP_2)
	v_fmamk_f32 v16, v2, 0x32a5705f, v16
	v_sub_f32_e32 v8, v8, v18
	s_delay_alu instid0(VALU_DEP_1) | instskip(SKIP_1) | instid1(VALU_DEP_2)
	v_add_f32_e32 v8, v8, v16
	v_cvt_i32_f32_e32 v16, v18
	v_exp_f32_e32 v8, v8
	s_delay_alu instid0(TRANS32_DEP_1) | instskip(SKIP_1) | instid1(VALU_DEP_1)
	v_ldexp_f32 v8, v8, v16
	s_wait_alu 0xf1ff
	v_cndmask_b32_e64 v8, 0, v8, s0
	v_cmp_nlt_f32_e64 s0, 0x42b17218, v2
	s_wait_alu 0xf1ff
	s_delay_alu instid0(VALU_DEP_1) | instskip(NEXT) | instid1(VALU_DEP_1)
	v_cndmask_b32_e64 v2, 0x7f800000, v8, s0
	v_add_f32_e32 v8, 1.0, v2
	s_delay_alu instid0(VALU_DEP_1) | instskip(NEXT) | instid1(VALU_DEP_1)
	v_cvt_f64_f32_e32 v[18:19], v8
	v_frexp_exp_i32_f64_e32 v16, v[18:19]
	v_frexp_mant_f32_e32 v18, v8
	s_delay_alu instid0(VALU_DEP_1) | instskip(SKIP_1) | instid1(VALU_DEP_1)
	v_cmp_gt_f32_e64 s0, 0x3f2aaaab, v18
	v_add_f32_e32 v18, -1.0, v8
	v_sub_f32_e32 v20, v18, v8
	v_sub_f32_e32 v18, v2, v18
	s_delay_alu instid0(VALU_DEP_2) | instskip(NEXT) | instid1(VALU_DEP_1)
	v_add_f32_e32 v20, 1.0, v20
	v_add_f32_e32 v18, v18, v20
	s_wait_alu 0xf1ff
	v_subrev_co_ci_u32_e64 v16, null, 0, v16, s0
	s_mov_b32 s0, 0x3e9b6dac
	v_sub_nc_u32_e32 v19, 0, v16
	v_cvt_f32_i32_e32 v16, v16
	s_delay_alu instid0(VALU_DEP_2) | instskip(SKIP_1) | instid1(VALU_DEP_2)
	v_ldexp_f32 v8, v8, v19
	v_ldexp_f32 v18, v18, v19
	v_add_f32_e32 v21, 1.0, v8
	s_delay_alu instid0(VALU_DEP_1) | instskip(NEXT) | instid1(VALU_DEP_1)
	v_dual_add_f32 v19, -1.0, v8 :: v_dual_add_f32 v20, -1.0, v21
	v_add_f32_e32 v22, 1.0, v19
	s_delay_alu instid0(VALU_DEP_2) | instskip(NEXT) | instid1(VALU_DEP_2)
	v_sub_f32_e32 v20, v8, v20
	v_sub_f32_e32 v8, v8, v22
	s_delay_alu instid0(VALU_DEP_2) | instskip(NEXT) | instid1(VALU_DEP_2)
	v_add_f32_e32 v20, v18, v20
	v_add_f32_e32 v8, v18, v8
	s_delay_alu instid0(VALU_DEP_2) | instskip(NEXT) | instid1(VALU_DEP_2)
	v_add_f32_e32 v22, v21, v20
	v_add_f32_e32 v23, v19, v8
	s_delay_alu instid0(VALU_DEP_2) | instskip(SKIP_1) | instid1(VALU_DEP_1)
	v_rcp_f32_e32 v18, v22
	v_sub_f32_e32 v21, v21, v22
	v_dual_sub_f32 v19, v19, v23 :: v_dual_add_f32 v20, v20, v21
	s_delay_alu instid0(VALU_DEP_1) | instskip(NEXT) | instid1(TRANS32_DEP_1)
	v_add_f32_e32 v8, v8, v19
	v_mul_f32_e32 v24, v23, v18
	s_delay_alu instid0(VALU_DEP_1) | instskip(NEXT) | instid1(VALU_DEP_1)
	v_mul_f32_e32 v25, v22, v24
	v_fma_f32 v21, v24, v22, -v25
	s_delay_alu instid0(VALU_DEP_1) | instskip(NEXT) | instid1(VALU_DEP_1)
	v_fmac_f32_e32 v21, v24, v20
	v_add_f32_e32 v26, v25, v21
	s_delay_alu instid0(VALU_DEP_1) | instskip(SKIP_1) | instid1(VALU_DEP_2)
	v_sub_f32_e32 v27, v23, v26
	v_sub_f32_e32 v19, v26, v25
	;; [unrolled: 1-line block ×3, first 2 shown]
	s_delay_alu instid0(VALU_DEP_2) | instskip(NEXT) | instid1(VALU_DEP_2)
	v_sub_f32_e32 v19, v19, v21
	v_sub_f32_e32 v23, v23, v26
	s_delay_alu instid0(VALU_DEP_1) | instskip(NEXT) | instid1(VALU_DEP_1)
	v_add_f32_e32 v8, v8, v23
	v_add_f32_e32 v8, v19, v8
	s_delay_alu instid0(VALU_DEP_1) | instskip(NEXT) | instid1(VALU_DEP_1)
	v_add_f32_e32 v19, v27, v8
	v_mul_f32_e32 v21, v18, v19
	s_delay_alu instid0(VALU_DEP_1) | instskip(NEXT) | instid1(VALU_DEP_1)
	v_dual_sub_f32 v26, v27, v19 :: v_dual_mul_f32 v23, v22, v21
	v_add_f32_e32 v8, v8, v26
	s_delay_alu instid0(VALU_DEP_2) | instskip(NEXT) | instid1(VALU_DEP_1)
	v_fma_f32 v22, v21, v22, -v23
	v_fmac_f32_e32 v22, v21, v20
	s_delay_alu instid0(VALU_DEP_1) | instskip(NEXT) | instid1(VALU_DEP_1)
	v_add_f32_e32 v20, v23, v22
	v_sub_f32_e32 v25, v19, v20
	v_sub_f32_e32 v23, v20, v23
	s_delay_alu instid0(VALU_DEP_2) | instskip(NEXT) | instid1(VALU_DEP_1)
	v_sub_f32_e32 v19, v19, v25
	v_sub_f32_e32 v19, v19, v20
	s_delay_alu instid0(VALU_DEP_3) | instskip(NEXT) | instid1(VALU_DEP_2)
	v_sub_f32_e32 v20, v23, v22
	v_add_f32_e32 v8, v8, v19
	v_add_f32_e32 v19, v24, v21
	s_delay_alu instid0(VALU_DEP_2) | instskip(NEXT) | instid1(VALU_DEP_2)
	v_add_f32_e32 v8, v20, v8
	v_sub_f32_e32 v20, v19, v24
	s_delay_alu instid0(VALU_DEP_2) | instskip(NEXT) | instid1(VALU_DEP_2)
	v_add_f32_e32 v8, v25, v8
	v_sub_f32_e32 v20, v21, v20
	s_delay_alu instid0(VALU_DEP_2) | instskip(NEXT) | instid1(VALU_DEP_1)
	v_mul_f32_e32 v8, v18, v8
	v_add_f32_e32 v8, v20, v8
	s_delay_alu instid0(VALU_DEP_1) | instskip(NEXT) | instid1(VALU_DEP_1)
	v_add_f32_e32 v18, v19, v8
	v_mul_f32_e32 v20, v18, v18
	s_wait_alu 0xfffe
	s_delay_alu instid0(VALU_DEP_1) | instskip(SKIP_2) | instid1(VALU_DEP_3)
	v_fmaak_f32 v21, s0, v20, 0x3ecc95a3
	v_mul_f32_e32 v22, v18, v20
	v_cmp_neq_f32_e64 s0, 0x7f800000, v2
	v_fmaak_f32 v20, v20, v21, 0x3f2aaada
	v_ldexp_f32 v21, v18, 1
	v_sub_f32_e32 v18, v18, v19
	s_delay_alu instid0(VALU_DEP_3) | instskip(SKIP_1) | instid1(VALU_DEP_2)
	v_mul_f32_e32 v20, v22, v20
	v_mul_f32_e32 v22, 0x3f317218, v16
	v_dual_sub_f32 v8, v8, v18 :: v_dual_add_f32 v19, v21, v20
	s_delay_alu instid0(VALU_DEP_1) | instskip(NEXT) | instid1(VALU_DEP_2)
	v_ldexp_f32 v8, v8, 1
	v_sub_f32_e32 v18, v19, v21
	s_delay_alu instid0(VALU_DEP_4) | instskip(NEXT) | instid1(VALU_DEP_2)
	v_fma_f32 v21, 0x3f317218, v16, -v22
	v_sub_f32_e32 v18, v20, v18
	s_delay_alu instid0(VALU_DEP_2) | instskip(NEXT) | instid1(VALU_DEP_2)
	v_fmamk_f32 v16, v16, 0xb102e308, v21
	v_add_f32_e32 v8, v8, v18
	s_delay_alu instid0(VALU_DEP_2) | instskip(NEXT) | instid1(VALU_DEP_2)
	v_add_f32_e32 v18, v22, v16
	v_add_f32_e32 v20, v19, v8
	s_delay_alu instid0(VALU_DEP_2) | instskip(NEXT) | instid1(VALU_DEP_2)
	v_sub_f32_e32 v22, v18, v22
	v_add_f32_e32 v21, v18, v20
	v_sub_f32_e32 v19, v20, v19
	s_delay_alu instid0(VALU_DEP_3) | instskip(NEXT) | instid1(VALU_DEP_2)
	v_sub_f32_e32 v16, v16, v22
	v_dual_sub_f32 v23, v21, v18 :: v_dual_sub_f32 v8, v8, v19
	s_delay_alu instid0(VALU_DEP_1) | instskip(SKIP_1) | instid1(VALU_DEP_3)
	v_sub_f32_e32 v24, v21, v23
	v_sub_f32_e32 v19, v20, v23
	v_add_f32_e32 v20, v16, v8
	s_delay_alu instid0(VALU_DEP_3) | instskip(NEXT) | instid1(VALU_DEP_1)
	v_sub_f32_e32 v18, v18, v24
	v_dual_add_f32 v18, v19, v18 :: v_dual_sub_f32 v19, v20, v16
	s_delay_alu instid0(VALU_DEP_1) | instskip(NEXT) | instid1(VALU_DEP_2)
	v_add_f32_e32 v18, v20, v18
	v_sub_f32_e32 v20, v20, v19
	v_sub_f32_e32 v8, v8, v19
	s_delay_alu instid0(VALU_DEP_3) | instskip(NEXT) | instid1(VALU_DEP_1)
	v_add_f32_e32 v22, v21, v18
	v_dual_sub_f32 v16, v16, v20 :: v_dual_sub_f32 v19, v22, v21
	s_delay_alu instid0(VALU_DEP_1) | instskip(NEXT) | instid1(VALU_DEP_2)
	v_add_f32_e32 v8, v8, v16
	v_sub_f32_e32 v16, v18, v19
	s_delay_alu instid0(VALU_DEP_1) | instskip(NEXT) | instid1(VALU_DEP_1)
	v_add_f32_e32 v8, v8, v16
	v_add_f32_e32 v8, v22, v8
	s_wait_alu 0xf1ff
	s_delay_alu instid0(VALU_DEP_1) | instskip(SKIP_2) | instid1(VALU_DEP_1)
	v_cndmask_b32_e64 v8, 0x7f800000, v8, s0
	v_cmp_gt_f32_e64 s0, 0x33800000, |v2|
	s_wait_alu 0xf1ff
	v_cndmask_b32_e64 v2, v8, v2, s0
	s_delay_alu instid0(VALU_DEP_1) | instskip(NEXT) | instid1(VALU_DEP_1)
	v_add_f32_e32 v2, v15, v2
	v_cvt_f16_f32_e32 v18, v2
	s_delay_alu instid0(VALU_DEP_1)
	v_cvt_f32_f16_e32 v8, v18
	v_mov_b32_e32 v2, v18
.LBB373_110:
	s_wait_alu 0xfffe
	s_or_b32 exec_lo, exec_lo, s1
	v_max_num_f32_e32 v15, v12, v12
	v_max_num_f32_e32 v16, v8, v8
	v_cmp_u_f16_e64 s0, v18, v18
	s_delay_alu instid0(VALU_DEP_2) | instskip(SKIP_2) | instid1(VALU_DEP_2)
	v_min_num_f32_e32 v19, v16, v15
	v_max_num_f32_e32 v15, v16, v15
	s_wait_alu 0xf1ff
	v_cndmask_b32_e64 v16, v19, v8, s0
	s_delay_alu instid0(VALU_DEP_2) | instskip(NEXT) | instid1(VALU_DEP_2)
	v_cndmask_b32_e64 v15, v15, v8, s0
	v_cndmask_b32_e64 v16, v16, v12, s17
	s_delay_alu instid0(VALU_DEP_2) | instskip(SKIP_1) | instid1(VALU_DEP_3)
	v_cndmask_b32_e64 v15, v15, v12, s17
	v_mov_b32_e32 v12, v2
	v_cmp_class_f32_e64 s1, v16, 0x1f8
	s_delay_alu instid0(VALU_DEP_3)
	v_cmp_neq_f32_e64 s0, v16, v15
	s_or_b32 s0, s0, s1
	s_wait_alu 0xfffe
	s_and_saveexec_b32 s1, s0
	s_cbranch_execz .LBB373_112
; %bb.111:
	v_sub_f32_e32 v8, v16, v15
	s_delay_alu instid0(VALU_DEP_1) | instskip(SKIP_1) | instid1(VALU_DEP_2)
	v_mul_f32_e32 v12, 0x3fb8aa3b, v8
	v_cmp_ngt_f32_e64 s0, 0xc2ce8ed0, v8
	v_fma_f32 v16, 0x3fb8aa3b, v8, -v12
	v_rndne_f32_e32 v18, v12
	s_delay_alu instid0(VALU_DEP_2) | instskip(NEXT) | instid1(VALU_DEP_2)
	v_fmamk_f32 v16, v8, 0x32a5705f, v16
	v_sub_f32_e32 v12, v12, v18
	s_delay_alu instid0(VALU_DEP_1) | instskip(SKIP_1) | instid1(VALU_DEP_2)
	v_add_f32_e32 v12, v12, v16
	v_cvt_i32_f32_e32 v16, v18
	v_exp_f32_e32 v12, v12
	s_delay_alu instid0(TRANS32_DEP_1) | instskip(SKIP_1) | instid1(VALU_DEP_1)
	v_ldexp_f32 v12, v12, v16
	s_wait_alu 0xf1ff
	v_cndmask_b32_e64 v12, 0, v12, s0
	v_cmp_nlt_f32_e64 s0, 0x42b17218, v8
	s_wait_alu 0xf1ff
	s_delay_alu instid0(VALU_DEP_1) | instskip(NEXT) | instid1(VALU_DEP_1)
	v_cndmask_b32_e64 v8, 0x7f800000, v12, s0
	v_add_f32_e32 v12, 1.0, v8
	s_delay_alu instid0(VALU_DEP_1) | instskip(NEXT) | instid1(VALU_DEP_1)
	v_cvt_f64_f32_e32 v[18:19], v12
	v_frexp_exp_i32_f64_e32 v16, v[18:19]
	v_frexp_mant_f32_e32 v18, v12
	s_delay_alu instid0(VALU_DEP_1) | instskip(SKIP_1) | instid1(VALU_DEP_1)
	v_cmp_gt_f32_e64 s0, 0x3f2aaaab, v18
	v_add_f32_e32 v18, -1.0, v12
	v_sub_f32_e32 v20, v18, v12
	v_sub_f32_e32 v18, v8, v18
	s_delay_alu instid0(VALU_DEP_2) | instskip(NEXT) | instid1(VALU_DEP_1)
	v_add_f32_e32 v20, 1.0, v20
	v_add_f32_e32 v18, v18, v20
	s_wait_alu 0xf1ff
	v_subrev_co_ci_u32_e64 v16, null, 0, v16, s0
	s_mov_b32 s0, 0x3e9b6dac
	v_sub_nc_u32_e32 v19, 0, v16
	v_cvt_f32_i32_e32 v16, v16
	s_delay_alu instid0(VALU_DEP_2) | instskip(SKIP_1) | instid1(VALU_DEP_2)
	v_ldexp_f32 v12, v12, v19
	v_ldexp_f32 v18, v18, v19
	v_add_f32_e32 v21, 1.0, v12
	s_delay_alu instid0(VALU_DEP_1) | instskip(NEXT) | instid1(VALU_DEP_1)
	v_dual_add_f32 v19, -1.0, v12 :: v_dual_add_f32 v20, -1.0, v21
	v_add_f32_e32 v22, 1.0, v19
	s_delay_alu instid0(VALU_DEP_2) | instskip(NEXT) | instid1(VALU_DEP_2)
	v_sub_f32_e32 v20, v12, v20
	v_sub_f32_e32 v12, v12, v22
	s_delay_alu instid0(VALU_DEP_2) | instskip(NEXT) | instid1(VALU_DEP_2)
	v_add_f32_e32 v20, v18, v20
	v_add_f32_e32 v12, v18, v12
	s_delay_alu instid0(VALU_DEP_2) | instskip(NEXT) | instid1(VALU_DEP_2)
	v_add_f32_e32 v22, v21, v20
	v_add_f32_e32 v23, v19, v12
	s_delay_alu instid0(VALU_DEP_2) | instskip(SKIP_1) | instid1(VALU_DEP_1)
	v_rcp_f32_e32 v18, v22
	v_sub_f32_e32 v21, v21, v22
	v_dual_sub_f32 v19, v19, v23 :: v_dual_add_f32 v20, v20, v21
	s_delay_alu instid0(VALU_DEP_1) | instskip(NEXT) | instid1(TRANS32_DEP_1)
	v_add_f32_e32 v12, v12, v19
	v_mul_f32_e32 v24, v23, v18
	s_delay_alu instid0(VALU_DEP_1) | instskip(NEXT) | instid1(VALU_DEP_1)
	v_mul_f32_e32 v25, v22, v24
	v_fma_f32 v21, v24, v22, -v25
	s_delay_alu instid0(VALU_DEP_1) | instskip(NEXT) | instid1(VALU_DEP_1)
	v_fmac_f32_e32 v21, v24, v20
	v_add_f32_e32 v26, v25, v21
	s_delay_alu instid0(VALU_DEP_1) | instskip(SKIP_1) | instid1(VALU_DEP_2)
	v_sub_f32_e32 v27, v23, v26
	v_sub_f32_e32 v19, v26, v25
	;; [unrolled: 1-line block ×3, first 2 shown]
	s_delay_alu instid0(VALU_DEP_2) | instskip(NEXT) | instid1(VALU_DEP_2)
	v_sub_f32_e32 v19, v19, v21
	v_sub_f32_e32 v23, v23, v26
	s_delay_alu instid0(VALU_DEP_1) | instskip(NEXT) | instid1(VALU_DEP_1)
	v_add_f32_e32 v12, v12, v23
	v_add_f32_e32 v12, v19, v12
	s_delay_alu instid0(VALU_DEP_1) | instskip(NEXT) | instid1(VALU_DEP_1)
	v_add_f32_e32 v19, v27, v12
	v_mul_f32_e32 v21, v18, v19
	s_delay_alu instid0(VALU_DEP_1) | instskip(NEXT) | instid1(VALU_DEP_1)
	v_dual_sub_f32 v26, v27, v19 :: v_dual_mul_f32 v23, v22, v21
	v_add_f32_e32 v12, v12, v26
	s_delay_alu instid0(VALU_DEP_2) | instskip(NEXT) | instid1(VALU_DEP_1)
	v_fma_f32 v22, v21, v22, -v23
	v_fmac_f32_e32 v22, v21, v20
	s_delay_alu instid0(VALU_DEP_1) | instskip(NEXT) | instid1(VALU_DEP_1)
	v_add_f32_e32 v20, v23, v22
	v_sub_f32_e32 v25, v19, v20
	v_sub_f32_e32 v23, v20, v23
	s_delay_alu instid0(VALU_DEP_2) | instskip(NEXT) | instid1(VALU_DEP_1)
	v_sub_f32_e32 v19, v19, v25
	v_sub_f32_e32 v19, v19, v20
	s_delay_alu instid0(VALU_DEP_3) | instskip(NEXT) | instid1(VALU_DEP_2)
	v_sub_f32_e32 v20, v23, v22
	v_add_f32_e32 v12, v12, v19
	v_add_f32_e32 v19, v24, v21
	s_delay_alu instid0(VALU_DEP_2) | instskip(NEXT) | instid1(VALU_DEP_2)
	v_add_f32_e32 v12, v20, v12
	v_sub_f32_e32 v20, v19, v24
	s_delay_alu instid0(VALU_DEP_2) | instskip(NEXT) | instid1(VALU_DEP_2)
	v_add_f32_e32 v12, v25, v12
	v_sub_f32_e32 v20, v21, v20
	s_delay_alu instid0(VALU_DEP_2) | instskip(NEXT) | instid1(VALU_DEP_1)
	v_mul_f32_e32 v12, v18, v12
	v_add_f32_e32 v12, v20, v12
	s_delay_alu instid0(VALU_DEP_1) | instskip(NEXT) | instid1(VALU_DEP_1)
	v_add_f32_e32 v18, v19, v12
	v_mul_f32_e32 v20, v18, v18
	s_wait_alu 0xfffe
	s_delay_alu instid0(VALU_DEP_1) | instskip(SKIP_2) | instid1(VALU_DEP_3)
	v_fmaak_f32 v21, s0, v20, 0x3ecc95a3
	v_mul_f32_e32 v22, v18, v20
	v_cmp_neq_f32_e64 s0, 0x7f800000, v8
	v_fmaak_f32 v20, v20, v21, 0x3f2aaada
	v_ldexp_f32 v21, v18, 1
	v_sub_f32_e32 v18, v18, v19
	s_delay_alu instid0(VALU_DEP_3) | instskip(SKIP_1) | instid1(VALU_DEP_2)
	v_mul_f32_e32 v20, v22, v20
	v_mul_f32_e32 v22, 0x3f317218, v16
	v_dual_sub_f32 v12, v12, v18 :: v_dual_add_f32 v19, v21, v20
	s_delay_alu instid0(VALU_DEP_1) | instskip(NEXT) | instid1(VALU_DEP_2)
	v_ldexp_f32 v12, v12, 1
	v_sub_f32_e32 v18, v19, v21
	s_delay_alu instid0(VALU_DEP_4) | instskip(NEXT) | instid1(VALU_DEP_2)
	v_fma_f32 v21, 0x3f317218, v16, -v22
	v_sub_f32_e32 v18, v20, v18
	s_delay_alu instid0(VALU_DEP_2) | instskip(NEXT) | instid1(VALU_DEP_2)
	v_fmamk_f32 v16, v16, 0xb102e308, v21
	v_add_f32_e32 v12, v12, v18
	s_delay_alu instid0(VALU_DEP_2) | instskip(NEXT) | instid1(VALU_DEP_2)
	v_add_f32_e32 v18, v22, v16
	v_add_f32_e32 v20, v19, v12
	s_delay_alu instid0(VALU_DEP_2) | instskip(NEXT) | instid1(VALU_DEP_2)
	v_sub_f32_e32 v22, v18, v22
	v_add_f32_e32 v21, v18, v20
	v_sub_f32_e32 v19, v20, v19
	s_delay_alu instid0(VALU_DEP_3) | instskip(NEXT) | instid1(VALU_DEP_2)
	v_sub_f32_e32 v16, v16, v22
	v_dual_sub_f32 v23, v21, v18 :: v_dual_sub_f32 v12, v12, v19
	s_delay_alu instid0(VALU_DEP_1) | instskip(SKIP_1) | instid1(VALU_DEP_3)
	v_sub_f32_e32 v24, v21, v23
	v_sub_f32_e32 v19, v20, v23
	v_add_f32_e32 v20, v16, v12
	s_delay_alu instid0(VALU_DEP_3) | instskip(NEXT) | instid1(VALU_DEP_1)
	v_sub_f32_e32 v18, v18, v24
	v_dual_add_f32 v18, v19, v18 :: v_dual_sub_f32 v19, v20, v16
	s_delay_alu instid0(VALU_DEP_1) | instskip(NEXT) | instid1(VALU_DEP_2)
	v_add_f32_e32 v18, v20, v18
	v_sub_f32_e32 v20, v20, v19
	v_sub_f32_e32 v12, v12, v19
	s_delay_alu instid0(VALU_DEP_3) | instskip(NEXT) | instid1(VALU_DEP_1)
	v_add_f32_e32 v22, v21, v18
	v_dual_sub_f32 v16, v16, v20 :: v_dual_sub_f32 v19, v22, v21
	s_delay_alu instid0(VALU_DEP_1) | instskip(NEXT) | instid1(VALU_DEP_2)
	v_add_f32_e32 v12, v12, v16
	v_sub_f32_e32 v16, v18, v19
	s_delay_alu instid0(VALU_DEP_1) | instskip(NEXT) | instid1(VALU_DEP_1)
	v_add_f32_e32 v12, v12, v16
	v_add_f32_e32 v12, v22, v12
	s_wait_alu 0xf1ff
	s_delay_alu instid0(VALU_DEP_1) | instskip(SKIP_2) | instid1(VALU_DEP_1)
	v_cndmask_b32_e64 v12, 0x7f800000, v12, s0
	v_cmp_gt_f32_e64 s0, 0x33800000, |v8|
	s_wait_alu 0xf1ff
	v_cndmask_b32_e64 v8, v12, v8, s0
	s_delay_alu instid0(VALU_DEP_1) | instskip(NEXT) | instid1(VALU_DEP_1)
	v_add_f32_e32 v8, v15, v8
	v_cvt_f16_f32_e32 v18, v8
	s_delay_alu instid0(VALU_DEP_1)
	v_cvt_f32_f16_e32 v8, v18
	v_mov_b32_e32 v12, v18
.LBB373_112:
	s_wait_alu 0xfffe
	s_or_b32 exec_lo, exec_lo, s1
	s_delay_alu instid0(VALU_DEP_2) | instskip(SKIP_1) | instid1(VALU_DEP_2)
	v_dual_max_num_f32 v15, v3, v3 :: v_dual_max_num_f32 v16, v8, v8
	v_cmp_u_f16_e64 s0, v18, v18
	v_min_num_f32_e32 v19, v16, v15
	v_max_num_f32_e32 v15, v16, v15
	s_wait_alu 0xf1ff
	s_delay_alu instid0(VALU_DEP_2) | instskip(NEXT) | instid1(VALU_DEP_2)
	v_cndmask_b32_e64 v16, v19, v8, s0
	v_cndmask_b32_e64 v15, v15, v8, s0
	s_delay_alu instid0(VALU_DEP_2) | instskip(NEXT) | instid1(VALU_DEP_2)
	v_cndmask_b32_e64 v16, v16, v3, s18
	v_cndmask_b32_e64 v15, v15, v3, s18
	v_mov_b32_e32 v3, v12
	s_delay_alu instid0(VALU_DEP_3) | instskip(NEXT) | instid1(VALU_DEP_3)
	v_cmp_class_f32_e64 s1, v16, 0x1f8
	v_cmp_neq_f32_e64 s0, v16, v15
	s_or_b32 s0, s0, s1
	s_wait_alu 0xfffe
	s_and_saveexec_b32 s1, s0
	s_cbranch_execz .LBB373_114
; %bb.113:
	v_sub_f32_e32 v3, v16, v15
	s_delay_alu instid0(VALU_DEP_1) | instskip(SKIP_1) | instid1(VALU_DEP_2)
	v_mul_f32_e32 v8, 0x3fb8aa3b, v3
	v_cmp_ngt_f32_e64 s0, 0xc2ce8ed0, v3
	v_fma_f32 v16, 0x3fb8aa3b, v3, -v8
	v_rndne_f32_e32 v18, v8
	s_delay_alu instid0(VALU_DEP_2) | instskip(NEXT) | instid1(VALU_DEP_2)
	v_fmamk_f32 v16, v3, 0x32a5705f, v16
	v_sub_f32_e32 v8, v8, v18
	s_delay_alu instid0(VALU_DEP_1) | instskip(SKIP_1) | instid1(VALU_DEP_2)
	v_add_f32_e32 v8, v8, v16
	v_cvt_i32_f32_e32 v16, v18
	v_exp_f32_e32 v8, v8
	s_delay_alu instid0(TRANS32_DEP_1) | instskip(SKIP_1) | instid1(VALU_DEP_1)
	v_ldexp_f32 v8, v8, v16
	s_wait_alu 0xf1ff
	v_cndmask_b32_e64 v8, 0, v8, s0
	v_cmp_nlt_f32_e64 s0, 0x42b17218, v3
	s_wait_alu 0xf1ff
	s_delay_alu instid0(VALU_DEP_1) | instskip(NEXT) | instid1(VALU_DEP_1)
	v_cndmask_b32_e64 v3, 0x7f800000, v8, s0
	v_add_f32_e32 v8, 1.0, v3
	s_delay_alu instid0(VALU_DEP_1) | instskip(NEXT) | instid1(VALU_DEP_1)
	v_cvt_f64_f32_e32 v[18:19], v8
	v_frexp_exp_i32_f64_e32 v16, v[18:19]
	v_frexp_mant_f32_e32 v18, v8
	s_delay_alu instid0(VALU_DEP_1) | instskip(SKIP_1) | instid1(VALU_DEP_1)
	v_cmp_gt_f32_e64 s0, 0x3f2aaaab, v18
	v_add_f32_e32 v18, -1.0, v8
	v_sub_f32_e32 v20, v18, v8
	s_delay_alu instid0(VALU_DEP_1)
	v_add_f32_e32 v20, 1.0, v20
	s_wait_alu 0xf1ff
	v_subrev_co_ci_u32_e64 v16, null, 0, v16, s0
	s_mov_b32 s0, 0x3e9b6dac
	v_sub_nc_u32_e32 v19, 0, v16
	v_cvt_f32_i32_e32 v16, v16
	s_delay_alu instid0(VALU_DEP_2) | instskip(NEXT) | instid1(VALU_DEP_1)
	v_ldexp_f32 v8, v8, v19
	v_dual_sub_f32 v18, v3, v18 :: v_dual_add_f32 v21, 1.0, v8
	s_delay_alu instid0(VALU_DEP_1) | instskip(NEXT) | instid1(VALU_DEP_1)
	v_add_f32_e32 v18, v18, v20
	v_ldexp_f32 v18, v18, v19
	s_delay_alu instid0(VALU_DEP_3) | instskip(NEXT) | instid1(VALU_DEP_1)
	v_dual_add_f32 v19, -1.0, v8 :: v_dual_add_f32 v20, -1.0, v21
	v_add_f32_e32 v22, 1.0, v19
	s_delay_alu instid0(VALU_DEP_2) | instskip(NEXT) | instid1(VALU_DEP_2)
	v_sub_f32_e32 v20, v8, v20
	v_sub_f32_e32 v8, v8, v22
	s_delay_alu instid0(VALU_DEP_2) | instskip(NEXT) | instid1(VALU_DEP_2)
	v_add_f32_e32 v20, v18, v20
	v_add_f32_e32 v8, v18, v8
	s_delay_alu instid0(VALU_DEP_2) | instskip(NEXT) | instid1(VALU_DEP_2)
	v_add_f32_e32 v22, v21, v20
	v_add_f32_e32 v23, v19, v8
	s_delay_alu instid0(VALU_DEP_2) | instskip(SKIP_1) | instid1(VALU_DEP_1)
	v_rcp_f32_e32 v18, v22
	v_sub_f32_e32 v21, v21, v22
	v_dual_sub_f32 v19, v19, v23 :: v_dual_add_f32 v20, v20, v21
	s_delay_alu instid0(VALU_DEP_1) | instskip(NEXT) | instid1(TRANS32_DEP_1)
	v_add_f32_e32 v8, v8, v19
	v_mul_f32_e32 v24, v23, v18
	s_delay_alu instid0(VALU_DEP_1) | instskip(NEXT) | instid1(VALU_DEP_1)
	v_mul_f32_e32 v25, v22, v24
	v_fma_f32 v21, v24, v22, -v25
	s_delay_alu instid0(VALU_DEP_1) | instskip(NEXT) | instid1(VALU_DEP_1)
	v_fmac_f32_e32 v21, v24, v20
	v_add_f32_e32 v26, v25, v21
	s_delay_alu instid0(VALU_DEP_1) | instskip(SKIP_1) | instid1(VALU_DEP_2)
	v_sub_f32_e32 v27, v23, v26
	v_sub_f32_e32 v19, v26, v25
	;; [unrolled: 1-line block ×3, first 2 shown]
	s_delay_alu instid0(VALU_DEP_2) | instskip(NEXT) | instid1(VALU_DEP_2)
	v_sub_f32_e32 v19, v19, v21
	v_sub_f32_e32 v23, v23, v26
	s_delay_alu instid0(VALU_DEP_1) | instskip(NEXT) | instid1(VALU_DEP_1)
	v_add_f32_e32 v8, v8, v23
	v_add_f32_e32 v8, v19, v8
	s_delay_alu instid0(VALU_DEP_1) | instskip(NEXT) | instid1(VALU_DEP_1)
	v_add_f32_e32 v19, v27, v8
	v_mul_f32_e32 v21, v18, v19
	s_delay_alu instid0(VALU_DEP_1) | instskip(NEXT) | instid1(VALU_DEP_1)
	v_dual_sub_f32 v26, v27, v19 :: v_dual_mul_f32 v23, v22, v21
	v_add_f32_e32 v8, v8, v26
	s_delay_alu instid0(VALU_DEP_2) | instskip(NEXT) | instid1(VALU_DEP_1)
	v_fma_f32 v22, v21, v22, -v23
	v_fmac_f32_e32 v22, v21, v20
	s_delay_alu instid0(VALU_DEP_1) | instskip(NEXT) | instid1(VALU_DEP_1)
	v_add_f32_e32 v20, v23, v22
	v_sub_f32_e32 v25, v19, v20
	v_sub_f32_e32 v23, v20, v23
	s_delay_alu instid0(VALU_DEP_2) | instskip(NEXT) | instid1(VALU_DEP_1)
	v_sub_f32_e32 v19, v19, v25
	v_sub_f32_e32 v19, v19, v20
	s_delay_alu instid0(VALU_DEP_3) | instskip(NEXT) | instid1(VALU_DEP_2)
	v_sub_f32_e32 v20, v23, v22
	v_add_f32_e32 v8, v8, v19
	v_add_f32_e32 v19, v24, v21
	s_delay_alu instid0(VALU_DEP_2) | instskip(NEXT) | instid1(VALU_DEP_2)
	v_add_f32_e32 v8, v20, v8
	v_sub_f32_e32 v20, v19, v24
	s_delay_alu instid0(VALU_DEP_2) | instskip(NEXT) | instid1(VALU_DEP_2)
	v_add_f32_e32 v8, v25, v8
	v_sub_f32_e32 v20, v21, v20
	s_delay_alu instid0(VALU_DEP_2) | instskip(NEXT) | instid1(VALU_DEP_1)
	v_mul_f32_e32 v8, v18, v8
	v_add_f32_e32 v8, v20, v8
	s_delay_alu instid0(VALU_DEP_1) | instskip(NEXT) | instid1(VALU_DEP_1)
	v_add_f32_e32 v18, v19, v8
	v_mul_f32_e32 v20, v18, v18
	s_wait_alu 0xfffe
	s_delay_alu instid0(VALU_DEP_1) | instskip(SKIP_2) | instid1(VALU_DEP_3)
	v_fmaak_f32 v21, s0, v20, 0x3ecc95a3
	v_mul_f32_e32 v22, v18, v20
	v_cmp_neq_f32_e64 s0, 0x7f800000, v3
	v_fmaak_f32 v20, v20, v21, 0x3f2aaada
	v_ldexp_f32 v21, v18, 1
	v_sub_f32_e32 v18, v18, v19
	s_delay_alu instid0(VALU_DEP_3) | instskip(SKIP_1) | instid1(VALU_DEP_2)
	v_mul_f32_e32 v20, v22, v20
	v_mul_f32_e32 v22, 0x3f317218, v16
	v_dual_sub_f32 v8, v8, v18 :: v_dual_add_f32 v19, v21, v20
	s_delay_alu instid0(VALU_DEP_1) | instskip(NEXT) | instid1(VALU_DEP_2)
	v_ldexp_f32 v8, v8, 1
	v_sub_f32_e32 v18, v19, v21
	s_delay_alu instid0(VALU_DEP_4) | instskip(NEXT) | instid1(VALU_DEP_2)
	v_fma_f32 v21, 0x3f317218, v16, -v22
	v_sub_f32_e32 v18, v20, v18
	s_delay_alu instid0(VALU_DEP_2) | instskip(NEXT) | instid1(VALU_DEP_2)
	v_fmamk_f32 v16, v16, 0xb102e308, v21
	v_add_f32_e32 v8, v8, v18
	s_delay_alu instid0(VALU_DEP_2) | instskip(NEXT) | instid1(VALU_DEP_2)
	v_add_f32_e32 v18, v22, v16
	v_add_f32_e32 v20, v19, v8
	s_delay_alu instid0(VALU_DEP_2) | instskip(NEXT) | instid1(VALU_DEP_2)
	v_sub_f32_e32 v22, v18, v22
	v_add_f32_e32 v21, v18, v20
	v_sub_f32_e32 v19, v20, v19
	s_delay_alu instid0(VALU_DEP_3) | instskip(NEXT) | instid1(VALU_DEP_2)
	v_sub_f32_e32 v16, v16, v22
	v_dual_sub_f32 v23, v21, v18 :: v_dual_sub_f32 v8, v8, v19
	s_delay_alu instid0(VALU_DEP_1) | instskip(SKIP_1) | instid1(VALU_DEP_3)
	v_sub_f32_e32 v24, v21, v23
	v_sub_f32_e32 v19, v20, v23
	v_add_f32_e32 v20, v16, v8
	s_delay_alu instid0(VALU_DEP_3) | instskip(NEXT) | instid1(VALU_DEP_1)
	v_sub_f32_e32 v18, v18, v24
	v_dual_add_f32 v18, v19, v18 :: v_dual_sub_f32 v19, v20, v16
	s_delay_alu instid0(VALU_DEP_1) | instskip(NEXT) | instid1(VALU_DEP_2)
	v_add_f32_e32 v18, v20, v18
	v_sub_f32_e32 v20, v20, v19
	v_sub_f32_e32 v8, v8, v19
	s_delay_alu instid0(VALU_DEP_3) | instskip(NEXT) | instid1(VALU_DEP_1)
	v_add_f32_e32 v22, v21, v18
	v_dual_sub_f32 v16, v16, v20 :: v_dual_sub_f32 v19, v22, v21
	s_delay_alu instid0(VALU_DEP_1) | instskip(NEXT) | instid1(VALU_DEP_2)
	v_add_f32_e32 v8, v8, v16
	v_sub_f32_e32 v16, v18, v19
	s_delay_alu instid0(VALU_DEP_1) | instskip(NEXT) | instid1(VALU_DEP_1)
	v_add_f32_e32 v8, v8, v16
	v_add_f32_e32 v8, v22, v8
	s_wait_alu 0xf1ff
	s_delay_alu instid0(VALU_DEP_1) | instskip(SKIP_2) | instid1(VALU_DEP_1)
	v_cndmask_b32_e64 v8, 0x7f800000, v8, s0
	v_cmp_gt_f32_e64 s0, 0x33800000, |v3|
	s_wait_alu 0xf1ff
	v_cndmask_b32_e64 v3, v8, v3, s0
	s_delay_alu instid0(VALU_DEP_1) | instskip(NEXT) | instid1(VALU_DEP_1)
	v_add_f32_e32 v3, v15, v3
	v_cvt_f16_f32_e32 v18, v3
	s_delay_alu instid0(VALU_DEP_1)
	v_cvt_f32_f16_e32 v8, v18
	v_mov_b32_e32 v3, v18
.LBB373_114:
	s_wait_alu 0xfffe
	s_or_b32 exec_lo, exec_lo, s1
	s_delay_alu instid0(VALU_DEP_2) | instskip(SKIP_1) | instid1(VALU_DEP_2)
	v_dual_max_num_f32 v15, v13, v13 :: v_dual_max_num_f32 v16, v8, v8
	v_cmp_u_f16_e64 s0, v18, v18
	v_min_num_f32_e32 v19, v16, v15
	v_max_num_f32_e32 v15, v16, v15
	s_wait_alu 0xf1ff
	s_delay_alu instid0(VALU_DEP_2) | instskip(NEXT) | instid1(VALU_DEP_2)
	v_cndmask_b32_e64 v16, v19, v8, s0
	v_cndmask_b32_e64 v15, v15, v8, s0
	s_delay_alu instid0(VALU_DEP_2) | instskip(NEXT) | instid1(VALU_DEP_2)
	v_cndmask_b32_e64 v16, v16, v13, s19
	v_cndmask_b32_e64 v15, v15, v13, s19
	v_mov_b32_e32 v13, v3
	s_delay_alu instid0(VALU_DEP_3) | instskip(NEXT) | instid1(VALU_DEP_3)
	v_cmp_class_f32_e64 s1, v16, 0x1f8
	v_cmp_neq_f32_e64 s0, v16, v15
	s_or_b32 s0, s0, s1
	s_wait_alu 0xfffe
	s_and_saveexec_b32 s1, s0
	s_cbranch_execz .LBB373_116
; %bb.115:
	v_sub_f32_e32 v8, v16, v15
	s_delay_alu instid0(VALU_DEP_1) | instskip(NEXT) | instid1(VALU_DEP_1)
	v_mul_f32_e32 v13, 0x3fb8aa3b, v8
	v_fma_f32 v16, 0x3fb8aa3b, v8, -v13
	v_rndne_f32_e32 v18, v13
	s_delay_alu instid0(VALU_DEP_1) | instskip(SKIP_1) | instid1(VALU_DEP_2)
	v_dual_sub_f32 v13, v13, v18 :: v_dual_fmamk_f32 v16, v8, 0x32a5705f, v16
	v_cmp_ngt_f32_e64 s0, 0xc2ce8ed0, v8
	v_add_f32_e32 v13, v13, v16
	v_cvt_i32_f32_e32 v16, v18
	s_delay_alu instid0(VALU_DEP_2) | instskip(NEXT) | instid1(TRANS32_DEP_1)
	v_exp_f32_e32 v13, v13
	v_ldexp_f32 v13, v13, v16
	s_wait_alu 0xf1ff
	s_delay_alu instid0(VALU_DEP_1) | instskip(SKIP_2) | instid1(VALU_DEP_1)
	v_cndmask_b32_e64 v13, 0, v13, s0
	v_cmp_nlt_f32_e64 s0, 0x42b17218, v8
	s_wait_alu 0xf1ff
	v_cndmask_b32_e64 v8, 0x7f800000, v13, s0
	s_delay_alu instid0(VALU_DEP_1) | instskip(NEXT) | instid1(VALU_DEP_1)
	v_add_f32_e32 v13, 1.0, v8
	v_cvt_f64_f32_e32 v[18:19], v13
	s_delay_alu instid0(VALU_DEP_1) | instskip(SKIP_1) | instid1(VALU_DEP_1)
	v_frexp_exp_i32_f64_e32 v16, v[18:19]
	v_frexp_mant_f32_e32 v18, v13
	v_cmp_gt_f32_e64 s0, 0x3f2aaaab, v18
	v_add_f32_e32 v18, -1.0, v13
	s_delay_alu instid0(VALU_DEP_1)
	v_sub_f32_e32 v20, v18, v13
	v_sub_f32_e32 v18, v8, v18
	s_wait_alu 0xf1ff
	v_subrev_co_ci_u32_e64 v16, null, 0, v16, s0
	s_mov_b32 s0, 0x3e9b6dac
	v_sub_nc_u32_e32 v19, 0, v16
	v_cvt_f32_i32_e32 v16, v16
	s_delay_alu instid0(VALU_DEP_2) | instskip(NEXT) | instid1(VALU_DEP_1)
	v_ldexp_f32 v13, v13, v19
	v_dual_add_f32 v20, 1.0, v20 :: v_dual_add_f32 v21, 1.0, v13
	s_delay_alu instid0(VALU_DEP_1) | instskip(NEXT) | instid1(VALU_DEP_2)
	v_add_f32_e32 v18, v18, v20
	v_add_f32_e32 v20, -1.0, v21
	s_delay_alu instid0(VALU_DEP_2) | instskip(NEXT) | instid1(VALU_DEP_2)
	v_ldexp_f32 v18, v18, v19
	v_dual_add_f32 v19, -1.0, v13 :: v_dual_sub_f32 v20, v13, v20
	s_delay_alu instid0(VALU_DEP_1) | instskip(NEXT) | instid1(VALU_DEP_1)
	v_add_f32_e32 v22, 1.0, v19
	v_sub_f32_e32 v13, v13, v22
	s_delay_alu instid0(VALU_DEP_1) | instskip(NEXT) | instid1(VALU_DEP_1)
	v_add_f32_e32 v13, v18, v13
	v_dual_add_f32 v23, v19, v13 :: v_dual_add_f32 v20, v18, v20
	s_delay_alu instid0(VALU_DEP_1) | instskip(NEXT) | instid1(VALU_DEP_1)
	v_dual_sub_f32 v19, v19, v23 :: v_dual_add_f32 v22, v21, v20
	v_add_f32_e32 v13, v13, v19
	s_delay_alu instid0(VALU_DEP_2) | instskip(SKIP_1) | instid1(VALU_DEP_1)
	v_rcp_f32_e32 v18, v22
	v_sub_f32_e32 v21, v21, v22
	v_add_f32_e32 v20, v20, v21
	s_delay_alu instid0(TRANS32_DEP_1) | instskip(NEXT) | instid1(VALU_DEP_1)
	v_mul_f32_e32 v24, v23, v18
	v_mul_f32_e32 v25, v22, v24
	s_delay_alu instid0(VALU_DEP_1) | instskip(NEXT) | instid1(VALU_DEP_1)
	v_fma_f32 v21, v24, v22, -v25
	v_fmac_f32_e32 v21, v24, v20
	s_delay_alu instid0(VALU_DEP_1) | instskip(NEXT) | instid1(VALU_DEP_1)
	v_add_f32_e32 v26, v25, v21
	v_sub_f32_e32 v27, v23, v26
	s_delay_alu instid0(VALU_DEP_1) | instskip(SKIP_1) | instid1(VALU_DEP_2)
	v_sub_f32_e32 v23, v23, v27
	v_sub_f32_e32 v19, v26, v25
	;; [unrolled: 1-line block ×3, first 2 shown]
	s_delay_alu instid0(VALU_DEP_2) | instskip(NEXT) | instid1(VALU_DEP_2)
	v_sub_f32_e32 v19, v19, v21
	v_add_f32_e32 v13, v13, v23
	s_delay_alu instid0(VALU_DEP_1) | instskip(NEXT) | instid1(VALU_DEP_1)
	v_add_f32_e32 v13, v19, v13
	v_add_f32_e32 v19, v27, v13
	s_delay_alu instid0(VALU_DEP_1) | instskip(NEXT) | instid1(VALU_DEP_1)
	v_mul_f32_e32 v21, v18, v19
	v_dual_sub_f32 v26, v27, v19 :: v_dual_mul_f32 v23, v22, v21
	s_delay_alu instid0(VALU_DEP_1) | instskip(NEXT) | instid1(VALU_DEP_2)
	v_add_f32_e32 v13, v13, v26
	v_fma_f32 v22, v21, v22, -v23
	s_delay_alu instid0(VALU_DEP_1) | instskip(NEXT) | instid1(VALU_DEP_1)
	v_fmac_f32_e32 v22, v21, v20
	v_add_f32_e32 v20, v23, v22
	s_delay_alu instid0(VALU_DEP_1) | instskip(NEXT) | instid1(VALU_DEP_1)
	v_sub_f32_e32 v25, v19, v20
	v_sub_f32_e32 v19, v19, v25
	s_delay_alu instid0(VALU_DEP_1) | instskip(NEXT) | instid1(VALU_DEP_1)
	v_sub_f32_e32 v19, v19, v20
	v_add_f32_e32 v13, v13, v19
	v_add_f32_e32 v19, v24, v21
	v_sub_f32_e32 v23, v20, v23
	s_delay_alu instid0(VALU_DEP_1) | instskip(NEXT) | instid1(VALU_DEP_1)
	v_sub_f32_e32 v20, v23, v22
	v_dual_add_f32 v13, v20, v13 :: v_dual_sub_f32 v20, v19, v24
	s_delay_alu instid0(VALU_DEP_1) | instskip(NEXT) | instid1(VALU_DEP_1)
	v_add_f32_e32 v13, v25, v13
	v_dual_sub_f32 v20, v21, v20 :: v_dual_mul_f32 v13, v18, v13
	s_delay_alu instid0(VALU_DEP_1) | instskip(NEXT) | instid1(VALU_DEP_1)
	v_add_f32_e32 v13, v20, v13
	v_add_f32_e32 v18, v19, v13
	s_delay_alu instid0(VALU_DEP_1) | instskip(SKIP_1) | instid1(VALU_DEP_1)
	v_mul_f32_e32 v20, v18, v18
	s_wait_alu 0xfffe
	v_fmaak_f32 v21, s0, v20, 0x3ecc95a3
	v_mul_f32_e32 v22, v18, v20
	v_cmp_neq_f32_e64 s0, 0x7f800000, v8
	s_delay_alu instid0(VALU_DEP_3) | instskip(SKIP_2) | instid1(VALU_DEP_3)
	v_fmaak_f32 v20, v20, v21, 0x3f2aaada
	v_ldexp_f32 v21, v18, 1
	v_sub_f32_e32 v18, v18, v19
	v_mul_f32_e32 v20, v22, v20
	s_delay_alu instid0(VALU_DEP_2) | instskip(NEXT) | instid1(VALU_DEP_2)
	v_dual_mul_f32 v22, 0x3f317218, v16 :: v_dual_sub_f32 v13, v13, v18
	v_add_f32_e32 v19, v21, v20
	s_delay_alu instid0(VALU_DEP_2) | instskip(NEXT) | instid1(VALU_DEP_2)
	v_ldexp_f32 v13, v13, 1
	v_sub_f32_e32 v18, v19, v21
	s_delay_alu instid0(VALU_DEP_4) | instskip(NEXT) | instid1(VALU_DEP_2)
	v_fma_f32 v21, 0x3f317218, v16, -v22
	v_sub_f32_e32 v18, v20, v18
	s_delay_alu instid0(VALU_DEP_1) | instskip(NEXT) | instid1(VALU_DEP_1)
	v_dual_fmamk_f32 v16, v16, 0xb102e308, v21 :: v_dual_add_f32 v13, v13, v18
	v_add_f32_e32 v18, v22, v16
	s_delay_alu instid0(VALU_DEP_1) | instskip(NEXT) | instid1(VALU_DEP_1)
	v_sub_f32_e32 v22, v18, v22
	v_sub_f32_e32 v16, v16, v22
	s_delay_alu instid0(VALU_DEP_4) | instskip(NEXT) | instid1(VALU_DEP_1)
	v_add_f32_e32 v20, v19, v13
	v_sub_f32_e32 v19, v20, v19
	s_delay_alu instid0(VALU_DEP_1) | instskip(SKIP_1) | instid1(VALU_DEP_1)
	v_sub_f32_e32 v13, v13, v19
	v_add_f32_e32 v21, v18, v20
	v_sub_f32_e32 v23, v21, v18
	s_delay_alu instid0(VALU_DEP_1) | instskip(NEXT) | instid1(VALU_DEP_4)
	v_sub_f32_e32 v19, v20, v23
	v_add_f32_e32 v20, v16, v13
	v_sub_f32_e32 v24, v21, v23
	s_delay_alu instid0(VALU_DEP_1) | instskip(NEXT) | instid1(VALU_DEP_1)
	v_sub_f32_e32 v18, v18, v24
	v_dual_add_f32 v18, v19, v18 :: v_dual_sub_f32 v19, v20, v16
	s_delay_alu instid0(VALU_DEP_1) | instskip(SKIP_1) | instid1(VALU_DEP_2)
	v_dual_add_f32 v18, v20, v18 :: v_dual_sub_f32 v13, v13, v19
	v_sub_f32_e32 v20, v20, v19
	v_add_f32_e32 v22, v21, v18
	s_delay_alu instid0(VALU_DEP_1) | instskip(NEXT) | instid1(VALU_DEP_1)
	v_dual_sub_f32 v16, v16, v20 :: v_dual_sub_f32 v19, v22, v21
	v_dual_add_f32 v13, v13, v16 :: v_dual_sub_f32 v16, v18, v19
	s_delay_alu instid0(VALU_DEP_1) | instskip(NEXT) | instid1(VALU_DEP_1)
	v_add_f32_e32 v13, v13, v16
	v_add_f32_e32 v13, v22, v13
	s_wait_alu 0xf1ff
	s_delay_alu instid0(VALU_DEP_1) | instskip(SKIP_2) | instid1(VALU_DEP_1)
	v_cndmask_b32_e64 v13, 0x7f800000, v13, s0
	v_cmp_gt_f32_e64 s0, 0x33800000, |v8|
	s_wait_alu 0xf1ff
	v_cndmask_b32_e64 v8, v13, v8, s0
	s_delay_alu instid0(VALU_DEP_1) | instskip(NEXT) | instid1(VALU_DEP_1)
	v_add_f32_e32 v8, v15, v8
	v_cvt_f16_f32_e32 v18, v8
	s_delay_alu instid0(VALU_DEP_1)
	v_cvt_f32_f16_e32 v8, v18
	v_mov_b32_e32 v13, v18
.LBB373_116:
	s_wait_alu 0xfffe
	s_or_b32 exec_lo, exec_lo, s1
	v_max_num_f32_e32 v15, v4, v4
	v_max_num_f32_e32 v16, v8, v8
	v_cmp_u_f16_e64 s0, v18, v18
	s_delay_alu instid0(VALU_DEP_2) | instskip(SKIP_2) | instid1(VALU_DEP_2)
	v_min_num_f32_e32 v19, v16, v15
	v_max_num_f32_e32 v15, v16, v15
	s_wait_alu 0xf1ff
	v_cndmask_b32_e64 v16, v19, v8, s0
	s_delay_alu instid0(VALU_DEP_2) | instskip(NEXT) | instid1(VALU_DEP_2)
	v_cndmask_b32_e64 v15, v15, v8, s0
	v_cndmask_b32_e64 v16, v16, v4, s20
	s_delay_alu instid0(VALU_DEP_2) | instskip(SKIP_1) | instid1(VALU_DEP_3)
	v_cndmask_b32_e64 v15, v15, v4, s20
	v_mov_b32_e32 v4, v13
	v_cmp_class_f32_e64 s1, v16, 0x1f8
	s_delay_alu instid0(VALU_DEP_3)
	v_cmp_neq_f32_e64 s0, v16, v15
	s_or_b32 s0, s0, s1
	s_wait_alu 0xfffe
	s_and_saveexec_b32 s1, s0
	s_cbranch_execz .LBB373_118
; %bb.117:
	v_sub_f32_e32 v4, v16, v15
	s_delay_alu instid0(VALU_DEP_1) | instskip(SKIP_1) | instid1(VALU_DEP_2)
	v_mul_f32_e32 v8, 0x3fb8aa3b, v4
	v_cmp_ngt_f32_e64 s0, 0xc2ce8ed0, v4
	v_fma_f32 v16, 0x3fb8aa3b, v4, -v8
	v_rndne_f32_e32 v18, v8
	s_delay_alu instid0(VALU_DEP_2) | instskip(NEXT) | instid1(VALU_DEP_2)
	v_fmamk_f32 v16, v4, 0x32a5705f, v16
	v_sub_f32_e32 v8, v8, v18
	s_delay_alu instid0(VALU_DEP_1) | instskip(SKIP_1) | instid1(VALU_DEP_2)
	v_add_f32_e32 v8, v8, v16
	v_cvt_i32_f32_e32 v16, v18
	v_exp_f32_e32 v8, v8
	s_delay_alu instid0(TRANS32_DEP_1) | instskip(SKIP_1) | instid1(VALU_DEP_1)
	v_ldexp_f32 v8, v8, v16
	s_wait_alu 0xf1ff
	v_cndmask_b32_e64 v8, 0, v8, s0
	v_cmp_nlt_f32_e64 s0, 0x42b17218, v4
	s_wait_alu 0xf1ff
	s_delay_alu instid0(VALU_DEP_1) | instskip(NEXT) | instid1(VALU_DEP_1)
	v_cndmask_b32_e64 v4, 0x7f800000, v8, s0
	v_add_f32_e32 v8, 1.0, v4
	s_delay_alu instid0(VALU_DEP_1) | instskip(NEXT) | instid1(VALU_DEP_1)
	v_cvt_f64_f32_e32 v[18:19], v8
	v_frexp_exp_i32_f64_e32 v16, v[18:19]
	v_frexp_mant_f32_e32 v18, v8
	s_delay_alu instid0(VALU_DEP_1) | instskip(SKIP_1) | instid1(VALU_DEP_1)
	v_cmp_gt_f32_e64 s0, 0x3f2aaaab, v18
	v_add_f32_e32 v18, -1.0, v8
	v_sub_f32_e32 v20, v18, v8
	v_sub_f32_e32 v18, v4, v18
	s_delay_alu instid0(VALU_DEP_2) | instskip(NEXT) | instid1(VALU_DEP_1)
	v_add_f32_e32 v20, 1.0, v20
	v_add_f32_e32 v18, v18, v20
	s_wait_alu 0xf1ff
	v_subrev_co_ci_u32_e64 v16, null, 0, v16, s0
	s_mov_b32 s0, 0x3e9b6dac
	v_sub_nc_u32_e32 v19, 0, v16
	v_cvt_f32_i32_e32 v16, v16
	s_delay_alu instid0(VALU_DEP_2) | instskip(SKIP_1) | instid1(VALU_DEP_2)
	v_ldexp_f32 v8, v8, v19
	v_ldexp_f32 v18, v18, v19
	v_add_f32_e32 v21, 1.0, v8
	s_delay_alu instid0(VALU_DEP_1) | instskip(NEXT) | instid1(VALU_DEP_1)
	v_dual_add_f32 v19, -1.0, v8 :: v_dual_add_f32 v20, -1.0, v21
	v_add_f32_e32 v22, 1.0, v19
	s_delay_alu instid0(VALU_DEP_2) | instskip(NEXT) | instid1(VALU_DEP_2)
	v_sub_f32_e32 v20, v8, v20
	v_sub_f32_e32 v8, v8, v22
	s_delay_alu instid0(VALU_DEP_2) | instskip(NEXT) | instid1(VALU_DEP_2)
	v_add_f32_e32 v20, v18, v20
	v_add_f32_e32 v8, v18, v8
	s_delay_alu instid0(VALU_DEP_2) | instskip(NEXT) | instid1(VALU_DEP_2)
	v_add_f32_e32 v22, v21, v20
	v_add_f32_e32 v23, v19, v8
	s_delay_alu instid0(VALU_DEP_2) | instskip(SKIP_1) | instid1(VALU_DEP_1)
	v_rcp_f32_e32 v18, v22
	v_sub_f32_e32 v21, v21, v22
	v_dual_sub_f32 v19, v19, v23 :: v_dual_add_f32 v20, v20, v21
	s_delay_alu instid0(VALU_DEP_1) | instskip(NEXT) | instid1(TRANS32_DEP_1)
	v_add_f32_e32 v8, v8, v19
	v_mul_f32_e32 v24, v23, v18
	s_delay_alu instid0(VALU_DEP_1) | instskip(NEXT) | instid1(VALU_DEP_1)
	v_mul_f32_e32 v25, v22, v24
	v_fma_f32 v21, v24, v22, -v25
	s_delay_alu instid0(VALU_DEP_1) | instskip(NEXT) | instid1(VALU_DEP_1)
	v_fmac_f32_e32 v21, v24, v20
	v_add_f32_e32 v26, v25, v21
	s_delay_alu instid0(VALU_DEP_1) | instskip(SKIP_1) | instid1(VALU_DEP_2)
	v_sub_f32_e32 v27, v23, v26
	v_sub_f32_e32 v19, v26, v25
	;; [unrolled: 1-line block ×3, first 2 shown]
	s_delay_alu instid0(VALU_DEP_2) | instskip(NEXT) | instid1(VALU_DEP_2)
	v_sub_f32_e32 v19, v19, v21
	v_sub_f32_e32 v23, v23, v26
	s_delay_alu instid0(VALU_DEP_1) | instskip(NEXT) | instid1(VALU_DEP_1)
	v_add_f32_e32 v8, v8, v23
	v_add_f32_e32 v8, v19, v8
	s_delay_alu instid0(VALU_DEP_1) | instskip(NEXT) | instid1(VALU_DEP_1)
	v_add_f32_e32 v19, v27, v8
	v_mul_f32_e32 v21, v18, v19
	s_delay_alu instid0(VALU_DEP_1) | instskip(NEXT) | instid1(VALU_DEP_1)
	v_dual_sub_f32 v26, v27, v19 :: v_dual_mul_f32 v23, v22, v21
	v_add_f32_e32 v8, v8, v26
	s_delay_alu instid0(VALU_DEP_2) | instskip(NEXT) | instid1(VALU_DEP_1)
	v_fma_f32 v22, v21, v22, -v23
	v_fmac_f32_e32 v22, v21, v20
	s_delay_alu instid0(VALU_DEP_1) | instskip(NEXT) | instid1(VALU_DEP_1)
	v_add_f32_e32 v20, v23, v22
	v_sub_f32_e32 v25, v19, v20
	v_sub_f32_e32 v23, v20, v23
	s_delay_alu instid0(VALU_DEP_2) | instskip(NEXT) | instid1(VALU_DEP_1)
	v_sub_f32_e32 v19, v19, v25
	v_sub_f32_e32 v19, v19, v20
	s_delay_alu instid0(VALU_DEP_3) | instskip(NEXT) | instid1(VALU_DEP_2)
	v_sub_f32_e32 v20, v23, v22
	v_add_f32_e32 v8, v8, v19
	v_add_f32_e32 v19, v24, v21
	s_delay_alu instid0(VALU_DEP_2) | instskip(NEXT) | instid1(VALU_DEP_2)
	v_add_f32_e32 v8, v20, v8
	v_sub_f32_e32 v20, v19, v24
	s_delay_alu instid0(VALU_DEP_2) | instskip(NEXT) | instid1(VALU_DEP_2)
	v_add_f32_e32 v8, v25, v8
	v_sub_f32_e32 v20, v21, v20
	s_delay_alu instid0(VALU_DEP_2) | instskip(NEXT) | instid1(VALU_DEP_1)
	v_mul_f32_e32 v8, v18, v8
	v_add_f32_e32 v8, v20, v8
	s_delay_alu instid0(VALU_DEP_1) | instskip(NEXT) | instid1(VALU_DEP_1)
	v_add_f32_e32 v18, v19, v8
	v_mul_f32_e32 v20, v18, v18
	s_wait_alu 0xfffe
	s_delay_alu instid0(VALU_DEP_1) | instskip(SKIP_2) | instid1(VALU_DEP_3)
	v_fmaak_f32 v21, s0, v20, 0x3ecc95a3
	v_mul_f32_e32 v22, v18, v20
	v_cmp_neq_f32_e64 s0, 0x7f800000, v4
	v_fmaak_f32 v20, v20, v21, 0x3f2aaada
	v_ldexp_f32 v21, v18, 1
	v_sub_f32_e32 v18, v18, v19
	s_delay_alu instid0(VALU_DEP_3) | instskip(SKIP_1) | instid1(VALU_DEP_2)
	v_mul_f32_e32 v20, v22, v20
	v_mul_f32_e32 v22, 0x3f317218, v16
	v_dual_sub_f32 v8, v8, v18 :: v_dual_add_f32 v19, v21, v20
	s_delay_alu instid0(VALU_DEP_1) | instskip(NEXT) | instid1(VALU_DEP_2)
	v_ldexp_f32 v8, v8, 1
	v_sub_f32_e32 v18, v19, v21
	s_delay_alu instid0(VALU_DEP_4) | instskip(NEXT) | instid1(VALU_DEP_2)
	v_fma_f32 v21, 0x3f317218, v16, -v22
	v_sub_f32_e32 v18, v20, v18
	s_delay_alu instid0(VALU_DEP_2) | instskip(NEXT) | instid1(VALU_DEP_2)
	v_fmamk_f32 v16, v16, 0xb102e308, v21
	v_add_f32_e32 v8, v8, v18
	s_delay_alu instid0(VALU_DEP_2) | instskip(NEXT) | instid1(VALU_DEP_2)
	v_add_f32_e32 v18, v22, v16
	v_add_f32_e32 v20, v19, v8
	s_delay_alu instid0(VALU_DEP_2) | instskip(NEXT) | instid1(VALU_DEP_2)
	v_sub_f32_e32 v22, v18, v22
	v_add_f32_e32 v21, v18, v20
	v_sub_f32_e32 v19, v20, v19
	s_delay_alu instid0(VALU_DEP_3) | instskip(NEXT) | instid1(VALU_DEP_2)
	v_sub_f32_e32 v16, v16, v22
	v_dual_sub_f32 v23, v21, v18 :: v_dual_sub_f32 v8, v8, v19
	s_delay_alu instid0(VALU_DEP_1) | instskip(SKIP_1) | instid1(VALU_DEP_3)
	v_sub_f32_e32 v24, v21, v23
	v_sub_f32_e32 v19, v20, v23
	v_add_f32_e32 v20, v16, v8
	s_delay_alu instid0(VALU_DEP_3) | instskip(NEXT) | instid1(VALU_DEP_1)
	v_sub_f32_e32 v18, v18, v24
	v_dual_add_f32 v18, v19, v18 :: v_dual_sub_f32 v19, v20, v16
	s_delay_alu instid0(VALU_DEP_1) | instskip(NEXT) | instid1(VALU_DEP_2)
	v_add_f32_e32 v18, v20, v18
	v_sub_f32_e32 v20, v20, v19
	v_sub_f32_e32 v8, v8, v19
	s_delay_alu instid0(VALU_DEP_3) | instskip(NEXT) | instid1(VALU_DEP_1)
	v_add_f32_e32 v22, v21, v18
	v_dual_sub_f32 v16, v16, v20 :: v_dual_sub_f32 v19, v22, v21
	s_delay_alu instid0(VALU_DEP_1) | instskip(NEXT) | instid1(VALU_DEP_2)
	v_add_f32_e32 v8, v8, v16
	v_sub_f32_e32 v16, v18, v19
	s_delay_alu instid0(VALU_DEP_1) | instskip(NEXT) | instid1(VALU_DEP_1)
	v_add_f32_e32 v8, v8, v16
	v_add_f32_e32 v8, v22, v8
	s_wait_alu 0xf1ff
	s_delay_alu instid0(VALU_DEP_1) | instskip(SKIP_2) | instid1(VALU_DEP_1)
	v_cndmask_b32_e64 v8, 0x7f800000, v8, s0
	v_cmp_gt_f32_e64 s0, 0x33800000, |v4|
	s_wait_alu 0xf1ff
	v_cndmask_b32_e64 v4, v8, v4, s0
	s_delay_alu instid0(VALU_DEP_1) | instskip(NEXT) | instid1(VALU_DEP_1)
	v_add_f32_e32 v4, v15, v4
	v_cvt_f16_f32_e32 v18, v4
	s_delay_alu instid0(VALU_DEP_1)
	v_cvt_f32_f16_e32 v8, v18
	v_mov_b32_e32 v4, v18
.LBB373_118:
	s_wait_alu 0xfffe
	s_or_b32 exec_lo, exec_lo, s1
	s_delay_alu instid0(VALU_DEP_2) | instskip(SKIP_1) | instid1(VALU_DEP_2)
	v_dual_max_num_f32 v15, v14, v14 :: v_dual_max_num_f32 v16, v8, v8
	v_cmp_u_f16_e64 s0, v18, v18
	v_min_num_f32_e32 v19, v16, v15
	v_max_num_f32_e32 v15, v16, v15
	s_wait_alu 0xf1ff
	s_delay_alu instid0(VALU_DEP_2) | instskip(NEXT) | instid1(VALU_DEP_2)
	v_cndmask_b32_e64 v16, v19, v8, s0
	v_cndmask_b32_e64 v15, v15, v8, s0
	s_delay_alu instid0(VALU_DEP_2) | instskip(NEXT) | instid1(VALU_DEP_2)
	v_cndmask_b32_e64 v16, v16, v14, s21
	v_cndmask_b32_e64 v15, v15, v14, s21
	v_mov_b32_e32 v14, v4
	s_delay_alu instid0(VALU_DEP_3) | instskip(NEXT) | instid1(VALU_DEP_3)
	v_cmp_class_f32_e64 s1, v16, 0x1f8
	v_cmp_neq_f32_e64 s0, v16, v15
	s_or_b32 s0, s0, s1
	s_wait_alu 0xfffe
	s_and_saveexec_b32 s1, s0
	s_cbranch_execz .LBB373_120
; %bb.119:
	v_sub_f32_e32 v8, v16, v15
	s_delay_alu instid0(VALU_DEP_1) | instskip(SKIP_1) | instid1(VALU_DEP_2)
	v_mul_f32_e32 v14, 0x3fb8aa3b, v8
	v_cmp_ngt_f32_e64 s0, 0xc2ce8ed0, v8
	v_fma_f32 v16, 0x3fb8aa3b, v8, -v14
	v_rndne_f32_e32 v18, v14
	s_delay_alu instid0(VALU_DEP_2) | instskip(NEXT) | instid1(VALU_DEP_2)
	v_fmamk_f32 v16, v8, 0x32a5705f, v16
	v_sub_f32_e32 v14, v14, v18
	s_delay_alu instid0(VALU_DEP_1) | instskip(SKIP_1) | instid1(VALU_DEP_2)
	v_add_f32_e32 v14, v14, v16
	v_cvt_i32_f32_e32 v16, v18
	v_exp_f32_e32 v14, v14
	s_delay_alu instid0(TRANS32_DEP_1) | instskip(SKIP_1) | instid1(VALU_DEP_1)
	v_ldexp_f32 v14, v14, v16
	s_wait_alu 0xf1ff
	v_cndmask_b32_e64 v14, 0, v14, s0
	v_cmp_nlt_f32_e64 s0, 0x42b17218, v8
	s_wait_alu 0xf1ff
	s_delay_alu instid0(VALU_DEP_1) | instskip(NEXT) | instid1(VALU_DEP_1)
	v_cndmask_b32_e64 v8, 0x7f800000, v14, s0
	v_add_f32_e32 v14, 1.0, v8
	s_delay_alu instid0(VALU_DEP_1) | instskip(NEXT) | instid1(VALU_DEP_1)
	v_cvt_f64_f32_e32 v[18:19], v14
	v_frexp_exp_i32_f64_e32 v16, v[18:19]
	v_frexp_mant_f32_e32 v18, v14
	s_delay_alu instid0(VALU_DEP_1) | instskip(SKIP_1) | instid1(VALU_DEP_1)
	v_cmp_gt_f32_e64 s0, 0x3f2aaaab, v18
	v_add_f32_e32 v18, -1.0, v14
	v_sub_f32_e32 v20, v18, v14
	v_sub_f32_e32 v18, v8, v18
	s_delay_alu instid0(VALU_DEP_2) | instskip(NEXT) | instid1(VALU_DEP_1)
	v_add_f32_e32 v20, 1.0, v20
	v_add_f32_e32 v18, v18, v20
	s_wait_alu 0xf1ff
	v_subrev_co_ci_u32_e64 v16, null, 0, v16, s0
	s_mov_b32 s0, 0x3e9b6dac
	v_sub_nc_u32_e32 v19, 0, v16
	v_cvt_f32_i32_e32 v16, v16
	s_delay_alu instid0(VALU_DEP_2) | instskip(SKIP_1) | instid1(VALU_DEP_2)
	v_ldexp_f32 v14, v14, v19
	v_ldexp_f32 v18, v18, v19
	v_add_f32_e32 v21, 1.0, v14
	s_delay_alu instid0(VALU_DEP_1) | instskip(NEXT) | instid1(VALU_DEP_1)
	v_dual_add_f32 v19, -1.0, v14 :: v_dual_add_f32 v20, -1.0, v21
	v_add_f32_e32 v22, 1.0, v19
	s_delay_alu instid0(VALU_DEP_2) | instskip(NEXT) | instid1(VALU_DEP_2)
	v_sub_f32_e32 v20, v14, v20
	v_sub_f32_e32 v14, v14, v22
	s_delay_alu instid0(VALU_DEP_2) | instskip(NEXT) | instid1(VALU_DEP_2)
	v_add_f32_e32 v20, v18, v20
	v_add_f32_e32 v14, v18, v14
	s_delay_alu instid0(VALU_DEP_1) | instskip(NEXT) | instid1(VALU_DEP_1)
	v_dual_add_f32 v22, v21, v20 :: v_dual_add_f32 v23, v19, v14
	v_rcp_f32_e32 v18, v22
	v_sub_f32_e32 v21, v21, v22
	s_delay_alu instid0(VALU_DEP_1) | instskip(NEXT) | instid1(TRANS32_DEP_1)
	v_dual_sub_f32 v19, v19, v23 :: v_dual_add_f32 v20, v20, v21
	v_mul_f32_e32 v24, v23, v18
	s_delay_alu instid0(VALU_DEP_2) | instskip(NEXT) | instid1(VALU_DEP_2)
	v_add_f32_e32 v14, v14, v19
	v_mul_f32_e32 v25, v22, v24
	s_delay_alu instid0(VALU_DEP_1) | instskip(NEXT) | instid1(VALU_DEP_1)
	v_fma_f32 v21, v24, v22, -v25
	v_fmac_f32_e32 v21, v24, v20
	s_delay_alu instid0(VALU_DEP_1) | instskip(NEXT) | instid1(VALU_DEP_1)
	v_add_f32_e32 v26, v25, v21
	v_sub_f32_e32 v27, v23, v26
	v_sub_f32_e32 v19, v26, v25
	s_delay_alu instid0(VALU_DEP_2) | instskip(NEXT) | instid1(VALU_DEP_2)
	v_sub_f32_e32 v23, v23, v27
	v_sub_f32_e32 v19, v19, v21
	s_delay_alu instid0(VALU_DEP_2) | instskip(NEXT) | instid1(VALU_DEP_1)
	v_sub_f32_e32 v23, v23, v26
	v_add_f32_e32 v14, v14, v23
	s_delay_alu instid0(VALU_DEP_1) | instskip(NEXT) | instid1(VALU_DEP_1)
	v_add_f32_e32 v14, v19, v14
	v_add_f32_e32 v19, v27, v14
	s_delay_alu instid0(VALU_DEP_1) | instskip(NEXT) | instid1(VALU_DEP_1)
	v_mul_f32_e32 v21, v18, v19
	v_dual_sub_f32 v26, v27, v19 :: v_dual_mul_f32 v23, v22, v21
	s_delay_alu instid0(VALU_DEP_1) | instskip(NEXT) | instid1(VALU_DEP_2)
	v_add_f32_e32 v14, v14, v26
	v_fma_f32 v22, v21, v22, -v23
	s_delay_alu instid0(VALU_DEP_1) | instskip(NEXT) | instid1(VALU_DEP_1)
	v_fmac_f32_e32 v22, v21, v20
	v_add_f32_e32 v20, v23, v22
	s_delay_alu instid0(VALU_DEP_1) | instskip(SKIP_1) | instid1(VALU_DEP_2)
	v_sub_f32_e32 v25, v19, v20
	v_sub_f32_e32 v23, v20, v23
	;; [unrolled: 1-line block ×3, first 2 shown]
	s_delay_alu instid0(VALU_DEP_1) | instskip(NEXT) | instid1(VALU_DEP_3)
	v_sub_f32_e32 v19, v19, v20
	v_sub_f32_e32 v20, v23, v22
	s_delay_alu instid0(VALU_DEP_2) | instskip(NEXT) | instid1(VALU_DEP_1)
	v_dual_add_f32 v14, v14, v19 :: v_dual_add_f32 v19, v24, v21
	v_add_f32_e32 v14, v20, v14
	s_delay_alu instid0(VALU_DEP_2) | instskip(NEXT) | instid1(VALU_DEP_2)
	v_sub_f32_e32 v20, v19, v24
	v_add_f32_e32 v14, v25, v14
	s_delay_alu instid0(VALU_DEP_2) | instskip(NEXT) | instid1(VALU_DEP_2)
	v_sub_f32_e32 v20, v21, v20
	v_mul_f32_e32 v14, v18, v14
	s_delay_alu instid0(VALU_DEP_1) | instskip(NEXT) | instid1(VALU_DEP_1)
	v_add_f32_e32 v14, v20, v14
	v_add_f32_e32 v18, v19, v14
	s_delay_alu instid0(VALU_DEP_1) | instskip(SKIP_1) | instid1(VALU_DEP_1)
	v_mul_f32_e32 v20, v18, v18
	s_wait_alu 0xfffe
	v_fmaak_f32 v21, s0, v20, 0x3ecc95a3
	v_mul_f32_e32 v22, v18, v20
	v_cmp_neq_f32_e64 s0, 0x7f800000, v8
	s_delay_alu instid0(VALU_DEP_3) | instskip(SKIP_2) | instid1(VALU_DEP_3)
	v_fmaak_f32 v20, v20, v21, 0x3f2aaada
	v_ldexp_f32 v21, v18, 1
	v_sub_f32_e32 v18, v18, v19
	v_mul_f32_e32 v20, v22, v20
	v_mul_f32_e32 v22, 0x3f317218, v16
	s_delay_alu instid0(VALU_DEP_2) | instskip(NEXT) | instid1(VALU_DEP_1)
	v_dual_sub_f32 v14, v14, v18 :: v_dual_add_f32 v19, v21, v20
	v_ldexp_f32 v14, v14, 1
	s_delay_alu instid0(VALU_DEP_2) | instskip(NEXT) | instid1(VALU_DEP_4)
	v_sub_f32_e32 v18, v19, v21
	v_fma_f32 v21, 0x3f317218, v16, -v22
	s_delay_alu instid0(VALU_DEP_2) | instskip(NEXT) | instid1(VALU_DEP_2)
	v_sub_f32_e32 v18, v20, v18
	v_fmamk_f32 v16, v16, 0xb102e308, v21
	s_delay_alu instid0(VALU_DEP_2) | instskip(NEXT) | instid1(VALU_DEP_2)
	v_add_f32_e32 v14, v14, v18
	v_add_f32_e32 v18, v22, v16
	s_delay_alu instid0(VALU_DEP_2) | instskip(NEXT) | instid1(VALU_DEP_2)
	v_add_f32_e32 v20, v19, v14
	v_sub_f32_e32 v22, v18, v22
	s_delay_alu instid0(VALU_DEP_2) | instskip(SKIP_1) | instid1(VALU_DEP_3)
	v_add_f32_e32 v21, v18, v20
	v_sub_f32_e32 v19, v20, v19
	v_sub_f32_e32 v16, v16, v22
	s_delay_alu instid0(VALU_DEP_2) | instskip(NEXT) | instid1(VALU_DEP_1)
	v_dual_sub_f32 v23, v21, v18 :: v_dual_sub_f32 v14, v14, v19
	v_sub_f32_e32 v24, v21, v23
	v_sub_f32_e32 v19, v20, v23
	s_delay_alu instid0(VALU_DEP_3) | instskip(NEXT) | instid1(VALU_DEP_3)
	v_add_f32_e32 v20, v16, v14
	v_sub_f32_e32 v18, v18, v24
	s_delay_alu instid0(VALU_DEP_1) | instskip(NEXT) | instid1(VALU_DEP_1)
	v_dual_add_f32 v18, v19, v18 :: v_dual_sub_f32 v19, v20, v16
	v_add_f32_e32 v18, v20, v18
	s_delay_alu instid0(VALU_DEP_2) | instskip(SKIP_1) | instid1(VALU_DEP_3)
	v_sub_f32_e32 v20, v20, v19
	v_sub_f32_e32 v14, v14, v19
	v_add_f32_e32 v22, v21, v18
	s_delay_alu instid0(VALU_DEP_1) | instskip(NEXT) | instid1(VALU_DEP_1)
	v_dual_sub_f32 v16, v16, v20 :: v_dual_sub_f32 v19, v22, v21
	v_add_f32_e32 v14, v14, v16
	s_delay_alu instid0(VALU_DEP_2) | instskip(NEXT) | instid1(VALU_DEP_1)
	v_sub_f32_e32 v16, v18, v19
	v_add_f32_e32 v14, v14, v16
	s_delay_alu instid0(VALU_DEP_1) | instskip(SKIP_1) | instid1(VALU_DEP_1)
	v_add_f32_e32 v14, v22, v14
	s_wait_alu 0xf1ff
	v_cndmask_b32_e64 v14, 0x7f800000, v14, s0
	v_cmp_gt_f32_e64 s0, 0x33800000, |v8|
	s_wait_alu 0xf1ff
	s_delay_alu instid0(VALU_DEP_1) | instskip(NEXT) | instid1(VALU_DEP_1)
	v_cndmask_b32_e64 v8, v14, v8, s0
	v_add_f32_e32 v8, v15, v8
	s_delay_alu instid0(VALU_DEP_1) | instskip(NEXT) | instid1(VALU_DEP_1)
	v_cvt_f16_f32_e32 v18, v8
	v_cvt_f32_f16_e32 v8, v18
	v_mov_b32_e32 v14, v18
.LBB373_120:
	s_wait_alu 0xfffe
	s_or_b32 exec_lo, exec_lo, s1
	s_delay_alu instid0(VALU_DEP_2) | instskip(SKIP_1) | instid1(VALU_DEP_2)
	v_dual_max_num_f32 v15, v5, v5 :: v_dual_max_num_f32 v16, v8, v8
	v_cmp_u_f16_e64 s0, v18, v18
	v_min_num_f32_e32 v19, v16, v15
	v_max_num_f32_e32 v15, v16, v15
	s_wait_alu 0xf1ff
	s_delay_alu instid0(VALU_DEP_2) | instskip(NEXT) | instid1(VALU_DEP_2)
	v_cndmask_b32_e64 v16, v19, v8, s0
	v_cndmask_b32_e64 v15, v15, v8, s0
	s_delay_alu instid0(VALU_DEP_2) | instskip(NEXT) | instid1(VALU_DEP_2)
	v_cndmask_b32_e64 v16, v16, v5, s22
	v_cndmask_b32_e64 v15, v15, v5, s22
	v_mov_b32_e32 v5, v14
	s_delay_alu instid0(VALU_DEP_3) | instskip(NEXT) | instid1(VALU_DEP_3)
	v_cmp_class_f32_e64 s1, v16, 0x1f8
	v_cmp_neq_f32_e64 s0, v16, v15
	s_or_b32 s0, s0, s1
	s_wait_alu 0xfffe
	s_and_saveexec_b32 s1, s0
	s_cbranch_execz .LBB373_122
; %bb.121:
	v_sub_f32_e32 v5, v16, v15
	s_delay_alu instid0(VALU_DEP_1) | instskip(SKIP_1) | instid1(VALU_DEP_2)
	v_mul_f32_e32 v8, 0x3fb8aa3b, v5
	v_cmp_ngt_f32_e64 s0, 0xc2ce8ed0, v5
	v_fma_f32 v16, 0x3fb8aa3b, v5, -v8
	v_rndne_f32_e32 v18, v8
	s_delay_alu instid0(VALU_DEP_2) | instskip(NEXT) | instid1(VALU_DEP_2)
	v_fmamk_f32 v16, v5, 0x32a5705f, v16
	v_sub_f32_e32 v8, v8, v18
	s_delay_alu instid0(VALU_DEP_1) | instskip(SKIP_1) | instid1(VALU_DEP_2)
	v_add_f32_e32 v8, v8, v16
	v_cvt_i32_f32_e32 v16, v18
	v_exp_f32_e32 v8, v8
	s_delay_alu instid0(TRANS32_DEP_1) | instskip(SKIP_1) | instid1(VALU_DEP_1)
	v_ldexp_f32 v8, v8, v16
	s_wait_alu 0xf1ff
	v_cndmask_b32_e64 v8, 0, v8, s0
	v_cmp_nlt_f32_e64 s0, 0x42b17218, v5
	s_wait_alu 0xf1ff
	s_delay_alu instid0(VALU_DEP_1) | instskip(NEXT) | instid1(VALU_DEP_1)
	v_cndmask_b32_e64 v5, 0x7f800000, v8, s0
	v_add_f32_e32 v8, 1.0, v5
	s_delay_alu instid0(VALU_DEP_1) | instskip(NEXT) | instid1(VALU_DEP_1)
	v_cvt_f64_f32_e32 v[18:19], v8
	v_frexp_exp_i32_f64_e32 v16, v[18:19]
	v_frexp_mant_f32_e32 v18, v8
	s_delay_alu instid0(VALU_DEP_1) | instskip(SKIP_1) | instid1(VALU_DEP_1)
	v_cmp_gt_f32_e64 s0, 0x3f2aaaab, v18
	v_add_f32_e32 v18, -1.0, v8
	v_sub_f32_e32 v20, v18, v8
	s_delay_alu instid0(VALU_DEP_1)
	v_add_f32_e32 v20, 1.0, v20
	s_wait_alu 0xf1ff
	v_subrev_co_ci_u32_e64 v16, null, 0, v16, s0
	s_mov_b32 s0, 0x3e9b6dac
	v_sub_nc_u32_e32 v19, 0, v16
	v_cvt_f32_i32_e32 v16, v16
	s_delay_alu instid0(VALU_DEP_2) | instskip(NEXT) | instid1(VALU_DEP_1)
	v_ldexp_f32 v8, v8, v19
	v_dual_sub_f32 v18, v5, v18 :: v_dual_add_f32 v21, 1.0, v8
	s_delay_alu instid0(VALU_DEP_1) | instskip(NEXT) | instid1(VALU_DEP_1)
	v_add_f32_e32 v18, v18, v20
	v_ldexp_f32 v18, v18, v19
	s_delay_alu instid0(VALU_DEP_3) | instskip(NEXT) | instid1(VALU_DEP_1)
	v_dual_add_f32 v19, -1.0, v8 :: v_dual_add_f32 v20, -1.0, v21
	v_add_f32_e32 v22, 1.0, v19
	s_delay_alu instid0(VALU_DEP_2) | instskip(NEXT) | instid1(VALU_DEP_2)
	v_sub_f32_e32 v20, v8, v20
	v_sub_f32_e32 v8, v8, v22
	s_delay_alu instid0(VALU_DEP_2) | instskip(NEXT) | instid1(VALU_DEP_2)
	v_add_f32_e32 v20, v18, v20
	v_add_f32_e32 v8, v18, v8
	s_delay_alu instid0(VALU_DEP_2) | instskip(NEXT) | instid1(VALU_DEP_2)
	v_add_f32_e32 v22, v21, v20
	v_add_f32_e32 v23, v19, v8
	s_delay_alu instid0(VALU_DEP_2) | instskip(SKIP_1) | instid1(VALU_DEP_1)
	v_rcp_f32_e32 v18, v22
	v_sub_f32_e32 v21, v21, v22
	v_dual_sub_f32 v19, v19, v23 :: v_dual_add_f32 v20, v20, v21
	s_delay_alu instid0(VALU_DEP_1) | instskip(NEXT) | instid1(TRANS32_DEP_1)
	v_add_f32_e32 v8, v8, v19
	v_mul_f32_e32 v24, v23, v18
	s_delay_alu instid0(VALU_DEP_1) | instskip(NEXT) | instid1(VALU_DEP_1)
	v_mul_f32_e32 v25, v22, v24
	v_fma_f32 v21, v24, v22, -v25
	s_delay_alu instid0(VALU_DEP_1) | instskip(NEXT) | instid1(VALU_DEP_1)
	v_fmac_f32_e32 v21, v24, v20
	v_add_f32_e32 v26, v25, v21
	s_delay_alu instid0(VALU_DEP_1) | instskip(SKIP_1) | instid1(VALU_DEP_2)
	v_sub_f32_e32 v27, v23, v26
	v_sub_f32_e32 v19, v26, v25
	;; [unrolled: 1-line block ×3, first 2 shown]
	s_delay_alu instid0(VALU_DEP_2) | instskip(NEXT) | instid1(VALU_DEP_2)
	v_sub_f32_e32 v19, v19, v21
	v_sub_f32_e32 v23, v23, v26
	s_delay_alu instid0(VALU_DEP_1) | instskip(NEXT) | instid1(VALU_DEP_1)
	v_add_f32_e32 v8, v8, v23
	v_add_f32_e32 v8, v19, v8
	s_delay_alu instid0(VALU_DEP_1) | instskip(NEXT) | instid1(VALU_DEP_1)
	v_add_f32_e32 v19, v27, v8
	v_mul_f32_e32 v21, v18, v19
	s_delay_alu instid0(VALU_DEP_1) | instskip(NEXT) | instid1(VALU_DEP_1)
	v_dual_sub_f32 v26, v27, v19 :: v_dual_mul_f32 v23, v22, v21
	v_add_f32_e32 v8, v8, v26
	s_delay_alu instid0(VALU_DEP_2) | instskip(NEXT) | instid1(VALU_DEP_1)
	v_fma_f32 v22, v21, v22, -v23
	v_fmac_f32_e32 v22, v21, v20
	s_delay_alu instid0(VALU_DEP_1) | instskip(NEXT) | instid1(VALU_DEP_1)
	v_add_f32_e32 v20, v23, v22
	v_sub_f32_e32 v25, v19, v20
	v_sub_f32_e32 v23, v20, v23
	s_delay_alu instid0(VALU_DEP_2) | instskip(NEXT) | instid1(VALU_DEP_1)
	v_sub_f32_e32 v19, v19, v25
	v_sub_f32_e32 v19, v19, v20
	s_delay_alu instid0(VALU_DEP_3) | instskip(NEXT) | instid1(VALU_DEP_2)
	v_sub_f32_e32 v20, v23, v22
	v_add_f32_e32 v8, v8, v19
	v_add_f32_e32 v19, v24, v21
	s_delay_alu instid0(VALU_DEP_2) | instskip(NEXT) | instid1(VALU_DEP_2)
	v_add_f32_e32 v8, v20, v8
	v_sub_f32_e32 v20, v19, v24
	s_delay_alu instid0(VALU_DEP_2) | instskip(NEXT) | instid1(VALU_DEP_2)
	v_add_f32_e32 v8, v25, v8
	v_sub_f32_e32 v20, v21, v20
	s_delay_alu instid0(VALU_DEP_2) | instskip(NEXT) | instid1(VALU_DEP_1)
	v_mul_f32_e32 v8, v18, v8
	v_add_f32_e32 v8, v20, v8
	s_delay_alu instid0(VALU_DEP_1) | instskip(NEXT) | instid1(VALU_DEP_1)
	v_add_f32_e32 v18, v19, v8
	v_mul_f32_e32 v20, v18, v18
	s_wait_alu 0xfffe
	s_delay_alu instid0(VALU_DEP_1) | instskip(SKIP_2) | instid1(VALU_DEP_3)
	v_fmaak_f32 v21, s0, v20, 0x3ecc95a3
	v_mul_f32_e32 v22, v18, v20
	v_cmp_neq_f32_e64 s0, 0x7f800000, v5
	v_fmaak_f32 v20, v20, v21, 0x3f2aaada
	v_ldexp_f32 v21, v18, 1
	v_sub_f32_e32 v18, v18, v19
	s_delay_alu instid0(VALU_DEP_3) | instskip(SKIP_1) | instid1(VALU_DEP_2)
	v_mul_f32_e32 v20, v22, v20
	v_mul_f32_e32 v22, 0x3f317218, v16
	v_dual_sub_f32 v8, v8, v18 :: v_dual_add_f32 v19, v21, v20
	s_delay_alu instid0(VALU_DEP_1) | instskip(NEXT) | instid1(VALU_DEP_2)
	v_ldexp_f32 v8, v8, 1
	v_sub_f32_e32 v18, v19, v21
	s_delay_alu instid0(VALU_DEP_4) | instskip(NEXT) | instid1(VALU_DEP_2)
	v_fma_f32 v21, 0x3f317218, v16, -v22
	v_sub_f32_e32 v18, v20, v18
	s_delay_alu instid0(VALU_DEP_2) | instskip(NEXT) | instid1(VALU_DEP_2)
	v_fmamk_f32 v16, v16, 0xb102e308, v21
	v_add_f32_e32 v8, v8, v18
	s_delay_alu instid0(VALU_DEP_2) | instskip(NEXT) | instid1(VALU_DEP_2)
	v_add_f32_e32 v18, v22, v16
	v_add_f32_e32 v20, v19, v8
	s_delay_alu instid0(VALU_DEP_2) | instskip(NEXT) | instid1(VALU_DEP_2)
	v_sub_f32_e32 v22, v18, v22
	v_add_f32_e32 v21, v18, v20
	v_sub_f32_e32 v19, v20, v19
	s_delay_alu instid0(VALU_DEP_3) | instskip(NEXT) | instid1(VALU_DEP_2)
	v_sub_f32_e32 v16, v16, v22
	v_dual_sub_f32 v23, v21, v18 :: v_dual_sub_f32 v8, v8, v19
	s_delay_alu instid0(VALU_DEP_1) | instskip(SKIP_1) | instid1(VALU_DEP_3)
	v_sub_f32_e32 v24, v21, v23
	v_sub_f32_e32 v19, v20, v23
	v_add_f32_e32 v20, v16, v8
	s_delay_alu instid0(VALU_DEP_3) | instskip(NEXT) | instid1(VALU_DEP_1)
	v_sub_f32_e32 v18, v18, v24
	v_dual_add_f32 v18, v19, v18 :: v_dual_sub_f32 v19, v20, v16
	s_delay_alu instid0(VALU_DEP_1) | instskip(NEXT) | instid1(VALU_DEP_2)
	v_add_f32_e32 v18, v20, v18
	v_sub_f32_e32 v20, v20, v19
	v_sub_f32_e32 v8, v8, v19
	s_delay_alu instid0(VALU_DEP_3) | instskip(NEXT) | instid1(VALU_DEP_1)
	v_add_f32_e32 v22, v21, v18
	v_dual_sub_f32 v16, v16, v20 :: v_dual_sub_f32 v19, v22, v21
	s_delay_alu instid0(VALU_DEP_1) | instskip(NEXT) | instid1(VALU_DEP_2)
	v_add_f32_e32 v8, v8, v16
	v_sub_f32_e32 v16, v18, v19
	s_delay_alu instid0(VALU_DEP_1) | instskip(NEXT) | instid1(VALU_DEP_1)
	v_add_f32_e32 v8, v8, v16
	v_add_f32_e32 v8, v22, v8
	s_wait_alu 0xf1ff
	s_delay_alu instid0(VALU_DEP_1) | instskip(SKIP_2) | instid1(VALU_DEP_1)
	v_cndmask_b32_e64 v8, 0x7f800000, v8, s0
	v_cmp_gt_f32_e64 s0, 0x33800000, |v5|
	s_wait_alu 0xf1ff
	v_cndmask_b32_e64 v5, v8, v5, s0
	s_delay_alu instid0(VALU_DEP_1) | instskip(NEXT) | instid1(VALU_DEP_1)
	v_add_f32_e32 v5, v15, v5
	v_cvt_f16_f32_e32 v18, v5
	s_delay_alu instid0(VALU_DEP_1)
	v_cvt_f32_f16_e32 v8, v18
	v_mov_b32_e32 v5, v18
.LBB373_122:
	s_wait_alu 0xfffe
	s_or_b32 exec_lo, exec_lo, s1
	s_delay_alu instid0(VALU_DEP_2) | instskip(SKIP_1) | instid1(VALU_DEP_2)
	v_dual_max_num_f32 v15, v6, v6 :: v_dual_max_num_f32 v16, v8, v8
	v_cmp_u_f16_e64 s0, v18, v18
	v_min_num_f32_e32 v19, v16, v15
	v_max_num_f32_e32 v15, v16, v15
	s_wait_alu 0xf1ff
	s_delay_alu instid0(VALU_DEP_2) | instskip(NEXT) | instid1(VALU_DEP_2)
	v_cndmask_b32_e64 v16, v19, v8, s0
	v_cndmask_b32_e64 v8, v15, v8, s0
	s_delay_alu instid0(VALU_DEP_2) | instskip(NEXT) | instid1(VALU_DEP_2)
	v_cndmask_b32_e64 v15, v16, v6, s23
	v_cndmask_b32_e64 v6, v8, v6, s23
	v_mov_b32_e32 v8, v5
	s_delay_alu instid0(VALU_DEP_3) | instskip(NEXT) | instid1(VALU_DEP_3)
	v_cmp_class_f32_e64 s1, v15, 0x1f8
	v_cmp_neq_f32_e64 s0, v15, v6
	s_or_b32 s0, s0, s1
	s_wait_alu 0xfffe
	s_and_saveexec_b32 s1, s0
	s_cbranch_execz .LBB373_124
; %bb.123:
	v_sub_f32_e32 v8, v15, v6
	s_delay_alu instid0(VALU_DEP_1) | instskip(SKIP_1) | instid1(VALU_DEP_2)
	v_mul_f32_e32 v15, 0x3fb8aa3b, v8
	v_cmp_ngt_f32_e64 s0, 0xc2ce8ed0, v8
	v_fma_f32 v16, 0x3fb8aa3b, v8, -v15
	v_rndne_f32_e32 v18, v15
	s_delay_alu instid0(VALU_DEP_1) | instskip(NEXT) | instid1(VALU_DEP_1)
	v_dual_fmamk_f32 v16, v8, 0x32a5705f, v16 :: v_dual_sub_f32 v15, v15, v18
	v_add_f32_e32 v15, v15, v16
	v_cvt_i32_f32_e32 v16, v18
	s_delay_alu instid0(VALU_DEP_2) | instskip(NEXT) | instid1(TRANS32_DEP_1)
	v_exp_f32_e32 v15, v15
	v_ldexp_f32 v15, v15, v16
	s_wait_alu 0xf1ff
	s_delay_alu instid0(VALU_DEP_1) | instskip(SKIP_2) | instid1(VALU_DEP_1)
	v_cndmask_b32_e64 v15, 0, v15, s0
	v_cmp_nlt_f32_e64 s0, 0x42b17218, v8
	s_wait_alu 0xf1ff
	v_cndmask_b32_e64 v8, 0x7f800000, v15, s0
	s_delay_alu instid0(VALU_DEP_1) | instskip(NEXT) | instid1(VALU_DEP_1)
	v_add_f32_e32 v18, 1.0, v8
	v_cvt_f64_f32_e32 v[15:16], v18
	s_delay_alu instid0(VALU_DEP_1) | instskip(SKIP_1) | instid1(VALU_DEP_1)
	v_frexp_exp_i32_f64_e32 v15, v[15:16]
	v_frexp_mant_f32_e32 v16, v18
	v_cmp_gt_f32_e64 s0, 0x3f2aaaab, v16
	v_add_f32_e32 v16, -1.0, v18
	s_delay_alu instid0(VALU_DEP_1) | instskip(SKIP_1) | instid1(VALU_DEP_3)
	v_sub_f32_e32 v20, v16, v18
	s_wait_alu 0xf1ff
	v_subrev_co_ci_u32_e64 v15, null, 0, v15, s0
	s_mov_b32 s0, 0x3e9b6dac
	v_sub_nc_u32_e32 v19, 0, v15
	v_cvt_f32_i32_e32 v15, v15
	s_delay_alu instid0(VALU_DEP_2) | instskip(SKIP_1) | instid1(VALU_DEP_2)
	v_ldexp_f32 v18, v18, v19
	v_sub_f32_e32 v16, v8, v16
	v_dual_add_f32 v20, 1.0, v20 :: v_dual_add_f32 v21, 1.0, v18
	s_delay_alu instid0(VALU_DEP_1) | instskip(NEXT) | instid1(VALU_DEP_1)
	v_add_f32_e32 v16, v16, v20
	v_ldexp_f32 v16, v16, v19
	s_delay_alu instid0(VALU_DEP_3) | instskip(NEXT) | instid1(VALU_DEP_1)
	v_dual_add_f32 v19, -1.0, v18 :: v_dual_add_f32 v20, -1.0, v21
	v_add_f32_e32 v22, 1.0, v19
	s_delay_alu instid0(VALU_DEP_2) | instskip(NEXT) | instid1(VALU_DEP_2)
	v_sub_f32_e32 v20, v18, v20
	v_sub_f32_e32 v18, v18, v22
	s_delay_alu instid0(VALU_DEP_2) | instskip(NEXT) | instid1(VALU_DEP_2)
	v_add_f32_e32 v20, v16, v20
	v_add_f32_e32 v16, v16, v18
	s_delay_alu instid0(VALU_DEP_2) | instskip(NEXT) | instid1(VALU_DEP_2)
	v_add_f32_e32 v22, v21, v20
	v_add_f32_e32 v23, v19, v16
	s_delay_alu instid0(VALU_DEP_2) | instskip(SKIP_1) | instid1(VALU_DEP_1)
	v_rcp_f32_e32 v18, v22
	v_sub_f32_e32 v21, v21, v22
	v_dual_sub_f32 v19, v19, v23 :: v_dual_add_f32 v20, v20, v21
	s_delay_alu instid0(VALU_DEP_1) | instskip(NEXT) | instid1(TRANS32_DEP_1)
	v_add_f32_e32 v16, v16, v19
	v_mul_f32_e32 v24, v23, v18
	s_delay_alu instid0(VALU_DEP_1) | instskip(NEXT) | instid1(VALU_DEP_1)
	v_mul_f32_e32 v25, v22, v24
	v_fma_f32 v21, v24, v22, -v25
	s_delay_alu instid0(VALU_DEP_1) | instskip(NEXT) | instid1(VALU_DEP_1)
	v_fmac_f32_e32 v21, v24, v20
	v_add_f32_e32 v26, v25, v21
	s_delay_alu instid0(VALU_DEP_1) | instskip(SKIP_1) | instid1(VALU_DEP_2)
	v_sub_f32_e32 v27, v23, v26
	v_sub_f32_e32 v19, v26, v25
	;; [unrolled: 1-line block ×3, first 2 shown]
	s_delay_alu instid0(VALU_DEP_2) | instskip(NEXT) | instid1(VALU_DEP_2)
	v_sub_f32_e32 v19, v19, v21
	v_sub_f32_e32 v23, v23, v26
	s_delay_alu instid0(VALU_DEP_1) | instskip(NEXT) | instid1(VALU_DEP_1)
	v_add_f32_e32 v16, v16, v23
	v_add_f32_e32 v16, v19, v16
	s_delay_alu instid0(VALU_DEP_1) | instskip(NEXT) | instid1(VALU_DEP_1)
	v_add_f32_e32 v19, v27, v16
	v_mul_f32_e32 v21, v18, v19
	s_delay_alu instid0(VALU_DEP_1) | instskip(NEXT) | instid1(VALU_DEP_1)
	v_dual_sub_f32 v26, v27, v19 :: v_dual_mul_f32 v23, v22, v21
	v_fma_f32 v22, v21, v22, -v23
	s_delay_alu instid0(VALU_DEP_1) | instskip(NEXT) | instid1(VALU_DEP_1)
	v_fmac_f32_e32 v22, v21, v20
	v_add_f32_e32 v20, v23, v22
	s_delay_alu instid0(VALU_DEP_1) | instskip(SKIP_1) | instid1(VALU_DEP_2)
	v_sub_f32_e32 v25, v19, v20
	v_sub_f32_e32 v23, v20, v23
	v_dual_sub_f32 v19, v19, v25 :: v_dual_add_f32 v16, v16, v26
	s_delay_alu instid0(VALU_DEP_1) | instskip(NEXT) | instid1(VALU_DEP_1)
	v_sub_f32_e32 v19, v19, v20
	v_add_f32_e32 v16, v16, v19
	s_delay_alu instid0(VALU_DEP_4) | instskip(NEXT) | instid1(VALU_DEP_1)
	v_dual_add_f32 v19, v24, v21 :: v_dual_sub_f32 v20, v23, v22
	v_add_f32_e32 v16, v20, v16
	s_delay_alu instid0(VALU_DEP_2) | instskip(NEXT) | instid1(VALU_DEP_2)
	v_sub_f32_e32 v20, v19, v24
	v_add_f32_e32 v16, v25, v16
	s_delay_alu instid0(VALU_DEP_2) | instskip(NEXT) | instid1(VALU_DEP_2)
	v_sub_f32_e32 v20, v21, v20
	v_mul_f32_e32 v16, v18, v16
	s_delay_alu instid0(VALU_DEP_1) | instskip(NEXT) | instid1(VALU_DEP_1)
	v_add_f32_e32 v16, v20, v16
	v_add_f32_e32 v18, v19, v16
	s_delay_alu instid0(VALU_DEP_1) | instskip(SKIP_1) | instid1(VALU_DEP_1)
	v_mul_f32_e32 v20, v18, v18
	s_wait_alu 0xfffe
	v_fmaak_f32 v21, s0, v20, 0x3ecc95a3
	v_mul_f32_e32 v22, v18, v20
	v_cmp_neq_f32_e64 s0, 0x7f800000, v8
	s_delay_alu instid0(VALU_DEP_3) | instskip(SKIP_2) | instid1(VALU_DEP_3)
	v_fmaak_f32 v20, v20, v21, 0x3f2aaada
	v_ldexp_f32 v21, v18, 1
	v_sub_f32_e32 v18, v18, v19
	v_mul_f32_e32 v20, v22, v20
	s_delay_alu instid0(VALU_DEP_1) | instskip(NEXT) | instid1(VALU_DEP_1)
	v_dual_sub_f32 v16, v16, v18 :: v_dual_add_f32 v19, v21, v20
	v_ldexp_f32 v16, v16, 1
	s_delay_alu instid0(VALU_DEP_2) | instskip(NEXT) | instid1(VALU_DEP_1)
	v_sub_f32_e32 v18, v19, v21
	v_sub_f32_e32 v18, v20, v18
	s_delay_alu instid0(VALU_DEP_1) | instskip(NEXT) | instid1(VALU_DEP_1)
	v_add_f32_e32 v16, v16, v18
	v_add_f32_e32 v20, v19, v16
	v_mul_f32_e32 v22, 0x3f317218, v15
	s_delay_alu instid0(VALU_DEP_2) | instskip(NEXT) | instid1(VALU_DEP_2)
	v_sub_f32_e32 v19, v20, v19
	v_fma_f32 v21, 0x3f317218, v15, -v22
	s_delay_alu instid0(VALU_DEP_1) | instskip(NEXT) | instid1(VALU_DEP_1)
	v_dual_sub_f32 v16, v16, v19 :: v_dual_fmamk_f32 v15, v15, 0xb102e308, v21
	v_add_f32_e32 v18, v22, v15
	s_delay_alu instid0(VALU_DEP_1) | instskip(SKIP_1) | instid1(VALU_DEP_2)
	v_add_f32_e32 v21, v18, v20
	v_sub_f32_e32 v22, v18, v22
	v_sub_f32_e32 v23, v21, v18
	s_delay_alu instid0(VALU_DEP_1) | instskip(NEXT) | instid1(VALU_DEP_1)
	v_dual_sub_f32 v15, v15, v22 :: v_dual_sub_f32 v24, v21, v23
	v_dual_sub_f32 v19, v20, v23 :: v_dual_add_f32 v20, v15, v16
	s_delay_alu instid0(VALU_DEP_2) | instskip(NEXT) | instid1(VALU_DEP_1)
	v_sub_f32_e32 v18, v18, v24
	v_dual_add_f32 v18, v19, v18 :: v_dual_sub_f32 v19, v20, v15
	s_delay_alu instid0(VALU_DEP_1) | instskip(NEXT) | instid1(VALU_DEP_2)
	v_add_f32_e32 v18, v20, v18
	v_sub_f32_e32 v20, v20, v19
	v_sub_f32_e32 v16, v16, v19
	s_delay_alu instid0(VALU_DEP_2) | instskip(NEXT) | instid1(VALU_DEP_1)
	v_dual_add_f32 v22, v21, v18 :: v_dual_sub_f32 v15, v15, v20
	v_sub_f32_e32 v19, v22, v21
	s_delay_alu instid0(VALU_DEP_2) | instskip(NEXT) | instid1(VALU_DEP_2)
	v_add_f32_e32 v15, v16, v15
	v_sub_f32_e32 v16, v18, v19
	s_delay_alu instid0(VALU_DEP_1) | instskip(NEXT) | instid1(VALU_DEP_1)
	v_add_f32_e32 v15, v15, v16
	v_add_f32_e32 v15, v22, v15
	s_wait_alu 0xf1ff
	s_delay_alu instid0(VALU_DEP_1) | instskip(SKIP_2) | instid1(VALU_DEP_1)
	v_cndmask_b32_e64 v15, 0x7f800000, v15, s0
	v_cmp_gt_f32_e64 s0, 0x33800000, |v8|
	s_wait_alu 0xf1ff
	v_cndmask_b32_e64 v8, v15, v8, s0
	s_delay_alu instid0(VALU_DEP_1) | instskip(NEXT) | instid1(VALU_DEP_1)
	v_add_f32_e32 v6, v6, v8
	v_cvt_f16_f32_e32 v8, v6
.LBB373_124:
	s_wait_alu 0xfffe
	s_or_b32 exec_lo, exec_lo, s1
	v_add_nc_u32_e32 v6, v7, v17
	v_perm_b32 v3, v13, v3, 0x5040100
	v_perm_b32 v2, v12, v2, 0x5040100
	;; [unrolled: 1-line block ×6, first 2 shown]
	s_wait_loadcnt 0x0
	s_barrier_signal -1
	s_barrier_wait -1
	global_inv scope:SCOPE_SE
	ds_store_2addr_b64 v6, v[9:10], v[2:3] offset1:1
	ds_store_b64 v6, v[4:5] offset:16
	s_wait_loadcnt_dscnt 0x0
	s_barrier_signal -1
	s_barrier_wait -1
	global_inv scope:SCOPE_SE
	ds_load_u16 v13, v7 offset:512
	ds_load_u16 v12, v7 offset:1024
	;; [unrolled: 1-line block ×11, first 2 shown]
	v_lshlrev_b32_e32 v0, 1, v0
	s_wait_kmcnt 0x0
	s_delay_alu instid0(VALU_DEP_1)
	v_add_co_u32 v0, s0, s26, v0
	s_wait_alu 0xf1ff
	v_add_co_ci_u32_e64 v1, null, s27, 0, s0
	s_and_saveexec_b32 s0, vcc_lo
	s_cbranch_execnz .LBB373_137
; %bb.125:
	s_wait_alu 0xfffe
	s_or_b32 exec_lo, exec_lo, s0
	s_and_saveexec_b32 s0, s2
	s_cbranch_execnz .LBB373_138
.LBB373_126:
	s_wait_alu 0xfffe
	s_or_b32 exec_lo, exec_lo, s0
	s_and_saveexec_b32 s0, s3
	s_cbranch_execnz .LBB373_139
.LBB373_127:
	s_wait_alu 0xfffe
	s_or_b32 exec_lo, exec_lo, s0
	s_and_saveexec_b32 s0, s4
	s_cbranch_execnz .LBB373_140
.LBB373_128:
	s_wait_alu 0xfffe
	s_or_b32 exec_lo, exec_lo, s0
	s_and_saveexec_b32 s0, s5
	s_cbranch_execnz .LBB373_141
.LBB373_129:
	s_wait_alu 0xfffe
	s_or_b32 exec_lo, exec_lo, s0
	s_and_saveexec_b32 s0, s6
	s_cbranch_execnz .LBB373_142
.LBB373_130:
	s_wait_alu 0xfffe
	s_or_b32 exec_lo, exec_lo, s0
	s_and_saveexec_b32 s0, s7
	s_cbranch_execnz .LBB373_143
.LBB373_131:
	s_wait_alu 0xfffe
	s_or_b32 exec_lo, exec_lo, s0
	s_and_saveexec_b32 s0, s8
	s_cbranch_execnz .LBB373_144
.LBB373_132:
	s_wait_alu 0xfffe
	s_or_b32 exec_lo, exec_lo, s0
	s_and_saveexec_b32 s0, s9
	s_cbranch_execnz .LBB373_145
.LBB373_133:
	s_wait_alu 0xfffe
	s_or_b32 exec_lo, exec_lo, s0
	s_and_saveexec_b32 s0, s10
	s_cbranch_execnz .LBB373_146
.LBB373_134:
	s_wait_alu 0xfffe
	s_or_b32 exec_lo, exec_lo, s0
	s_and_saveexec_b32 s0, s11
	s_cbranch_execnz .LBB373_147
.LBB373_135:
	s_wait_alu 0xfffe
	s_or_b32 exec_lo, exec_lo, s0
	s_and_saveexec_b32 s0, s12
	s_cbranch_execnz .LBB373_148
.LBB373_136:
	s_endpgm
.LBB373_137:
	ds_load_u16 v7, v7
	s_wait_dscnt 0x0
	global_store_b16 v[0:1], v7, off
	s_wait_alu 0xfffe
	s_or_b32 exec_lo, exec_lo, s0
	s_and_saveexec_b32 s0, s2
	s_cbranch_execz .LBB373_126
.LBB373_138:
	s_wait_dscnt 0xa
	global_store_b16 v[0:1], v13, off offset:512
	s_wait_alu 0xfffe
	s_or_b32 exec_lo, exec_lo, s0
	s_and_saveexec_b32 s0, s3
	s_cbranch_execz .LBB373_127
.LBB373_139:
	s_wait_dscnt 0x9
	global_store_b16 v[0:1], v12, off offset:1024
	s_wait_alu 0xfffe
	s_or_b32 exec_lo, exec_lo, s0
	s_and_saveexec_b32 s0, s4
	s_cbranch_execz .LBB373_128
.LBB373_140:
	s_wait_dscnt 0x8
	global_store_b16 v[0:1], v11, off offset:1536
	s_wait_alu 0xfffe
	s_or_b32 exec_lo, exec_lo, s0
	s_and_saveexec_b32 s0, s5
	s_cbranch_execz .LBB373_129
.LBB373_141:
	s_wait_dscnt 0x7
	global_store_b16 v[0:1], v10, off offset:2048
	s_wait_alu 0xfffe
	s_or_b32 exec_lo, exec_lo, s0
	s_and_saveexec_b32 s0, s6
	s_cbranch_execz .LBB373_130
.LBB373_142:
	s_wait_dscnt 0x6
	global_store_b16 v[0:1], v9, off offset:2560
	s_wait_alu 0xfffe
	s_or_b32 exec_lo, exec_lo, s0
	s_and_saveexec_b32 s0, s7
	s_cbranch_execz .LBB373_131
.LBB373_143:
	s_wait_dscnt 0x5
	global_store_b16 v[0:1], v8, off offset:3072
	s_wait_alu 0xfffe
	s_or_b32 exec_lo, exec_lo, s0
	s_and_saveexec_b32 s0, s8
	s_cbranch_execz .LBB373_132
.LBB373_144:
	s_wait_dscnt 0x4
	global_store_b16 v[0:1], v6, off offset:3584
	s_wait_alu 0xfffe
	s_or_b32 exec_lo, exec_lo, s0
	s_and_saveexec_b32 s0, s9
	s_cbranch_execz .LBB373_133
.LBB373_145:
	s_wait_dscnt 0x3
	global_store_b16 v[0:1], v5, off offset:4096
	s_wait_alu 0xfffe
	s_or_b32 exec_lo, exec_lo, s0
	s_and_saveexec_b32 s0, s10
	s_cbranch_execz .LBB373_134
.LBB373_146:
	s_wait_dscnt 0x2
	global_store_b16 v[0:1], v4, off offset:4608
	s_wait_alu 0xfffe
	s_or_b32 exec_lo, exec_lo, s0
	s_and_saveexec_b32 s0, s11
	s_cbranch_execz .LBB373_135
.LBB373_147:
	s_wait_dscnt 0x1
	global_store_b16 v[0:1], v3, off offset:5120
	s_wait_alu 0xfffe
	s_or_b32 exec_lo, exec_lo, s0
	s_and_saveexec_b32 s0, s12
	s_cbranch_execz .LBB373_136
.LBB373_148:
	s_wait_dscnt 0x0
	global_store_b16 v[0:1], v2, off offset:5632
	s_endpgm
	.section	.rodata,"a",@progbits
	.p2align	6, 0x0
	.amdhsa_kernel _ZN7rocprim17ROCPRIM_400000_NS6detail17trampoline_kernelINS0_14default_configENS1_20scan_config_selectorIN3c104HalfEEEZZNS1_9scan_implILNS1_25lookback_scan_determinismE0ELb0ELb0ES3_PKS6_PS6_S6_ZZZN2at6native31launch_logcumsumexp_cuda_kernelERKNSD_10TensorBaseESH_lENKUlvE_clEvENKUlvE3_clEvEUlS6_S6_E_S6_EEDaPvRmT3_T4_T5_mT6_P12ihipStream_tbENKUlT_T0_E_clISt17integral_constantIbLb0EESY_EEDaST_SU_EUlST_E0_NS1_11comp_targetILNS1_3genE10ELNS1_11target_archE1201ELNS1_3gpuE5ELNS1_3repE0EEENS1_30default_config_static_selectorELNS0_4arch9wavefront6targetE0EEEvT1_
		.amdhsa_group_segment_fixed_size 6144
		.amdhsa_private_segment_fixed_size 0
		.amdhsa_kernarg_size 32
		.amdhsa_user_sgpr_count 2
		.amdhsa_user_sgpr_dispatch_ptr 0
		.amdhsa_user_sgpr_queue_ptr 0
		.amdhsa_user_sgpr_kernarg_segment_ptr 1
		.amdhsa_user_sgpr_dispatch_id 0
		.amdhsa_user_sgpr_private_segment_size 0
		.amdhsa_wavefront_size32 1
		.amdhsa_uses_dynamic_stack 0
		.amdhsa_enable_private_segment 0
		.amdhsa_system_sgpr_workgroup_id_x 1
		.amdhsa_system_sgpr_workgroup_id_y 0
		.amdhsa_system_sgpr_workgroup_id_z 0
		.amdhsa_system_sgpr_workgroup_info 0
		.amdhsa_system_vgpr_workitem_id 0
		.amdhsa_next_free_vgpr 36
		.amdhsa_next_free_sgpr 30
		.amdhsa_reserve_vcc 1
		.amdhsa_float_round_mode_32 0
		.amdhsa_float_round_mode_16_64 0
		.amdhsa_float_denorm_mode_32 3
		.amdhsa_float_denorm_mode_16_64 3
		.amdhsa_fp16_overflow 0
		.amdhsa_workgroup_processor_mode 1
		.amdhsa_memory_ordered 1
		.amdhsa_forward_progress 1
		.amdhsa_inst_pref_size 255
		.amdhsa_round_robin_scheduling 0
		.amdhsa_exception_fp_ieee_invalid_op 0
		.amdhsa_exception_fp_denorm_src 0
		.amdhsa_exception_fp_ieee_div_zero 0
		.amdhsa_exception_fp_ieee_overflow 0
		.amdhsa_exception_fp_ieee_underflow 0
		.amdhsa_exception_fp_ieee_inexact 0
		.amdhsa_exception_int_div_zero 0
	.end_amdhsa_kernel
	.section	.text._ZN7rocprim17ROCPRIM_400000_NS6detail17trampoline_kernelINS0_14default_configENS1_20scan_config_selectorIN3c104HalfEEEZZNS1_9scan_implILNS1_25lookback_scan_determinismE0ELb0ELb0ES3_PKS6_PS6_S6_ZZZN2at6native31launch_logcumsumexp_cuda_kernelERKNSD_10TensorBaseESH_lENKUlvE_clEvENKUlvE3_clEvEUlS6_S6_E_S6_EEDaPvRmT3_T4_T5_mT6_P12ihipStream_tbENKUlT_T0_E_clISt17integral_constantIbLb0EESY_EEDaST_SU_EUlST_E0_NS1_11comp_targetILNS1_3genE10ELNS1_11target_archE1201ELNS1_3gpuE5ELNS1_3repE0EEENS1_30default_config_static_selectorELNS0_4arch9wavefront6targetE0EEEvT1_,"axG",@progbits,_ZN7rocprim17ROCPRIM_400000_NS6detail17trampoline_kernelINS0_14default_configENS1_20scan_config_selectorIN3c104HalfEEEZZNS1_9scan_implILNS1_25lookback_scan_determinismE0ELb0ELb0ES3_PKS6_PS6_S6_ZZZN2at6native31launch_logcumsumexp_cuda_kernelERKNSD_10TensorBaseESH_lENKUlvE_clEvENKUlvE3_clEvEUlS6_S6_E_S6_EEDaPvRmT3_T4_T5_mT6_P12ihipStream_tbENKUlT_T0_E_clISt17integral_constantIbLb0EESY_EEDaST_SU_EUlST_E0_NS1_11comp_targetILNS1_3genE10ELNS1_11target_archE1201ELNS1_3gpuE5ELNS1_3repE0EEENS1_30default_config_static_selectorELNS0_4arch9wavefront6targetE0EEEvT1_,comdat
.Lfunc_end373:
	.size	_ZN7rocprim17ROCPRIM_400000_NS6detail17trampoline_kernelINS0_14default_configENS1_20scan_config_selectorIN3c104HalfEEEZZNS1_9scan_implILNS1_25lookback_scan_determinismE0ELb0ELb0ES3_PKS6_PS6_S6_ZZZN2at6native31launch_logcumsumexp_cuda_kernelERKNSD_10TensorBaseESH_lENKUlvE_clEvENKUlvE3_clEvEUlS6_S6_E_S6_EEDaPvRmT3_T4_T5_mT6_P12ihipStream_tbENKUlT_T0_E_clISt17integral_constantIbLb0EESY_EEDaST_SU_EUlST_E0_NS1_11comp_targetILNS1_3genE10ELNS1_11target_archE1201ELNS1_3gpuE5ELNS1_3repE0EEENS1_30default_config_static_selectorELNS0_4arch9wavefront6targetE0EEEvT1_, .Lfunc_end373-_ZN7rocprim17ROCPRIM_400000_NS6detail17trampoline_kernelINS0_14default_configENS1_20scan_config_selectorIN3c104HalfEEEZZNS1_9scan_implILNS1_25lookback_scan_determinismE0ELb0ELb0ES3_PKS6_PS6_S6_ZZZN2at6native31launch_logcumsumexp_cuda_kernelERKNSD_10TensorBaseESH_lENKUlvE_clEvENKUlvE3_clEvEUlS6_S6_E_S6_EEDaPvRmT3_T4_T5_mT6_P12ihipStream_tbENKUlT_T0_E_clISt17integral_constantIbLb0EESY_EEDaST_SU_EUlST_E0_NS1_11comp_targetILNS1_3genE10ELNS1_11target_archE1201ELNS1_3gpuE5ELNS1_3repE0EEENS1_30default_config_static_selectorELNS0_4arch9wavefront6targetE0EEEvT1_
                                        ; -- End function
	.set _ZN7rocprim17ROCPRIM_400000_NS6detail17trampoline_kernelINS0_14default_configENS1_20scan_config_selectorIN3c104HalfEEEZZNS1_9scan_implILNS1_25lookback_scan_determinismE0ELb0ELb0ES3_PKS6_PS6_S6_ZZZN2at6native31launch_logcumsumexp_cuda_kernelERKNSD_10TensorBaseESH_lENKUlvE_clEvENKUlvE3_clEvEUlS6_S6_E_S6_EEDaPvRmT3_T4_T5_mT6_P12ihipStream_tbENKUlT_T0_E_clISt17integral_constantIbLb0EESY_EEDaST_SU_EUlST_E0_NS1_11comp_targetILNS1_3genE10ELNS1_11target_archE1201ELNS1_3gpuE5ELNS1_3repE0EEENS1_30default_config_static_selectorELNS0_4arch9wavefront6targetE0EEEvT1_.num_vgpr, 36
	.set _ZN7rocprim17ROCPRIM_400000_NS6detail17trampoline_kernelINS0_14default_configENS1_20scan_config_selectorIN3c104HalfEEEZZNS1_9scan_implILNS1_25lookback_scan_determinismE0ELb0ELb0ES3_PKS6_PS6_S6_ZZZN2at6native31launch_logcumsumexp_cuda_kernelERKNSD_10TensorBaseESH_lENKUlvE_clEvENKUlvE3_clEvEUlS6_S6_E_S6_EEDaPvRmT3_T4_T5_mT6_P12ihipStream_tbENKUlT_T0_E_clISt17integral_constantIbLb0EESY_EEDaST_SU_EUlST_E0_NS1_11comp_targetILNS1_3genE10ELNS1_11target_archE1201ELNS1_3gpuE5ELNS1_3repE0EEENS1_30default_config_static_selectorELNS0_4arch9wavefront6targetE0EEEvT1_.num_agpr, 0
	.set _ZN7rocprim17ROCPRIM_400000_NS6detail17trampoline_kernelINS0_14default_configENS1_20scan_config_selectorIN3c104HalfEEEZZNS1_9scan_implILNS1_25lookback_scan_determinismE0ELb0ELb0ES3_PKS6_PS6_S6_ZZZN2at6native31launch_logcumsumexp_cuda_kernelERKNSD_10TensorBaseESH_lENKUlvE_clEvENKUlvE3_clEvEUlS6_S6_E_S6_EEDaPvRmT3_T4_T5_mT6_P12ihipStream_tbENKUlT_T0_E_clISt17integral_constantIbLb0EESY_EEDaST_SU_EUlST_E0_NS1_11comp_targetILNS1_3genE10ELNS1_11target_archE1201ELNS1_3gpuE5ELNS1_3repE0EEENS1_30default_config_static_selectorELNS0_4arch9wavefront6targetE0EEEvT1_.numbered_sgpr, 30
	.set _ZN7rocprim17ROCPRIM_400000_NS6detail17trampoline_kernelINS0_14default_configENS1_20scan_config_selectorIN3c104HalfEEEZZNS1_9scan_implILNS1_25lookback_scan_determinismE0ELb0ELb0ES3_PKS6_PS6_S6_ZZZN2at6native31launch_logcumsumexp_cuda_kernelERKNSD_10TensorBaseESH_lENKUlvE_clEvENKUlvE3_clEvEUlS6_S6_E_S6_EEDaPvRmT3_T4_T5_mT6_P12ihipStream_tbENKUlT_T0_E_clISt17integral_constantIbLb0EESY_EEDaST_SU_EUlST_E0_NS1_11comp_targetILNS1_3genE10ELNS1_11target_archE1201ELNS1_3gpuE5ELNS1_3repE0EEENS1_30default_config_static_selectorELNS0_4arch9wavefront6targetE0EEEvT1_.num_named_barrier, 0
	.set _ZN7rocprim17ROCPRIM_400000_NS6detail17trampoline_kernelINS0_14default_configENS1_20scan_config_selectorIN3c104HalfEEEZZNS1_9scan_implILNS1_25lookback_scan_determinismE0ELb0ELb0ES3_PKS6_PS6_S6_ZZZN2at6native31launch_logcumsumexp_cuda_kernelERKNSD_10TensorBaseESH_lENKUlvE_clEvENKUlvE3_clEvEUlS6_S6_E_S6_EEDaPvRmT3_T4_T5_mT6_P12ihipStream_tbENKUlT_T0_E_clISt17integral_constantIbLb0EESY_EEDaST_SU_EUlST_E0_NS1_11comp_targetILNS1_3genE10ELNS1_11target_archE1201ELNS1_3gpuE5ELNS1_3repE0EEENS1_30default_config_static_selectorELNS0_4arch9wavefront6targetE0EEEvT1_.private_seg_size, 0
	.set _ZN7rocprim17ROCPRIM_400000_NS6detail17trampoline_kernelINS0_14default_configENS1_20scan_config_selectorIN3c104HalfEEEZZNS1_9scan_implILNS1_25lookback_scan_determinismE0ELb0ELb0ES3_PKS6_PS6_S6_ZZZN2at6native31launch_logcumsumexp_cuda_kernelERKNSD_10TensorBaseESH_lENKUlvE_clEvENKUlvE3_clEvEUlS6_S6_E_S6_EEDaPvRmT3_T4_T5_mT6_P12ihipStream_tbENKUlT_T0_E_clISt17integral_constantIbLb0EESY_EEDaST_SU_EUlST_E0_NS1_11comp_targetILNS1_3genE10ELNS1_11target_archE1201ELNS1_3gpuE5ELNS1_3repE0EEENS1_30default_config_static_selectorELNS0_4arch9wavefront6targetE0EEEvT1_.uses_vcc, 1
	.set _ZN7rocprim17ROCPRIM_400000_NS6detail17trampoline_kernelINS0_14default_configENS1_20scan_config_selectorIN3c104HalfEEEZZNS1_9scan_implILNS1_25lookback_scan_determinismE0ELb0ELb0ES3_PKS6_PS6_S6_ZZZN2at6native31launch_logcumsumexp_cuda_kernelERKNSD_10TensorBaseESH_lENKUlvE_clEvENKUlvE3_clEvEUlS6_S6_E_S6_EEDaPvRmT3_T4_T5_mT6_P12ihipStream_tbENKUlT_T0_E_clISt17integral_constantIbLb0EESY_EEDaST_SU_EUlST_E0_NS1_11comp_targetILNS1_3genE10ELNS1_11target_archE1201ELNS1_3gpuE5ELNS1_3repE0EEENS1_30default_config_static_selectorELNS0_4arch9wavefront6targetE0EEEvT1_.uses_flat_scratch, 0
	.set _ZN7rocprim17ROCPRIM_400000_NS6detail17trampoline_kernelINS0_14default_configENS1_20scan_config_selectorIN3c104HalfEEEZZNS1_9scan_implILNS1_25lookback_scan_determinismE0ELb0ELb0ES3_PKS6_PS6_S6_ZZZN2at6native31launch_logcumsumexp_cuda_kernelERKNSD_10TensorBaseESH_lENKUlvE_clEvENKUlvE3_clEvEUlS6_S6_E_S6_EEDaPvRmT3_T4_T5_mT6_P12ihipStream_tbENKUlT_T0_E_clISt17integral_constantIbLb0EESY_EEDaST_SU_EUlST_E0_NS1_11comp_targetILNS1_3genE10ELNS1_11target_archE1201ELNS1_3gpuE5ELNS1_3repE0EEENS1_30default_config_static_selectorELNS0_4arch9wavefront6targetE0EEEvT1_.has_dyn_sized_stack, 0
	.set _ZN7rocprim17ROCPRIM_400000_NS6detail17trampoline_kernelINS0_14default_configENS1_20scan_config_selectorIN3c104HalfEEEZZNS1_9scan_implILNS1_25lookback_scan_determinismE0ELb0ELb0ES3_PKS6_PS6_S6_ZZZN2at6native31launch_logcumsumexp_cuda_kernelERKNSD_10TensorBaseESH_lENKUlvE_clEvENKUlvE3_clEvEUlS6_S6_E_S6_EEDaPvRmT3_T4_T5_mT6_P12ihipStream_tbENKUlT_T0_E_clISt17integral_constantIbLb0EESY_EEDaST_SU_EUlST_E0_NS1_11comp_targetILNS1_3genE10ELNS1_11target_archE1201ELNS1_3gpuE5ELNS1_3repE0EEENS1_30default_config_static_selectorELNS0_4arch9wavefront6targetE0EEEvT1_.has_recursion, 0
	.set _ZN7rocprim17ROCPRIM_400000_NS6detail17trampoline_kernelINS0_14default_configENS1_20scan_config_selectorIN3c104HalfEEEZZNS1_9scan_implILNS1_25lookback_scan_determinismE0ELb0ELb0ES3_PKS6_PS6_S6_ZZZN2at6native31launch_logcumsumexp_cuda_kernelERKNSD_10TensorBaseESH_lENKUlvE_clEvENKUlvE3_clEvEUlS6_S6_E_S6_EEDaPvRmT3_T4_T5_mT6_P12ihipStream_tbENKUlT_T0_E_clISt17integral_constantIbLb0EESY_EEDaST_SU_EUlST_E0_NS1_11comp_targetILNS1_3genE10ELNS1_11target_archE1201ELNS1_3gpuE5ELNS1_3repE0EEENS1_30default_config_static_selectorELNS0_4arch9wavefront6targetE0EEEvT1_.has_indirect_call, 0
	.section	.AMDGPU.csdata,"",@progbits
; Kernel info:
; codeLenInByte = 44520
; TotalNumSgprs: 32
; NumVgprs: 36
; ScratchSize: 0
; MemoryBound: 0
; FloatMode: 240
; IeeeMode: 1
; LDSByteSize: 6144 bytes/workgroup (compile time only)
; SGPRBlocks: 0
; VGPRBlocks: 4
; NumSGPRsForWavesPerEU: 32
; NumVGPRsForWavesPerEU: 36
; Occupancy: 16
; WaveLimiterHint : 0
; COMPUTE_PGM_RSRC2:SCRATCH_EN: 0
; COMPUTE_PGM_RSRC2:USER_SGPR: 2
; COMPUTE_PGM_RSRC2:TRAP_HANDLER: 0
; COMPUTE_PGM_RSRC2:TGID_X_EN: 1
; COMPUTE_PGM_RSRC2:TGID_Y_EN: 0
; COMPUTE_PGM_RSRC2:TGID_Z_EN: 0
; COMPUTE_PGM_RSRC2:TIDIG_COMP_CNT: 0
	.section	.text._ZN7rocprim17ROCPRIM_400000_NS6detail17trampoline_kernelINS0_14default_configENS1_20scan_config_selectorIN3c104HalfEEEZZNS1_9scan_implILNS1_25lookback_scan_determinismE0ELb0ELb0ES3_PKS6_PS6_S6_ZZZN2at6native31launch_logcumsumexp_cuda_kernelERKNSD_10TensorBaseESH_lENKUlvE_clEvENKUlvE3_clEvEUlS6_S6_E_S6_EEDaPvRmT3_T4_T5_mT6_P12ihipStream_tbENKUlT_T0_E_clISt17integral_constantIbLb0EESY_EEDaST_SU_EUlST_E0_NS1_11comp_targetILNS1_3genE10ELNS1_11target_archE1200ELNS1_3gpuE4ELNS1_3repE0EEENS1_30default_config_static_selectorELNS0_4arch9wavefront6targetE0EEEvT1_,"axG",@progbits,_ZN7rocprim17ROCPRIM_400000_NS6detail17trampoline_kernelINS0_14default_configENS1_20scan_config_selectorIN3c104HalfEEEZZNS1_9scan_implILNS1_25lookback_scan_determinismE0ELb0ELb0ES3_PKS6_PS6_S6_ZZZN2at6native31launch_logcumsumexp_cuda_kernelERKNSD_10TensorBaseESH_lENKUlvE_clEvENKUlvE3_clEvEUlS6_S6_E_S6_EEDaPvRmT3_T4_T5_mT6_P12ihipStream_tbENKUlT_T0_E_clISt17integral_constantIbLb0EESY_EEDaST_SU_EUlST_E0_NS1_11comp_targetILNS1_3genE10ELNS1_11target_archE1200ELNS1_3gpuE4ELNS1_3repE0EEENS1_30default_config_static_selectorELNS0_4arch9wavefront6targetE0EEEvT1_,comdat
	.globl	_ZN7rocprim17ROCPRIM_400000_NS6detail17trampoline_kernelINS0_14default_configENS1_20scan_config_selectorIN3c104HalfEEEZZNS1_9scan_implILNS1_25lookback_scan_determinismE0ELb0ELb0ES3_PKS6_PS6_S6_ZZZN2at6native31launch_logcumsumexp_cuda_kernelERKNSD_10TensorBaseESH_lENKUlvE_clEvENKUlvE3_clEvEUlS6_S6_E_S6_EEDaPvRmT3_T4_T5_mT6_P12ihipStream_tbENKUlT_T0_E_clISt17integral_constantIbLb0EESY_EEDaST_SU_EUlST_E0_NS1_11comp_targetILNS1_3genE10ELNS1_11target_archE1200ELNS1_3gpuE4ELNS1_3repE0EEENS1_30default_config_static_selectorELNS0_4arch9wavefront6targetE0EEEvT1_ ; -- Begin function _ZN7rocprim17ROCPRIM_400000_NS6detail17trampoline_kernelINS0_14default_configENS1_20scan_config_selectorIN3c104HalfEEEZZNS1_9scan_implILNS1_25lookback_scan_determinismE0ELb0ELb0ES3_PKS6_PS6_S6_ZZZN2at6native31launch_logcumsumexp_cuda_kernelERKNSD_10TensorBaseESH_lENKUlvE_clEvENKUlvE3_clEvEUlS6_S6_E_S6_EEDaPvRmT3_T4_T5_mT6_P12ihipStream_tbENKUlT_T0_E_clISt17integral_constantIbLb0EESY_EEDaST_SU_EUlST_E0_NS1_11comp_targetILNS1_3genE10ELNS1_11target_archE1200ELNS1_3gpuE4ELNS1_3repE0EEENS1_30default_config_static_selectorELNS0_4arch9wavefront6targetE0EEEvT1_
	.p2align	8
	.type	_ZN7rocprim17ROCPRIM_400000_NS6detail17trampoline_kernelINS0_14default_configENS1_20scan_config_selectorIN3c104HalfEEEZZNS1_9scan_implILNS1_25lookback_scan_determinismE0ELb0ELb0ES3_PKS6_PS6_S6_ZZZN2at6native31launch_logcumsumexp_cuda_kernelERKNSD_10TensorBaseESH_lENKUlvE_clEvENKUlvE3_clEvEUlS6_S6_E_S6_EEDaPvRmT3_T4_T5_mT6_P12ihipStream_tbENKUlT_T0_E_clISt17integral_constantIbLb0EESY_EEDaST_SU_EUlST_E0_NS1_11comp_targetILNS1_3genE10ELNS1_11target_archE1200ELNS1_3gpuE4ELNS1_3repE0EEENS1_30default_config_static_selectorELNS0_4arch9wavefront6targetE0EEEvT1_,@function
_ZN7rocprim17ROCPRIM_400000_NS6detail17trampoline_kernelINS0_14default_configENS1_20scan_config_selectorIN3c104HalfEEEZZNS1_9scan_implILNS1_25lookback_scan_determinismE0ELb0ELb0ES3_PKS6_PS6_S6_ZZZN2at6native31launch_logcumsumexp_cuda_kernelERKNSD_10TensorBaseESH_lENKUlvE_clEvENKUlvE3_clEvEUlS6_S6_E_S6_EEDaPvRmT3_T4_T5_mT6_P12ihipStream_tbENKUlT_T0_E_clISt17integral_constantIbLb0EESY_EEDaST_SU_EUlST_E0_NS1_11comp_targetILNS1_3genE10ELNS1_11target_archE1200ELNS1_3gpuE4ELNS1_3repE0EEENS1_30default_config_static_selectorELNS0_4arch9wavefront6targetE0EEEvT1_: ; @_ZN7rocprim17ROCPRIM_400000_NS6detail17trampoline_kernelINS0_14default_configENS1_20scan_config_selectorIN3c104HalfEEEZZNS1_9scan_implILNS1_25lookback_scan_determinismE0ELb0ELb0ES3_PKS6_PS6_S6_ZZZN2at6native31launch_logcumsumexp_cuda_kernelERKNSD_10TensorBaseESH_lENKUlvE_clEvENKUlvE3_clEvEUlS6_S6_E_S6_EEDaPvRmT3_T4_T5_mT6_P12ihipStream_tbENKUlT_T0_E_clISt17integral_constantIbLb0EESY_EEDaST_SU_EUlST_E0_NS1_11comp_targetILNS1_3genE10ELNS1_11target_archE1200ELNS1_3gpuE4ELNS1_3repE0EEENS1_30default_config_static_selectorELNS0_4arch9wavefront6targetE0EEEvT1_
; %bb.0:
	.section	.rodata,"a",@progbits
	.p2align	6, 0x0
	.amdhsa_kernel _ZN7rocprim17ROCPRIM_400000_NS6detail17trampoline_kernelINS0_14default_configENS1_20scan_config_selectorIN3c104HalfEEEZZNS1_9scan_implILNS1_25lookback_scan_determinismE0ELb0ELb0ES3_PKS6_PS6_S6_ZZZN2at6native31launch_logcumsumexp_cuda_kernelERKNSD_10TensorBaseESH_lENKUlvE_clEvENKUlvE3_clEvEUlS6_S6_E_S6_EEDaPvRmT3_T4_T5_mT6_P12ihipStream_tbENKUlT_T0_E_clISt17integral_constantIbLb0EESY_EEDaST_SU_EUlST_E0_NS1_11comp_targetILNS1_3genE10ELNS1_11target_archE1200ELNS1_3gpuE4ELNS1_3repE0EEENS1_30default_config_static_selectorELNS0_4arch9wavefront6targetE0EEEvT1_
		.amdhsa_group_segment_fixed_size 0
		.amdhsa_private_segment_fixed_size 0
		.amdhsa_kernarg_size 32
		.amdhsa_user_sgpr_count 2
		.amdhsa_user_sgpr_dispatch_ptr 0
		.amdhsa_user_sgpr_queue_ptr 0
		.amdhsa_user_sgpr_kernarg_segment_ptr 1
		.amdhsa_user_sgpr_dispatch_id 0
		.amdhsa_user_sgpr_private_segment_size 0
		.amdhsa_wavefront_size32 1
		.amdhsa_uses_dynamic_stack 0
		.amdhsa_enable_private_segment 0
		.amdhsa_system_sgpr_workgroup_id_x 1
		.amdhsa_system_sgpr_workgroup_id_y 0
		.amdhsa_system_sgpr_workgroup_id_z 0
		.amdhsa_system_sgpr_workgroup_info 0
		.amdhsa_system_vgpr_workitem_id 0
		.amdhsa_next_free_vgpr 1
		.amdhsa_next_free_sgpr 1
		.amdhsa_reserve_vcc 0
		.amdhsa_float_round_mode_32 0
		.amdhsa_float_round_mode_16_64 0
		.amdhsa_float_denorm_mode_32 3
		.amdhsa_float_denorm_mode_16_64 3
		.amdhsa_fp16_overflow 0
		.amdhsa_workgroup_processor_mode 1
		.amdhsa_memory_ordered 1
		.amdhsa_forward_progress 1
		.amdhsa_inst_pref_size 0
		.amdhsa_round_robin_scheduling 0
		.amdhsa_exception_fp_ieee_invalid_op 0
		.amdhsa_exception_fp_denorm_src 0
		.amdhsa_exception_fp_ieee_div_zero 0
		.amdhsa_exception_fp_ieee_overflow 0
		.amdhsa_exception_fp_ieee_underflow 0
		.amdhsa_exception_fp_ieee_inexact 0
		.amdhsa_exception_int_div_zero 0
	.end_amdhsa_kernel
	.section	.text._ZN7rocprim17ROCPRIM_400000_NS6detail17trampoline_kernelINS0_14default_configENS1_20scan_config_selectorIN3c104HalfEEEZZNS1_9scan_implILNS1_25lookback_scan_determinismE0ELb0ELb0ES3_PKS6_PS6_S6_ZZZN2at6native31launch_logcumsumexp_cuda_kernelERKNSD_10TensorBaseESH_lENKUlvE_clEvENKUlvE3_clEvEUlS6_S6_E_S6_EEDaPvRmT3_T4_T5_mT6_P12ihipStream_tbENKUlT_T0_E_clISt17integral_constantIbLb0EESY_EEDaST_SU_EUlST_E0_NS1_11comp_targetILNS1_3genE10ELNS1_11target_archE1200ELNS1_3gpuE4ELNS1_3repE0EEENS1_30default_config_static_selectorELNS0_4arch9wavefront6targetE0EEEvT1_,"axG",@progbits,_ZN7rocprim17ROCPRIM_400000_NS6detail17trampoline_kernelINS0_14default_configENS1_20scan_config_selectorIN3c104HalfEEEZZNS1_9scan_implILNS1_25lookback_scan_determinismE0ELb0ELb0ES3_PKS6_PS6_S6_ZZZN2at6native31launch_logcumsumexp_cuda_kernelERKNSD_10TensorBaseESH_lENKUlvE_clEvENKUlvE3_clEvEUlS6_S6_E_S6_EEDaPvRmT3_T4_T5_mT6_P12ihipStream_tbENKUlT_T0_E_clISt17integral_constantIbLb0EESY_EEDaST_SU_EUlST_E0_NS1_11comp_targetILNS1_3genE10ELNS1_11target_archE1200ELNS1_3gpuE4ELNS1_3repE0EEENS1_30default_config_static_selectorELNS0_4arch9wavefront6targetE0EEEvT1_,comdat
.Lfunc_end374:
	.size	_ZN7rocprim17ROCPRIM_400000_NS6detail17trampoline_kernelINS0_14default_configENS1_20scan_config_selectorIN3c104HalfEEEZZNS1_9scan_implILNS1_25lookback_scan_determinismE0ELb0ELb0ES3_PKS6_PS6_S6_ZZZN2at6native31launch_logcumsumexp_cuda_kernelERKNSD_10TensorBaseESH_lENKUlvE_clEvENKUlvE3_clEvEUlS6_S6_E_S6_EEDaPvRmT3_T4_T5_mT6_P12ihipStream_tbENKUlT_T0_E_clISt17integral_constantIbLb0EESY_EEDaST_SU_EUlST_E0_NS1_11comp_targetILNS1_3genE10ELNS1_11target_archE1200ELNS1_3gpuE4ELNS1_3repE0EEENS1_30default_config_static_selectorELNS0_4arch9wavefront6targetE0EEEvT1_, .Lfunc_end374-_ZN7rocprim17ROCPRIM_400000_NS6detail17trampoline_kernelINS0_14default_configENS1_20scan_config_selectorIN3c104HalfEEEZZNS1_9scan_implILNS1_25lookback_scan_determinismE0ELb0ELb0ES3_PKS6_PS6_S6_ZZZN2at6native31launch_logcumsumexp_cuda_kernelERKNSD_10TensorBaseESH_lENKUlvE_clEvENKUlvE3_clEvEUlS6_S6_E_S6_EEDaPvRmT3_T4_T5_mT6_P12ihipStream_tbENKUlT_T0_E_clISt17integral_constantIbLb0EESY_EEDaST_SU_EUlST_E0_NS1_11comp_targetILNS1_3genE10ELNS1_11target_archE1200ELNS1_3gpuE4ELNS1_3repE0EEENS1_30default_config_static_selectorELNS0_4arch9wavefront6targetE0EEEvT1_
                                        ; -- End function
	.set _ZN7rocprim17ROCPRIM_400000_NS6detail17trampoline_kernelINS0_14default_configENS1_20scan_config_selectorIN3c104HalfEEEZZNS1_9scan_implILNS1_25lookback_scan_determinismE0ELb0ELb0ES3_PKS6_PS6_S6_ZZZN2at6native31launch_logcumsumexp_cuda_kernelERKNSD_10TensorBaseESH_lENKUlvE_clEvENKUlvE3_clEvEUlS6_S6_E_S6_EEDaPvRmT3_T4_T5_mT6_P12ihipStream_tbENKUlT_T0_E_clISt17integral_constantIbLb0EESY_EEDaST_SU_EUlST_E0_NS1_11comp_targetILNS1_3genE10ELNS1_11target_archE1200ELNS1_3gpuE4ELNS1_3repE0EEENS1_30default_config_static_selectorELNS0_4arch9wavefront6targetE0EEEvT1_.num_vgpr, 0
	.set _ZN7rocprim17ROCPRIM_400000_NS6detail17trampoline_kernelINS0_14default_configENS1_20scan_config_selectorIN3c104HalfEEEZZNS1_9scan_implILNS1_25lookback_scan_determinismE0ELb0ELb0ES3_PKS6_PS6_S6_ZZZN2at6native31launch_logcumsumexp_cuda_kernelERKNSD_10TensorBaseESH_lENKUlvE_clEvENKUlvE3_clEvEUlS6_S6_E_S6_EEDaPvRmT3_T4_T5_mT6_P12ihipStream_tbENKUlT_T0_E_clISt17integral_constantIbLb0EESY_EEDaST_SU_EUlST_E0_NS1_11comp_targetILNS1_3genE10ELNS1_11target_archE1200ELNS1_3gpuE4ELNS1_3repE0EEENS1_30default_config_static_selectorELNS0_4arch9wavefront6targetE0EEEvT1_.num_agpr, 0
	.set _ZN7rocprim17ROCPRIM_400000_NS6detail17trampoline_kernelINS0_14default_configENS1_20scan_config_selectorIN3c104HalfEEEZZNS1_9scan_implILNS1_25lookback_scan_determinismE0ELb0ELb0ES3_PKS6_PS6_S6_ZZZN2at6native31launch_logcumsumexp_cuda_kernelERKNSD_10TensorBaseESH_lENKUlvE_clEvENKUlvE3_clEvEUlS6_S6_E_S6_EEDaPvRmT3_T4_T5_mT6_P12ihipStream_tbENKUlT_T0_E_clISt17integral_constantIbLb0EESY_EEDaST_SU_EUlST_E0_NS1_11comp_targetILNS1_3genE10ELNS1_11target_archE1200ELNS1_3gpuE4ELNS1_3repE0EEENS1_30default_config_static_selectorELNS0_4arch9wavefront6targetE0EEEvT1_.numbered_sgpr, 0
	.set _ZN7rocprim17ROCPRIM_400000_NS6detail17trampoline_kernelINS0_14default_configENS1_20scan_config_selectorIN3c104HalfEEEZZNS1_9scan_implILNS1_25lookback_scan_determinismE0ELb0ELb0ES3_PKS6_PS6_S6_ZZZN2at6native31launch_logcumsumexp_cuda_kernelERKNSD_10TensorBaseESH_lENKUlvE_clEvENKUlvE3_clEvEUlS6_S6_E_S6_EEDaPvRmT3_T4_T5_mT6_P12ihipStream_tbENKUlT_T0_E_clISt17integral_constantIbLb0EESY_EEDaST_SU_EUlST_E0_NS1_11comp_targetILNS1_3genE10ELNS1_11target_archE1200ELNS1_3gpuE4ELNS1_3repE0EEENS1_30default_config_static_selectorELNS0_4arch9wavefront6targetE0EEEvT1_.num_named_barrier, 0
	.set _ZN7rocprim17ROCPRIM_400000_NS6detail17trampoline_kernelINS0_14default_configENS1_20scan_config_selectorIN3c104HalfEEEZZNS1_9scan_implILNS1_25lookback_scan_determinismE0ELb0ELb0ES3_PKS6_PS6_S6_ZZZN2at6native31launch_logcumsumexp_cuda_kernelERKNSD_10TensorBaseESH_lENKUlvE_clEvENKUlvE3_clEvEUlS6_S6_E_S6_EEDaPvRmT3_T4_T5_mT6_P12ihipStream_tbENKUlT_T0_E_clISt17integral_constantIbLb0EESY_EEDaST_SU_EUlST_E0_NS1_11comp_targetILNS1_3genE10ELNS1_11target_archE1200ELNS1_3gpuE4ELNS1_3repE0EEENS1_30default_config_static_selectorELNS0_4arch9wavefront6targetE0EEEvT1_.private_seg_size, 0
	.set _ZN7rocprim17ROCPRIM_400000_NS6detail17trampoline_kernelINS0_14default_configENS1_20scan_config_selectorIN3c104HalfEEEZZNS1_9scan_implILNS1_25lookback_scan_determinismE0ELb0ELb0ES3_PKS6_PS6_S6_ZZZN2at6native31launch_logcumsumexp_cuda_kernelERKNSD_10TensorBaseESH_lENKUlvE_clEvENKUlvE3_clEvEUlS6_S6_E_S6_EEDaPvRmT3_T4_T5_mT6_P12ihipStream_tbENKUlT_T0_E_clISt17integral_constantIbLb0EESY_EEDaST_SU_EUlST_E0_NS1_11comp_targetILNS1_3genE10ELNS1_11target_archE1200ELNS1_3gpuE4ELNS1_3repE0EEENS1_30default_config_static_selectorELNS0_4arch9wavefront6targetE0EEEvT1_.uses_vcc, 0
	.set _ZN7rocprim17ROCPRIM_400000_NS6detail17trampoline_kernelINS0_14default_configENS1_20scan_config_selectorIN3c104HalfEEEZZNS1_9scan_implILNS1_25lookback_scan_determinismE0ELb0ELb0ES3_PKS6_PS6_S6_ZZZN2at6native31launch_logcumsumexp_cuda_kernelERKNSD_10TensorBaseESH_lENKUlvE_clEvENKUlvE3_clEvEUlS6_S6_E_S6_EEDaPvRmT3_T4_T5_mT6_P12ihipStream_tbENKUlT_T0_E_clISt17integral_constantIbLb0EESY_EEDaST_SU_EUlST_E0_NS1_11comp_targetILNS1_3genE10ELNS1_11target_archE1200ELNS1_3gpuE4ELNS1_3repE0EEENS1_30default_config_static_selectorELNS0_4arch9wavefront6targetE0EEEvT1_.uses_flat_scratch, 0
	.set _ZN7rocprim17ROCPRIM_400000_NS6detail17trampoline_kernelINS0_14default_configENS1_20scan_config_selectorIN3c104HalfEEEZZNS1_9scan_implILNS1_25lookback_scan_determinismE0ELb0ELb0ES3_PKS6_PS6_S6_ZZZN2at6native31launch_logcumsumexp_cuda_kernelERKNSD_10TensorBaseESH_lENKUlvE_clEvENKUlvE3_clEvEUlS6_S6_E_S6_EEDaPvRmT3_T4_T5_mT6_P12ihipStream_tbENKUlT_T0_E_clISt17integral_constantIbLb0EESY_EEDaST_SU_EUlST_E0_NS1_11comp_targetILNS1_3genE10ELNS1_11target_archE1200ELNS1_3gpuE4ELNS1_3repE0EEENS1_30default_config_static_selectorELNS0_4arch9wavefront6targetE0EEEvT1_.has_dyn_sized_stack, 0
	.set _ZN7rocprim17ROCPRIM_400000_NS6detail17trampoline_kernelINS0_14default_configENS1_20scan_config_selectorIN3c104HalfEEEZZNS1_9scan_implILNS1_25lookback_scan_determinismE0ELb0ELb0ES3_PKS6_PS6_S6_ZZZN2at6native31launch_logcumsumexp_cuda_kernelERKNSD_10TensorBaseESH_lENKUlvE_clEvENKUlvE3_clEvEUlS6_S6_E_S6_EEDaPvRmT3_T4_T5_mT6_P12ihipStream_tbENKUlT_T0_E_clISt17integral_constantIbLb0EESY_EEDaST_SU_EUlST_E0_NS1_11comp_targetILNS1_3genE10ELNS1_11target_archE1200ELNS1_3gpuE4ELNS1_3repE0EEENS1_30default_config_static_selectorELNS0_4arch9wavefront6targetE0EEEvT1_.has_recursion, 0
	.set _ZN7rocprim17ROCPRIM_400000_NS6detail17trampoline_kernelINS0_14default_configENS1_20scan_config_selectorIN3c104HalfEEEZZNS1_9scan_implILNS1_25lookback_scan_determinismE0ELb0ELb0ES3_PKS6_PS6_S6_ZZZN2at6native31launch_logcumsumexp_cuda_kernelERKNSD_10TensorBaseESH_lENKUlvE_clEvENKUlvE3_clEvEUlS6_S6_E_S6_EEDaPvRmT3_T4_T5_mT6_P12ihipStream_tbENKUlT_T0_E_clISt17integral_constantIbLb0EESY_EEDaST_SU_EUlST_E0_NS1_11comp_targetILNS1_3genE10ELNS1_11target_archE1200ELNS1_3gpuE4ELNS1_3repE0EEENS1_30default_config_static_selectorELNS0_4arch9wavefront6targetE0EEEvT1_.has_indirect_call, 0
	.section	.AMDGPU.csdata,"",@progbits
; Kernel info:
; codeLenInByte = 0
; TotalNumSgprs: 0
; NumVgprs: 0
; ScratchSize: 0
; MemoryBound: 0
; FloatMode: 240
; IeeeMode: 1
; LDSByteSize: 0 bytes/workgroup (compile time only)
; SGPRBlocks: 0
; VGPRBlocks: 0
; NumSGPRsForWavesPerEU: 1
; NumVGPRsForWavesPerEU: 1
; Occupancy: 16
; WaveLimiterHint : 0
; COMPUTE_PGM_RSRC2:SCRATCH_EN: 0
; COMPUTE_PGM_RSRC2:USER_SGPR: 2
; COMPUTE_PGM_RSRC2:TRAP_HANDLER: 0
; COMPUTE_PGM_RSRC2:TGID_X_EN: 1
; COMPUTE_PGM_RSRC2:TGID_Y_EN: 0
; COMPUTE_PGM_RSRC2:TGID_Z_EN: 0
; COMPUTE_PGM_RSRC2:TIDIG_COMP_CNT: 0
	.section	.text._ZN7rocprim17ROCPRIM_400000_NS6detail17trampoline_kernelINS0_14default_configENS1_20scan_config_selectorIN3c104HalfEEEZZNS1_9scan_implILNS1_25lookback_scan_determinismE0ELb0ELb0ES3_PKS6_PS6_S6_ZZZN2at6native31launch_logcumsumexp_cuda_kernelERKNSD_10TensorBaseESH_lENKUlvE_clEvENKUlvE3_clEvEUlS6_S6_E_S6_EEDaPvRmT3_T4_T5_mT6_P12ihipStream_tbENKUlT_T0_E_clISt17integral_constantIbLb0EESY_EEDaST_SU_EUlST_E0_NS1_11comp_targetILNS1_3genE9ELNS1_11target_archE1100ELNS1_3gpuE3ELNS1_3repE0EEENS1_30default_config_static_selectorELNS0_4arch9wavefront6targetE0EEEvT1_,"axG",@progbits,_ZN7rocprim17ROCPRIM_400000_NS6detail17trampoline_kernelINS0_14default_configENS1_20scan_config_selectorIN3c104HalfEEEZZNS1_9scan_implILNS1_25lookback_scan_determinismE0ELb0ELb0ES3_PKS6_PS6_S6_ZZZN2at6native31launch_logcumsumexp_cuda_kernelERKNSD_10TensorBaseESH_lENKUlvE_clEvENKUlvE3_clEvEUlS6_S6_E_S6_EEDaPvRmT3_T4_T5_mT6_P12ihipStream_tbENKUlT_T0_E_clISt17integral_constantIbLb0EESY_EEDaST_SU_EUlST_E0_NS1_11comp_targetILNS1_3genE9ELNS1_11target_archE1100ELNS1_3gpuE3ELNS1_3repE0EEENS1_30default_config_static_selectorELNS0_4arch9wavefront6targetE0EEEvT1_,comdat
	.globl	_ZN7rocprim17ROCPRIM_400000_NS6detail17trampoline_kernelINS0_14default_configENS1_20scan_config_selectorIN3c104HalfEEEZZNS1_9scan_implILNS1_25lookback_scan_determinismE0ELb0ELb0ES3_PKS6_PS6_S6_ZZZN2at6native31launch_logcumsumexp_cuda_kernelERKNSD_10TensorBaseESH_lENKUlvE_clEvENKUlvE3_clEvEUlS6_S6_E_S6_EEDaPvRmT3_T4_T5_mT6_P12ihipStream_tbENKUlT_T0_E_clISt17integral_constantIbLb0EESY_EEDaST_SU_EUlST_E0_NS1_11comp_targetILNS1_3genE9ELNS1_11target_archE1100ELNS1_3gpuE3ELNS1_3repE0EEENS1_30default_config_static_selectorELNS0_4arch9wavefront6targetE0EEEvT1_ ; -- Begin function _ZN7rocprim17ROCPRIM_400000_NS6detail17trampoline_kernelINS0_14default_configENS1_20scan_config_selectorIN3c104HalfEEEZZNS1_9scan_implILNS1_25lookback_scan_determinismE0ELb0ELb0ES3_PKS6_PS6_S6_ZZZN2at6native31launch_logcumsumexp_cuda_kernelERKNSD_10TensorBaseESH_lENKUlvE_clEvENKUlvE3_clEvEUlS6_S6_E_S6_EEDaPvRmT3_T4_T5_mT6_P12ihipStream_tbENKUlT_T0_E_clISt17integral_constantIbLb0EESY_EEDaST_SU_EUlST_E0_NS1_11comp_targetILNS1_3genE9ELNS1_11target_archE1100ELNS1_3gpuE3ELNS1_3repE0EEENS1_30default_config_static_selectorELNS0_4arch9wavefront6targetE0EEEvT1_
	.p2align	8
	.type	_ZN7rocprim17ROCPRIM_400000_NS6detail17trampoline_kernelINS0_14default_configENS1_20scan_config_selectorIN3c104HalfEEEZZNS1_9scan_implILNS1_25lookback_scan_determinismE0ELb0ELb0ES3_PKS6_PS6_S6_ZZZN2at6native31launch_logcumsumexp_cuda_kernelERKNSD_10TensorBaseESH_lENKUlvE_clEvENKUlvE3_clEvEUlS6_S6_E_S6_EEDaPvRmT3_T4_T5_mT6_P12ihipStream_tbENKUlT_T0_E_clISt17integral_constantIbLb0EESY_EEDaST_SU_EUlST_E0_NS1_11comp_targetILNS1_3genE9ELNS1_11target_archE1100ELNS1_3gpuE3ELNS1_3repE0EEENS1_30default_config_static_selectorELNS0_4arch9wavefront6targetE0EEEvT1_,@function
_ZN7rocprim17ROCPRIM_400000_NS6detail17trampoline_kernelINS0_14default_configENS1_20scan_config_selectorIN3c104HalfEEEZZNS1_9scan_implILNS1_25lookback_scan_determinismE0ELb0ELb0ES3_PKS6_PS6_S6_ZZZN2at6native31launch_logcumsumexp_cuda_kernelERKNSD_10TensorBaseESH_lENKUlvE_clEvENKUlvE3_clEvEUlS6_S6_E_S6_EEDaPvRmT3_T4_T5_mT6_P12ihipStream_tbENKUlT_T0_E_clISt17integral_constantIbLb0EESY_EEDaST_SU_EUlST_E0_NS1_11comp_targetILNS1_3genE9ELNS1_11target_archE1100ELNS1_3gpuE3ELNS1_3repE0EEENS1_30default_config_static_selectorELNS0_4arch9wavefront6targetE0EEEvT1_: ; @_ZN7rocprim17ROCPRIM_400000_NS6detail17trampoline_kernelINS0_14default_configENS1_20scan_config_selectorIN3c104HalfEEEZZNS1_9scan_implILNS1_25lookback_scan_determinismE0ELb0ELb0ES3_PKS6_PS6_S6_ZZZN2at6native31launch_logcumsumexp_cuda_kernelERKNSD_10TensorBaseESH_lENKUlvE_clEvENKUlvE3_clEvEUlS6_S6_E_S6_EEDaPvRmT3_T4_T5_mT6_P12ihipStream_tbENKUlT_T0_E_clISt17integral_constantIbLb0EESY_EEDaST_SU_EUlST_E0_NS1_11comp_targetILNS1_3genE9ELNS1_11target_archE1100ELNS1_3gpuE3ELNS1_3repE0EEENS1_30default_config_static_selectorELNS0_4arch9wavefront6targetE0EEEvT1_
; %bb.0:
	.section	.rodata,"a",@progbits
	.p2align	6, 0x0
	.amdhsa_kernel _ZN7rocprim17ROCPRIM_400000_NS6detail17trampoline_kernelINS0_14default_configENS1_20scan_config_selectorIN3c104HalfEEEZZNS1_9scan_implILNS1_25lookback_scan_determinismE0ELb0ELb0ES3_PKS6_PS6_S6_ZZZN2at6native31launch_logcumsumexp_cuda_kernelERKNSD_10TensorBaseESH_lENKUlvE_clEvENKUlvE3_clEvEUlS6_S6_E_S6_EEDaPvRmT3_T4_T5_mT6_P12ihipStream_tbENKUlT_T0_E_clISt17integral_constantIbLb0EESY_EEDaST_SU_EUlST_E0_NS1_11comp_targetILNS1_3genE9ELNS1_11target_archE1100ELNS1_3gpuE3ELNS1_3repE0EEENS1_30default_config_static_selectorELNS0_4arch9wavefront6targetE0EEEvT1_
		.amdhsa_group_segment_fixed_size 0
		.amdhsa_private_segment_fixed_size 0
		.amdhsa_kernarg_size 32
		.amdhsa_user_sgpr_count 2
		.amdhsa_user_sgpr_dispatch_ptr 0
		.amdhsa_user_sgpr_queue_ptr 0
		.amdhsa_user_sgpr_kernarg_segment_ptr 1
		.amdhsa_user_sgpr_dispatch_id 0
		.amdhsa_user_sgpr_private_segment_size 0
		.amdhsa_wavefront_size32 1
		.amdhsa_uses_dynamic_stack 0
		.amdhsa_enable_private_segment 0
		.amdhsa_system_sgpr_workgroup_id_x 1
		.amdhsa_system_sgpr_workgroup_id_y 0
		.amdhsa_system_sgpr_workgroup_id_z 0
		.amdhsa_system_sgpr_workgroup_info 0
		.amdhsa_system_vgpr_workitem_id 0
		.amdhsa_next_free_vgpr 1
		.amdhsa_next_free_sgpr 1
		.amdhsa_reserve_vcc 0
		.amdhsa_float_round_mode_32 0
		.amdhsa_float_round_mode_16_64 0
		.amdhsa_float_denorm_mode_32 3
		.amdhsa_float_denorm_mode_16_64 3
		.amdhsa_fp16_overflow 0
		.amdhsa_workgroup_processor_mode 1
		.amdhsa_memory_ordered 1
		.amdhsa_forward_progress 1
		.amdhsa_inst_pref_size 0
		.amdhsa_round_robin_scheduling 0
		.amdhsa_exception_fp_ieee_invalid_op 0
		.amdhsa_exception_fp_denorm_src 0
		.amdhsa_exception_fp_ieee_div_zero 0
		.amdhsa_exception_fp_ieee_overflow 0
		.amdhsa_exception_fp_ieee_underflow 0
		.amdhsa_exception_fp_ieee_inexact 0
		.amdhsa_exception_int_div_zero 0
	.end_amdhsa_kernel
	.section	.text._ZN7rocprim17ROCPRIM_400000_NS6detail17trampoline_kernelINS0_14default_configENS1_20scan_config_selectorIN3c104HalfEEEZZNS1_9scan_implILNS1_25lookback_scan_determinismE0ELb0ELb0ES3_PKS6_PS6_S6_ZZZN2at6native31launch_logcumsumexp_cuda_kernelERKNSD_10TensorBaseESH_lENKUlvE_clEvENKUlvE3_clEvEUlS6_S6_E_S6_EEDaPvRmT3_T4_T5_mT6_P12ihipStream_tbENKUlT_T0_E_clISt17integral_constantIbLb0EESY_EEDaST_SU_EUlST_E0_NS1_11comp_targetILNS1_3genE9ELNS1_11target_archE1100ELNS1_3gpuE3ELNS1_3repE0EEENS1_30default_config_static_selectorELNS0_4arch9wavefront6targetE0EEEvT1_,"axG",@progbits,_ZN7rocprim17ROCPRIM_400000_NS6detail17trampoline_kernelINS0_14default_configENS1_20scan_config_selectorIN3c104HalfEEEZZNS1_9scan_implILNS1_25lookback_scan_determinismE0ELb0ELb0ES3_PKS6_PS6_S6_ZZZN2at6native31launch_logcumsumexp_cuda_kernelERKNSD_10TensorBaseESH_lENKUlvE_clEvENKUlvE3_clEvEUlS6_S6_E_S6_EEDaPvRmT3_T4_T5_mT6_P12ihipStream_tbENKUlT_T0_E_clISt17integral_constantIbLb0EESY_EEDaST_SU_EUlST_E0_NS1_11comp_targetILNS1_3genE9ELNS1_11target_archE1100ELNS1_3gpuE3ELNS1_3repE0EEENS1_30default_config_static_selectorELNS0_4arch9wavefront6targetE0EEEvT1_,comdat
.Lfunc_end375:
	.size	_ZN7rocprim17ROCPRIM_400000_NS6detail17trampoline_kernelINS0_14default_configENS1_20scan_config_selectorIN3c104HalfEEEZZNS1_9scan_implILNS1_25lookback_scan_determinismE0ELb0ELb0ES3_PKS6_PS6_S6_ZZZN2at6native31launch_logcumsumexp_cuda_kernelERKNSD_10TensorBaseESH_lENKUlvE_clEvENKUlvE3_clEvEUlS6_S6_E_S6_EEDaPvRmT3_T4_T5_mT6_P12ihipStream_tbENKUlT_T0_E_clISt17integral_constantIbLb0EESY_EEDaST_SU_EUlST_E0_NS1_11comp_targetILNS1_3genE9ELNS1_11target_archE1100ELNS1_3gpuE3ELNS1_3repE0EEENS1_30default_config_static_selectorELNS0_4arch9wavefront6targetE0EEEvT1_, .Lfunc_end375-_ZN7rocprim17ROCPRIM_400000_NS6detail17trampoline_kernelINS0_14default_configENS1_20scan_config_selectorIN3c104HalfEEEZZNS1_9scan_implILNS1_25lookback_scan_determinismE0ELb0ELb0ES3_PKS6_PS6_S6_ZZZN2at6native31launch_logcumsumexp_cuda_kernelERKNSD_10TensorBaseESH_lENKUlvE_clEvENKUlvE3_clEvEUlS6_S6_E_S6_EEDaPvRmT3_T4_T5_mT6_P12ihipStream_tbENKUlT_T0_E_clISt17integral_constantIbLb0EESY_EEDaST_SU_EUlST_E0_NS1_11comp_targetILNS1_3genE9ELNS1_11target_archE1100ELNS1_3gpuE3ELNS1_3repE0EEENS1_30default_config_static_selectorELNS0_4arch9wavefront6targetE0EEEvT1_
                                        ; -- End function
	.set _ZN7rocprim17ROCPRIM_400000_NS6detail17trampoline_kernelINS0_14default_configENS1_20scan_config_selectorIN3c104HalfEEEZZNS1_9scan_implILNS1_25lookback_scan_determinismE0ELb0ELb0ES3_PKS6_PS6_S6_ZZZN2at6native31launch_logcumsumexp_cuda_kernelERKNSD_10TensorBaseESH_lENKUlvE_clEvENKUlvE3_clEvEUlS6_S6_E_S6_EEDaPvRmT3_T4_T5_mT6_P12ihipStream_tbENKUlT_T0_E_clISt17integral_constantIbLb0EESY_EEDaST_SU_EUlST_E0_NS1_11comp_targetILNS1_3genE9ELNS1_11target_archE1100ELNS1_3gpuE3ELNS1_3repE0EEENS1_30default_config_static_selectorELNS0_4arch9wavefront6targetE0EEEvT1_.num_vgpr, 0
	.set _ZN7rocprim17ROCPRIM_400000_NS6detail17trampoline_kernelINS0_14default_configENS1_20scan_config_selectorIN3c104HalfEEEZZNS1_9scan_implILNS1_25lookback_scan_determinismE0ELb0ELb0ES3_PKS6_PS6_S6_ZZZN2at6native31launch_logcumsumexp_cuda_kernelERKNSD_10TensorBaseESH_lENKUlvE_clEvENKUlvE3_clEvEUlS6_S6_E_S6_EEDaPvRmT3_T4_T5_mT6_P12ihipStream_tbENKUlT_T0_E_clISt17integral_constantIbLb0EESY_EEDaST_SU_EUlST_E0_NS1_11comp_targetILNS1_3genE9ELNS1_11target_archE1100ELNS1_3gpuE3ELNS1_3repE0EEENS1_30default_config_static_selectorELNS0_4arch9wavefront6targetE0EEEvT1_.num_agpr, 0
	.set _ZN7rocprim17ROCPRIM_400000_NS6detail17trampoline_kernelINS0_14default_configENS1_20scan_config_selectorIN3c104HalfEEEZZNS1_9scan_implILNS1_25lookback_scan_determinismE0ELb0ELb0ES3_PKS6_PS6_S6_ZZZN2at6native31launch_logcumsumexp_cuda_kernelERKNSD_10TensorBaseESH_lENKUlvE_clEvENKUlvE3_clEvEUlS6_S6_E_S6_EEDaPvRmT3_T4_T5_mT6_P12ihipStream_tbENKUlT_T0_E_clISt17integral_constantIbLb0EESY_EEDaST_SU_EUlST_E0_NS1_11comp_targetILNS1_3genE9ELNS1_11target_archE1100ELNS1_3gpuE3ELNS1_3repE0EEENS1_30default_config_static_selectorELNS0_4arch9wavefront6targetE0EEEvT1_.numbered_sgpr, 0
	.set _ZN7rocprim17ROCPRIM_400000_NS6detail17trampoline_kernelINS0_14default_configENS1_20scan_config_selectorIN3c104HalfEEEZZNS1_9scan_implILNS1_25lookback_scan_determinismE0ELb0ELb0ES3_PKS6_PS6_S6_ZZZN2at6native31launch_logcumsumexp_cuda_kernelERKNSD_10TensorBaseESH_lENKUlvE_clEvENKUlvE3_clEvEUlS6_S6_E_S6_EEDaPvRmT3_T4_T5_mT6_P12ihipStream_tbENKUlT_T0_E_clISt17integral_constantIbLb0EESY_EEDaST_SU_EUlST_E0_NS1_11comp_targetILNS1_3genE9ELNS1_11target_archE1100ELNS1_3gpuE3ELNS1_3repE0EEENS1_30default_config_static_selectorELNS0_4arch9wavefront6targetE0EEEvT1_.num_named_barrier, 0
	.set _ZN7rocprim17ROCPRIM_400000_NS6detail17trampoline_kernelINS0_14default_configENS1_20scan_config_selectorIN3c104HalfEEEZZNS1_9scan_implILNS1_25lookback_scan_determinismE0ELb0ELb0ES3_PKS6_PS6_S6_ZZZN2at6native31launch_logcumsumexp_cuda_kernelERKNSD_10TensorBaseESH_lENKUlvE_clEvENKUlvE3_clEvEUlS6_S6_E_S6_EEDaPvRmT3_T4_T5_mT6_P12ihipStream_tbENKUlT_T0_E_clISt17integral_constantIbLb0EESY_EEDaST_SU_EUlST_E0_NS1_11comp_targetILNS1_3genE9ELNS1_11target_archE1100ELNS1_3gpuE3ELNS1_3repE0EEENS1_30default_config_static_selectorELNS0_4arch9wavefront6targetE0EEEvT1_.private_seg_size, 0
	.set _ZN7rocprim17ROCPRIM_400000_NS6detail17trampoline_kernelINS0_14default_configENS1_20scan_config_selectorIN3c104HalfEEEZZNS1_9scan_implILNS1_25lookback_scan_determinismE0ELb0ELb0ES3_PKS6_PS6_S6_ZZZN2at6native31launch_logcumsumexp_cuda_kernelERKNSD_10TensorBaseESH_lENKUlvE_clEvENKUlvE3_clEvEUlS6_S6_E_S6_EEDaPvRmT3_T4_T5_mT6_P12ihipStream_tbENKUlT_T0_E_clISt17integral_constantIbLb0EESY_EEDaST_SU_EUlST_E0_NS1_11comp_targetILNS1_3genE9ELNS1_11target_archE1100ELNS1_3gpuE3ELNS1_3repE0EEENS1_30default_config_static_selectorELNS0_4arch9wavefront6targetE0EEEvT1_.uses_vcc, 0
	.set _ZN7rocprim17ROCPRIM_400000_NS6detail17trampoline_kernelINS0_14default_configENS1_20scan_config_selectorIN3c104HalfEEEZZNS1_9scan_implILNS1_25lookback_scan_determinismE0ELb0ELb0ES3_PKS6_PS6_S6_ZZZN2at6native31launch_logcumsumexp_cuda_kernelERKNSD_10TensorBaseESH_lENKUlvE_clEvENKUlvE3_clEvEUlS6_S6_E_S6_EEDaPvRmT3_T4_T5_mT6_P12ihipStream_tbENKUlT_T0_E_clISt17integral_constantIbLb0EESY_EEDaST_SU_EUlST_E0_NS1_11comp_targetILNS1_3genE9ELNS1_11target_archE1100ELNS1_3gpuE3ELNS1_3repE0EEENS1_30default_config_static_selectorELNS0_4arch9wavefront6targetE0EEEvT1_.uses_flat_scratch, 0
	.set _ZN7rocprim17ROCPRIM_400000_NS6detail17trampoline_kernelINS0_14default_configENS1_20scan_config_selectorIN3c104HalfEEEZZNS1_9scan_implILNS1_25lookback_scan_determinismE0ELb0ELb0ES3_PKS6_PS6_S6_ZZZN2at6native31launch_logcumsumexp_cuda_kernelERKNSD_10TensorBaseESH_lENKUlvE_clEvENKUlvE3_clEvEUlS6_S6_E_S6_EEDaPvRmT3_T4_T5_mT6_P12ihipStream_tbENKUlT_T0_E_clISt17integral_constantIbLb0EESY_EEDaST_SU_EUlST_E0_NS1_11comp_targetILNS1_3genE9ELNS1_11target_archE1100ELNS1_3gpuE3ELNS1_3repE0EEENS1_30default_config_static_selectorELNS0_4arch9wavefront6targetE0EEEvT1_.has_dyn_sized_stack, 0
	.set _ZN7rocprim17ROCPRIM_400000_NS6detail17trampoline_kernelINS0_14default_configENS1_20scan_config_selectorIN3c104HalfEEEZZNS1_9scan_implILNS1_25lookback_scan_determinismE0ELb0ELb0ES3_PKS6_PS6_S6_ZZZN2at6native31launch_logcumsumexp_cuda_kernelERKNSD_10TensorBaseESH_lENKUlvE_clEvENKUlvE3_clEvEUlS6_S6_E_S6_EEDaPvRmT3_T4_T5_mT6_P12ihipStream_tbENKUlT_T0_E_clISt17integral_constantIbLb0EESY_EEDaST_SU_EUlST_E0_NS1_11comp_targetILNS1_3genE9ELNS1_11target_archE1100ELNS1_3gpuE3ELNS1_3repE0EEENS1_30default_config_static_selectorELNS0_4arch9wavefront6targetE0EEEvT1_.has_recursion, 0
	.set _ZN7rocprim17ROCPRIM_400000_NS6detail17trampoline_kernelINS0_14default_configENS1_20scan_config_selectorIN3c104HalfEEEZZNS1_9scan_implILNS1_25lookback_scan_determinismE0ELb0ELb0ES3_PKS6_PS6_S6_ZZZN2at6native31launch_logcumsumexp_cuda_kernelERKNSD_10TensorBaseESH_lENKUlvE_clEvENKUlvE3_clEvEUlS6_S6_E_S6_EEDaPvRmT3_T4_T5_mT6_P12ihipStream_tbENKUlT_T0_E_clISt17integral_constantIbLb0EESY_EEDaST_SU_EUlST_E0_NS1_11comp_targetILNS1_3genE9ELNS1_11target_archE1100ELNS1_3gpuE3ELNS1_3repE0EEENS1_30default_config_static_selectorELNS0_4arch9wavefront6targetE0EEEvT1_.has_indirect_call, 0
	.section	.AMDGPU.csdata,"",@progbits
; Kernel info:
; codeLenInByte = 0
; TotalNumSgprs: 0
; NumVgprs: 0
; ScratchSize: 0
; MemoryBound: 0
; FloatMode: 240
; IeeeMode: 1
; LDSByteSize: 0 bytes/workgroup (compile time only)
; SGPRBlocks: 0
; VGPRBlocks: 0
; NumSGPRsForWavesPerEU: 1
; NumVGPRsForWavesPerEU: 1
; Occupancy: 16
; WaveLimiterHint : 0
; COMPUTE_PGM_RSRC2:SCRATCH_EN: 0
; COMPUTE_PGM_RSRC2:USER_SGPR: 2
; COMPUTE_PGM_RSRC2:TRAP_HANDLER: 0
; COMPUTE_PGM_RSRC2:TGID_X_EN: 1
; COMPUTE_PGM_RSRC2:TGID_Y_EN: 0
; COMPUTE_PGM_RSRC2:TGID_Z_EN: 0
; COMPUTE_PGM_RSRC2:TIDIG_COMP_CNT: 0
	.section	.text._ZN7rocprim17ROCPRIM_400000_NS6detail17trampoline_kernelINS0_14default_configENS1_20scan_config_selectorIN3c104HalfEEEZZNS1_9scan_implILNS1_25lookback_scan_determinismE0ELb0ELb0ES3_PKS6_PS6_S6_ZZZN2at6native31launch_logcumsumexp_cuda_kernelERKNSD_10TensorBaseESH_lENKUlvE_clEvENKUlvE3_clEvEUlS6_S6_E_S6_EEDaPvRmT3_T4_T5_mT6_P12ihipStream_tbENKUlT_T0_E_clISt17integral_constantIbLb0EESY_EEDaST_SU_EUlST_E0_NS1_11comp_targetILNS1_3genE8ELNS1_11target_archE1030ELNS1_3gpuE2ELNS1_3repE0EEENS1_30default_config_static_selectorELNS0_4arch9wavefront6targetE0EEEvT1_,"axG",@progbits,_ZN7rocprim17ROCPRIM_400000_NS6detail17trampoline_kernelINS0_14default_configENS1_20scan_config_selectorIN3c104HalfEEEZZNS1_9scan_implILNS1_25lookback_scan_determinismE0ELb0ELb0ES3_PKS6_PS6_S6_ZZZN2at6native31launch_logcumsumexp_cuda_kernelERKNSD_10TensorBaseESH_lENKUlvE_clEvENKUlvE3_clEvEUlS6_S6_E_S6_EEDaPvRmT3_T4_T5_mT6_P12ihipStream_tbENKUlT_T0_E_clISt17integral_constantIbLb0EESY_EEDaST_SU_EUlST_E0_NS1_11comp_targetILNS1_3genE8ELNS1_11target_archE1030ELNS1_3gpuE2ELNS1_3repE0EEENS1_30default_config_static_selectorELNS0_4arch9wavefront6targetE0EEEvT1_,comdat
	.globl	_ZN7rocprim17ROCPRIM_400000_NS6detail17trampoline_kernelINS0_14default_configENS1_20scan_config_selectorIN3c104HalfEEEZZNS1_9scan_implILNS1_25lookback_scan_determinismE0ELb0ELb0ES3_PKS6_PS6_S6_ZZZN2at6native31launch_logcumsumexp_cuda_kernelERKNSD_10TensorBaseESH_lENKUlvE_clEvENKUlvE3_clEvEUlS6_S6_E_S6_EEDaPvRmT3_T4_T5_mT6_P12ihipStream_tbENKUlT_T0_E_clISt17integral_constantIbLb0EESY_EEDaST_SU_EUlST_E0_NS1_11comp_targetILNS1_3genE8ELNS1_11target_archE1030ELNS1_3gpuE2ELNS1_3repE0EEENS1_30default_config_static_selectorELNS0_4arch9wavefront6targetE0EEEvT1_ ; -- Begin function _ZN7rocprim17ROCPRIM_400000_NS6detail17trampoline_kernelINS0_14default_configENS1_20scan_config_selectorIN3c104HalfEEEZZNS1_9scan_implILNS1_25lookback_scan_determinismE0ELb0ELb0ES3_PKS6_PS6_S6_ZZZN2at6native31launch_logcumsumexp_cuda_kernelERKNSD_10TensorBaseESH_lENKUlvE_clEvENKUlvE3_clEvEUlS6_S6_E_S6_EEDaPvRmT3_T4_T5_mT6_P12ihipStream_tbENKUlT_T0_E_clISt17integral_constantIbLb0EESY_EEDaST_SU_EUlST_E0_NS1_11comp_targetILNS1_3genE8ELNS1_11target_archE1030ELNS1_3gpuE2ELNS1_3repE0EEENS1_30default_config_static_selectorELNS0_4arch9wavefront6targetE0EEEvT1_
	.p2align	8
	.type	_ZN7rocprim17ROCPRIM_400000_NS6detail17trampoline_kernelINS0_14default_configENS1_20scan_config_selectorIN3c104HalfEEEZZNS1_9scan_implILNS1_25lookback_scan_determinismE0ELb0ELb0ES3_PKS6_PS6_S6_ZZZN2at6native31launch_logcumsumexp_cuda_kernelERKNSD_10TensorBaseESH_lENKUlvE_clEvENKUlvE3_clEvEUlS6_S6_E_S6_EEDaPvRmT3_T4_T5_mT6_P12ihipStream_tbENKUlT_T0_E_clISt17integral_constantIbLb0EESY_EEDaST_SU_EUlST_E0_NS1_11comp_targetILNS1_3genE8ELNS1_11target_archE1030ELNS1_3gpuE2ELNS1_3repE0EEENS1_30default_config_static_selectorELNS0_4arch9wavefront6targetE0EEEvT1_,@function
_ZN7rocprim17ROCPRIM_400000_NS6detail17trampoline_kernelINS0_14default_configENS1_20scan_config_selectorIN3c104HalfEEEZZNS1_9scan_implILNS1_25lookback_scan_determinismE0ELb0ELb0ES3_PKS6_PS6_S6_ZZZN2at6native31launch_logcumsumexp_cuda_kernelERKNSD_10TensorBaseESH_lENKUlvE_clEvENKUlvE3_clEvEUlS6_S6_E_S6_EEDaPvRmT3_T4_T5_mT6_P12ihipStream_tbENKUlT_T0_E_clISt17integral_constantIbLb0EESY_EEDaST_SU_EUlST_E0_NS1_11comp_targetILNS1_3genE8ELNS1_11target_archE1030ELNS1_3gpuE2ELNS1_3repE0EEENS1_30default_config_static_selectorELNS0_4arch9wavefront6targetE0EEEvT1_: ; @_ZN7rocprim17ROCPRIM_400000_NS6detail17trampoline_kernelINS0_14default_configENS1_20scan_config_selectorIN3c104HalfEEEZZNS1_9scan_implILNS1_25lookback_scan_determinismE0ELb0ELb0ES3_PKS6_PS6_S6_ZZZN2at6native31launch_logcumsumexp_cuda_kernelERKNSD_10TensorBaseESH_lENKUlvE_clEvENKUlvE3_clEvEUlS6_S6_E_S6_EEDaPvRmT3_T4_T5_mT6_P12ihipStream_tbENKUlT_T0_E_clISt17integral_constantIbLb0EESY_EEDaST_SU_EUlST_E0_NS1_11comp_targetILNS1_3genE8ELNS1_11target_archE1030ELNS1_3gpuE2ELNS1_3repE0EEENS1_30default_config_static_selectorELNS0_4arch9wavefront6targetE0EEEvT1_
; %bb.0:
	.section	.rodata,"a",@progbits
	.p2align	6, 0x0
	.amdhsa_kernel _ZN7rocprim17ROCPRIM_400000_NS6detail17trampoline_kernelINS0_14default_configENS1_20scan_config_selectorIN3c104HalfEEEZZNS1_9scan_implILNS1_25lookback_scan_determinismE0ELb0ELb0ES3_PKS6_PS6_S6_ZZZN2at6native31launch_logcumsumexp_cuda_kernelERKNSD_10TensorBaseESH_lENKUlvE_clEvENKUlvE3_clEvEUlS6_S6_E_S6_EEDaPvRmT3_T4_T5_mT6_P12ihipStream_tbENKUlT_T0_E_clISt17integral_constantIbLb0EESY_EEDaST_SU_EUlST_E0_NS1_11comp_targetILNS1_3genE8ELNS1_11target_archE1030ELNS1_3gpuE2ELNS1_3repE0EEENS1_30default_config_static_selectorELNS0_4arch9wavefront6targetE0EEEvT1_
		.amdhsa_group_segment_fixed_size 0
		.amdhsa_private_segment_fixed_size 0
		.amdhsa_kernarg_size 32
		.amdhsa_user_sgpr_count 2
		.amdhsa_user_sgpr_dispatch_ptr 0
		.amdhsa_user_sgpr_queue_ptr 0
		.amdhsa_user_sgpr_kernarg_segment_ptr 1
		.amdhsa_user_sgpr_dispatch_id 0
		.amdhsa_user_sgpr_private_segment_size 0
		.amdhsa_wavefront_size32 1
		.amdhsa_uses_dynamic_stack 0
		.amdhsa_enable_private_segment 0
		.amdhsa_system_sgpr_workgroup_id_x 1
		.amdhsa_system_sgpr_workgroup_id_y 0
		.amdhsa_system_sgpr_workgroup_id_z 0
		.amdhsa_system_sgpr_workgroup_info 0
		.amdhsa_system_vgpr_workitem_id 0
		.amdhsa_next_free_vgpr 1
		.amdhsa_next_free_sgpr 1
		.amdhsa_reserve_vcc 0
		.amdhsa_float_round_mode_32 0
		.amdhsa_float_round_mode_16_64 0
		.amdhsa_float_denorm_mode_32 3
		.amdhsa_float_denorm_mode_16_64 3
		.amdhsa_fp16_overflow 0
		.amdhsa_workgroup_processor_mode 1
		.amdhsa_memory_ordered 1
		.amdhsa_forward_progress 1
		.amdhsa_inst_pref_size 0
		.amdhsa_round_robin_scheduling 0
		.amdhsa_exception_fp_ieee_invalid_op 0
		.amdhsa_exception_fp_denorm_src 0
		.amdhsa_exception_fp_ieee_div_zero 0
		.amdhsa_exception_fp_ieee_overflow 0
		.amdhsa_exception_fp_ieee_underflow 0
		.amdhsa_exception_fp_ieee_inexact 0
		.amdhsa_exception_int_div_zero 0
	.end_amdhsa_kernel
	.section	.text._ZN7rocprim17ROCPRIM_400000_NS6detail17trampoline_kernelINS0_14default_configENS1_20scan_config_selectorIN3c104HalfEEEZZNS1_9scan_implILNS1_25lookback_scan_determinismE0ELb0ELb0ES3_PKS6_PS6_S6_ZZZN2at6native31launch_logcumsumexp_cuda_kernelERKNSD_10TensorBaseESH_lENKUlvE_clEvENKUlvE3_clEvEUlS6_S6_E_S6_EEDaPvRmT3_T4_T5_mT6_P12ihipStream_tbENKUlT_T0_E_clISt17integral_constantIbLb0EESY_EEDaST_SU_EUlST_E0_NS1_11comp_targetILNS1_3genE8ELNS1_11target_archE1030ELNS1_3gpuE2ELNS1_3repE0EEENS1_30default_config_static_selectorELNS0_4arch9wavefront6targetE0EEEvT1_,"axG",@progbits,_ZN7rocprim17ROCPRIM_400000_NS6detail17trampoline_kernelINS0_14default_configENS1_20scan_config_selectorIN3c104HalfEEEZZNS1_9scan_implILNS1_25lookback_scan_determinismE0ELb0ELb0ES3_PKS6_PS6_S6_ZZZN2at6native31launch_logcumsumexp_cuda_kernelERKNSD_10TensorBaseESH_lENKUlvE_clEvENKUlvE3_clEvEUlS6_S6_E_S6_EEDaPvRmT3_T4_T5_mT6_P12ihipStream_tbENKUlT_T0_E_clISt17integral_constantIbLb0EESY_EEDaST_SU_EUlST_E0_NS1_11comp_targetILNS1_3genE8ELNS1_11target_archE1030ELNS1_3gpuE2ELNS1_3repE0EEENS1_30default_config_static_selectorELNS0_4arch9wavefront6targetE0EEEvT1_,comdat
.Lfunc_end376:
	.size	_ZN7rocprim17ROCPRIM_400000_NS6detail17trampoline_kernelINS0_14default_configENS1_20scan_config_selectorIN3c104HalfEEEZZNS1_9scan_implILNS1_25lookback_scan_determinismE0ELb0ELb0ES3_PKS6_PS6_S6_ZZZN2at6native31launch_logcumsumexp_cuda_kernelERKNSD_10TensorBaseESH_lENKUlvE_clEvENKUlvE3_clEvEUlS6_S6_E_S6_EEDaPvRmT3_T4_T5_mT6_P12ihipStream_tbENKUlT_T0_E_clISt17integral_constantIbLb0EESY_EEDaST_SU_EUlST_E0_NS1_11comp_targetILNS1_3genE8ELNS1_11target_archE1030ELNS1_3gpuE2ELNS1_3repE0EEENS1_30default_config_static_selectorELNS0_4arch9wavefront6targetE0EEEvT1_, .Lfunc_end376-_ZN7rocprim17ROCPRIM_400000_NS6detail17trampoline_kernelINS0_14default_configENS1_20scan_config_selectorIN3c104HalfEEEZZNS1_9scan_implILNS1_25lookback_scan_determinismE0ELb0ELb0ES3_PKS6_PS6_S6_ZZZN2at6native31launch_logcumsumexp_cuda_kernelERKNSD_10TensorBaseESH_lENKUlvE_clEvENKUlvE3_clEvEUlS6_S6_E_S6_EEDaPvRmT3_T4_T5_mT6_P12ihipStream_tbENKUlT_T0_E_clISt17integral_constantIbLb0EESY_EEDaST_SU_EUlST_E0_NS1_11comp_targetILNS1_3genE8ELNS1_11target_archE1030ELNS1_3gpuE2ELNS1_3repE0EEENS1_30default_config_static_selectorELNS0_4arch9wavefront6targetE0EEEvT1_
                                        ; -- End function
	.set _ZN7rocprim17ROCPRIM_400000_NS6detail17trampoline_kernelINS0_14default_configENS1_20scan_config_selectorIN3c104HalfEEEZZNS1_9scan_implILNS1_25lookback_scan_determinismE0ELb0ELb0ES3_PKS6_PS6_S6_ZZZN2at6native31launch_logcumsumexp_cuda_kernelERKNSD_10TensorBaseESH_lENKUlvE_clEvENKUlvE3_clEvEUlS6_S6_E_S6_EEDaPvRmT3_T4_T5_mT6_P12ihipStream_tbENKUlT_T0_E_clISt17integral_constantIbLb0EESY_EEDaST_SU_EUlST_E0_NS1_11comp_targetILNS1_3genE8ELNS1_11target_archE1030ELNS1_3gpuE2ELNS1_3repE0EEENS1_30default_config_static_selectorELNS0_4arch9wavefront6targetE0EEEvT1_.num_vgpr, 0
	.set _ZN7rocprim17ROCPRIM_400000_NS6detail17trampoline_kernelINS0_14default_configENS1_20scan_config_selectorIN3c104HalfEEEZZNS1_9scan_implILNS1_25lookback_scan_determinismE0ELb0ELb0ES3_PKS6_PS6_S6_ZZZN2at6native31launch_logcumsumexp_cuda_kernelERKNSD_10TensorBaseESH_lENKUlvE_clEvENKUlvE3_clEvEUlS6_S6_E_S6_EEDaPvRmT3_T4_T5_mT6_P12ihipStream_tbENKUlT_T0_E_clISt17integral_constantIbLb0EESY_EEDaST_SU_EUlST_E0_NS1_11comp_targetILNS1_3genE8ELNS1_11target_archE1030ELNS1_3gpuE2ELNS1_3repE0EEENS1_30default_config_static_selectorELNS0_4arch9wavefront6targetE0EEEvT1_.num_agpr, 0
	.set _ZN7rocprim17ROCPRIM_400000_NS6detail17trampoline_kernelINS0_14default_configENS1_20scan_config_selectorIN3c104HalfEEEZZNS1_9scan_implILNS1_25lookback_scan_determinismE0ELb0ELb0ES3_PKS6_PS6_S6_ZZZN2at6native31launch_logcumsumexp_cuda_kernelERKNSD_10TensorBaseESH_lENKUlvE_clEvENKUlvE3_clEvEUlS6_S6_E_S6_EEDaPvRmT3_T4_T5_mT6_P12ihipStream_tbENKUlT_T0_E_clISt17integral_constantIbLb0EESY_EEDaST_SU_EUlST_E0_NS1_11comp_targetILNS1_3genE8ELNS1_11target_archE1030ELNS1_3gpuE2ELNS1_3repE0EEENS1_30default_config_static_selectorELNS0_4arch9wavefront6targetE0EEEvT1_.numbered_sgpr, 0
	.set _ZN7rocprim17ROCPRIM_400000_NS6detail17trampoline_kernelINS0_14default_configENS1_20scan_config_selectorIN3c104HalfEEEZZNS1_9scan_implILNS1_25lookback_scan_determinismE0ELb0ELb0ES3_PKS6_PS6_S6_ZZZN2at6native31launch_logcumsumexp_cuda_kernelERKNSD_10TensorBaseESH_lENKUlvE_clEvENKUlvE3_clEvEUlS6_S6_E_S6_EEDaPvRmT3_T4_T5_mT6_P12ihipStream_tbENKUlT_T0_E_clISt17integral_constantIbLb0EESY_EEDaST_SU_EUlST_E0_NS1_11comp_targetILNS1_3genE8ELNS1_11target_archE1030ELNS1_3gpuE2ELNS1_3repE0EEENS1_30default_config_static_selectorELNS0_4arch9wavefront6targetE0EEEvT1_.num_named_barrier, 0
	.set _ZN7rocprim17ROCPRIM_400000_NS6detail17trampoline_kernelINS0_14default_configENS1_20scan_config_selectorIN3c104HalfEEEZZNS1_9scan_implILNS1_25lookback_scan_determinismE0ELb0ELb0ES3_PKS6_PS6_S6_ZZZN2at6native31launch_logcumsumexp_cuda_kernelERKNSD_10TensorBaseESH_lENKUlvE_clEvENKUlvE3_clEvEUlS6_S6_E_S6_EEDaPvRmT3_T4_T5_mT6_P12ihipStream_tbENKUlT_T0_E_clISt17integral_constantIbLb0EESY_EEDaST_SU_EUlST_E0_NS1_11comp_targetILNS1_3genE8ELNS1_11target_archE1030ELNS1_3gpuE2ELNS1_3repE0EEENS1_30default_config_static_selectorELNS0_4arch9wavefront6targetE0EEEvT1_.private_seg_size, 0
	.set _ZN7rocprim17ROCPRIM_400000_NS6detail17trampoline_kernelINS0_14default_configENS1_20scan_config_selectorIN3c104HalfEEEZZNS1_9scan_implILNS1_25lookback_scan_determinismE0ELb0ELb0ES3_PKS6_PS6_S6_ZZZN2at6native31launch_logcumsumexp_cuda_kernelERKNSD_10TensorBaseESH_lENKUlvE_clEvENKUlvE3_clEvEUlS6_S6_E_S6_EEDaPvRmT3_T4_T5_mT6_P12ihipStream_tbENKUlT_T0_E_clISt17integral_constantIbLb0EESY_EEDaST_SU_EUlST_E0_NS1_11comp_targetILNS1_3genE8ELNS1_11target_archE1030ELNS1_3gpuE2ELNS1_3repE0EEENS1_30default_config_static_selectorELNS0_4arch9wavefront6targetE0EEEvT1_.uses_vcc, 0
	.set _ZN7rocprim17ROCPRIM_400000_NS6detail17trampoline_kernelINS0_14default_configENS1_20scan_config_selectorIN3c104HalfEEEZZNS1_9scan_implILNS1_25lookback_scan_determinismE0ELb0ELb0ES3_PKS6_PS6_S6_ZZZN2at6native31launch_logcumsumexp_cuda_kernelERKNSD_10TensorBaseESH_lENKUlvE_clEvENKUlvE3_clEvEUlS6_S6_E_S6_EEDaPvRmT3_T4_T5_mT6_P12ihipStream_tbENKUlT_T0_E_clISt17integral_constantIbLb0EESY_EEDaST_SU_EUlST_E0_NS1_11comp_targetILNS1_3genE8ELNS1_11target_archE1030ELNS1_3gpuE2ELNS1_3repE0EEENS1_30default_config_static_selectorELNS0_4arch9wavefront6targetE0EEEvT1_.uses_flat_scratch, 0
	.set _ZN7rocprim17ROCPRIM_400000_NS6detail17trampoline_kernelINS0_14default_configENS1_20scan_config_selectorIN3c104HalfEEEZZNS1_9scan_implILNS1_25lookback_scan_determinismE0ELb0ELb0ES3_PKS6_PS6_S6_ZZZN2at6native31launch_logcumsumexp_cuda_kernelERKNSD_10TensorBaseESH_lENKUlvE_clEvENKUlvE3_clEvEUlS6_S6_E_S6_EEDaPvRmT3_T4_T5_mT6_P12ihipStream_tbENKUlT_T0_E_clISt17integral_constantIbLb0EESY_EEDaST_SU_EUlST_E0_NS1_11comp_targetILNS1_3genE8ELNS1_11target_archE1030ELNS1_3gpuE2ELNS1_3repE0EEENS1_30default_config_static_selectorELNS0_4arch9wavefront6targetE0EEEvT1_.has_dyn_sized_stack, 0
	.set _ZN7rocprim17ROCPRIM_400000_NS6detail17trampoline_kernelINS0_14default_configENS1_20scan_config_selectorIN3c104HalfEEEZZNS1_9scan_implILNS1_25lookback_scan_determinismE0ELb0ELb0ES3_PKS6_PS6_S6_ZZZN2at6native31launch_logcumsumexp_cuda_kernelERKNSD_10TensorBaseESH_lENKUlvE_clEvENKUlvE3_clEvEUlS6_S6_E_S6_EEDaPvRmT3_T4_T5_mT6_P12ihipStream_tbENKUlT_T0_E_clISt17integral_constantIbLb0EESY_EEDaST_SU_EUlST_E0_NS1_11comp_targetILNS1_3genE8ELNS1_11target_archE1030ELNS1_3gpuE2ELNS1_3repE0EEENS1_30default_config_static_selectorELNS0_4arch9wavefront6targetE0EEEvT1_.has_recursion, 0
	.set _ZN7rocprim17ROCPRIM_400000_NS6detail17trampoline_kernelINS0_14default_configENS1_20scan_config_selectorIN3c104HalfEEEZZNS1_9scan_implILNS1_25lookback_scan_determinismE0ELb0ELb0ES3_PKS6_PS6_S6_ZZZN2at6native31launch_logcumsumexp_cuda_kernelERKNSD_10TensorBaseESH_lENKUlvE_clEvENKUlvE3_clEvEUlS6_S6_E_S6_EEDaPvRmT3_T4_T5_mT6_P12ihipStream_tbENKUlT_T0_E_clISt17integral_constantIbLb0EESY_EEDaST_SU_EUlST_E0_NS1_11comp_targetILNS1_3genE8ELNS1_11target_archE1030ELNS1_3gpuE2ELNS1_3repE0EEENS1_30default_config_static_selectorELNS0_4arch9wavefront6targetE0EEEvT1_.has_indirect_call, 0
	.section	.AMDGPU.csdata,"",@progbits
; Kernel info:
; codeLenInByte = 0
; TotalNumSgprs: 0
; NumVgprs: 0
; ScratchSize: 0
; MemoryBound: 0
; FloatMode: 240
; IeeeMode: 1
; LDSByteSize: 0 bytes/workgroup (compile time only)
; SGPRBlocks: 0
; VGPRBlocks: 0
; NumSGPRsForWavesPerEU: 1
; NumVGPRsForWavesPerEU: 1
; Occupancy: 16
; WaveLimiterHint : 0
; COMPUTE_PGM_RSRC2:SCRATCH_EN: 0
; COMPUTE_PGM_RSRC2:USER_SGPR: 2
; COMPUTE_PGM_RSRC2:TRAP_HANDLER: 0
; COMPUTE_PGM_RSRC2:TGID_X_EN: 1
; COMPUTE_PGM_RSRC2:TGID_Y_EN: 0
; COMPUTE_PGM_RSRC2:TGID_Z_EN: 0
; COMPUTE_PGM_RSRC2:TIDIG_COMP_CNT: 0
	.section	.text._ZN7rocprim17ROCPRIM_400000_NS6detail31init_lookback_scan_state_kernelINS1_19lookback_scan_stateIN3c104HalfELb1ELb1EEENS1_16block_id_wrapperIjLb1EEEEEvT_jT0_jPNS9_10value_typeE,"axG",@progbits,_ZN7rocprim17ROCPRIM_400000_NS6detail31init_lookback_scan_state_kernelINS1_19lookback_scan_stateIN3c104HalfELb1ELb1EEENS1_16block_id_wrapperIjLb1EEEEEvT_jT0_jPNS9_10value_typeE,comdat
	.protected	_ZN7rocprim17ROCPRIM_400000_NS6detail31init_lookback_scan_state_kernelINS1_19lookback_scan_stateIN3c104HalfELb1ELb1EEENS1_16block_id_wrapperIjLb1EEEEEvT_jT0_jPNS9_10value_typeE ; -- Begin function _ZN7rocprim17ROCPRIM_400000_NS6detail31init_lookback_scan_state_kernelINS1_19lookback_scan_stateIN3c104HalfELb1ELb1EEENS1_16block_id_wrapperIjLb1EEEEEvT_jT0_jPNS9_10value_typeE
	.globl	_ZN7rocprim17ROCPRIM_400000_NS6detail31init_lookback_scan_state_kernelINS1_19lookback_scan_stateIN3c104HalfELb1ELb1EEENS1_16block_id_wrapperIjLb1EEEEEvT_jT0_jPNS9_10value_typeE
	.p2align	8
	.type	_ZN7rocprim17ROCPRIM_400000_NS6detail31init_lookback_scan_state_kernelINS1_19lookback_scan_stateIN3c104HalfELb1ELb1EEENS1_16block_id_wrapperIjLb1EEEEEvT_jT0_jPNS9_10value_typeE,@function
_ZN7rocprim17ROCPRIM_400000_NS6detail31init_lookback_scan_state_kernelINS1_19lookback_scan_stateIN3c104HalfELb1ELb1EEENS1_16block_id_wrapperIjLb1EEEEEvT_jT0_jPNS9_10value_typeE: ; @_ZN7rocprim17ROCPRIM_400000_NS6detail31init_lookback_scan_state_kernelINS1_19lookback_scan_stateIN3c104HalfELb1ELb1EEENS1_16block_id_wrapperIjLb1EEEEEvT_jT0_jPNS9_10value_typeE
; %bb.0:
	s_clause 0x2
	s_load_b32 s7, s[0:1], 0x34
	s_load_b64 s[2:3], s[0:1], 0x20
	s_load_b96 s[4:6], s[0:1], 0x0
	s_wait_kmcnt 0x0
	s_and_b32 s7, s7, 0xffff
	s_cmp_eq_u64 s[2:3], 0
	v_mad_co_u64_u32 v[0:1], null, ttmp9, s7, v[0:1]
	s_cbranch_scc1 .LBB377_9
; %bb.1:
	s_load_b32 s8, s[0:1], 0x18
	s_mov_b32 s9, 0
	s_wait_kmcnt 0x0
	s_cmp_lt_u32 s8, s6
	s_cselect_b32 s7, s8, 0
	s_wait_alu 0xfffe
	v_cmp_eq_u32_e32 vcc_lo, s7, v0
	s_and_saveexec_b32 s7, vcc_lo
	s_cbranch_execz .LBB377_8
; %bb.2:
	s_add_co_i32 s8, s8, 32
	v_mov_b32_e32 v1, 0
	s_lshl_b64 s[8:9], s[8:9], 2
	s_delay_alu instid0(SALU_CYCLE_1) | instskip(SKIP_3) | instid1(VALU_DEP_1)
	s_add_nc_u64 s[8:9], s[4:5], s[8:9]
	global_load_b32 v2, v1, s[8:9] scope:SCOPE_DEV
	s_wait_loadcnt 0x0
	v_and_b32_e32 v3, 0xff0000, v2
	v_cmp_ne_u32_e32 vcc_lo, 0, v3
	s_cbranch_vccnz .LBB377_7
; %bb.3:
	s_mov_b32 s10, 1
.LBB377_4:                              ; =>This Loop Header: Depth=1
                                        ;     Child Loop BB377_5 Depth 2
	s_delay_alu instid0(SALU_CYCLE_1)
	s_mov_b32 s11, s10
.LBB377_5:                              ;   Parent Loop BB377_4 Depth=1
                                        ; =>  This Inner Loop Header: Depth=2
	s_delay_alu instid0(SALU_CYCLE_1)
	s_add_co_i32 s11, s11, -1
	s_sleep 1
	s_cmp_eq_u32 s11, 0
	s_cbranch_scc0 .LBB377_5
; %bb.6:                                ;   in Loop: Header=BB377_4 Depth=1
	global_load_b32 v2, v1, s[8:9] scope:SCOPE_DEV
	s_cmp_lt_u32 s10, 32
	s_cselect_b32 s11, -1, 0
	s_delay_alu instid0(SALU_CYCLE_1) | instskip(SKIP_3) | instid1(VALU_DEP_1)
	s_cmp_lg_u32 s11, 0
	s_add_co_ci_u32 s10, s10, 0
	s_wait_loadcnt 0x0
	v_and_b32_e32 v3, 0xff0000, v2
	v_cmp_ne_u32_e32 vcc_lo, 0, v3
	s_cbranch_vccz .LBB377_4
.LBB377_7:
	v_mov_b32_e32 v1, 0
	global_store_b16 v1, v2, s[2:3]
.LBB377_8:
	s_wait_alu 0xfffe
	s_or_b32 exec_lo, exec_lo, s7
.LBB377_9:
	s_delay_alu instid0(SALU_CYCLE_1)
	s_mov_b32 s2, exec_lo
	v_cmpx_eq_u32_e32 0, v0
	s_cbranch_execz .LBB377_11
; %bb.10:
	s_load_b64 s[0:1], s[0:1], 0x10
	v_mov_b32_e32 v1, 0
	s_wait_kmcnt 0x0
	global_store_b32 v1, v1, s[0:1]
.LBB377_11:
	s_or_b32 exec_lo, exec_lo, s2
	s_delay_alu instid0(SALU_CYCLE_1)
	s_mov_b32 s0, exec_lo
	v_cmpx_gt_u32_e64 s6, v0
	s_cbranch_execz .LBB377_13
; %bb.12:
	v_dual_mov_b32 v2, 0 :: v_dual_add_nc_u32 v1, 32, v0
	s_delay_alu instid0(VALU_DEP_1) | instskip(NEXT) | instid1(VALU_DEP_1)
	v_lshlrev_b64_e32 v[3:4], 2, v[1:2]
	v_add_co_u32 v3, vcc_lo, s4, v3
	s_delay_alu instid0(VALU_DEP_1)
	v_add_co_ci_u32_e64 v4, null, s5, v4, vcc_lo
	global_store_b32 v[3:4], v2, off
.LBB377_13:
	s_wait_alu 0xfffe
	s_or_b32 exec_lo, exec_lo, s0
	s_delay_alu instid0(SALU_CYCLE_1)
	s_mov_b32 s0, exec_lo
	v_cmpx_gt_u32_e32 32, v0
	s_cbranch_execz .LBB377_15
; %bb.14:
	v_dual_mov_b32 v1, 0 :: v_dual_mov_b32 v2, 0xff0000
	s_delay_alu instid0(VALU_DEP_1) | instskip(NEXT) | instid1(VALU_DEP_1)
	v_lshlrev_b64_e32 v[0:1], 2, v[0:1]
	v_add_co_u32 v0, vcc_lo, s4, v0
	s_wait_alu 0xfffd
	s_delay_alu instid0(VALU_DEP_2)
	v_add_co_ci_u32_e64 v1, null, s5, v1, vcc_lo
	global_store_b32 v[0:1], v2, off
.LBB377_15:
	s_endpgm
	.section	.rodata,"a",@progbits
	.p2align	6, 0x0
	.amdhsa_kernel _ZN7rocprim17ROCPRIM_400000_NS6detail31init_lookback_scan_state_kernelINS1_19lookback_scan_stateIN3c104HalfELb1ELb1EEENS1_16block_id_wrapperIjLb1EEEEEvT_jT0_jPNS9_10value_typeE
		.amdhsa_group_segment_fixed_size 0
		.amdhsa_private_segment_fixed_size 0
		.amdhsa_kernarg_size 296
		.amdhsa_user_sgpr_count 2
		.amdhsa_user_sgpr_dispatch_ptr 0
		.amdhsa_user_sgpr_queue_ptr 0
		.amdhsa_user_sgpr_kernarg_segment_ptr 1
		.amdhsa_user_sgpr_dispatch_id 0
		.amdhsa_user_sgpr_private_segment_size 0
		.amdhsa_wavefront_size32 1
		.amdhsa_uses_dynamic_stack 0
		.amdhsa_enable_private_segment 0
		.amdhsa_system_sgpr_workgroup_id_x 1
		.amdhsa_system_sgpr_workgroup_id_y 0
		.amdhsa_system_sgpr_workgroup_id_z 0
		.amdhsa_system_sgpr_workgroup_info 0
		.amdhsa_system_vgpr_workitem_id 0
		.amdhsa_next_free_vgpr 5
		.amdhsa_next_free_sgpr 12
		.amdhsa_reserve_vcc 1
		.amdhsa_float_round_mode_32 0
		.amdhsa_float_round_mode_16_64 0
		.amdhsa_float_denorm_mode_32 3
		.amdhsa_float_denorm_mode_16_64 3
		.amdhsa_fp16_overflow 0
		.amdhsa_workgroup_processor_mode 1
		.amdhsa_memory_ordered 1
		.amdhsa_forward_progress 1
		.amdhsa_inst_pref_size 4
		.amdhsa_round_robin_scheduling 0
		.amdhsa_exception_fp_ieee_invalid_op 0
		.amdhsa_exception_fp_denorm_src 0
		.amdhsa_exception_fp_ieee_div_zero 0
		.amdhsa_exception_fp_ieee_overflow 0
		.amdhsa_exception_fp_ieee_underflow 0
		.amdhsa_exception_fp_ieee_inexact 0
		.amdhsa_exception_int_div_zero 0
	.end_amdhsa_kernel
	.section	.text._ZN7rocprim17ROCPRIM_400000_NS6detail31init_lookback_scan_state_kernelINS1_19lookback_scan_stateIN3c104HalfELb1ELb1EEENS1_16block_id_wrapperIjLb1EEEEEvT_jT0_jPNS9_10value_typeE,"axG",@progbits,_ZN7rocprim17ROCPRIM_400000_NS6detail31init_lookback_scan_state_kernelINS1_19lookback_scan_stateIN3c104HalfELb1ELb1EEENS1_16block_id_wrapperIjLb1EEEEEvT_jT0_jPNS9_10value_typeE,comdat
.Lfunc_end377:
	.size	_ZN7rocprim17ROCPRIM_400000_NS6detail31init_lookback_scan_state_kernelINS1_19lookback_scan_stateIN3c104HalfELb1ELb1EEENS1_16block_id_wrapperIjLb1EEEEEvT_jT0_jPNS9_10value_typeE, .Lfunc_end377-_ZN7rocprim17ROCPRIM_400000_NS6detail31init_lookback_scan_state_kernelINS1_19lookback_scan_stateIN3c104HalfELb1ELb1EEENS1_16block_id_wrapperIjLb1EEEEEvT_jT0_jPNS9_10value_typeE
                                        ; -- End function
	.set _ZN7rocprim17ROCPRIM_400000_NS6detail31init_lookback_scan_state_kernelINS1_19lookback_scan_stateIN3c104HalfELb1ELb1EEENS1_16block_id_wrapperIjLb1EEEEEvT_jT0_jPNS9_10value_typeE.num_vgpr, 5
	.set _ZN7rocprim17ROCPRIM_400000_NS6detail31init_lookback_scan_state_kernelINS1_19lookback_scan_stateIN3c104HalfELb1ELb1EEENS1_16block_id_wrapperIjLb1EEEEEvT_jT0_jPNS9_10value_typeE.num_agpr, 0
	.set _ZN7rocprim17ROCPRIM_400000_NS6detail31init_lookback_scan_state_kernelINS1_19lookback_scan_stateIN3c104HalfELb1ELb1EEENS1_16block_id_wrapperIjLb1EEEEEvT_jT0_jPNS9_10value_typeE.numbered_sgpr, 12
	.set _ZN7rocprim17ROCPRIM_400000_NS6detail31init_lookback_scan_state_kernelINS1_19lookback_scan_stateIN3c104HalfELb1ELb1EEENS1_16block_id_wrapperIjLb1EEEEEvT_jT0_jPNS9_10value_typeE.num_named_barrier, 0
	.set _ZN7rocprim17ROCPRIM_400000_NS6detail31init_lookback_scan_state_kernelINS1_19lookback_scan_stateIN3c104HalfELb1ELb1EEENS1_16block_id_wrapperIjLb1EEEEEvT_jT0_jPNS9_10value_typeE.private_seg_size, 0
	.set _ZN7rocprim17ROCPRIM_400000_NS6detail31init_lookback_scan_state_kernelINS1_19lookback_scan_stateIN3c104HalfELb1ELb1EEENS1_16block_id_wrapperIjLb1EEEEEvT_jT0_jPNS9_10value_typeE.uses_vcc, 1
	.set _ZN7rocprim17ROCPRIM_400000_NS6detail31init_lookback_scan_state_kernelINS1_19lookback_scan_stateIN3c104HalfELb1ELb1EEENS1_16block_id_wrapperIjLb1EEEEEvT_jT0_jPNS9_10value_typeE.uses_flat_scratch, 0
	.set _ZN7rocprim17ROCPRIM_400000_NS6detail31init_lookback_scan_state_kernelINS1_19lookback_scan_stateIN3c104HalfELb1ELb1EEENS1_16block_id_wrapperIjLb1EEEEEvT_jT0_jPNS9_10value_typeE.has_dyn_sized_stack, 0
	.set _ZN7rocprim17ROCPRIM_400000_NS6detail31init_lookback_scan_state_kernelINS1_19lookback_scan_stateIN3c104HalfELb1ELb1EEENS1_16block_id_wrapperIjLb1EEEEEvT_jT0_jPNS9_10value_typeE.has_recursion, 0
	.set _ZN7rocprim17ROCPRIM_400000_NS6detail31init_lookback_scan_state_kernelINS1_19lookback_scan_stateIN3c104HalfELb1ELb1EEENS1_16block_id_wrapperIjLb1EEEEEvT_jT0_jPNS9_10value_typeE.has_indirect_call, 0
	.section	.AMDGPU.csdata,"",@progbits
; Kernel info:
; codeLenInByte = 456
; TotalNumSgprs: 14
; NumVgprs: 5
; ScratchSize: 0
; MemoryBound: 0
; FloatMode: 240
; IeeeMode: 1
; LDSByteSize: 0 bytes/workgroup (compile time only)
; SGPRBlocks: 0
; VGPRBlocks: 0
; NumSGPRsForWavesPerEU: 14
; NumVGPRsForWavesPerEU: 5
; Occupancy: 16
; WaveLimiterHint : 0
; COMPUTE_PGM_RSRC2:SCRATCH_EN: 0
; COMPUTE_PGM_RSRC2:USER_SGPR: 2
; COMPUTE_PGM_RSRC2:TRAP_HANDLER: 0
; COMPUTE_PGM_RSRC2:TGID_X_EN: 1
; COMPUTE_PGM_RSRC2:TGID_Y_EN: 0
; COMPUTE_PGM_RSRC2:TGID_Z_EN: 0
; COMPUTE_PGM_RSRC2:TIDIG_COMP_CNT: 0
	.section	.text._ZN7rocprim17ROCPRIM_400000_NS6detail17trampoline_kernelINS0_14default_configENS1_20scan_config_selectorIN3c104HalfEEEZZNS1_9scan_implILNS1_25lookback_scan_determinismE0ELb0ELb0ES3_PKS6_PS6_S6_ZZZN2at6native31launch_logcumsumexp_cuda_kernelERKNSD_10TensorBaseESH_lENKUlvE_clEvENKUlvE3_clEvEUlS6_S6_E_S6_EEDaPvRmT3_T4_T5_mT6_P12ihipStream_tbENKUlT_T0_E_clISt17integral_constantIbLb1EESY_EEDaST_SU_EUlST_E_NS1_11comp_targetILNS1_3genE0ELNS1_11target_archE4294967295ELNS1_3gpuE0ELNS1_3repE0EEENS1_30default_config_static_selectorELNS0_4arch9wavefront6targetE0EEEvT1_,"axG",@progbits,_ZN7rocprim17ROCPRIM_400000_NS6detail17trampoline_kernelINS0_14default_configENS1_20scan_config_selectorIN3c104HalfEEEZZNS1_9scan_implILNS1_25lookback_scan_determinismE0ELb0ELb0ES3_PKS6_PS6_S6_ZZZN2at6native31launch_logcumsumexp_cuda_kernelERKNSD_10TensorBaseESH_lENKUlvE_clEvENKUlvE3_clEvEUlS6_S6_E_S6_EEDaPvRmT3_T4_T5_mT6_P12ihipStream_tbENKUlT_T0_E_clISt17integral_constantIbLb1EESY_EEDaST_SU_EUlST_E_NS1_11comp_targetILNS1_3genE0ELNS1_11target_archE4294967295ELNS1_3gpuE0ELNS1_3repE0EEENS1_30default_config_static_selectorELNS0_4arch9wavefront6targetE0EEEvT1_,comdat
	.globl	_ZN7rocprim17ROCPRIM_400000_NS6detail17trampoline_kernelINS0_14default_configENS1_20scan_config_selectorIN3c104HalfEEEZZNS1_9scan_implILNS1_25lookback_scan_determinismE0ELb0ELb0ES3_PKS6_PS6_S6_ZZZN2at6native31launch_logcumsumexp_cuda_kernelERKNSD_10TensorBaseESH_lENKUlvE_clEvENKUlvE3_clEvEUlS6_S6_E_S6_EEDaPvRmT3_T4_T5_mT6_P12ihipStream_tbENKUlT_T0_E_clISt17integral_constantIbLb1EESY_EEDaST_SU_EUlST_E_NS1_11comp_targetILNS1_3genE0ELNS1_11target_archE4294967295ELNS1_3gpuE0ELNS1_3repE0EEENS1_30default_config_static_selectorELNS0_4arch9wavefront6targetE0EEEvT1_ ; -- Begin function _ZN7rocprim17ROCPRIM_400000_NS6detail17trampoline_kernelINS0_14default_configENS1_20scan_config_selectorIN3c104HalfEEEZZNS1_9scan_implILNS1_25lookback_scan_determinismE0ELb0ELb0ES3_PKS6_PS6_S6_ZZZN2at6native31launch_logcumsumexp_cuda_kernelERKNSD_10TensorBaseESH_lENKUlvE_clEvENKUlvE3_clEvEUlS6_S6_E_S6_EEDaPvRmT3_T4_T5_mT6_P12ihipStream_tbENKUlT_T0_E_clISt17integral_constantIbLb1EESY_EEDaST_SU_EUlST_E_NS1_11comp_targetILNS1_3genE0ELNS1_11target_archE4294967295ELNS1_3gpuE0ELNS1_3repE0EEENS1_30default_config_static_selectorELNS0_4arch9wavefront6targetE0EEEvT1_
	.p2align	8
	.type	_ZN7rocprim17ROCPRIM_400000_NS6detail17trampoline_kernelINS0_14default_configENS1_20scan_config_selectorIN3c104HalfEEEZZNS1_9scan_implILNS1_25lookback_scan_determinismE0ELb0ELb0ES3_PKS6_PS6_S6_ZZZN2at6native31launch_logcumsumexp_cuda_kernelERKNSD_10TensorBaseESH_lENKUlvE_clEvENKUlvE3_clEvEUlS6_S6_E_S6_EEDaPvRmT3_T4_T5_mT6_P12ihipStream_tbENKUlT_T0_E_clISt17integral_constantIbLb1EESY_EEDaST_SU_EUlST_E_NS1_11comp_targetILNS1_3genE0ELNS1_11target_archE4294967295ELNS1_3gpuE0ELNS1_3repE0EEENS1_30default_config_static_selectorELNS0_4arch9wavefront6targetE0EEEvT1_,@function
_ZN7rocprim17ROCPRIM_400000_NS6detail17trampoline_kernelINS0_14default_configENS1_20scan_config_selectorIN3c104HalfEEEZZNS1_9scan_implILNS1_25lookback_scan_determinismE0ELb0ELb0ES3_PKS6_PS6_S6_ZZZN2at6native31launch_logcumsumexp_cuda_kernelERKNSD_10TensorBaseESH_lENKUlvE_clEvENKUlvE3_clEvEUlS6_S6_E_S6_EEDaPvRmT3_T4_T5_mT6_P12ihipStream_tbENKUlT_T0_E_clISt17integral_constantIbLb1EESY_EEDaST_SU_EUlST_E_NS1_11comp_targetILNS1_3genE0ELNS1_11target_archE4294967295ELNS1_3gpuE0ELNS1_3repE0EEENS1_30default_config_static_selectorELNS0_4arch9wavefront6targetE0EEEvT1_: ; @_ZN7rocprim17ROCPRIM_400000_NS6detail17trampoline_kernelINS0_14default_configENS1_20scan_config_selectorIN3c104HalfEEEZZNS1_9scan_implILNS1_25lookback_scan_determinismE0ELb0ELb0ES3_PKS6_PS6_S6_ZZZN2at6native31launch_logcumsumexp_cuda_kernelERKNSD_10TensorBaseESH_lENKUlvE_clEvENKUlvE3_clEvEUlS6_S6_E_S6_EEDaPvRmT3_T4_T5_mT6_P12ihipStream_tbENKUlT_T0_E_clISt17integral_constantIbLb1EESY_EEDaST_SU_EUlST_E_NS1_11comp_targetILNS1_3genE0ELNS1_11target_archE4294967295ELNS1_3gpuE0ELNS1_3repE0EEENS1_30default_config_static_selectorELNS0_4arch9wavefront6targetE0EEEvT1_
; %bb.0:
	.section	.rodata,"a",@progbits
	.p2align	6, 0x0
	.amdhsa_kernel _ZN7rocprim17ROCPRIM_400000_NS6detail17trampoline_kernelINS0_14default_configENS1_20scan_config_selectorIN3c104HalfEEEZZNS1_9scan_implILNS1_25lookback_scan_determinismE0ELb0ELb0ES3_PKS6_PS6_S6_ZZZN2at6native31launch_logcumsumexp_cuda_kernelERKNSD_10TensorBaseESH_lENKUlvE_clEvENKUlvE3_clEvEUlS6_S6_E_S6_EEDaPvRmT3_T4_T5_mT6_P12ihipStream_tbENKUlT_T0_E_clISt17integral_constantIbLb1EESY_EEDaST_SU_EUlST_E_NS1_11comp_targetILNS1_3genE0ELNS1_11target_archE4294967295ELNS1_3gpuE0ELNS1_3repE0EEENS1_30default_config_static_selectorELNS0_4arch9wavefront6targetE0EEEvT1_
		.amdhsa_group_segment_fixed_size 0
		.amdhsa_private_segment_fixed_size 0
		.amdhsa_kernarg_size 96
		.amdhsa_user_sgpr_count 2
		.amdhsa_user_sgpr_dispatch_ptr 0
		.amdhsa_user_sgpr_queue_ptr 0
		.amdhsa_user_sgpr_kernarg_segment_ptr 1
		.amdhsa_user_sgpr_dispatch_id 0
		.amdhsa_user_sgpr_private_segment_size 0
		.amdhsa_wavefront_size32 1
		.amdhsa_uses_dynamic_stack 0
		.amdhsa_enable_private_segment 0
		.amdhsa_system_sgpr_workgroup_id_x 1
		.amdhsa_system_sgpr_workgroup_id_y 0
		.amdhsa_system_sgpr_workgroup_id_z 0
		.amdhsa_system_sgpr_workgroup_info 0
		.amdhsa_system_vgpr_workitem_id 0
		.amdhsa_next_free_vgpr 1
		.amdhsa_next_free_sgpr 1
		.amdhsa_reserve_vcc 0
		.amdhsa_float_round_mode_32 0
		.amdhsa_float_round_mode_16_64 0
		.amdhsa_float_denorm_mode_32 3
		.amdhsa_float_denorm_mode_16_64 3
		.amdhsa_fp16_overflow 0
		.amdhsa_workgroup_processor_mode 1
		.amdhsa_memory_ordered 1
		.amdhsa_forward_progress 1
		.amdhsa_inst_pref_size 0
		.amdhsa_round_robin_scheduling 0
		.amdhsa_exception_fp_ieee_invalid_op 0
		.amdhsa_exception_fp_denorm_src 0
		.amdhsa_exception_fp_ieee_div_zero 0
		.amdhsa_exception_fp_ieee_overflow 0
		.amdhsa_exception_fp_ieee_underflow 0
		.amdhsa_exception_fp_ieee_inexact 0
		.amdhsa_exception_int_div_zero 0
	.end_amdhsa_kernel
	.section	.text._ZN7rocprim17ROCPRIM_400000_NS6detail17trampoline_kernelINS0_14default_configENS1_20scan_config_selectorIN3c104HalfEEEZZNS1_9scan_implILNS1_25lookback_scan_determinismE0ELb0ELb0ES3_PKS6_PS6_S6_ZZZN2at6native31launch_logcumsumexp_cuda_kernelERKNSD_10TensorBaseESH_lENKUlvE_clEvENKUlvE3_clEvEUlS6_S6_E_S6_EEDaPvRmT3_T4_T5_mT6_P12ihipStream_tbENKUlT_T0_E_clISt17integral_constantIbLb1EESY_EEDaST_SU_EUlST_E_NS1_11comp_targetILNS1_3genE0ELNS1_11target_archE4294967295ELNS1_3gpuE0ELNS1_3repE0EEENS1_30default_config_static_selectorELNS0_4arch9wavefront6targetE0EEEvT1_,"axG",@progbits,_ZN7rocprim17ROCPRIM_400000_NS6detail17trampoline_kernelINS0_14default_configENS1_20scan_config_selectorIN3c104HalfEEEZZNS1_9scan_implILNS1_25lookback_scan_determinismE0ELb0ELb0ES3_PKS6_PS6_S6_ZZZN2at6native31launch_logcumsumexp_cuda_kernelERKNSD_10TensorBaseESH_lENKUlvE_clEvENKUlvE3_clEvEUlS6_S6_E_S6_EEDaPvRmT3_T4_T5_mT6_P12ihipStream_tbENKUlT_T0_E_clISt17integral_constantIbLb1EESY_EEDaST_SU_EUlST_E_NS1_11comp_targetILNS1_3genE0ELNS1_11target_archE4294967295ELNS1_3gpuE0ELNS1_3repE0EEENS1_30default_config_static_selectorELNS0_4arch9wavefront6targetE0EEEvT1_,comdat
.Lfunc_end378:
	.size	_ZN7rocprim17ROCPRIM_400000_NS6detail17trampoline_kernelINS0_14default_configENS1_20scan_config_selectorIN3c104HalfEEEZZNS1_9scan_implILNS1_25lookback_scan_determinismE0ELb0ELb0ES3_PKS6_PS6_S6_ZZZN2at6native31launch_logcumsumexp_cuda_kernelERKNSD_10TensorBaseESH_lENKUlvE_clEvENKUlvE3_clEvEUlS6_S6_E_S6_EEDaPvRmT3_T4_T5_mT6_P12ihipStream_tbENKUlT_T0_E_clISt17integral_constantIbLb1EESY_EEDaST_SU_EUlST_E_NS1_11comp_targetILNS1_3genE0ELNS1_11target_archE4294967295ELNS1_3gpuE0ELNS1_3repE0EEENS1_30default_config_static_selectorELNS0_4arch9wavefront6targetE0EEEvT1_, .Lfunc_end378-_ZN7rocprim17ROCPRIM_400000_NS6detail17trampoline_kernelINS0_14default_configENS1_20scan_config_selectorIN3c104HalfEEEZZNS1_9scan_implILNS1_25lookback_scan_determinismE0ELb0ELb0ES3_PKS6_PS6_S6_ZZZN2at6native31launch_logcumsumexp_cuda_kernelERKNSD_10TensorBaseESH_lENKUlvE_clEvENKUlvE3_clEvEUlS6_S6_E_S6_EEDaPvRmT3_T4_T5_mT6_P12ihipStream_tbENKUlT_T0_E_clISt17integral_constantIbLb1EESY_EEDaST_SU_EUlST_E_NS1_11comp_targetILNS1_3genE0ELNS1_11target_archE4294967295ELNS1_3gpuE0ELNS1_3repE0EEENS1_30default_config_static_selectorELNS0_4arch9wavefront6targetE0EEEvT1_
                                        ; -- End function
	.set _ZN7rocprim17ROCPRIM_400000_NS6detail17trampoline_kernelINS0_14default_configENS1_20scan_config_selectorIN3c104HalfEEEZZNS1_9scan_implILNS1_25lookback_scan_determinismE0ELb0ELb0ES3_PKS6_PS6_S6_ZZZN2at6native31launch_logcumsumexp_cuda_kernelERKNSD_10TensorBaseESH_lENKUlvE_clEvENKUlvE3_clEvEUlS6_S6_E_S6_EEDaPvRmT3_T4_T5_mT6_P12ihipStream_tbENKUlT_T0_E_clISt17integral_constantIbLb1EESY_EEDaST_SU_EUlST_E_NS1_11comp_targetILNS1_3genE0ELNS1_11target_archE4294967295ELNS1_3gpuE0ELNS1_3repE0EEENS1_30default_config_static_selectorELNS0_4arch9wavefront6targetE0EEEvT1_.num_vgpr, 0
	.set _ZN7rocprim17ROCPRIM_400000_NS6detail17trampoline_kernelINS0_14default_configENS1_20scan_config_selectorIN3c104HalfEEEZZNS1_9scan_implILNS1_25lookback_scan_determinismE0ELb0ELb0ES3_PKS6_PS6_S6_ZZZN2at6native31launch_logcumsumexp_cuda_kernelERKNSD_10TensorBaseESH_lENKUlvE_clEvENKUlvE3_clEvEUlS6_S6_E_S6_EEDaPvRmT3_T4_T5_mT6_P12ihipStream_tbENKUlT_T0_E_clISt17integral_constantIbLb1EESY_EEDaST_SU_EUlST_E_NS1_11comp_targetILNS1_3genE0ELNS1_11target_archE4294967295ELNS1_3gpuE0ELNS1_3repE0EEENS1_30default_config_static_selectorELNS0_4arch9wavefront6targetE0EEEvT1_.num_agpr, 0
	.set _ZN7rocprim17ROCPRIM_400000_NS6detail17trampoline_kernelINS0_14default_configENS1_20scan_config_selectorIN3c104HalfEEEZZNS1_9scan_implILNS1_25lookback_scan_determinismE0ELb0ELb0ES3_PKS6_PS6_S6_ZZZN2at6native31launch_logcumsumexp_cuda_kernelERKNSD_10TensorBaseESH_lENKUlvE_clEvENKUlvE3_clEvEUlS6_S6_E_S6_EEDaPvRmT3_T4_T5_mT6_P12ihipStream_tbENKUlT_T0_E_clISt17integral_constantIbLb1EESY_EEDaST_SU_EUlST_E_NS1_11comp_targetILNS1_3genE0ELNS1_11target_archE4294967295ELNS1_3gpuE0ELNS1_3repE0EEENS1_30default_config_static_selectorELNS0_4arch9wavefront6targetE0EEEvT1_.numbered_sgpr, 0
	.set _ZN7rocprim17ROCPRIM_400000_NS6detail17trampoline_kernelINS0_14default_configENS1_20scan_config_selectorIN3c104HalfEEEZZNS1_9scan_implILNS1_25lookback_scan_determinismE0ELb0ELb0ES3_PKS6_PS6_S6_ZZZN2at6native31launch_logcumsumexp_cuda_kernelERKNSD_10TensorBaseESH_lENKUlvE_clEvENKUlvE3_clEvEUlS6_S6_E_S6_EEDaPvRmT3_T4_T5_mT6_P12ihipStream_tbENKUlT_T0_E_clISt17integral_constantIbLb1EESY_EEDaST_SU_EUlST_E_NS1_11comp_targetILNS1_3genE0ELNS1_11target_archE4294967295ELNS1_3gpuE0ELNS1_3repE0EEENS1_30default_config_static_selectorELNS0_4arch9wavefront6targetE0EEEvT1_.num_named_barrier, 0
	.set _ZN7rocprim17ROCPRIM_400000_NS6detail17trampoline_kernelINS0_14default_configENS1_20scan_config_selectorIN3c104HalfEEEZZNS1_9scan_implILNS1_25lookback_scan_determinismE0ELb0ELb0ES3_PKS6_PS6_S6_ZZZN2at6native31launch_logcumsumexp_cuda_kernelERKNSD_10TensorBaseESH_lENKUlvE_clEvENKUlvE3_clEvEUlS6_S6_E_S6_EEDaPvRmT3_T4_T5_mT6_P12ihipStream_tbENKUlT_T0_E_clISt17integral_constantIbLb1EESY_EEDaST_SU_EUlST_E_NS1_11comp_targetILNS1_3genE0ELNS1_11target_archE4294967295ELNS1_3gpuE0ELNS1_3repE0EEENS1_30default_config_static_selectorELNS0_4arch9wavefront6targetE0EEEvT1_.private_seg_size, 0
	.set _ZN7rocprim17ROCPRIM_400000_NS6detail17trampoline_kernelINS0_14default_configENS1_20scan_config_selectorIN3c104HalfEEEZZNS1_9scan_implILNS1_25lookback_scan_determinismE0ELb0ELb0ES3_PKS6_PS6_S6_ZZZN2at6native31launch_logcumsumexp_cuda_kernelERKNSD_10TensorBaseESH_lENKUlvE_clEvENKUlvE3_clEvEUlS6_S6_E_S6_EEDaPvRmT3_T4_T5_mT6_P12ihipStream_tbENKUlT_T0_E_clISt17integral_constantIbLb1EESY_EEDaST_SU_EUlST_E_NS1_11comp_targetILNS1_3genE0ELNS1_11target_archE4294967295ELNS1_3gpuE0ELNS1_3repE0EEENS1_30default_config_static_selectorELNS0_4arch9wavefront6targetE0EEEvT1_.uses_vcc, 0
	.set _ZN7rocprim17ROCPRIM_400000_NS6detail17trampoline_kernelINS0_14default_configENS1_20scan_config_selectorIN3c104HalfEEEZZNS1_9scan_implILNS1_25lookback_scan_determinismE0ELb0ELb0ES3_PKS6_PS6_S6_ZZZN2at6native31launch_logcumsumexp_cuda_kernelERKNSD_10TensorBaseESH_lENKUlvE_clEvENKUlvE3_clEvEUlS6_S6_E_S6_EEDaPvRmT3_T4_T5_mT6_P12ihipStream_tbENKUlT_T0_E_clISt17integral_constantIbLb1EESY_EEDaST_SU_EUlST_E_NS1_11comp_targetILNS1_3genE0ELNS1_11target_archE4294967295ELNS1_3gpuE0ELNS1_3repE0EEENS1_30default_config_static_selectorELNS0_4arch9wavefront6targetE0EEEvT1_.uses_flat_scratch, 0
	.set _ZN7rocprim17ROCPRIM_400000_NS6detail17trampoline_kernelINS0_14default_configENS1_20scan_config_selectorIN3c104HalfEEEZZNS1_9scan_implILNS1_25lookback_scan_determinismE0ELb0ELb0ES3_PKS6_PS6_S6_ZZZN2at6native31launch_logcumsumexp_cuda_kernelERKNSD_10TensorBaseESH_lENKUlvE_clEvENKUlvE3_clEvEUlS6_S6_E_S6_EEDaPvRmT3_T4_T5_mT6_P12ihipStream_tbENKUlT_T0_E_clISt17integral_constantIbLb1EESY_EEDaST_SU_EUlST_E_NS1_11comp_targetILNS1_3genE0ELNS1_11target_archE4294967295ELNS1_3gpuE0ELNS1_3repE0EEENS1_30default_config_static_selectorELNS0_4arch9wavefront6targetE0EEEvT1_.has_dyn_sized_stack, 0
	.set _ZN7rocprim17ROCPRIM_400000_NS6detail17trampoline_kernelINS0_14default_configENS1_20scan_config_selectorIN3c104HalfEEEZZNS1_9scan_implILNS1_25lookback_scan_determinismE0ELb0ELb0ES3_PKS6_PS6_S6_ZZZN2at6native31launch_logcumsumexp_cuda_kernelERKNSD_10TensorBaseESH_lENKUlvE_clEvENKUlvE3_clEvEUlS6_S6_E_S6_EEDaPvRmT3_T4_T5_mT6_P12ihipStream_tbENKUlT_T0_E_clISt17integral_constantIbLb1EESY_EEDaST_SU_EUlST_E_NS1_11comp_targetILNS1_3genE0ELNS1_11target_archE4294967295ELNS1_3gpuE0ELNS1_3repE0EEENS1_30default_config_static_selectorELNS0_4arch9wavefront6targetE0EEEvT1_.has_recursion, 0
	.set _ZN7rocprim17ROCPRIM_400000_NS6detail17trampoline_kernelINS0_14default_configENS1_20scan_config_selectorIN3c104HalfEEEZZNS1_9scan_implILNS1_25lookback_scan_determinismE0ELb0ELb0ES3_PKS6_PS6_S6_ZZZN2at6native31launch_logcumsumexp_cuda_kernelERKNSD_10TensorBaseESH_lENKUlvE_clEvENKUlvE3_clEvEUlS6_S6_E_S6_EEDaPvRmT3_T4_T5_mT6_P12ihipStream_tbENKUlT_T0_E_clISt17integral_constantIbLb1EESY_EEDaST_SU_EUlST_E_NS1_11comp_targetILNS1_3genE0ELNS1_11target_archE4294967295ELNS1_3gpuE0ELNS1_3repE0EEENS1_30default_config_static_selectorELNS0_4arch9wavefront6targetE0EEEvT1_.has_indirect_call, 0
	.section	.AMDGPU.csdata,"",@progbits
; Kernel info:
; codeLenInByte = 0
; TotalNumSgprs: 0
; NumVgprs: 0
; ScratchSize: 0
; MemoryBound: 0
; FloatMode: 240
; IeeeMode: 1
; LDSByteSize: 0 bytes/workgroup (compile time only)
; SGPRBlocks: 0
; VGPRBlocks: 0
; NumSGPRsForWavesPerEU: 1
; NumVGPRsForWavesPerEU: 1
; Occupancy: 16
; WaveLimiterHint : 0
; COMPUTE_PGM_RSRC2:SCRATCH_EN: 0
; COMPUTE_PGM_RSRC2:USER_SGPR: 2
; COMPUTE_PGM_RSRC2:TRAP_HANDLER: 0
; COMPUTE_PGM_RSRC2:TGID_X_EN: 1
; COMPUTE_PGM_RSRC2:TGID_Y_EN: 0
; COMPUTE_PGM_RSRC2:TGID_Z_EN: 0
; COMPUTE_PGM_RSRC2:TIDIG_COMP_CNT: 0
	.section	.text._ZN7rocprim17ROCPRIM_400000_NS6detail17trampoline_kernelINS0_14default_configENS1_20scan_config_selectorIN3c104HalfEEEZZNS1_9scan_implILNS1_25lookback_scan_determinismE0ELb0ELb0ES3_PKS6_PS6_S6_ZZZN2at6native31launch_logcumsumexp_cuda_kernelERKNSD_10TensorBaseESH_lENKUlvE_clEvENKUlvE3_clEvEUlS6_S6_E_S6_EEDaPvRmT3_T4_T5_mT6_P12ihipStream_tbENKUlT_T0_E_clISt17integral_constantIbLb1EESY_EEDaST_SU_EUlST_E_NS1_11comp_targetILNS1_3genE5ELNS1_11target_archE942ELNS1_3gpuE9ELNS1_3repE0EEENS1_30default_config_static_selectorELNS0_4arch9wavefront6targetE0EEEvT1_,"axG",@progbits,_ZN7rocprim17ROCPRIM_400000_NS6detail17trampoline_kernelINS0_14default_configENS1_20scan_config_selectorIN3c104HalfEEEZZNS1_9scan_implILNS1_25lookback_scan_determinismE0ELb0ELb0ES3_PKS6_PS6_S6_ZZZN2at6native31launch_logcumsumexp_cuda_kernelERKNSD_10TensorBaseESH_lENKUlvE_clEvENKUlvE3_clEvEUlS6_S6_E_S6_EEDaPvRmT3_T4_T5_mT6_P12ihipStream_tbENKUlT_T0_E_clISt17integral_constantIbLb1EESY_EEDaST_SU_EUlST_E_NS1_11comp_targetILNS1_3genE5ELNS1_11target_archE942ELNS1_3gpuE9ELNS1_3repE0EEENS1_30default_config_static_selectorELNS0_4arch9wavefront6targetE0EEEvT1_,comdat
	.globl	_ZN7rocprim17ROCPRIM_400000_NS6detail17trampoline_kernelINS0_14default_configENS1_20scan_config_selectorIN3c104HalfEEEZZNS1_9scan_implILNS1_25lookback_scan_determinismE0ELb0ELb0ES3_PKS6_PS6_S6_ZZZN2at6native31launch_logcumsumexp_cuda_kernelERKNSD_10TensorBaseESH_lENKUlvE_clEvENKUlvE3_clEvEUlS6_S6_E_S6_EEDaPvRmT3_T4_T5_mT6_P12ihipStream_tbENKUlT_T0_E_clISt17integral_constantIbLb1EESY_EEDaST_SU_EUlST_E_NS1_11comp_targetILNS1_3genE5ELNS1_11target_archE942ELNS1_3gpuE9ELNS1_3repE0EEENS1_30default_config_static_selectorELNS0_4arch9wavefront6targetE0EEEvT1_ ; -- Begin function _ZN7rocprim17ROCPRIM_400000_NS6detail17trampoline_kernelINS0_14default_configENS1_20scan_config_selectorIN3c104HalfEEEZZNS1_9scan_implILNS1_25lookback_scan_determinismE0ELb0ELb0ES3_PKS6_PS6_S6_ZZZN2at6native31launch_logcumsumexp_cuda_kernelERKNSD_10TensorBaseESH_lENKUlvE_clEvENKUlvE3_clEvEUlS6_S6_E_S6_EEDaPvRmT3_T4_T5_mT6_P12ihipStream_tbENKUlT_T0_E_clISt17integral_constantIbLb1EESY_EEDaST_SU_EUlST_E_NS1_11comp_targetILNS1_3genE5ELNS1_11target_archE942ELNS1_3gpuE9ELNS1_3repE0EEENS1_30default_config_static_selectorELNS0_4arch9wavefront6targetE0EEEvT1_
	.p2align	8
	.type	_ZN7rocprim17ROCPRIM_400000_NS6detail17trampoline_kernelINS0_14default_configENS1_20scan_config_selectorIN3c104HalfEEEZZNS1_9scan_implILNS1_25lookback_scan_determinismE0ELb0ELb0ES3_PKS6_PS6_S6_ZZZN2at6native31launch_logcumsumexp_cuda_kernelERKNSD_10TensorBaseESH_lENKUlvE_clEvENKUlvE3_clEvEUlS6_S6_E_S6_EEDaPvRmT3_T4_T5_mT6_P12ihipStream_tbENKUlT_T0_E_clISt17integral_constantIbLb1EESY_EEDaST_SU_EUlST_E_NS1_11comp_targetILNS1_3genE5ELNS1_11target_archE942ELNS1_3gpuE9ELNS1_3repE0EEENS1_30default_config_static_selectorELNS0_4arch9wavefront6targetE0EEEvT1_,@function
_ZN7rocprim17ROCPRIM_400000_NS6detail17trampoline_kernelINS0_14default_configENS1_20scan_config_selectorIN3c104HalfEEEZZNS1_9scan_implILNS1_25lookback_scan_determinismE0ELb0ELb0ES3_PKS6_PS6_S6_ZZZN2at6native31launch_logcumsumexp_cuda_kernelERKNSD_10TensorBaseESH_lENKUlvE_clEvENKUlvE3_clEvEUlS6_S6_E_S6_EEDaPvRmT3_T4_T5_mT6_P12ihipStream_tbENKUlT_T0_E_clISt17integral_constantIbLb1EESY_EEDaST_SU_EUlST_E_NS1_11comp_targetILNS1_3genE5ELNS1_11target_archE942ELNS1_3gpuE9ELNS1_3repE0EEENS1_30default_config_static_selectorELNS0_4arch9wavefront6targetE0EEEvT1_: ; @_ZN7rocprim17ROCPRIM_400000_NS6detail17trampoline_kernelINS0_14default_configENS1_20scan_config_selectorIN3c104HalfEEEZZNS1_9scan_implILNS1_25lookback_scan_determinismE0ELb0ELb0ES3_PKS6_PS6_S6_ZZZN2at6native31launch_logcumsumexp_cuda_kernelERKNSD_10TensorBaseESH_lENKUlvE_clEvENKUlvE3_clEvEUlS6_S6_E_S6_EEDaPvRmT3_T4_T5_mT6_P12ihipStream_tbENKUlT_T0_E_clISt17integral_constantIbLb1EESY_EEDaST_SU_EUlST_E_NS1_11comp_targetILNS1_3genE5ELNS1_11target_archE942ELNS1_3gpuE9ELNS1_3repE0EEENS1_30default_config_static_selectorELNS0_4arch9wavefront6targetE0EEEvT1_
; %bb.0:
	.section	.rodata,"a",@progbits
	.p2align	6, 0x0
	.amdhsa_kernel _ZN7rocprim17ROCPRIM_400000_NS6detail17trampoline_kernelINS0_14default_configENS1_20scan_config_selectorIN3c104HalfEEEZZNS1_9scan_implILNS1_25lookback_scan_determinismE0ELb0ELb0ES3_PKS6_PS6_S6_ZZZN2at6native31launch_logcumsumexp_cuda_kernelERKNSD_10TensorBaseESH_lENKUlvE_clEvENKUlvE3_clEvEUlS6_S6_E_S6_EEDaPvRmT3_T4_T5_mT6_P12ihipStream_tbENKUlT_T0_E_clISt17integral_constantIbLb1EESY_EEDaST_SU_EUlST_E_NS1_11comp_targetILNS1_3genE5ELNS1_11target_archE942ELNS1_3gpuE9ELNS1_3repE0EEENS1_30default_config_static_selectorELNS0_4arch9wavefront6targetE0EEEvT1_
		.amdhsa_group_segment_fixed_size 0
		.amdhsa_private_segment_fixed_size 0
		.amdhsa_kernarg_size 96
		.amdhsa_user_sgpr_count 2
		.amdhsa_user_sgpr_dispatch_ptr 0
		.amdhsa_user_sgpr_queue_ptr 0
		.amdhsa_user_sgpr_kernarg_segment_ptr 1
		.amdhsa_user_sgpr_dispatch_id 0
		.amdhsa_user_sgpr_private_segment_size 0
		.amdhsa_wavefront_size32 1
		.amdhsa_uses_dynamic_stack 0
		.amdhsa_enable_private_segment 0
		.amdhsa_system_sgpr_workgroup_id_x 1
		.amdhsa_system_sgpr_workgroup_id_y 0
		.amdhsa_system_sgpr_workgroup_id_z 0
		.amdhsa_system_sgpr_workgroup_info 0
		.amdhsa_system_vgpr_workitem_id 0
		.amdhsa_next_free_vgpr 1
		.amdhsa_next_free_sgpr 1
		.amdhsa_reserve_vcc 0
		.amdhsa_float_round_mode_32 0
		.amdhsa_float_round_mode_16_64 0
		.amdhsa_float_denorm_mode_32 3
		.amdhsa_float_denorm_mode_16_64 3
		.amdhsa_fp16_overflow 0
		.amdhsa_workgroup_processor_mode 1
		.amdhsa_memory_ordered 1
		.amdhsa_forward_progress 1
		.amdhsa_inst_pref_size 0
		.amdhsa_round_robin_scheduling 0
		.amdhsa_exception_fp_ieee_invalid_op 0
		.amdhsa_exception_fp_denorm_src 0
		.amdhsa_exception_fp_ieee_div_zero 0
		.amdhsa_exception_fp_ieee_overflow 0
		.amdhsa_exception_fp_ieee_underflow 0
		.amdhsa_exception_fp_ieee_inexact 0
		.amdhsa_exception_int_div_zero 0
	.end_amdhsa_kernel
	.section	.text._ZN7rocprim17ROCPRIM_400000_NS6detail17trampoline_kernelINS0_14default_configENS1_20scan_config_selectorIN3c104HalfEEEZZNS1_9scan_implILNS1_25lookback_scan_determinismE0ELb0ELb0ES3_PKS6_PS6_S6_ZZZN2at6native31launch_logcumsumexp_cuda_kernelERKNSD_10TensorBaseESH_lENKUlvE_clEvENKUlvE3_clEvEUlS6_S6_E_S6_EEDaPvRmT3_T4_T5_mT6_P12ihipStream_tbENKUlT_T0_E_clISt17integral_constantIbLb1EESY_EEDaST_SU_EUlST_E_NS1_11comp_targetILNS1_3genE5ELNS1_11target_archE942ELNS1_3gpuE9ELNS1_3repE0EEENS1_30default_config_static_selectorELNS0_4arch9wavefront6targetE0EEEvT1_,"axG",@progbits,_ZN7rocprim17ROCPRIM_400000_NS6detail17trampoline_kernelINS0_14default_configENS1_20scan_config_selectorIN3c104HalfEEEZZNS1_9scan_implILNS1_25lookback_scan_determinismE0ELb0ELb0ES3_PKS6_PS6_S6_ZZZN2at6native31launch_logcumsumexp_cuda_kernelERKNSD_10TensorBaseESH_lENKUlvE_clEvENKUlvE3_clEvEUlS6_S6_E_S6_EEDaPvRmT3_T4_T5_mT6_P12ihipStream_tbENKUlT_T0_E_clISt17integral_constantIbLb1EESY_EEDaST_SU_EUlST_E_NS1_11comp_targetILNS1_3genE5ELNS1_11target_archE942ELNS1_3gpuE9ELNS1_3repE0EEENS1_30default_config_static_selectorELNS0_4arch9wavefront6targetE0EEEvT1_,comdat
.Lfunc_end379:
	.size	_ZN7rocprim17ROCPRIM_400000_NS6detail17trampoline_kernelINS0_14default_configENS1_20scan_config_selectorIN3c104HalfEEEZZNS1_9scan_implILNS1_25lookback_scan_determinismE0ELb0ELb0ES3_PKS6_PS6_S6_ZZZN2at6native31launch_logcumsumexp_cuda_kernelERKNSD_10TensorBaseESH_lENKUlvE_clEvENKUlvE3_clEvEUlS6_S6_E_S6_EEDaPvRmT3_T4_T5_mT6_P12ihipStream_tbENKUlT_T0_E_clISt17integral_constantIbLb1EESY_EEDaST_SU_EUlST_E_NS1_11comp_targetILNS1_3genE5ELNS1_11target_archE942ELNS1_3gpuE9ELNS1_3repE0EEENS1_30default_config_static_selectorELNS0_4arch9wavefront6targetE0EEEvT1_, .Lfunc_end379-_ZN7rocprim17ROCPRIM_400000_NS6detail17trampoline_kernelINS0_14default_configENS1_20scan_config_selectorIN3c104HalfEEEZZNS1_9scan_implILNS1_25lookback_scan_determinismE0ELb0ELb0ES3_PKS6_PS6_S6_ZZZN2at6native31launch_logcumsumexp_cuda_kernelERKNSD_10TensorBaseESH_lENKUlvE_clEvENKUlvE3_clEvEUlS6_S6_E_S6_EEDaPvRmT3_T4_T5_mT6_P12ihipStream_tbENKUlT_T0_E_clISt17integral_constantIbLb1EESY_EEDaST_SU_EUlST_E_NS1_11comp_targetILNS1_3genE5ELNS1_11target_archE942ELNS1_3gpuE9ELNS1_3repE0EEENS1_30default_config_static_selectorELNS0_4arch9wavefront6targetE0EEEvT1_
                                        ; -- End function
	.set _ZN7rocprim17ROCPRIM_400000_NS6detail17trampoline_kernelINS0_14default_configENS1_20scan_config_selectorIN3c104HalfEEEZZNS1_9scan_implILNS1_25lookback_scan_determinismE0ELb0ELb0ES3_PKS6_PS6_S6_ZZZN2at6native31launch_logcumsumexp_cuda_kernelERKNSD_10TensorBaseESH_lENKUlvE_clEvENKUlvE3_clEvEUlS6_S6_E_S6_EEDaPvRmT3_T4_T5_mT6_P12ihipStream_tbENKUlT_T0_E_clISt17integral_constantIbLb1EESY_EEDaST_SU_EUlST_E_NS1_11comp_targetILNS1_3genE5ELNS1_11target_archE942ELNS1_3gpuE9ELNS1_3repE0EEENS1_30default_config_static_selectorELNS0_4arch9wavefront6targetE0EEEvT1_.num_vgpr, 0
	.set _ZN7rocprim17ROCPRIM_400000_NS6detail17trampoline_kernelINS0_14default_configENS1_20scan_config_selectorIN3c104HalfEEEZZNS1_9scan_implILNS1_25lookback_scan_determinismE0ELb0ELb0ES3_PKS6_PS6_S6_ZZZN2at6native31launch_logcumsumexp_cuda_kernelERKNSD_10TensorBaseESH_lENKUlvE_clEvENKUlvE3_clEvEUlS6_S6_E_S6_EEDaPvRmT3_T4_T5_mT6_P12ihipStream_tbENKUlT_T0_E_clISt17integral_constantIbLb1EESY_EEDaST_SU_EUlST_E_NS1_11comp_targetILNS1_3genE5ELNS1_11target_archE942ELNS1_3gpuE9ELNS1_3repE0EEENS1_30default_config_static_selectorELNS0_4arch9wavefront6targetE0EEEvT1_.num_agpr, 0
	.set _ZN7rocprim17ROCPRIM_400000_NS6detail17trampoline_kernelINS0_14default_configENS1_20scan_config_selectorIN3c104HalfEEEZZNS1_9scan_implILNS1_25lookback_scan_determinismE0ELb0ELb0ES3_PKS6_PS6_S6_ZZZN2at6native31launch_logcumsumexp_cuda_kernelERKNSD_10TensorBaseESH_lENKUlvE_clEvENKUlvE3_clEvEUlS6_S6_E_S6_EEDaPvRmT3_T4_T5_mT6_P12ihipStream_tbENKUlT_T0_E_clISt17integral_constantIbLb1EESY_EEDaST_SU_EUlST_E_NS1_11comp_targetILNS1_3genE5ELNS1_11target_archE942ELNS1_3gpuE9ELNS1_3repE0EEENS1_30default_config_static_selectorELNS0_4arch9wavefront6targetE0EEEvT1_.numbered_sgpr, 0
	.set _ZN7rocprim17ROCPRIM_400000_NS6detail17trampoline_kernelINS0_14default_configENS1_20scan_config_selectorIN3c104HalfEEEZZNS1_9scan_implILNS1_25lookback_scan_determinismE0ELb0ELb0ES3_PKS6_PS6_S6_ZZZN2at6native31launch_logcumsumexp_cuda_kernelERKNSD_10TensorBaseESH_lENKUlvE_clEvENKUlvE3_clEvEUlS6_S6_E_S6_EEDaPvRmT3_T4_T5_mT6_P12ihipStream_tbENKUlT_T0_E_clISt17integral_constantIbLb1EESY_EEDaST_SU_EUlST_E_NS1_11comp_targetILNS1_3genE5ELNS1_11target_archE942ELNS1_3gpuE9ELNS1_3repE0EEENS1_30default_config_static_selectorELNS0_4arch9wavefront6targetE0EEEvT1_.num_named_barrier, 0
	.set _ZN7rocprim17ROCPRIM_400000_NS6detail17trampoline_kernelINS0_14default_configENS1_20scan_config_selectorIN3c104HalfEEEZZNS1_9scan_implILNS1_25lookback_scan_determinismE0ELb0ELb0ES3_PKS6_PS6_S6_ZZZN2at6native31launch_logcumsumexp_cuda_kernelERKNSD_10TensorBaseESH_lENKUlvE_clEvENKUlvE3_clEvEUlS6_S6_E_S6_EEDaPvRmT3_T4_T5_mT6_P12ihipStream_tbENKUlT_T0_E_clISt17integral_constantIbLb1EESY_EEDaST_SU_EUlST_E_NS1_11comp_targetILNS1_3genE5ELNS1_11target_archE942ELNS1_3gpuE9ELNS1_3repE0EEENS1_30default_config_static_selectorELNS0_4arch9wavefront6targetE0EEEvT1_.private_seg_size, 0
	.set _ZN7rocprim17ROCPRIM_400000_NS6detail17trampoline_kernelINS0_14default_configENS1_20scan_config_selectorIN3c104HalfEEEZZNS1_9scan_implILNS1_25lookback_scan_determinismE0ELb0ELb0ES3_PKS6_PS6_S6_ZZZN2at6native31launch_logcumsumexp_cuda_kernelERKNSD_10TensorBaseESH_lENKUlvE_clEvENKUlvE3_clEvEUlS6_S6_E_S6_EEDaPvRmT3_T4_T5_mT6_P12ihipStream_tbENKUlT_T0_E_clISt17integral_constantIbLb1EESY_EEDaST_SU_EUlST_E_NS1_11comp_targetILNS1_3genE5ELNS1_11target_archE942ELNS1_3gpuE9ELNS1_3repE0EEENS1_30default_config_static_selectorELNS0_4arch9wavefront6targetE0EEEvT1_.uses_vcc, 0
	.set _ZN7rocprim17ROCPRIM_400000_NS6detail17trampoline_kernelINS0_14default_configENS1_20scan_config_selectorIN3c104HalfEEEZZNS1_9scan_implILNS1_25lookback_scan_determinismE0ELb0ELb0ES3_PKS6_PS6_S6_ZZZN2at6native31launch_logcumsumexp_cuda_kernelERKNSD_10TensorBaseESH_lENKUlvE_clEvENKUlvE3_clEvEUlS6_S6_E_S6_EEDaPvRmT3_T4_T5_mT6_P12ihipStream_tbENKUlT_T0_E_clISt17integral_constantIbLb1EESY_EEDaST_SU_EUlST_E_NS1_11comp_targetILNS1_3genE5ELNS1_11target_archE942ELNS1_3gpuE9ELNS1_3repE0EEENS1_30default_config_static_selectorELNS0_4arch9wavefront6targetE0EEEvT1_.uses_flat_scratch, 0
	.set _ZN7rocprim17ROCPRIM_400000_NS6detail17trampoline_kernelINS0_14default_configENS1_20scan_config_selectorIN3c104HalfEEEZZNS1_9scan_implILNS1_25lookback_scan_determinismE0ELb0ELb0ES3_PKS6_PS6_S6_ZZZN2at6native31launch_logcumsumexp_cuda_kernelERKNSD_10TensorBaseESH_lENKUlvE_clEvENKUlvE3_clEvEUlS6_S6_E_S6_EEDaPvRmT3_T4_T5_mT6_P12ihipStream_tbENKUlT_T0_E_clISt17integral_constantIbLb1EESY_EEDaST_SU_EUlST_E_NS1_11comp_targetILNS1_3genE5ELNS1_11target_archE942ELNS1_3gpuE9ELNS1_3repE0EEENS1_30default_config_static_selectorELNS0_4arch9wavefront6targetE0EEEvT1_.has_dyn_sized_stack, 0
	.set _ZN7rocprim17ROCPRIM_400000_NS6detail17trampoline_kernelINS0_14default_configENS1_20scan_config_selectorIN3c104HalfEEEZZNS1_9scan_implILNS1_25lookback_scan_determinismE0ELb0ELb0ES3_PKS6_PS6_S6_ZZZN2at6native31launch_logcumsumexp_cuda_kernelERKNSD_10TensorBaseESH_lENKUlvE_clEvENKUlvE3_clEvEUlS6_S6_E_S6_EEDaPvRmT3_T4_T5_mT6_P12ihipStream_tbENKUlT_T0_E_clISt17integral_constantIbLb1EESY_EEDaST_SU_EUlST_E_NS1_11comp_targetILNS1_3genE5ELNS1_11target_archE942ELNS1_3gpuE9ELNS1_3repE0EEENS1_30default_config_static_selectorELNS0_4arch9wavefront6targetE0EEEvT1_.has_recursion, 0
	.set _ZN7rocprim17ROCPRIM_400000_NS6detail17trampoline_kernelINS0_14default_configENS1_20scan_config_selectorIN3c104HalfEEEZZNS1_9scan_implILNS1_25lookback_scan_determinismE0ELb0ELb0ES3_PKS6_PS6_S6_ZZZN2at6native31launch_logcumsumexp_cuda_kernelERKNSD_10TensorBaseESH_lENKUlvE_clEvENKUlvE3_clEvEUlS6_S6_E_S6_EEDaPvRmT3_T4_T5_mT6_P12ihipStream_tbENKUlT_T0_E_clISt17integral_constantIbLb1EESY_EEDaST_SU_EUlST_E_NS1_11comp_targetILNS1_3genE5ELNS1_11target_archE942ELNS1_3gpuE9ELNS1_3repE0EEENS1_30default_config_static_selectorELNS0_4arch9wavefront6targetE0EEEvT1_.has_indirect_call, 0
	.section	.AMDGPU.csdata,"",@progbits
; Kernel info:
; codeLenInByte = 0
; TotalNumSgprs: 0
; NumVgprs: 0
; ScratchSize: 0
; MemoryBound: 0
; FloatMode: 240
; IeeeMode: 1
; LDSByteSize: 0 bytes/workgroup (compile time only)
; SGPRBlocks: 0
; VGPRBlocks: 0
; NumSGPRsForWavesPerEU: 1
; NumVGPRsForWavesPerEU: 1
; Occupancy: 16
; WaveLimiterHint : 0
; COMPUTE_PGM_RSRC2:SCRATCH_EN: 0
; COMPUTE_PGM_RSRC2:USER_SGPR: 2
; COMPUTE_PGM_RSRC2:TRAP_HANDLER: 0
; COMPUTE_PGM_RSRC2:TGID_X_EN: 1
; COMPUTE_PGM_RSRC2:TGID_Y_EN: 0
; COMPUTE_PGM_RSRC2:TGID_Z_EN: 0
; COMPUTE_PGM_RSRC2:TIDIG_COMP_CNT: 0
	.section	.text._ZN7rocprim17ROCPRIM_400000_NS6detail17trampoline_kernelINS0_14default_configENS1_20scan_config_selectorIN3c104HalfEEEZZNS1_9scan_implILNS1_25lookback_scan_determinismE0ELb0ELb0ES3_PKS6_PS6_S6_ZZZN2at6native31launch_logcumsumexp_cuda_kernelERKNSD_10TensorBaseESH_lENKUlvE_clEvENKUlvE3_clEvEUlS6_S6_E_S6_EEDaPvRmT3_T4_T5_mT6_P12ihipStream_tbENKUlT_T0_E_clISt17integral_constantIbLb1EESY_EEDaST_SU_EUlST_E_NS1_11comp_targetILNS1_3genE4ELNS1_11target_archE910ELNS1_3gpuE8ELNS1_3repE0EEENS1_30default_config_static_selectorELNS0_4arch9wavefront6targetE0EEEvT1_,"axG",@progbits,_ZN7rocprim17ROCPRIM_400000_NS6detail17trampoline_kernelINS0_14default_configENS1_20scan_config_selectorIN3c104HalfEEEZZNS1_9scan_implILNS1_25lookback_scan_determinismE0ELb0ELb0ES3_PKS6_PS6_S6_ZZZN2at6native31launch_logcumsumexp_cuda_kernelERKNSD_10TensorBaseESH_lENKUlvE_clEvENKUlvE3_clEvEUlS6_S6_E_S6_EEDaPvRmT3_T4_T5_mT6_P12ihipStream_tbENKUlT_T0_E_clISt17integral_constantIbLb1EESY_EEDaST_SU_EUlST_E_NS1_11comp_targetILNS1_3genE4ELNS1_11target_archE910ELNS1_3gpuE8ELNS1_3repE0EEENS1_30default_config_static_selectorELNS0_4arch9wavefront6targetE0EEEvT1_,comdat
	.globl	_ZN7rocprim17ROCPRIM_400000_NS6detail17trampoline_kernelINS0_14default_configENS1_20scan_config_selectorIN3c104HalfEEEZZNS1_9scan_implILNS1_25lookback_scan_determinismE0ELb0ELb0ES3_PKS6_PS6_S6_ZZZN2at6native31launch_logcumsumexp_cuda_kernelERKNSD_10TensorBaseESH_lENKUlvE_clEvENKUlvE3_clEvEUlS6_S6_E_S6_EEDaPvRmT3_T4_T5_mT6_P12ihipStream_tbENKUlT_T0_E_clISt17integral_constantIbLb1EESY_EEDaST_SU_EUlST_E_NS1_11comp_targetILNS1_3genE4ELNS1_11target_archE910ELNS1_3gpuE8ELNS1_3repE0EEENS1_30default_config_static_selectorELNS0_4arch9wavefront6targetE0EEEvT1_ ; -- Begin function _ZN7rocprim17ROCPRIM_400000_NS6detail17trampoline_kernelINS0_14default_configENS1_20scan_config_selectorIN3c104HalfEEEZZNS1_9scan_implILNS1_25lookback_scan_determinismE0ELb0ELb0ES3_PKS6_PS6_S6_ZZZN2at6native31launch_logcumsumexp_cuda_kernelERKNSD_10TensorBaseESH_lENKUlvE_clEvENKUlvE3_clEvEUlS6_S6_E_S6_EEDaPvRmT3_T4_T5_mT6_P12ihipStream_tbENKUlT_T0_E_clISt17integral_constantIbLb1EESY_EEDaST_SU_EUlST_E_NS1_11comp_targetILNS1_3genE4ELNS1_11target_archE910ELNS1_3gpuE8ELNS1_3repE0EEENS1_30default_config_static_selectorELNS0_4arch9wavefront6targetE0EEEvT1_
	.p2align	8
	.type	_ZN7rocprim17ROCPRIM_400000_NS6detail17trampoline_kernelINS0_14default_configENS1_20scan_config_selectorIN3c104HalfEEEZZNS1_9scan_implILNS1_25lookback_scan_determinismE0ELb0ELb0ES3_PKS6_PS6_S6_ZZZN2at6native31launch_logcumsumexp_cuda_kernelERKNSD_10TensorBaseESH_lENKUlvE_clEvENKUlvE3_clEvEUlS6_S6_E_S6_EEDaPvRmT3_T4_T5_mT6_P12ihipStream_tbENKUlT_T0_E_clISt17integral_constantIbLb1EESY_EEDaST_SU_EUlST_E_NS1_11comp_targetILNS1_3genE4ELNS1_11target_archE910ELNS1_3gpuE8ELNS1_3repE0EEENS1_30default_config_static_selectorELNS0_4arch9wavefront6targetE0EEEvT1_,@function
_ZN7rocprim17ROCPRIM_400000_NS6detail17trampoline_kernelINS0_14default_configENS1_20scan_config_selectorIN3c104HalfEEEZZNS1_9scan_implILNS1_25lookback_scan_determinismE0ELb0ELb0ES3_PKS6_PS6_S6_ZZZN2at6native31launch_logcumsumexp_cuda_kernelERKNSD_10TensorBaseESH_lENKUlvE_clEvENKUlvE3_clEvEUlS6_S6_E_S6_EEDaPvRmT3_T4_T5_mT6_P12ihipStream_tbENKUlT_T0_E_clISt17integral_constantIbLb1EESY_EEDaST_SU_EUlST_E_NS1_11comp_targetILNS1_3genE4ELNS1_11target_archE910ELNS1_3gpuE8ELNS1_3repE0EEENS1_30default_config_static_selectorELNS0_4arch9wavefront6targetE0EEEvT1_: ; @_ZN7rocprim17ROCPRIM_400000_NS6detail17trampoline_kernelINS0_14default_configENS1_20scan_config_selectorIN3c104HalfEEEZZNS1_9scan_implILNS1_25lookback_scan_determinismE0ELb0ELb0ES3_PKS6_PS6_S6_ZZZN2at6native31launch_logcumsumexp_cuda_kernelERKNSD_10TensorBaseESH_lENKUlvE_clEvENKUlvE3_clEvEUlS6_S6_E_S6_EEDaPvRmT3_T4_T5_mT6_P12ihipStream_tbENKUlT_T0_E_clISt17integral_constantIbLb1EESY_EEDaST_SU_EUlST_E_NS1_11comp_targetILNS1_3genE4ELNS1_11target_archE910ELNS1_3gpuE8ELNS1_3repE0EEENS1_30default_config_static_selectorELNS0_4arch9wavefront6targetE0EEEvT1_
; %bb.0:
	.section	.rodata,"a",@progbits
	.p2align	6, 0x0
	.amdhsa_kernel _ZN7rocprim17ROCPRIM_400000_NS6detail17trampoline_kernelINS0_14default_configENS1_20scan_config_selectorIN3c104HalfEEEZZNS1_9scan_implILNS1_25lookback_scan_determinismE0ELb0ELb0ES3_PKS6_PS6_S6_ZZZN2at6native31launch_logcumsumexp_cuda_kernelERKNSD_10TensorBaseESH_lENKUlvE_clEvENKUlvE3_clEvEUlS6_S6_E_S6_EEDaPvRmT3_T4_T5_mT6_P12ihipStream_tbENKUlT_T0_E_clISt17integral_constantIbLb1EESY_EEDaST_SU_EUlST_E_NS1_11comp_targetILNS1_3genE4ELNS1_11target_archE910ELNS1_3gpuE8ELNS1_3repE0EEENS1_30default_config_static_selectorELNS0_4arch9wavefront6targetE0EEEvT1_
		.amdhsa_group_segment_fixed_size 0
		.amdhsa_private_segment_fixed_size 0
		.amdhsa_kernarg_size 96
		.amdhsa_user_sgpr_count 2
		.amdhsa_user_sgpr_dispatch_ptr 0
		.amdhsa_user_sgpr_queue_ptr 0
		.amdhsa_user_sgpr_kernarg_segment_ptr 1
		.amdhsa_user_sgpr_dispatch_id 0
		.amdhsa_user_sgpr_private_segment_size 0
		.amdhsa_wavefront_size32 1
		.amdhsa_uses_dynamic_stack 0
		.amdhsa_enable_private_segment 0
		.amdhsa_system_sgpr_workgroup_id_x 1
		.amdhsa_system_sgpr_workgroup_id_y 0
		.amdhsa_system_sgpr_workgroup_id_z 0
		.amdhsa_system_sgpr_workgroup_info 0
		.amdhsa_system_vgpr_workitem_id 0
		.amdhsa_next_free_vgpr 1
		.amdhsa_next_free_sgpr 1
		.amdhsa_reserve_vcc 0
		.amdhsa_float_round_mode_32 0
		.amdhsa_float_round_mode_16_64 0
		.amdhsa_float_denorm_mode_32 3
		.amdhsa_float_denorm_mode_16_64 3
		.amdhsa_fp16_overflow 0
		.amdhsa_workgroup_processor_mode 1
		.amdhsa_memory_ordered 1
		.amdhsa_forward_progress 1
		.amdhsa_inst_pref_size 0
		.amdhsa_round_robin_scheduling 0
		.amdhsa_exception_fp_ieee_invalid_op 0
		.amdhsa_exception_fp_denorm_src 0
		.amdhsa_exception_fp_ieee_div_zero 0
		.amdhsa_exception_fp_ieee_overflow 0
		.amdhsa_exception_fp_ieee_underflow 0
		.amdhsa_exception_fp_ieee_inexact 0
		.amdhsa_exception_int_div_zero 0
	.end_amdhsa_kernel
	.section	.text._ZN7rocprim17ROCPRIM_400000_NS6detail17trampoline_kernelINS0_14default_configENS1_20scan_config_selectorIN3c104HalfEEEZZNS1_9scan_implILNS1_25lookback_scan_determinismE0ELb0ELb0ES3_PKS6_PS6_S6_ZZZN2at6native31launch_logcumsumexp_cuda_kernelERKNSD_10TensorBaseESH_lENKUlvE_clEvENKUlvE3_clEvEUlS6_S6_E_S6_EEDaPvRmT3_T4_T5_mT6_P12ihipStream_tbENKUlT_T0_E_clISt17integral_constantIbLb1EESY_EEDaST_SU_EUlST_E_NS1_11comp_targetILNS1_3genE4ELNS1_11target_archE910ELNS1_3gpuE8ELNS1_3repE0EEENS1_30default_config_static_selectorELNS0_4arch9wavefront6targetE0EEEvT1_,"axG",@progbits,_ZN7rocprim17ROCPRIM_400000_NS6detail17trampoline_kernelINS0_14default_configENS1_20scan_config_selectorIN3c104HalfEEEZZNS1_9scan_implILNS1_25lookback_scan_determinismE0ELb0ELb0ES3_PKS6_PS6_S6_ZZZN2at6native31launch_logcumsumexp_cuda_kernelERKNSD_10TensorBaseESH_lENKUlvE_clEvENKUlvE3_clEvEUlS6_S6_E_S6_EEDaPvRmT3_T4_T5_mT6_P12ihipStream_tbENKUlT_T0_E_clISt17integral_constantIbLb1EESY_EEDaST_SU_EUlST_E_NS1_11comp_targetILNS1_3genE4ELNS1_11target_archE910ELNS1_3gpuE8ELNS1_3repE0EEENS1_30default_config_static_selectorELNS0_4arch9wavefront6targetE0EEEvT1_,comdat
.Lfunc_end380:
	.size	_ZN7rocprim17ROCPRIM_400000_NS6detail17trampoline_kernelINS0_14default_configENS1_20scan_config_selectorIN3c104HalfEEEZZNS1_9scan_implILNS1_25lookback_scan_determinismE0ELb0ELb0ES3_PKS6_PS6_S6_ZZZN2at6native31launch_logcumsumexp_cuda_kernelERKNSD_10TensorBaseESH_lENKUlvE_clEvENKUlvE3_clEvEUlS6_S6_E_S6_EEDaPvRmT3_T4_T5_mT6_P12ihipStream_tbENKUlT_T0_E_clISt17integral_constantIbLb1EESY_EEDaST_SU_EUlST_E_NS1_11comp_targetILNS1_3genE4ELNS1_11target_archE910ELNS1_3gpuE8ELNS1_3repE0EEENS1_30default_config_static_selectorELNS0_4arch9wavefront6targetE0EEEvT1_, .Lfunc_end380-_ZN7rocprim17ROCPRIM_400000_NS6detail17trampoline_kernelINS0_14default_configENS1_20scan_config_selectorIN3c104HalfEEEZZNS1_9scan_implILNS1_25lookback_scan_determinismE0ELb0ELb0ES3_PKS6_PS6_S6_ZZZN2at6native31launch_logcumsumexp_cuda_kernelERKNSD_10TensorBaseESH_lENKUlvE_clEvENKUlvE3_clEvEUlS6_S6_E_S6_EEDaPvRmT3_T4_T5_mT6_P12ihipStream_tbENKUlT_T0_E_clISt17integral_constantIbLb1EESY_EEDaST_SU_EUlST_E_NS1_11comp_targetILNS1_3genE4ELNS1_11target_archE910ELNS1_3gpuE8ELNS1_3repE0EEENS1_30default_config_static_selectorELNS0_4arch9wavefront6targetE0EEEvT1_
                                        ; -- End function
	.set _ZN7rocprim17ROCPRIM_400000_NS6detail17trampoline_kernelINS0_14default_configENS1_20scan_config_selectorIN3c104HalfEEEZZNS1_9scan_implILNS1_25lookback_scan_determinismE0ELb0ELb0ES3_PKS6_PS6_S6_ZZZN2at6native31launch_logcumsumexp_cuda_kernelERKNSD_10TensorBaseESH_lENKUlvE_clEvENKUlvE3_clEvEUlS6_S6_E_S6_EEDaPvRmT3_T4_T5_mT6_P12ihipStream_tbENKUlT_T0_E_clISt17integral_constantIbLb1EESY_EEDaST_SU_EUlST_E_NS1_11comp_targetILNS1_3genE4ELNS1_11target_archE910ELNS1_3gpuE8ELNS1_3repE0EEENS1_30default_config_static_selectorELNS0_4arch9wavefront6targetE0EEEvT1_.num_vgpr, 0
	.set _ZN7rocprim17ROCPRIM_400000_NS6detail17trampoline_kernelINS0_14default_configENS1_20scan_config_selectorIN3c104HalfEEEZZNS1_9scan_implILNS1_25lookback_scan_determinismE0ELb0ELb0ES3_PKS6_PS6_S6_ZZZN2at6native31launch_logcumsumexp_cuda_kernelERKNSD_10TensorBaseESH_lENKUlvE_clEvENKUlvE3_clEvEUlS6_S6_E_S6_EEDaPvRmT3_T4_T5_mT6_P12ihipStream_tbENKUlT_T0_E_clISt17integral_constantIbLb1EESY_EEDaST_SU_EUlST_E_NS1_11comp_targetILNS1_3genE4ELNS1_11target_archE910ELNS1_3gpuE8ELNS1_3repE0EEENS1_30default_config_static_selectorELNS0_4arch9wavefront6targetE0EEEvT1_.num_agpr, 0
	.set _ZN7rocprim17ROCPRIM_400000_NS6detail17trampoline_kernelINS0_14default_configENS1_20scan_config_selectorIN3c104HalfEEEZZNS1_9scan_implILNS1_25lookback_scan_determinismE0ELb0ELb0ES3_PKS6_PS6_S6_ZZZN2at6native31launch_logcumsumexp_cuda_kernelERKNSD_10TensorBaseESH_lENKUlvE_clEvENKUlvE3_clEvEUlS6_S6_E_S6_EEDaPvRmT3_T4_T5_mT6_P12ihipStream_tbENKUlT_T0_E_clISt17integral_constantIbLb1EESY_EEDaST_SU_EUlST_E_NS1_11comp_targetILNS1_3genE4ELNS1_11target_archE910ELNS1_3gpuE8ELNS1_3repE0EEENS1_30default_config_static_selectorELNS0_4arch9wavefront6targetE0EEEvT1_.numbered_sgpr, 0
	.set _ZN7rocprim17ROCPRIM_400000_NS6detail17trampoline_kernelINS0_14default_configENS1_20scan_config_selectorIN3c104HalfEEEZZNS1_9scan_implILNS1_25lookback_scan_determinismE0ELb0ELb0ES3_PKS6_PS6_S6_ZZZN2at6native31launch_logcumsumexp_cuda_kernelERKNSD_10TensorBaseESH_lENKUlvE_clEvENKUlvE3_clEvEUlS6_S6_E_S6_EEDaPvRmT3_T4_T5_mT6_P12ihipStream_tbENKUlT_T0_E_clISt17integral_constantIbLb1EESY_EEDaST_SU_EUlST_E_NS1_11comp_targetILNS1_3genE4ELNS1_11target_archE910ELNS1_3gpuE8ELNS1_3repE0EEENS1_30default_config_static_selectorELNS0_4arch9wavefront6targetE0EEEvT1_.num_named_barrier, 0
	.set _ZN7rocprim17ROCPRIM_400000_NS6detail17trampoline_kernelINS0_14default_configENS1_20scan_config_selectorIN3c104HalfEEEZZNS1_9scan_implILNS1_25lookback_scan_determinismE0ELb0ELb0ES3_PKS6_PS6_S6_ZZZN2at6native31launch_logcumsumexp_cuda_kernelERKNSD_10TensorBaseESH_lENKUlvE_clEvENKUlvE3_clEvEUlS6_S6_E_S6_EEDaPvRmT3_T4_T5_mT6_P12ihipStream_tbENKUlT_T0_E_clISt17integral_constantIbLb1EESY_EEDaST_SU_EUlST_E_NS1_11comp_targetILNS1_3genE4ELNS1_11target_archE910ELNS1_3gpuE8ELNS1_3repE0EEENS1_30default_config_static_selectorELNS0_4arch9wavefront6targetE0EEEvT1_.private_seg_size, 0
	.set _ZN7rocprim17ROCPRIM_400000_NS6detail17trampoline_kernelINS0_14default_configENS1_20scan_config_selectorIN3c104HalfEEEZZNS1_9scan_implILNS1_25lookback_scan_determinismE0ELb0ELb0ES3_PKS6_PS6_S6_ZZZN2at6native31launch_logcumsumexp_cuda_kernelERKNSD_10TensorBaseESH_lENKUlvE_clEvENKUlvE3_clEvEUlS6_S6_E_S6_EEDaPvRmT3_T4_T5_mT6_P12ihipStream_tbENKUlT_T0_E_clISt17integral_constantIbLb1EESY_EEDaST_SU_EUlST_E_NS1_11comp_targetILNS1_3genE4ELNS1_11target_archE910ELNS1_3gpuE8ELNS1_3repE0EEENS1_30default_config_static_selectorELNS0_4arch9wavefront6targetE0EEEvT1_.uses_vcc, 0
	.set _ZN7rocprim17ROCPRIM_400000_NS6detail17trampoline_kernelINS0_14default_configENS1_20scan_config_selectorIN3c104HalfEEEZZNS1_9scan_implILNS1_25lookback_scan_determinismE0ELb0ELb0ES3_PKS6_PS6_S6_ZZZN2at6native31launch_logcumsumexp_cuda_kernelERKNSD_10TensorBaseESH_lENKUlvE_clEvENKUlvE3_clEvEUlS6_S6_E_S6_EEDaPvRmT3_T4_T5_mT6_P12ihipStream_tbENKUlT_T0_E_clISt17integral_constantIbLb1EESY_EEDaST_SU_EUlST_E_NS1_11comp_targetILNS1_3genE4ELNS1_11target_archE910ELNS1_3gpuE8ELNS1_3repE0EEENS1_30default_config_static_selectorELNS0_4arch9wavefront6targetE0EEEvT1_.uses_flat_scratch, 0
	.set _ZN7rocprim17ROCPRIM_400000_NS6detail17trampoline_kernelINS0_14default_configENS1_20scan_config_selectorIN3c104HalfEEEZZNS1_9scan_implILNS1_25lookback_scan_determinismE0ELb0ELb0ES3_PKS6_PS6_S6_ZZZN2at6native31launch_logcumsumexp_cuda_kernelERKNSD_10TensorBaseESH_lENKUlvE_clEvENKUlvE3_clEvEUlS6_S6_E_S6_EEDaPvRmT3_T4_T5_mT6_P12ihipStream_tbENKUlT_T0_E_clISt17integral_constantIbLb1EESY_EEDaST_SU_EUlST_E_NS1_11comp_targetILNS1_3genE4ELNS1_11target_archE910ELNS1_3gpuE8ELNS1_3repE0EEENS1_30default_config_static_selectorELNS0_4arch9wavefront6targetE0EEEvT1_.has_dyn_sized_stack, 0
	.set _ZN7rocprim17ROCPRIM_400000_NS6detail17trampoline_kernelINS0_14default_configENS1_20scan_config_selectorIN3c104HalfEEEZZNS1_9scan_implILNS1_25lookback_scan_determinismE0ELb0ELb0ES3_PKS6_PS6_S6_ZZZN2at6native31launch_logcumsumexp_cuda_kernelERKNSD_10TensorBaseESH_lENKUlvE_clEvENKUlvE3_clEvEUlS6_S6_E_S6_EEDaPvRmT3_T4_T5_mT6_P12ihipStream_tbENKUlT_T0_E_clISt17integral_constantIbLb1EESY_EEDaST_SU_EUlST_E_NS1_11comp_targetILNS1_3genE4ELNS1_11target_archE910ELNS1_3gpuE8ELNS1_3repE0EEENS1_30default_config_static_selectorELNS0_4arch9wavefront6targetE0EEEvT1_.has_recursion, 0
	.set _ZN7rocprim17ROCPRIM_400000_NS6detail17trampoline_kernelINS0_14default_configENS1_20scan_config_selectorIN3c104HalfEEEZZNS1_9scan_implILNS1_25lookback_scan_determinismE0ELb0ELb0ES3_PKS6_PS6_S6_ZZZN2at6native31launch_logcumsumexp_cuda_kernelERKNSD_10TensorBaseESH_lENKUlvE_clEvENKUlvE3_clEvEUlS6_S6_E_S6_EEDaPvRmT3_T4_T5_mT6_P12ihipStream_tbENKUlT_T0_E_clISt17integral_constantIbLb1EESY_EEDaST_SU_EUlST_E_NS1_11comp_targetILNS1_3genE4ELNS1_11target_archE910ELNS1_3gpuE8ELNS1_3repE0EEENS1_30default_config_static_selectorELNS0_4arch9wavefront6targetE0EEEvT1_.has_indirect_call, 0
	.section	.AMDGPU.csdata,"",@progbits
; Kernel info:
; codeLenInByte = 0
; TotalNumSgprs: 0
; NumVgprs: 0
; ScratchSize: 0
; MemoryBound: 0
; FloatMode: 240
; IeeeMode: 1
; LDSByteSize: 0 bytes/workgroup (compile time only)
; SGPRBlocks: 0
; VGPRBlocks: 0
; NumSGPRsForWavesPerEU: 1
; NumVGPRsForWavesPerEU: 1
; Occupancy: 16
; WaveLimiterHint : 0
; COMPUTE_PGM_RSRC2:SCRATCH_EN: 0
; COMPUTE_PGM_RSRC2:USER_SGPR: 2
; COMPUTE_PGM_RSRC2:TRAP_HANDLER: 0
; COMPUTE_PGM_RSRC2:TGID_X_EN: 1
; COMPUTE_PGM_RSRC2:TGID_Y_EN: 0
; COMPUTE_PGM_RSRC2:TGID_Z_EN: 0
; COMPUTE_PGM_RSRC2:TIDIG_COMP_CNT: 0
	.section	.text._ZN7rocprim17ROCPRIM_400000_NS6detail17trampoline_kernelINS0_14default_configENS1_20scan_config_selectorIN3c104HalfEEEZZNS1_9scan_implILNS1_25lookback_scan_determinismE0ELb0ELb0ES3_PKS6_PS6_S6_ZZZN2at6native31launch_logcumsumexp_cuda_kernelERKNSD_10TensorBaseESH_lENKUlvE_clEvENKUlvE3_clEvEUlS6_S6_E_S6_EEDaPvRmT3_T4_T5_mT6_P12ihipStream_tbENKUlT_T0_E_clISt17integral_constantIbLb1EESY_EEDaST_SU_EUlST_E_NS1_11comp_targetILNS1_3genE3ELNS1_11target_archE908ELNS1_3gpuE7ELNS1_3repE0EEENS1_30default_config_static_selectorELNS0_4arch9wavefront6targetE0EEEvT1_,"axG",@progbits,_ZN7rocprim17ROCPRIM_400000_NS6detail17trampoline_kernelINS0_14default_configENS1_20scan_config_selectorIN3c104HalfEEEZZNS1_9scan_implILNS1_25lookback_scan_determinismE0ELb0ELb0ES3_PKS6_PS6_S6_ZZZN2at6native31launch_logcumsumexp_cuda_kernelERKNSD_10TensorBaseESH_lENKUlvE_clEvENKUlvE3_clEvEUlS6_S6_E_S6_EEDaPvRmT3_T4_T5_mT6_P12ihipStream_tbENKUlT_T0_E_clISt17integral_constantIbLb1EESY_EEDaST_SU_EUlST_E_NS1_11comp_targetILNS1_3genE3ELNS1_11target_archE908ELNS1_3gpuE7ELNS1_3repE0EEENS1_30default_config_static_selectorELNS0_4arch9wavefront6targetE0EEEvT1_,comdat
	.globl	_ZN7rocprim17ROCPRIM_400000_NS6detail17trampoline_kernelINS0_14default_configENS1_20scan_config_selectorIN3c104HalfEEEZZNS1_9scan_implILNS1_25lookback_scan_determinismE0ELb0ELb0ES3_PKS6_PS6_S6_ZZZN2at6native31launch_logcumsumexp_cuda_kernelERKNSD_10TensorBaseESH_lENKUlvE_clEvENKUlvE3_clEvEUlS6_S6_E_S6_EEDaPvRmT3_T4_T5_mT6_P12ihipStream_tbENKUlT_T0_E_clISt17integral_constantIbLb1EESY_EEDaST_SU_EUlST_E_NS1_11comp_targetILNS1_3genE3ELNS1_11target_archE908ELNS1_3gpuE7ELNS1_3repE0EEENS1_30default_config_static_selectorELNS0_4arch9wavefront6targetE0EEEvT1_ ; -- Begin function _ZN7rocprim17ROCPRIM_400000_NS6detail17trampoline_kernelINS0_14default_configENS1_20scan_config_selectorIN3c104HalfEEEZZNS1_9scan_implILNS1_25lookback_scan_determinismE0ELb0ELb0ES3_PKS6_PS6_S6_ZZZN2at6native31launch_logcumsumexp_cuda_kernelERKNSD_10TensorBaseESH_lENKUlvE_clEvENKUlvE3_clEvEUlS6_S6_E_S6_EEDaPvRmT3_T4_T5_mT6_P12ihipStream_tbENKUlT_T0_E_clISt17integral_constantIbLb1EESY_EEDaST_SU_EUlST_E_NS1_11comp_targetILNS1_3genE3ELNS1_11target_archE908ELNS1_3gpuE7ELNS1_3repE0EEENS1_30default_config_static_selectorELNS0_4arch9wavefront6targetE0EEEvT1_
	.p2align	8
	.type	_ZN7rocprim17ROCPRIM_400000_NS6detail17trampoline_kernelINS0_14default_configENS1_20scan_config_selectorIN3c104HalfEEEZZNS1_9scan_implILNS1_25lookback_scan_determinismE0ELb0ELb0ES3_PKS6_PS6_S6_ZZZN2at6native31launch_logcumsumexp_cuda_kernelERKNSD_10TensorBaseESH_lENKUlvE_clEvENKUlvE3_clEvEUlS6_S6_E_S6_EEDaPvRmT3_T4_T5_mT6_P12ihipStream_tbENKUlT_T0_E_clISt17integral_constantIbLb1EESY_EEDaST_SU_EUlST_E_NS1_11comp_targetILNS1_3genE3ELNS1_11target_archE908ELNS1_3gpuE7ELNS1_3repE0EEENS1_30default_config_static_selectorELNS0_4arch9wavefront6targetE0EEEvT1_,@function
_ZN7rocprim17ROCPRIM_400000_NS6detail17trampoline_kernelINS0_14default_configENS1_20scan_config_selectorIN3c104HalfEEEZZNS1_9scan_implILNS1_25lookback_scan_determinismE0ELb0ELb0ES3_PKS6_PS6_S6_ZZZN2at6native31launch_logcumsumexp_cuda_kernelERKNSD_10TensorBaseESH_lENKUlvE_clEvENKUlvE3_clEvEUlS6_S6_E_S6_EEDaPvRmT3_T4_T5_mT6_P12ihipStream_tbENKUlT_T0_E_clISt17integral_constantIbLb1EESY_EEDaST_SU_EUlST_E_NS1_11comp_targetILNS1_3genE3ELNS1_11target_archE908ELNS1_3gpuE7ELNS1_3repE0EEENS1_30default_config_static_selectorELNS0_4arch9wavefront6targetE0EEEvT1_: ; @_ZN7rocprim17ROCPRIM_400000_NS6detail17trampoline_kernelINS0_14default_configENS1_20scan_config_selectorIN3c104HalfEEEZZNS1_9scan_implILNS1_25lookback_scan_determinismE0ELb0ELb0ES3_PKS6_PS6_S6_ZZZN2at6native31launch_logcumsumexp_cuda_kernelERKNSD_10TensorBaseESH_lENKUlvE_clEvENKUlvE3_clEvEUlS6_S6_E_S6_EEDaPvRmT3_T4_T5_mT6_P12ihipStream_tbENKUlT_T0_E_clISt17integral_constantIbLb1EESY_EEDaST_SU_EUlST_E_NS1_11comp_targetILNS1_3genE3ELNS1_11target_archE908ELNS1_3gpuE7ELNS1_3repE0EEENS1_30default_config_static_selectorELNS0_4arch9wavefront6targetE0EEEvT1_
; %bb.0:
	.section	.rodata,"a",@progbits
	.p2align	6, 0x0
	.amdhsa_kernel _ZN7rocprim17ROCPRIM_400000_NS6detail17trampoline_kernelINS0_14default_configENS1_20scan_config_selectorIN3c104HalfEEEZZNS1_9scan_implILNS1_25lookback_scan_determinismE0ELb0ELb0ES3_PKS6_PS6_S6_ZZZN2at6native31launch_logcumsumexp_cuda_kernelERKNSD_10TensorBaseESH_lENKUlvE_clEvENKUlvE3_clEvEUlS6_S6_E_S6_EEDaPvRmT3_T4_T5_mT6_P12ihipStream_tbENKUlT_T0_E_clISt17integral_constantIbLb1EESY_EEDaST_SU_EUlST_E_NS1_11comp_targetILNS1_3genE3ELNS1_11target_archE908ELNS1_3gpuE7ELNS1_3repE0EEENS1_30default_config_static_selectorELNS0_4arch9wavefront6targetE0EEEvT1_
		.amdhsa_group_segment_fixed_size 0
		.amdhsa_private_segment_fixed_size 0
		.amdhsa_kernarg_size 96
		.amdhsa_user_sgpr_count 2
		.amdhsa_user_sgpr_dispatch_ptr 0
		.amdhsa_user_sgpr_queue_ptr 0
		.amdhsa_user_sgpr_kernarg_segment_ptr 1
		.amdhsa_user_sgpr_dispatch_id 0
		.amdhsa_user_sgpr_private_segment_size 0
		.amdhsa_wavefront_size32 1
		.amdhsa_uses_dynamic_stack 0
		.amdhsa_enable_private_segment 0
		.amdhsa_system_sgpr_workgroup_id_x 1
		.amdhsa_system_sgpr_workgroup_id_y 0
		.amdhsa_system_sgpr_workgroup_id_z 0
		.amdhsa_system_sgpr_workgroup_info 0
		.amdhsa_system_vgpr_workitem_id 0
		.amdhsa_next_free_vgpr 1
		.amdhsa_next_free_sgpr 1
		.amdhsa_reserve_vcc 0
		.amdhsa_float_round_mode_32 0
		.amdhsa_float_round_mode_16_64 0
		.amdhsa_float_denorm_mode_32 3
		.amdhsa_float_denorm_mode_16_64 3
		.amdhsa_fp16_overflow 0
		.amdhsa_workgroup_processor_mode 1
		.amdhsa_memory_ordered 1
		.amdhsa_forward_progress 1
		.amdhsa_inst_pref_size 0
		.amdhsa_round_robin_scheduling 0
		.amdhsa_exception_fp_ieee_invalid_op 0
		.amdhsa_exception_fp_denorm_src 0
		.amdhsa_exception_fp_ieee_div_zero 0
		.amdhsa_exception_fp_ieee_overflow 0
		.amdhsa_exception_fp_ieee_underflow 0
		.amdhsa_exception_fp_ieee_inexact 0
		.amdhsa_exception_int_div_zero 0
	.end_amdhsa_kernel
	.section	.text._ZN7rocprim17ROCPRIM_400000_NS6detail17trampoline_kernelINS0_14default_configENS1_20scan_config_selectorIN3c104HalfEEEZZNS1_9scan_implILNS1_25lookback_scan_determinismE0ELb0ELb0ES3_PKS6_PS6_S6_ZZZN2at6native31launch_logcumsumexp_cuda_kernelERKNSD_10TensorBaseESH_lENKUlvE_clEvENKUlvE3_clEvEUlS6_S6_E_S6_EEDaPvRmT3_T4_T5_mT6_P12ihipStream_tbENKUlT_T0_E_clISt17integral_constantIbLb1EESY_EEDaST_SU_EUlST_E_NS1_11comp_targetILNS1_3genE3ELNS1_11target_archE908ELNS1_3gpuE7ELNS1_3repE0EEENS1_30default_config_static_selectorELNS0_4arch9wavefront6targetE0EEEvT1_,"axG",@progbits,_ZN7rocprim17ROCPRIM_400000_NS6detail17trampoline_kernelINS0_14default_configENS1_20scan_config_selectorIN3c104HalfEEEZZNS1_9scan_implILNS1_25lookback_scan_determinismE0ELb0ELb0ES3_PKS6_PS6_S6_ZZZN2at6native31launch_logcumsumexp_cuda_kernelERKNSD_10TensorBaseESH_lENKUlvE_clEvENKUlvE3_clEvEUlS6_S6_E_S6_EEDaPvRmT3_T4_T5_mT6_P12ihipStream_tbENKUlT_T0_E_clISt17integral_constantIbLb1EESY_EEDaST_SU_EUlST_E_NS1_11comp_targetILNS1_3genE3ELNS1_11target_archE908ELNS1_3gpuE7ELNS1_3repE0EEENS1_30default_config_static_selectorELNS0_4arch9wavefront6targetE0EEEvT1_,comdat
.Lfunc_end381:
	.size	_ZN7rocprim17ROCPRIM_400000_NS6detail17trampoline_kernelINS0_14default_configENS1_20scan_config_selectorIN3c104HalfEEEZZNS1_9scan_implILNS1_25lookback_scan_determinismE0ELb0ELb0ES3_PKS6_PS6_S6_ZZZN2at6native31launch_logcumsumexp_cuda_kernelERKNSD_10TensorBaseESH_lENKUlvE_clEvENKUlvE3_clEvEUlS6_S6_E_S6_EEDaPvRmT3_T4_T5_mT6_P12ihipStream_tbENKUlT_T0_E_clISt17integral_constantIbLb1EESY_EEDaST_SU_EUlST_E_NS1_11comp_targetILNS1_3genE3ELNS1_11target_archE908ELNS1_3gpuE7ELNS1_3repE0EEENS1_30default_config_static_selectorELNS0_4arch9wavefront6targetE0EEEvT1_, .Lfunc_end381-_ZN7rocprim17ROCPRIM_400000_NS6detail17trampoline_kernelINS0_14default_configENS1_20scan_config_selectorIN3c104HalfEEEZZNS1_9scan_implILNS1_25lookback_scan_determinismE0ELb0ELb0ES3_PKS6_PS6_S6_ZZZN2at6native31launch_logcumsumexp_cuda_kernelERKNSD_10TensorBaseESH_lENKUlvE_clEvENKUlvE3_clEvEUlS6_S6_E_S6_EEDaPvRmT3_T4_T5_mT6_P12ihipStream_tbENKUlT_T0_E_clISt17integral_constantIbLb1EESY_EEDaST_SU_EUlST_E_NS1_11comp_targetILNS1_3genE3ELNS1_11target_archE908ELNS1_3gpuE7ELNS1_3repE0EEENS1_30default_config_static_selectorELNS0_4arch9wavefront6targetE0EEEvT1_
                                        ; -- End function
	.set _ZN7rocprim17ROCPRIM_400000_NS6detail17trampoline_kernelINS0_14default_configENS1_20scan_config_selectorIN3c104HalfEEEZZNS1_9scan_implILNS1_25lookback_scan_determinismE0ELb0ELb0ES3_PKS6_PS6_S6_ZZZN2at6native31launch_logcumsumexp_cuda_kernelERKNSD_10TensorBaseESH_lENKUlvE_clEvENKUlvE3_clEvEUlS6_S6_E_S6_EEDaPvRmT3_T4_T5_mT6_P12ihipStream_tbENKUlT_T0_E_clISt17integral_constantIbLb1EESY_EEDaST_SU_EUlST_E_NS1_11comp_targetILNS1_3genE3ELNS1_11target_archE908ELNS1_3gpuE7ELNS1_3repE0EEENS1_30default_config_static_selectorELNS0_4arch9wavefront6targetE0EEEvT1_.num_vgpr, 0
	.set _ZN7rocprim17ROCPRIM_400000_NS6detail17trampoline_kernelINS0_14default_configENS1_20scan_config_selectorIN3c104HalfEEEZZNS1_9scan_implILNS1_25lookback_scan_determinismE0ELb0ELb0ES3_PKS6_PS6_S6_ZZZN2at6native31launch_logcumsumexp_cuda_kernelERKNSD_10TensorBaseESH_lENKUlvE_clEvENKUlvE3_clEvEUlS6_S6_E_S6_EEDaPvRmT3_T4_T5_mT6_P12ihipStream_tbENKUlT_T0_E_clISt17integral_constantIbLb1EESY_EEDaST_SU_EUlST_E_NS1_11comp_targetILNS1_3genE3ELNS1_11target_archE908ELNS1_3gpuE7ELNS1_3repE0EEENS1_30default_config_static_selectorELNS0_4arch9wavefront6targetE0EEEvT1_.num_agpr, 0
	.set _ZN7rocprim17ROCPRIM_400000_NS6detail17trampoline_kernelINS0_14default_configENS1_20scan_config_selectorIN3c104HalfEEEZZNS1_9scan_implILNS1_25lookback_scan_determinismE0ELb0ELb0ES3_PKS6_PS6_S6_ZZZN2at6native31launch_logcumsumexp_cuda_kernelERKNSD_10TensorBaseESH_lENKUlvE_clEvENKUlvE3_clEvEUlS6_S6_E_S6_EEDaPvRmT3_T4_T5_mT6_P12ihipStream_tbENKUlT_T0_E_clISt17integral_constantIbLb1EESY_EEDaST_SU_EUlST_E_NS1_11comp_targetILNS1_3genE3ELNS1_11target_archE908ELNS1_3gpuE7ELNS1_3repE0EEENS1_30default_config_static_selectorELNS0_4arch9wavefront6targetE0EEEvT1_.numbered_sgpr, 0
	.set _ZN7rocprim17ROCPRIM_400000_NS6detail17trampoline_kernelINS0_14default_configENS1_20scan_config_selectorIN3c104HalfEEEZZNS1_9scan_implILNS1_25lookback_scan_determinismE0ELb0ELb0ES3_PKS6_PS6_S6_ZZZN2at6native31launch_logcumsumexp_cuda_kernelERKNSD_10TensorBaseESH_lENKUlvE_clEvENKUlvE3_clEvEUlS6_S6_E_S6_EEDaPvRmT3_T4_T5_mT6_P12ihipStream_tbENKUlT_T0_E_clISt17integral_constantIbLb1EESY_EEDaST_SU_EUlST_E_NS1_11comp_targetILNS1_3genE3ELNS1_11target_archE908ELNS1_3gpuE7ELNS1_3repE0EEENS1_30default_config_static_selectorELNS0_4arch9wavefront6targetE0EEEvT1_.num_named_barrier, 0
	.set _ZN7rocprim17ROCPRIM_400000_NS6detail17trampoline_kernelINS0_14default_configENS1_20scan_config_selectorIN3c104HalfEEEZZNS1_9scan_implILNS1_25lookback_scan_determinismE0ELb0ELb0ES3_PKS6_PS6_S6_ZZZN2at6native31launch_logcumsumexp_cuda_kernelERKNSD_10TensorBaseESH_lENKUlvE_clEvENKUlvE3_clEvEUlS6_S6_E_S6_EEDaPvRmT3_T4_T5_mT6_P12ihipStream_tbENKUlT_T0_E_clISt17integral_constantIbLb1EESY_EEDaST_SU_EUlST_E_NS1_11comp_targetILNS1_3genE3ELNS1_11target_archE908ELNS1_3gpuE7ELNS1_3repE0EEENS1_30default_config_static_selectorELNS0_4arch9wavefront6targetE0EEEvT1_.private_seg_size, 0
	.set _ZN7rocprim17ROCPRIM_400000_NS6detail17trampoline_kernelINS0_14default_configENS1_20scan_config_selectorIN3c104HalfEEEZZNS1_9scan_implILNS1_25lookback_scan_determinismE0ELb0ELb0ES3_PKS6_PS6_S6_ZZZN2at6native31launch_logcumsumexp_cuda_kernelERKNSD_10TensorBaseESH_lENKUlvE_clEvENKUlvE3_clEvEUlS6_S6_E_S6_EEDaPvRmT3_T4_T5_mT6_P12ihipStream_tbENKUlT_T0_E_clISt17integral_constantIbLb1EESY_EEDaST_SU_EUlST_E_NS1_11comp_targetILNS1_3genE3ELNS1_11target_archE908ELNS1_3gpuE7ELNS1_3repE0EEENS1_30default_config_static_selectorELNS0_4arch9wavefront6targetE0EEEvT1_.uses_vcc, 0
	.set _ZN7rocprim17ROCPRIM_400000_NS6detail17trampoline_kernelINS0_14default_configENS1_20scan_config_selectorIN3c104HalfEEEZZNS1_9scan_implILNS1_25lookback_scan_determinismE0ELb0ELb0ES3_PKS6_PS6_S6_ZZZN2at6native31launch_logcumsumexp_cuda_kernelERKNSD_10TensorBaseESH_lENKUlvE_clEvENKUlvE3_clEvEUlS6_S6_E_S6_EEDaPvRmT3_T4_T5_mT6_P12ihipStream_tbENKUlT_T0_E_clISt17integral_constantIbLb1EESY_EEDaST_SU_EUlST_E_NS1_11comp_targetILNS1_3genE3ELNS1_11target_archE908ELNS1_3gpuE7ELNS1_3repE0EEENS1_30default_config_static_selectorELNS0_4arch9wavefront6targetE0EEEvT1_.uses_flat_scratch, 0
	.set _ZN7rocprim17ROCPRIM_400000_NS6detail17trampoline_kernelINS0_14default_configENS1_20scan_config_selectorIN3c104HalfEEEZZNS1_9scan_implILNS1_25lookback_scan_determinismE0ELb0ELb0ES3_PKS6_PS6_S6_ZZZN2at6native31launch_logcumsumexp_cuda_kernelERKNSD_10TensorBaseESH_lENKUlvE_clEvENKUlvE3_clEvEUlS6_S6_E_S6_EEDaPvRmT3_T4_T5_mT6_P12ihipStream_tbENKUlT_T0_E_clISt17integral_constantIbLb1EESY_EEDaST_SU_EUlST_E_NS1_11comp_targetILNS1_3genE3ELNS1_11target_archE908ELNS1_3gpuE7ELNS1_3repE0EEENS1_30default_config_static_selectorELNS0_4arch9wavefront6targetE0EEEvT1_.has_dyn_sized_stack, 0
	.set _ZN7rocprim17ROCPRIM_400000_NS6detail17trampoline_kernelINS0_14default_configENS1_20scan_config_selectorIN3c104HalfEEEZZNS1_9scan_implILNS1_25lookback_scan_determinismE0ELb0ELb0ES3_PKS6_PS6_S6_ZZZN2at6native31launch_logcumsumexp_cuda_kernelERKNSD_10TensorBaseESH_lENKUlvE_clEvENKUlvE3_clEvEUlS6_S6_E_S6_EEDaPvRmT3_T4_T5_mT6_P12ihipStream_tbENKUlT_T0_E_clISt17integral_constantIbLb1EESY_EEDaST_SU_EUlST_E_NS1_11comp_targetILNS1_3genE3ELNS1_11target_archE908ELNS1_3gpuE7ELNS1_3repE0EEENS1_30default_config_static_selectorELNS0_4arch9wavefront6targetE0EEEvT1_.has_recursion, 0
	.set _ZN7rocprim17ROCPRIM_400000_NS6detail17trampoline_kernelINS0_14default_configENS1_20scan_config_selectorIN3c104HalfEEEZZNS1_9scan_implILNS1_25lookback_scan_determinismE0ELb0ELb0ES3_PKS6_PS6_S6_ZZZN2at6native31launch_logcumsumexp_cuda_kernelERKNSD_10TensorBaseESH_lENKUlvE_clEvENKUlvE3_clEvEUlS6_S6_E_S6_EEDaPvRmT3_T4_T5_mT6_P12ihipStream_tbENKUlT_T0_E_clISt17integral_constantIbLb1EESY_EEDaST_SU_EUlST_E_NS1_11comp_targetILNS1_3genE3ELNS1_11target_archE908ELNS1_3gpuE7ELNS1_3repE0EEENS1_30default_config_static_selectorELNS0_4arch9wavefront6targetE0EEEvT1_.has_indirect_call, 0
	.section	.AMDGPU.csdata,"",@progbits
; Kernel info:
; codeLenInByte = 0
; TotalNumSgprs: 0
; NumVgprs: 0
; ScratchSize: 0
; MemoryBound: 0
; FloatMode: 240
; IeeeMode: 1
; LDSByteSize: 0 bytes/workgroup (compile time only)
; SGPRBlocks: 0
; VGPRBlocks: 0
; NumSGPRsForWavesPerEU: 1
; NumVGPRsForWavesPerEU: 1
; Occupancy: 16
; WaveLimiterHint : 0
; COMPUTE_PGM_RSRC2:SCRATCH_EN: 0
; COMPUTE_PGM_RSRC2:USER_SGPR: 2
; COMPUTE_PGM_RSRC2:TRAP_HANDLER: 0
; COMPUTE_PGM_RSRC2:TGID_X_EN: 1
; COMPUTE_PGM_RSRC2:TGID_Y_EN: 0
; COMPUTE_PGM_RSRC2:TGID_Z_EN: 0
; COMPUTE_PGM_RSRC2:TIDIG_COMP_CNT: 0
	.section	.text._ZN7rocprim17ROCPRIM_400000_NS6detail17trampoline_kernelINS0_14default_configENS1_20scan_config_selectorIN3c104HalfEEEZZNS1_9scan_implILNS1_25lookback_scan_determinismE0ELb0ELb0ES3_PKS6_PS6_S6_ZZZN2at6native31launch_logcumsumexp_cuda_kernelERKNSD_10TensorBaseESH_lENKUlvE_clEvENKUlvE3_clEvEUlS6_S6_E_S6_EEDaPvRmT3_T4_T5_mT6_P12ihipStream_tbENKUlT_T0_E_clISt17integral_constantIbLb1EESY_EEDaST_SU_EUlST_E_NS1_11comp_targetILNS1_3genE2ELNS1_11target_archE906ELNS1_3gpuE6ELNS1_3repE0EEENS1_30default_config_static_selectorELNS0_4arch9wavefront6targetE0EEEvT1_,"axG",@progbits,_ZN7rocprim17ROCPRIM_400000_NS6detail17trampoline_kernelINS0_14default_configENS1_20scan_config_selectorIN3c104HalfEEEZZNS1_9scan_implILNS1_25lookback_scan_determinismE0ELb0ELb0ES3_PKS6_PS6_S6_ZZZN2at6native31launch_logcumsumexp_cuda_kernelERKNSD_10TensorBaseESH_lENKUlvE_clEvENKUlvE3_clEvEUlS6_S6_E_S6_EEDaPvRmT3_T4_T5_mT6_P12ihipStream_tbENKUlT_T0_E_clISt17integral_constantIbLb1EESY_EEDaST_SU_EUlST_E_NS1_11comp_targetILNS1_3genE2ELNS1_11target_archE906ELNS1_3gpuE6ELNS1_3repE0EEENS1_30default_config_static_selectorELNS0_4arch9wavefront6targetE0EEEvT1_,comdat
	.globl	_ZN7rocprim17ROCPRIM_400000_NS6detail17trampoline_kernelINS0_14default_configENS1_20scan_config_selectorIN3c104HalfEEEZZNS1_9scan_implILNS1_25lookback_scan_determinismE0ELb0ELb0ES3_PKS6_PS6_S6_ZZZN2at6native31launch_logcumsumexp_cuda_kernelERKNSD_10TensorBaseESH_lENKUlvE_clEvENKUlvE3_clEvEUlS6_S6_E_S6_EEDaPvRmT3_T4_T5_mT6_P12ihipStream_tbENKUlT_T0_E_clISt17integral_constantIbLb1EESY_EEDaST_SU_EUlST_E_NS1_11comp_targetILNS1_3genE2ELNS1_11target_archE906ELNS1_3gpuE6ELNS1_3repE0EEENS1_30default_config_static_selectorELNS0_4arch9wavefront6targetE0EEEvT1_ ; -- Begin function _ZN7rocprim17ROCPRIM_400000_NS6detail17trampoline_kernelINS0_14default_configENS1_20scan_config_selectorIN3c104HalfEEEZZNS1_9scan_implILNS1_25lookback_scan_determinismE0ELb0ELb0ES3_PKS6_PS6_S6_ZZZN2at6native31launch_logcumsumexp_cuda_kernelERKNSD_10TensorBaseESH_lENKUlvE_clEvENKUlvE3_clEvEUlS6_S6_E_S6_EEDaPvRmT3_T4_T5_mT6_P12ihipStream_tbENKUlT_T0_E_clISt17integral_constantIbLb1EESY_EEDaST_SU_EUlST_E_NS1_11comp_targetILNS1_3genE2ELNS1_11target_archE906ELNS1_3gpuE6ELNS1_3repE0EEENS1_30default_config_static_selectorELNS0_4arch9wavefront6targetE0EEEvT1_
	.p2align	8
	.type	_ZN7rocprim17ROCPRIM_400000_NS6detail17trampoline_kernelINS0_14default_configENS1_20scan_config_selectorIN3c104HalfEEEZZNS1_9scan_implILNS1_25lookback_scan_determinismE0ELb0ELb0ES3_PKS6_PS6_S6_ZZZN2at6native31launch_logcumsumexp_cuda_kernelERKNSD_10TensorBaseESH_lENKUlvE_clEvENKUlvE3_clEvEUlS6_S6_E_S6_EEDaPvRmT3_T4_T5_mT6_P12ihipStream_tbENKUlT_T0_E_clISt17integral_constantIbLb1EESY_EEDaST_SU_EUlST_E_NS1_11comp_targetILNS1_3genE2ELNS1_11target_archE906ELNS1_3gpuE6ELNS1_3repE0EEENS1_30default_config_static_selectorELNS0_4arch9wavefront6targetE0EEEvT1_,@function
_ZN7rocprim17ROCPRIM_400000_NS6detail17trampoline_kernelINS0_14default_configENS1_20scan_config_selectorIN3c104HalfEEEZZNS1_9scan_implILNS1_25lookback_scan_determinismE0ELb0ELb0ES3_PKS6_PS6_S6_ZZZN2at6native31launch_logcumsumexp_cuda_kernelERKNSD_10TensorBaseESH_lENKUlvE_clEvENKUlvE3_clEvEUlS6_S6_E_S6_EEDaPvRmT3_T4_T5_mT6_P12ihipStream_tbENKUlT_T0_E_clISt17integral_constantIbLb1EESY_EEDaST_SU_EUlST_E_NS1_11comp_targetILNS1_3genE2ELNS1_11target_archE906ELNS1_3gpuE6ELNS1_3repE0EEENS1_30default_config_static_selectorELNS0_4arch9wavefront6targetE0EEEvT1_: ; @_ZN7rocprim17ROCPRIM_400000_NS6detail17trampoline_kernelINS0_14default_configENS1_20scan_config_selectorIN3c104HalfEEEZZNS1_9scan_implILNS1_25lookback_scan_determinismE0ELb0ELb0ES3_PKS6_PS6_S6_ZZZN2at6native31launch_logcumsumexp_cuda_kernelERKNSD_10TensorBaseESH_lENKUlvE_clEvENKUlvE3_clEvEUlS6_S6_E_S6_EEDaPvRmT3_T4_T5_mT6_P12ihipStream_tbENKUlT_T0_E_clISt17integral_constantIbLb1EESY_EEDaST_SU_EUlST_E_NS1_11comp_targetILNS1_3genE2ELNS1_11target_archE906ELNS1_3gpuE6ELNS1_3repE0EEENS1_30default_config_static_selectorELNS0_4arch9wavefront6targetE0EEEvT1_
; %bb.0:
	.section	.rodata,"a",@progbits
	.p2align	6, 0x0
	.amdhsa_kernel _ZN7rocprim17ROCPRIM_400000_NS6detail17trampoline_kernelINS0_14default_configENS1_20scan_config_selectorIN3c104HalfEEEZZNS1_9scan_implILNS1_25lookback_scan_determinismE0ELb0ELb0ES3_PKS6_PS6_S6_ZZZN2at6native31launch_logcumsumexp_cuda_kernelERKNSD_10TensorBaseESH_lENKUlvE_clEvENKUlvE3_clEvEUlS6_S6_E_S6_EEDaPvRmT3_T4_T5_mT6_P12ihipStream_tbENKUlT_T0_E_clISt17integral_constantIbLb1EESY_EEDaST_SU_EUlST_E_NS1_11comp_targetILNS1_3genE2ELNS1_11target_archE906ELNS1_3gpuE6ELNS1_3repE0EEENS1_30default_config_static_selectorELNS0_4arch9wavefront6targetE0EEEvT1_
		.amdhsa_group_segment_fixed_size 0
		.amdhsa_private_segment_fixed_size 0
		.amdhsa_kernarg_size 96
		.amdhsa_user_sgpr_count 2
		.amdhsa_user_sgpr_dispatch_ptr 0
		.amdhsa_user_sgpr_queue_ptr 0
		.amdhsa_user_sgpr_kernarg_segment_ptr 1
		.amdhsa_user_sgpr_dispatch_id 0
		.amdhsa_user_sgpr_private_segment_size 0
		.amdhsa_wavefront_size32 1
		.amdhsa_uses_dynamic_stack 0
		.amdhsa_enable_private_segment 0
		.amdhsa_system_sgpr_workgroup_id_x 1
		.amdhsa_system_sgpr_workgroup_id_y 0
		.amdhsa_system_sgpr_workgroup_id_z 0
		.amdhsa_system_sgpr_workgroup_info 0
		.amdhsa_system_vgpr_workitem_id 0
		.amdhsa_next_free_vgpr 1
		.amdhsa_next_free_sgpr 1
		.amdhsa_reserve_vcc 0
		.amdhsa_float_round_mode_32 0
		.amdhsa_float_round_mode_16_64 0
		.amdhsa_float_denorm_mode_32 3
		.amdhsa_float_denorm_mode_16_64 3
		.amdhsa_fp16_overflow 0
		.amdhsa_workgroup_processor_mode 1
		.amdhsa_memory_ordered 1
		.amdhsa_forward_progress 1
		.amdhsa_inst_pref_size 0
		.amdhsa_round_robin_scheduling 0
		.amdhsa_exception_fp_ieee_invalid_op 0
		.amdhsa_exception_fp_denorm_src 0
		.amdhsa_exception_fp_ieee_div_zero 0
		.amdhsa_exception_fp_ieee_overflow 0
		.amdhsa_exception_fp_ieee_underflow 0
		.amdhsa_exception_fp_ieee_inexact 0
		.amdhsa_exception_int_div_zero 0
	.end_amdhsa_kernel
	.section	.text._ZN7rocprim17ROCPRIM_400000_NS6detail17trampoline_kernelINS0_14default_configENS1_20scan_config_selectorIN3c104HalfEEEZZNS1_9scan_implILNS1_25lookback_scan_determinismE0ELb0ELb0ES3_PKS6_PS6_S6_ZZZN2at6native31launch_logcumsumexp_cuda_kernelERKNSD_10TensorBaseESH_lENKUlvE_clEvENKUlvE3_clEvEUlS6_S6_E_S6_EEDaPvRmT3_T4_T5_mT6_P12ihipStream_tbENKUlT_T0_E_clISt17integral_constantIbLb1EESY_EEDaST_SU_EUlST_E_NS1_11comp_targetILNS1_3genE2ELNS1_11target_archE906ELNS1_3gpuE6ELNS1_3repE0EEENS1_30default_config_static_selectorELNS0_4arch9wavefront6targetE0EEEvT1_,"axG",@progbits,_ZN7rocprim17ROCPRIM_400000_NS6detail17trampoline_kernelINS0_14default_configENS1_20scan_config_selectorIN3c104HalfEEEZZNS1_9scan_implILNS1_25lookback_scan_determinismE0ELb0ELb0ES3_PKS6_PS6_S6_ZZZN2at6native31launch_logcumsumexp_cuda_kernelERKNSD_10TensorBaseESH_lENKUlvE_clEvENKUlvE3_clEvEUlS6_S6_E_S6_EEDaPvRmT3_T4_T5_mT6_P12ihipStream_tbENKUlT_T0_E_clISt17integral_constantIbLb1EESY_EEDaST_SU_EUlST_E_NS1_11comp_targetILNS1_3genE2ELNS1_11target_archE906ELNS1_3gpuE6ELNS1_3repE0EEENS1_30default_config_static_selectorELNS0_4arch9wavefront6targetE0EEEvT1_,comdat
.Lfunc_end382:
	.size	_ZN7rocprim17ROCPRIM_400000_NS6detail17trampoline_kernelINS0_14default_configENS1_20scan_config_selectorIN3c104HalfEEEZZNS1_9scan_implILNS1_25lookback_scan_determinismE0ELb0ELb0ES3_PKS6_PS6_S6_ZZZN2at6native31launch_logcumsumexp_cuda_kernelERKNSD_10TensorBaseESH_lENKUlvE_clEvENKUlvE3_clEvEUlS6_S6_E_S6_EEDaPvRmT3_T4_T5_mT6_P12ihipStream_tbENKUlT_T0_E_clISt17integral_constantIbLb1EESY_EEDaST_SU_EUlST_E_NS1_11comp_targetILNS1_3genE2ELNS1_11target_archE906ELNS1_3gpuE6ELNS1_3repE0EEENS1_30default_config_static_selectorELNS0_4arch9wavefront6targetE0EEEvT1_, .Lfunc_end382-_ZN7rocprim17ROCPRIM_400000_NS6detail17trampoline_kernelINS0_14default_configENS1_20scan_config_selectorIN3c104HalfEEEZZNS1_9scan_implILNS1_25lookback_scan_determinismE0ELb0ELb0ES3_PKS6_PS6_S6_ZZZN2at6native31launch_logcumsumexp_cuda_kernelERKNSD_10TensorBaseESH_lENKUlvE_clEvENKUlvE3_clEvEUlS6_S6_E_S6_EEDaPvRmT3_T4_T5_mT6_P12ihipStream_tbENKUlT_T0_E_clISt17integral_constantIbLb1EESY_EEDaST_SU_EUlST_E_NS1_11comp_targetILNS1_3genE2ELNS1_11target_archE906ELNS1_3gpuE6ELNS1_3repE0EEENS1_30default_config_static_selectorELNS0_4arch9wavefront6targetE0EEEvT1_
                                        ; -- End function
	.set _ZN7rocprim17ROCPRIM_400000_NS6detail17trampoline_kernelINS0_14default_configENS1_20scan_config_selectorIN3c104HalfEEEZZNS1_9scan_implILNS1_25lookback_scan_determinismE0ELb0ELb0ES3_PKS6_PS6_S6_ZZZN2at6native31launch_logcumsumexp_cuda_kernelERKNSD_10TensorBaseESH_lENKUlvE_clEvENKUlvE3_clEvEUlS6_S6_E_S6_EEDaPvRmT3_T4_T5_mT6_P12ihipStream_tbENKUlT_T0_E_clISt17integral_constantIbLb1EESY_EEDaST_SU_EUlST_E_NS1_11comp_targetILNS1_3genE2ELNS1_11target_archE906ELNS1_3gpuE6ELNS1_3repE0EEENS1_30default_config_static_selectorELNS0_4arch9wavefront6targetE0EEEvT1_.num_vgpr, 0
	.set _ZN7rocprim17ROCPRIM_400000_NS6detail17trampoline_kernelINS0_14default_configENS1_20scan_config_selectorIN3c104HalfEEEZZNS1_9scan_implILNS1_25lookback_scan_determinismE0ELb0ELb0ES3_PKS6_PS6_S6_ZZZN2at6native31launch_logcumsumexp_cuda_kernelERKNSD_10TensorBaseESH_lENKUlvE_clEvENKUlvE3_clEvEUlS6_S6_E_S6_EEDaPvRmT3_T4_T5_mT6_P12ihipStream_tbENKUlT_T0_E_clISt17integral_constantIbLb1EESY_EEDaST_SU_EUlST_E_NS1_11comp_targetILNS1_3genE2ELNS1_11target_archE906ELNS1_3gpuE6ELNS1_3repE0EEENS1_30default_config_static_selectorELNS0_4arch9wavefront6targetE0EEEvT1_.num_agpr, 0
	.set _ZN7rocprim17ROCPRIM_400000_NS6detail17trampoline_kernelINS0_14default_configENS1_20scan_config_selectorIN3c104HalfEEEZZNS1_9scan_implILNS1_25lookback_scan_determinismE0ELb0ELb0ES3_PKS6_PS6_S6_ZZZN2at6native31launch_logcumsumexp_cuda_kernelERKNSD_10TensorBaseESH_lENKUlvE_clEvENKUlvE3_clEvEUlS6_S6_E_S6_EEDaPvRmT3_T4_T5_mT6_P12ihipStream_tbENKUlT_T0_E_clISt17integral_constantIbLb1EESY_EEDaST_SU_EUlST_E_NS1_11comp_targetILNS1_3genE2ELNS1_11target_archE906ELNS1_3gpuE6ELNS1_3repE0EEENS1_30default_config_static_selectorELNS0_4arch9wavefront6targetE0EEEvT1_.numbered_sgpr, 0
	.set _ZN7rocprim17ROCPRIM_400000_NS6detail17trampoline_kernelINS0_14default_configENS1_20scan_config_selectorIN3c104HalfEEEZZNS1_9scan_implILNS1_25lookback_scan_determinismE0ELb0ELb0ES3_PKS6_PS6_S6_ZZZN2at6native31launch_logcumsumexp_cuda_kernelERKNSD_10TensorBaseESH_lENKUlvE_clEvENKUlvE3_clEvEUlS6_S6_E_S6_EEDaPvRmT3_T4_T5_mT6_P12ihipStream_tbENKUlT_T0_E_clISt17integral_constantIbLb1EESY_EEDaST_SU_EUlST_E_NS1_11comp_targetILNS1_3genE2ELNS1_11target_archE906ELNS1_3gpuE6ELNS1_3repE0EEENS1_30default_config_static_selectorELNS0_4arch9wavefront6targetE0EEEvT1_.num_named_barrier, 0
	.set _ZN7rocprim17ROCPRIM_400000_NS6detail17trampoline_kernelINS0_14default_configENS1_20scan_config_selectorIN3c104HalfEEEZZNS1_9scan_implILNS1_25lookback_scan_determinismE0ELb0ELb0ES3_PKS6_PS6_S6_ZZZN2at6native31launch_logcumsumexp_cuda_kernelERKNSD_10TensorBaseESH_lENKUlvE_clEvENKUlvE3_clEvEUlS6_S6_E_S6_EEDaPvRmT3_T4_T5_mT6_P12ihipStream_tbENKUlT_T0_E_clISt17integral_constantIbLb1EESY_EEDaST_SU_EUlST_E_NS1_11comp_targetILNS1_3genE2ELNS1_11target_archE906ELNS1_3gpuE6ELNS1_3repE0EEENS1_30default_config_static_selectorELNS0_4arch9wavefront6targetE0EEEvT1_.private_seg_size, 0
	.set _ZN7rocprim17ROCPRIM_400000_NS6detail17trampoline_kernelINS0_14default_configENS1_20scan_config_selectorIN3c104HalfEEEZZNS1_9scan_implILNS1_25lookback_scan_determinismE0ELb0ELb0ES3_PKS6_PS6_S6_ZZZN2at6native31launch_logcumsumexp_cuda_kernelERKNSD_10TensorBaseESH_lENKUlvE_clEvENKUlvE3_clEvEUlS6_S6_E_S6_EEDaPvRmT3_T4_T5_mT6_P12ihipStream_tbENKUlT_T0_E_clISt17integral_constantIbLb1EESY_EEDaST_SU_EUlST_E_NS1_11comp_targetILNS1_3genE2ELNS1_11target_archE906ELNS1_3gpuE6ELNS1_3repE0EEENS1_30default_config_static_selectorELNS0_4arch9wavefront6targetE0EEEvT1_.uses_vcc, 0
	.set _ZN7rocprim17ROCPRIM_400000_NS6detail17trampoline_kernelINS0_14default_configENS1_20scan_config_selectorIN3c104HalfEEEZZNS1_9scan_implILNS1_25lookback_scan_determinismE0ELb0ELb0ES3_PKS6_PS6_S6_ZZZN2at6native31launch_logcumsumexp_cuda_kernelERKNSD_10TensorBaseESH_lENKUlvE_clEvENKUlvE3_clEvEUlS6_S6_E_S6_EEDaPvRmT3_T4_T5_mT6_P12ihipStream_tbENKUlT_T0_E_clISt17integral_constantIbLb1EESY_EEDaST_SU_EUlST_E_NS1_11comp_targetILNS1_3genE2ELNS1_11target_archE906ELNS1_3gpuE6ELNS1_3repE0EEENS1_30default_config_static_selectorELNS0_4arch9wavefront6targetE0EEEvT1_.uses_flat_scratch, 0
	.set _ZN7rocprim17ROCPRIM_400000_NS6detail17trampoline_kernelINS0_14default_configENS1_20scan_config_selectorIN3c104HalfEEEZZNS1_9scan_implILNS1_25lookback_scan_determinismE0ELb0ELb0ES3_PKS6_PS6_S6_ZZZN2at6native31launch_logcumsumexp_cuda_kernelERKNSD_10TensorBaseESH_lENKUlvE_clEvENKUlvE3_clEvEUlS6_S6_E_S6_EEDaPvRmT3_T4_T5_mT6_P12ihipStream_tbENKUlT_T0_E_clISt17integral_constantIbLb1EESY_EEDaST_SU_EUlST_E_NS1_11comp_targetILNS1_3genE2ELNS1_11target_archE906ELNS1_3gpuE6ELNS1_3repE0EEENS1_30default_config_static_selectorELNS0_4arch9wavefront6targetE0EEEvT1_.has_dyn_sized_stack, 0
	.set _ZN7rocprim17ROCPRIM_400000_NS6detail17trampoline_kernelINS0_14default_configENS1_20scan_config_selectorIN3c104HalfEEEZZNS1_9scan_implILNS1_25lookback_scan_determinismE0ELb0ELb0ES3_PKS6_PS6_S6_ZZZN2at6native31launch_logcumsumexp_cuda_kernelERKNSD_10TensorBaseESH_lENKUlvE_clEvENKUlvE3_clEvEUlS6_S6_E_S6_EEDaPvRmT3_T4_T5_mT6_P12ihipStream_tbENKUlT_T0_E_clISt17integral_constantIbLb1EESY_EEDaST_SU_EUlST_E_NS1_11comp_targetILNS1_3genE2ELNS1_11target_archE906ELNS1_3gpuE6ELNS1_3repE0EEENS1_30default_config_static_selectorELNS0_4arch9wavefront6targetE0EEEvT1_.has_recursion, 0
	.set _ZN7rocprim17ROCPRIM_400000_NS6detail17trampoline_kernelINS0_14default_configENS1_20scan_config_selectorIN3c104HalfEEEZZNS1_9scan_implILNS1_25lookback_scan_determinismE0ELb0ELb0ES3_PKS6_PS6_S6_ZZZN2at6native31launch_logcumsumexp_cuda_kernelERKNSD_10TensorBaseESH_lENKUlvE_clEvENKUlvE3_clEvEUlS6_S6_E_S6_EEDaPvRmT3_T4_T5_mT6_P12ihipStream_tbENKUlT_T0_E_clISt17integral_constantIbLb1EESY_EEDaST_SU_EUlST_E_NS1_11comp_targetILNS1_3genE2ELNS1_11target_archE906ELNS1_3gpuE6ELNS1_3repE0EEENS1_30default_config_static_selectorELNS0_4arch9wavefront6targetE0EEEvT1_.has_indirect_call, 0
	.section	.AMDGPU.csdata,"",@progbits
; Kernel info:
; codeLenInByte = 0
; TotalNumSgprs: 0
; NumVgprs: 0
; ScratchSize: 0
; MemoryBound: 0
; FloatMode: 240
; IeeeMode: 1
; LDSByteSize: 0 bytes/workgroup (compile time only)
; SGPRBlocks: 0
; VGPRBlocks: 0
; NumSGPRsForWavesPerEU: 1
; NumVGPRsForWavesPerEU: 1
; Occupancy: 16
; WaveLimiterHint : 0
; COMPUTE_PGM_RSRC2:SCRATCH_EN: 0
; COMPUTE_PGM_RSRC2:USER_SGPR: 2
; COMPUTE_PGM_RSRC2:TRAP_HANDLER: 0
; COMPUTE_PGM_RSRC2:TGID_X_EN: 1
; COMPUTE_PGM_RSRC2:TGID_Y_EN: 0
; COMPUTE_PGM_RSRC2:TGID_Z_EN: 0
; COMPUTE_PGM_RSRC2:TIDIG_COMP_CNT: 0
	.section	.text._ZN7rocprim17ROCPRIM_400000_NS6detail17trampoline_kernelINS0_14default_configENS1_20scan_config_selectorIN3c104HalfEEEZZNS1_9scan_implILNS1_25lookback_scan_determinismE0ELb0ELb0ES3_PKS6_PS6_S6_ZZZN2at6native31launch_logcumsumexp_cuda_kernelERKNSD_10TensorBaseESH_lENKUlvE_clEvENKUlvE3_clEvEUlS6_S6_E_S6_EEDaPvRmT3_T4_T5_mT6_P12ihipStream_tbENKUlT_T0_E_clISt17integral_constantIbLb1EESY_EEDaST_SU_EUlST_E_NS1_11comp_targetILNS1_3genE10ELNS1_11target_archE1201ELNS1_3gpuE5ELNS1_3repE0EEENS1_30default_config_static_selectorELNS0_4arch9wavefront6targetE0EEEvT1_,"axG",@progbits,_ZN7rocprim17ROCPRIM_400000_NS6detail17trampoline_kernelINS0_14default_configENS1_20scan_config_selectorIN3c104HalfEEEZZNS1_9scan_implILNS1_25lookback_scan_determinismE0ELb0ELb0ES3_PKS6_PS6_S6_ZZZN2at6native31launch_logcumsumexp_cuda_kernelERKNSD_10TensorBaseESH_lENKUlvE_clEvENKUlvE3_clEvEUlS6_S6_E_S6_EEDaPvRmT3_T4_T5_mT6_P12ihipStream_tbENKUlT_T0_E_clISt17integral_constantIbLb1EESY_EEDaST_SU_EUlST_E_NS1_11comp_targetILNS1_3genE10ELNS1_11target_archE1201ELNS1_3gpuE5ELNS1_3repE0EEENS1_30default_config_static_selectorELNS0_4arch9wavefront6targetE0EEEvT1_,comdat
	.globl	_ZN7rocprim17ROCPRIM_400000_NS6detail17trampoline_kernelINS0_14default_configENS1_20scan_config_selectorIN3c104HalfEEEZZNS1_9scan_implILNS1_25lookback_scan_determinismE0ELb0ELb0ES3_PKS6_PS6_S6_ZZZN2at6native31launch_logcumsumexp_cuda_kernelERKNSD_10TensorBaseESH_lENKUlvE_clEvENKUlvE3_clEvEUlS6_S6_E_S6_EEDaPvRmT3_T4_T5_mT6_P12ihipStream_tbENKUlT_T0_E_clISt17integral_constantIbLb1EESY_EEDaST_SU_EUlST_E_NS1_11comp_targetILNS1_3genE10ELNS1_11target_archE1201ELNS1_3gpuE5ELNS1_3repE0EEENS1_30default_config_static_selectorELNS0_4arch9wavefront6targetE0EEEvT1_ ; -- Begin function _ZN7rocprim17ROCPRIM_400000_NS6detail17trampoline_kernelINS0_14default_configENS1_20scan_config_selectorIN3c104HalfEEEZZNS1_9scan_implILNS1_25lookback_scan_determinismE0ELb0ELb0ES3_PKS6_PS6_S6_ZZZN2at6native31launch_logcumsumexp_cuda_kernelERKNSD_10TensorBaseESH_lENKUlvE_clEvENKUlvE3_clEvEUlS6_S6_E_S6_EEDaPvRmT3_T4_T5_mT6_P12ihipStream_tbENKUlT_T0_E_clISt17integral_constantIbLb1EESY_EEDaST_SU_EUlST_E_NS1_11comp_targetILNS1_3genE10ELNS1_11target_archE1201ELNS1_3gpuE5ELNS1_3repE0EEENS1_30default_config_static_selectorELNS0_4arch9wavefront6targetE0EEEvT1_
	.p2align	8
	.type	_ZN7rocprim17ROCPRIM_400000_NS6detail17trampoline_kernelINS0_14default_configENS1_20scan_config_selectorIN3c104HalfEEEZZNS1_9scan_implILNS1_25lookback_scan_determinismE0ELb0ELb0ES3_PKS6_PS6_S6_ZZZN2at6native31launch_logcumsumexp_cuda_kernelERKNSD_10TensorBaseESH_lENKUlvE_clEvENKUlvE3_clEvEUlS6_S6_E_S6_EEDaPvRmT3_T4_T5_mT6_P12ihipStream_tbENKUlT_T0_E_clISt17integral_constantIbLb1EESY_EEDaST_SU_EUlST_E_NS1_11comp_targetILNS1_3genE10ELNS1_11target_archE1201ELNS1_3gpuE5ELNS1_3repE0EEENS1_30default_config_static_selectorELNS0_4arch9wavefront6targetE0EEEvT1_,@function
_ZN7rocprim17ROCPRIM_400000_NS6detail17trampoline_kernelINS0_14default_configENS1_20scan_config_selectorIN3c104HalfEEEZZNS1_9scan_implILNS1_25lookback_scan_determinismE0ELb0ELb0ES3_PKS6_PS6_S6_ZZZN2at6native31launch_logcumsumexp_cuda_kernelERKNSD_10TensorBaseESH_lENKUlvE_clEvENKUlvE3_clEvEUlS6_S6_E_S6_EEDaPvRmT3_T4_T5_mT6_P12ihipStream_tbENKUlT_T0_E_clISt17integral_constantIbLb1EESY_EEDaST_SU_EUlST_E_NS1_11comp_targetILNS1_3genE10ELNS1_11target_archE1201ELNS1_3gpuE5ELNS1_3repE0EEENS1_30default_config_static_selectorELNS0_4arch9wavefront6targetE0EEEvT1_: ; @_ZN7rocprim17ROCPRIM_400000_NS6detail17trampoline_kernelINS0_14default_configENS1_20scan_config_selectorIN3c104HalfEEEZZNS1_9scan_implILNS1_25lookback_scan_determinismE0ELb0ELb0ES3_PKS6_PS6_S6_ZZZN2at6native31launch_logcumsumexp_cuda_kernelERKNSD_10TensorBaseESH_lENKUlvE_clEvENKUlvE3_clEvEUlS6_S6_E_S6_EEDaPvRmT3_T4_T5_mT6_P12ihipStream_tbENKUlT_T0_E_clISt17integral_constantIbLb1EESY_EEDaST_SU_EUlST_E_NS1_11comp_targetILNS1_3genE10ELNS1_11target_archE1201ELNS1_3gpuE5ELNS1_3repE0EEENS1_30default_config_static_selectorELNS0_4arch9wavefront6targetE0EEEvT1_
; %bb.0:
	s_endpgm
	.section	.rodata,"a",@progbits
	.p2align	6, 0x0
	.amdhsa_kernel _ZN7rocprim17ROCPRIM_400000_NS6detail17trampoline_kernelINS0_14default_configENS1_20scan_config_selectorIN3c104HalfEEEZZNS1_9scan_implILNS1_25lookback_scan_determinismE0ELb0ELb0ES3_PKS6_PS6_S6_ZZZN2at6native31launch_logcumsumexp_cuda_kernelERKNSD_10TensorBaseESH_lENKUlvE_clEvENKUlvE3_clEvEUlS6_S6_E_S6_EEDaPvRmT3_T4_T5_mT6_P12ihipStream_tbENKUlT_T0_E_clISt17integral_constantIbLb1EESY_EEDaST_SU_EUlST_E_NS1_11comp_targetILNS1_3genE10ELNS1_11target_archE1201ELNS1_3gpuE5ELNS1_3repE0EEENS1_30default_config_static_selectorELNS0_4arch9wavefront6targetE0EEEvT1_
		.amdhsa_group_segment_fixed_size 0
		.amdhsa_private_segment_fixed_size 0
		.amdhsa_kernarg_size 96
		.amdhsa_user_sgpr_count 2
		.amdhsa_user_sgpr_dispatch_ptr 0
		.amdhsa_user_sgpr_queue_ptr 0
		.amdhsa_user_sgpr_kernarg_segment_ptr 1
		.amdhsa_user_sgpr_dispatch_id 0
		.amdhsa_user_sgpr_private_segment_size 0
		.amdhsa_wavefront_size32 1
		.amdhsa_uses_dynamic_stack 0
		.amdhsa_enable_private_segment 0
		.amdhsa_system_sgpr_workgroup_id_x 1
		.amdhsa_system_sgpr_workgroup_id_y 0
		.amdhsa_system_sgpr_workgroup_id_z 0
		.amdhsa_system_sgpr_workgroup_info 0
		.amdhsa_system_vgpr_workitem_id 0
		.amdhsa_next_free_vgpr 1
		.amdhsa_next_free_sgpr 1
		.amdhsa_reserve_vcc 0
		.amdhsa_float_round_mode_32 0
		.amdhsa_float_round_mode_16_64 0
		.amdhsa_float_denorm_mode_32 3
		.amdhsa_float_denorm_mode_16_64 3
		.amdhsa_fp16_overflow 0
		.amdhsa_workgroup_processor_mode 1
		.amdhsa_memory_ordered 1
		.amdhsa_forward_progress 1
		.amdhsa_inst_pref_size 1
		.amdhsa_round_robin_scheduling 0
		.amdhsa_exception_fp_ieee_invalid_op 0
		.amdhsa_exception_fp_denorm_src 0
		.amdhsa_exception_fp_ieee_div_zero 0
		.amdhsa_exception_fp_ieee_overflow 0
		.amdhsa_exception_fp_ieee_underflow 0
		.amdhsa_exception_fp_ieee_inexact 0
		.amdhsa_exception_int_div_zero 0
	.end_amdhsa_kernel
	.section	.text._ZN7rocprim17ROCPRIM_400000_NS6detail17trampoline_kernelINS0_14default_configENS1_20scan_config_selectorIN3c104HalfEEEZZNS1_9scan_implILNS1_25lookback_scan_determinismE0ELb0ELb0ES3_PKS6_PS6_S6_ZZZN2at6native31launch_logcumsumexp_cuda_kernelERKNSD_10TensorBaseESH_lENKUlvE_clEvENKUlvE3_clEvEUlS6_S6_E_S6_EEDaPvRmT3_T4_T5_mT6_P12ihipStream_tbENKUlT_T0_E_clISt17integral_constantIbLb1EESY_EEDaST_SU_EUlST_E_NS1_11comp_targetILNS1_3genE10ELNS1_11target_archE1201ELNS1_3gpuE5ELNS1_3repE0EEENS1_30default_config_static_selectorELNS0_4arch9wavefront6targetE0EEEvT1_,"axG",@progbits,_ZN7rocprim17ROCPRIM_400000_NS6detail17trampoline_kernelINS0_14default_configENS1_20scan_config_selectorIN3c104HalfEEEZZNS1_9scan_implILNS1_25lookback_scan_determinismE0ELb0ELb0ES3_PKS6_PS6_S6_ZZZN2at6native31launch_logcumsumexp_cuda_kernelERKNSD_10TensorBaseESH_lENKUlvE_clEvENKUlvE3_clEvEUlS6_S6_E_S6_EEDaPvRmT3_T4_T5_mT6_P12ihipStream_tbENKUlT_T0_E_clISt17integral_constantIbLb1EESY_EEDaST_SU_EUlST_E_NS1_11comp_targetILNS1_3genE10ELNS1_11target_archE1201ELNS1_3gpuE5ELNS1_3repE0EEENS1_30default_config_static_selectorELNS0_4arch9wavefront6targetE0EEEvT1_,comdat
.Lfunc_end383:
	.size	_ZN7rocprim17ROCPRIM_400000_NS6detail17trampoline_kernelINS0_14default_configENS1_20scan_config_selectorIN3c104HalfEEEZZNS1_9scan_implILNS1_25lookback_scan_determinismE0ELb0ELb0ES3_PKS6_PS6_S6_ZZZN2at6native31launch_logcumsumexp_cuda_kernelERKNSD_10TensorBaseESH_lENKUlvE_clEvENKUlvE3_clEvEUlS6_S6_E_S6_EEDaPvRmT3_T4_T5_mT6_P12ihipStream_tbENKUlT_T0_E_clISt17integral_constantIbLb1EESY_EEDaST_SU_EUlST_E_NS1_11comp_targetILNS1_3genE10ELNS1_11target_archE1201ELNS1_3gpuE5ELNS1_3repE0EEENS1_30default_config_static_selectorELNS0_4arch9wavefront6targetE0EEEvT1_, .Lfunc_end383-_ZN7rocprim17ROCPRIM_400000_NS6detail17trampoline_kernelINS0_14default_configENS1_20scan_config_selectorIN3c104HalfEEEZZNS1_9scan_implILNS1_25lookback_scan_determinismE0ELb0ELb0ES3_PKS6_PS6_S6_ZZZN2at6native31launch_logcumsumexp_cuda_kernelERKNSD_10TensorBaseESH_lENKUlvE_clEvENKUlvE3_clEvEUlS6_S6_E_S6_EEDaPvRmT3_T4_T5_mT6_P12ihipStream_tbENKUlT_T0_E_clISt17integral_constantIbLb1EESY_EEDaST_SU_EUlST_E_NS1_11comp_targetILNS1_3genE10ELNS1_11target_archE1201ELNS1_3gpuE5ELNS1_3repE0EEENS1_30default_config_static_selectorELNS0_4arch9wavefront6targetE0EEEvT1_
                                        ; -- End function
	.set _ZN7rocprim17ROCPRIM_400000_NS6detail17trampoline_kernelINS0_14default_configENS1_20scan_config_selectorIN3c104HalfEEEZZNS1_9scan_implILNS1_25lookback_scan_determinismE0ELb0ELb0ES3_PKS6_PS6_S6_ZZZN2at6native31launch_logcumsumexp_cuda_kernelERKNSD_10TensorBaseESH_lENKUlvE_clEvENKUlvE3_clEvEUlS6_S6_E_S6_EEDaPvRmT3_T4_T5_mT6_P12ihipStream_tbENKUlT_T0_E_clISt17integral_constantIbLb1EESY_EEDaST_SU_EUlST_E_NS1_11comp_targetILNS1_3genE10ELNS1_11target_archE1201ELNS1_3gpuE5ELNS1_3repE0EEENS1_30default_config_static_selectorELNS0_4arch9wavefront6targetE0EEEvT1_.num_vgpr, 0
	.set _ZN7rocprim17ROCPRIM_400000_NS6detail17trampoline_kernelINS0_14default_configENS1_20scan_config_selectorIN3c104HalfEEEZZNS1_9scan_implILNS1_25lookback_scan_determinismE0ELb0ELb0ES3_PKS6_PS6_S6_ZZZN2at6native31launch_logcumsumexp_cuda_kernelERKNSD_10TensorBaseESH_lENKUlvE_clEvENKUlvE3_clEvEUlS6_S6_E_S6_EEDaPvRmT3_T4_T5_mT6_P12ihipStream_tbENKUlT_T0_E_clISt17integral_constantIbLb1EESY_EEDaST_SU_EUlST_E_NS1_11comp_targetILNS1_3genE10ELNS1_11target_archE1201ELNS1_3gpuE5ELNS1_3repE0EEENS1_30default_config_static_selectorELNS0_4arch9wavefront6targetE0EEEvT1_.num_agpr, 0
	.set _ZN7rocprim17ROCPRIM_400000_NS6detail17trampoline_kernelINS0_14default_configENS1_20scan_config_selectorIN3c104HalfEEEZZNS1_9scan_implILNS1_25lookback_scan_determinismE0ELb0ELb0ES3_PKS6_PS6_S6_ZZZN2at6native31launch_logcumsumexp_cuda_kernelERKNSD_10TensorBaseESH_lENKUlvE_clEvENKUlvE3_clEvEUlS6_S6_E_S6_EEDaPvRmT3_T4_T5_mT6_P12ihipStream_tbENKUlT_T0_E_clISt17integral_constantIbLb1EESY_EEDaST_SU_EUlST_E_NS1_11comp_targetILNS1_3genE10ELNS1_11target_archE1201ELNS1_3gpuE5ELNS1_3repE0EEENS1_30default_config_static_selectorELNS0_4arch9wavefront6targetE0EEEvT1_.numbered_sgpr, 0
	.set _ZN7rocprim17ROCPRIM_400000_NS6detail17trampoline_kernelINS0_14default_configENS1_20scan_config_selectorIN3c104HalfEEEZZNS1_9scan_implILNS1_25lookback_scan_determinismE0ELb0ELb0ES3_PKS6_PS6_S6_ZZZN2at6native31launch_logcumsumexp_cuda_kernelERKNSD_10TensorBaseESH_lENKUlvE_clEvENKUlvE3_clEvEUlS6_S6_E_S6_EEDaPvRmT3_T4_T5_mT6_P12ihipStream_tbENKUlT_T0_E_clISt17integral_constantIbLb1EESY_EEDaST_SU_EUlST_E_NS1_11comp_targetILNS1_3genE10ELNS1_11target_archE1201ELNS1_3gpuE5ELNS1_3repE0EEENS1_30default_config_static_selectorELNS0_4arch9wavefront6targetE0EEEvT1_.num_named_barrier, 0
	.set _ZN7rocprim17ROCPRIM_400000_NS6detail17trampoline_kernelINS0_14default_configENS1_20scan_config_selectorIN3c104HalfEEEZZNS1_9scan_implILNS1_25lookback_scan_determinismE0ELb0ELb0ES3_PKS6_PS6_S6_ZZZN2at6native31launch_logcumsumexp_cuda_kernelERKNSD_10TensorBaseESH_lENKUlvE_clEvENKUlvE3_clEvEUlS6_S6_E_S6_EEDaPvRmT3_T4_T5_mT6_P12ihipStream_tbENKUlT_T0_E_clISt17integral_constantIbLb1EESY_EEDaST_SU_EUlST_E_NS1_11comp_targetILNS1_3genE10ELNS1_11target_archE1201ELNS1_3gpuE5ELNS1_3repE0EEENS1_30default_config_static_selectorELNS0_4arch9wavefront6targetE0EEEvT1_.private_seg_size, 0
	.set _ZN7rocprim17ROCPRIM_400000_NS6detail17trampoline_kernelINS0_14default_configENS1_20scan_config_selectorIN3c104HalfEEEZZNS1_9scan_implILNS1_25lookback_scan_determinismE0ELb0ELb0ES3_PKS6_PS6_S6_ZZZN2at6native31launch_logcumsumexp_cuda_kernelERKNSD_10TensorBaseESH_lENKUlvE_clEvENKUlvE3_clEvEUlS6_S6_E_S6_EEDaPvRmT3_T4_T5_mT6_P12ihipStream_tbENKUlT_T0_E_clISt17integral_constantIbLb1EESY_EEDaST_SU_EUlST_E_NS1_11comp_targetILNS1_3genE10ELNS1_11target_archE1201ELNS1_3gpuE5ELNS1_3repE0EEENS1_30default_config_static_selectorELNS0_4arch9wavefront6targetE0EEEvT1_.uses_vcc, 0
	.set _ZN7rocprim17ROCPRIM_400000_NS6detail17trampoline_kernelINS0_14default_configENS1_20scan_config_selectorIN3c104HalfEEEZZNS1_9scan_implILNS1_25lookback_scan_determinismE0ELb0ELb0ES3_PKS6_PS6_S6_ZZZN2at6native31launch_logcumsumexp_cuda_kernelERKNSD_10TensorBaseESH_lENKUlvE_clEvENKUlvE3_clEvEUlS6_S6_E_S6_EEDaPvRmT3_T4_T5_mT6_P12ihipStream_tbENKUlT_T0_E_clISt17integral_constantIbLb1EESY_EEDaST_SU_EUlST_E_NS1_11comp_targetILNS1_3genE10ELNS1_11target_archE1201ELNS1_3gpuE5ELNS1_3repE0EEENS1_30default_config_static_selectorELNS0_4arch9wavefront6targetE0EEEvT1_.uses_flat_scratch, 0
	.set _ZN7rocprim17ROCPRIM_400000_NS6detail17trampoline_kernelINS0_14default_configENS1_20scan_config_selectorIN3c104HalfEEEZZNS1_9scan_implILNS1_25lookback_scan_determinismE0ELb0ELb0ES3_PKS6_PS6_S6_ZZZN2at6native31launch_logcumsumexp_cuda_kernelERKNSD_10TensorBaseESH_lENKUlvE_clEvENKUlvE3_clEvEUlS6_S6_E_S6_EEDaPvRmT3_T4_T5_mT6_P12ihipStream_tbENKUlT_T0_E_clISt17integral_constantIbLb1EESY_EEDaST_SU_EUlST_E_NS1_11comp_targetILNS1_3genE10ELNS1_11target_archE1201ELNS1_3gpuE5ELNS1_3repE0EEENS1_30default_config_static_selectorELNS0_4arch9wavefront6targetE0EEEvT1_.has_dyn_sized_stack, 0
	.set _ZN7rocprim17ROCPRIM_400000_NS6detail17trampoline_kernelINS0_14default_configENS1_20scan_config_selectorIN3c104HalfEEEZZNS1_9scan_implILNS1_25lookback_scan_determinismE0ELb0ELb0ES3_PKS6_PS6_S6_ZZZN2at6native31launch_logcumsumexp_cuda_kernelERKNSD_10TensorBaseESH_lENKUlvE_clEvENKUlvE3_clEvEUlS6_S6_E_S6_EEDaPvRmT3_T4_T5_mT6_P12ihipStream_tbENKUlT_T0_E_clISt17integral_constantIbLb1EESY_EEDaST_SU_EUlST_E_NS1_11comp_targetILNS1_3genE10ELNS1_11target_archE1201ELNS1_3gpuE5ELNS1_3repE0EEENS1_30default_config_static_selectorELNS0_4arch9wavefront6targetE0EEEvT1_.has_recursion, 0
	.set _ZN7rocprim17ROCPRIM_400000_NS6detail17trampoline_kernelINS0_14default_configENS1_20scan_config_selectorIN3c104HalfEEEZZNS1_9scan_implILNS1_25lookback_scan_determinismE0ELb0ELb0ES3_PKS6_PS6_S6_ZZZN2at6native31launch_logcumsumexp_cuda_kernelERKNSD_10TensorBaseESH_lENKUlvE_clEvENKUlvE3_clEvEUlS6_S6_E_S6_EEDaPvRmT3_T4_T5_mT6_P12ihipStream_tbENKUlT_T0_E_clISt17integral_constantIbLb1EESY_EEDaST_SU_EUlST_E_NS1_11comp_targetILNS1_3genE10ELNS1_11target_archE1201ELNS1_3gpuE5ELNS1_3repE0EEENS1_30default_config_static_selectorELNS0_4arch9wavefront6targetE0EEEvT1_.has_indirect_call, 0
	.section	.AMDGPU.csdata,"",@progbits
; Kernel info:
; codeLenInByte = 4
; TotalNumSgprs: 0
; NumVgprs: 0
; ScratchSize: 0
; MemoryBound: 0
; FloatMode: 240
; IeeeMode: 1
; LDSByteSize: 0 bytes/workgroup (compile time only)
; SGPRBlocks: 0
; VGPRBlocks: 0
; NumSGPRsForWavesPerEU: 1
; NumVGPRsForWavesPerEU: 1
; Occupancy: 16
; WaveLimiterHint : 0
; COMPUTE_PGM_RSRC2:SCRATCH_EN: 0
; COMPUTE_PGM_RSRC2:USER_SGPR: 2
; COMPUTE_PGM_RSRC2:TRAP_HANDLER: 0
; COMPUTE_PGM_RSRC2:TGID_X_EN: 1
; COMPUTE_PGM_RSRC2:TGID_Y_EN: 0
; COMPUTE_PGM_RSRC2:TGID_Z_EN: 0
; COMPUTE_PGM_RSRC2:TIDIG_COMP_CNT: 0
	.section	.text._ZN7rocprim17ROCPRIM_400000_NS6detail17trampoline_kernelINS0_14default_configENS1_20scan_config_selectorIN3c104HalfEEEZZNS1_9scan_implILNS1_25lookback_scan_determinismE0ELb0ELb0ES3_PKS6_PS6_S6_ZZZN2at6native31launch_logcumsumexp_cuda_kernelERKNSD_10TensorBaseESH_lENKUlvE_clEvENKUlvE3_clEvEUlS6_S6_E_S6_EEDaPvRmT3_T4_T5_mT6_P12ihipStream_tbENKUlT_T0_E_clISt17integral_constantIbLb1EESY_EEDaST_SU_EUlST_E_NS1_11comp_targetILNS1_3genE10ELNS1_11target_archE1200ELNS1_3gpuE4ELNS1_3repE0EEENS1_30default_config_static_selectorELNS0_4arch9wavefront6targetE0EEEvT1_,"axG",@progbits,_ZN7rocprim17ROCPRIM_400000_NS6detail17trampoline_kernelINS0_14default_configENS1_20scan_config_selectorIN3c104HalfEEEZZNS1_9scan_implILNS1_25lookback_scan_determinismE0ELb0ELb0ES3_PKS6_PS6_S6_ZZZN2at6native31launch_logcumsumexp_cuda_kernelERKNSD_10TensorBaseESH_lENKUlvE_clEvENKUlvE3_clEvEUlS6_S6_E_S6_EEDaPvRmT3_T4_T5_mT6_P12ihipStream_tbENKUlT_T0_E_clISt17integral_constantIbLb1EESY_EEDaST_SU_EUlST_E_NS1_11comp_targetILNS1_3genE10ELNS1_11target_archE1200ELNS1_3gpuE4ELNS1_3repE0EEENS1_30default_config_static_selectorELNS0_4arch9wavefront6targetE0EEEvT1_,comdat
	.globl	_ZN7rocprim17ROCPRIM_400000_NS6detail17trampoline_kernelINS0_14default_configENS1_20scan_config_selectorIN3c104HalfEEEZZNS1_9scan_implILNS1_25lookback_scan_determinismE0ELb0ELb0ES3_PKS6_PS6_S6_ZZZN2at6native31launch_logcumsumexp_cuda_kernelERKNSD_10TensorBaseESH_lENKUlvE_clEvENKUlvE3_clEvEUlS6_S6_E_S6_EEDaPvRmT3_T4_T5_mT6_P12ihipStream_tbENKUlT_T0_E_clISt17integral_constantIbLb1EESY_EEDaST_SU_EUlST_E_NS1_11comp_targetILNS1_3genE10ELNS1_11target_archE1200ELNS1_3gpuE4ELNS1_3repE0EEENS1_30default_config_static_selectorELNS0_4arch9wavefront6targetE0EEEvT1_ ; -- Begin function _ZN7rocprim17ROCPRIM_400000_NS6detail17trampoline_kernelINS0_14default_configENS1_20scan_config_selectorIN3c104HalfEEEZZNS1_9scan_implILNS1_25lookback_scan_determinismE0ELb0ELb0ES3_PKS6_PS6_S6_ZZZN2at6native31launch_logcumsumexp_cuda_kernelERKNSD_10TensorBaseESH_lENKUlvE_clEvENKUlvE3_clEvEUlS6_S6_E_S6_EEDaPvRmT3_T4_T5_mT6_P12ihipStream_tbENKUlT_T0_E_clISt17integral_constantIbLb1EESY_EEDaST_SU_EUlST_E_NS1_11comp_targetILNS1_3genE10ELNS1_11target_archE1200ELNS1_3gpuE4ELNS1_3repE0EEENS1_30default_config_static_selectorELNS0_4arch9wavefront6targetE0EEEvT1_
	.p2align	8
	.type	_ZN7rocprim17ROCPRIM_400000_NS6detail17trampoline_kernelINS0_14default_configENS1_20scan_config_selectorIN3c104HalfEEEZZNS1_9scan_implILNS1_25lookback_scan_determinismE0ELb0ELb0ES3_PKS6_PS6_S6_ZZZN2at6native31launch_logcumsumexp_cuda_kernelERKNSD_10TensorBaseESH_lENKUlvE_clEvENKUlvE3_clEvEUlS6_S6_E_S6_EEDaPvRmT3_T4_T5_mT6_P12ihipStream_tbENKUlT_T0_E_clISt17integral_constantIbLb1EESY_EEDaST_SU_EUlST_E_NS1_11comp_targetILNS1_3genE10ELNS1_11target_archE1200ELNS1_3gpuE4ELNS1_3repE0EEENS1_30default_config_static_selectorELNS0_4arch9wavefront6targetE0EEEvT1_,@function
_ZN7rocprim17ROCPRIM_400000_NS6detail17trampoline_kernelINS0_14default_configENS1_20scan_config_selectorIN3c104HalfEEEZZNS1_9scan_implILNS1_25lookback_scan_determinismE0ELb0ELb0ES3_PKS6_PS6_S6_ZZZN2at6native31launch_logcumsumexp_cuda_kernelERKNSD_10TensorBaseESH_lENKUlvE_clEvENKUlvE3_clEvEUlS6_S6_E_S6_EEDaPvRmT3_T4_T5_mT6_P12ihipStream_tbENKUlT_T0_E_clISt17integral_constantIbLb1EESY_EEDaST_SU_EUlST_E_NS1_11comp_targetILNS1_3genE10ELNS1_11target_archE1200ELNS1_3gpuE4ELNS1_3repE0EEENS1_30default_config_static_selectorELNS0_4arch9wavefront6targetE0EEEvT1_: ; @_ZN7rocprim17ROCPRIM_400000_NS6detail17trampoline_kernelINS0_14default_configENS1_20scan_config_selectorIN3c104HalfEEEZZNS1_9scan_implILNS1_25lookback_scan_determinismE0ELb0ELb0ES3_PKS6_PS6_S6_ZZZN2at6native31launch_logcumsumexp_cuda_kernelERKNSD_10TensorBaseESH_lENKUlvE_clEvENKUlvE3_clEvEUlS6_S6_E_S6_EEDaPvRmT3_T4_T5_mT6_P12ihipStream_tbENKUlT_T0_E_clISt17integral_constantIbLb1EESY_EEDaST_SU_EUlST_E_NS1_11comp_targetILNS1_3genE10ELNS1_11target_archE1200ELNS1_3gpuE4ELNS1_3repE0EEENS1_30default_config_static_selectorELNS0_4arch9wavefront6targetE0EEEvT1_
; %bb.0:
	.section	.rodata,"a",@progbits
	.p2align	6, 0x0
	.amdhsa_kernel _ZN7rocprim17ROCPRIM_400000_NS6detail17trampoline_kernelINS0_14default_configENS1_20scan_config_selectorIN3c104HalfEEEZZNS1_9scan_implILNS1_25lookback_scan_determinismE0ELb0ELb0ES3_PKS6_PS6_S6_ZZZN2at6native31launch_logcumsumexp_cuda_kernelERKNSD_10TensorBaseESH_lENKUlvE_clEvENKUlvE3_clEvEUlS6_S6_E_S6_EEDaPvRmT3_T4_T5_mT6_P12ihipStream_tbENKUlT_T0_E_clISt17integral_constantIbLb1EESY_EEDaST_SU_EUlST_E_NS1_11comp_targetILNS1_3genE10ELNS1_11target_archE1200ELNS1_3gpuE4ELNS1_3repE0EEENS1_30default_config_static_selectorELNS0_4arch9wavefront6targetE0EEEvT1_
		.amdhsa_group_segment_fixed_size 0
		.amdhsa_private_segment_fixed_size 0
		.amdhsa_kernarg_size 96
		.amdhsa_user_sgpr_count 2
		.amdhsa_user_sgpr_dispatch_ptr 0
		.amdhsa_user_sgpr_queue_ptr 0
		.amdhsa_user_sgpr_kernarg_segment_ptr 1
		.amdhsa_user_sgpr_dispatch_id 0
		.amdhsa_user_sgpr_private_segment_size 0
		.amdhsa_wavefront_size32 1
		.amdhsa_uses_dynamic_stack 0
		.amdhsa_enable_private_segment 0
		.amdhsa_system_sgpr_workgroup_id_x 1
		.amdhsa_system_sgpr_workgroup_id_y 0
		.amdhsa_system_sgpr_workgroup_id_z 0
		.amdhsa_system_sgpr_workgroup_info 0
		.amdhsa_system_vgpr_workitem_id 0
		.amdhsa_next_free_vgpr 1
		.amdhsa_next_free_sgpr 1
		.amdhsa_reserve_vcc 0
		.amdhsa_float_round_mode_32 0
		.amdhsa_float_round_mode_16_64 0
		.amdhsa_float_denorm_mode_32 3
		.amdhsa_float_denorm_mode_16_64 3
		.amdhsa_fp16_overflow 0
		.amdhsa_workgroup_processor_mode 1
		.amdhsa_memory_ordered 1
		.amdhsa_forward_progress 1
		.amdhsa_inst_pref_size 0
		.amdhsa_round_robin_scheduling 0
		.amdhsa_exception_fp_ieee_invalid_op 0
		.amdhsa_exception_fp_denorm_src 0
		.amdhsa_exception_fp_ieee_div_zero 0
		.amdhsa_exception_fp_ieee_overflow 0
		.amdhsa_exception_fp_ieee_underflow 0
		.amdhsa_exception_fp_ieee_inexact 0
		.amdhsa_exception_int_div_zero 0
	.end_amdhsa_kernel
	.section	.text._ZN7rocprim17ROCPRIM_400000_NS6detail17trampoline_kernelINS0_14default_configENS1_20scan_config_selectorIN3c104HalfEEEZZNS1_9scan_implILNS1_25lookback_scan_determinismE0ELb0ELb0ES3_PKS6_PS6_S6_ZZZN2at6native31launch_logcumsumexp_cuda_kernelERKNSD_10TensorBaseESH_lENKUlvE_clEvENKUlvE3_clEvEUlS6_S6_E_S6_EEDaPvRmT3_T4_T5_mT6_P12ihipStream_tbENKUlT_T0_E_clISt17integral_constantIbLb1EESY_EEDaST_SU_EUlST_E_NS1_11comp_targetILNS1_3genE10ELNS1_11target_archE1200ELNS1_3gpuE4ELNS1_3repE0EEENS1_30default_config_static_selectorELNS0_4arch9wavefront6targetE0EEEvT1_,"axG",@progbits,_ZN7rocprim17ROCPRIM_400000_NS6detail17trampoline_kernelINS0_14default_configENS1_20scan_config_selectorIN3c104HalfEEEZZNS1_9scan_implILNS1_25lookback_scan_determinismE0ELb0ELb0ES3_PKS6_PS6_S6_ZZZN2at6native31launch_logcumsumexp_cuda_kernelERKNSD_10TensorBaseESH_lENKUlvE_clEvENKUlvE3_clEvEUlS6_S6_E_S6_EEDaPvRmT3_T4_T5_mT6_P12ihipStream_tbENKUlT_T0_E_clISt17integral_constantIbLb1EESY_EEDaST_SU_EUlST_E_NS1_11comp_targetILNS1_3genE10ELNS1_11target_archE1200ELNS1_3gpuE4ELNS1_3repE0EEENS1_30default_config_static_selectorELNS0_4arch9wavefront6targetE0EEEvT1_,comdat
.Lfunc_end384:
	.size	_ZN7rocprim17ROCPRIM_400000_NS6detail17trampoline_kernelINS0_14default_configENS1_20scan_config_selectorIN3c104HalfEEEZZNS1_9scan_implILNS1_25lookback_scan_determinismE0ELb0ELb0ES3_PKS6_PS6_S6_ZZZN2at6native31launch_logcumsumexp_cuda_kernelERKNSD_10TensorBaseESH_lENKUlvE_clEvENKUlvE3_clEvEUlS6_S6_E_S6_EEDaPvRmT3_T4_T5_mT6_P12ihipStream_tbENKUlT_T0_E_clISt17integral_constantIbLb1EESY_EEDaST_SU_EUlST_E_NS1_11comp_targetILNS1_3genE10ELNS1_11target_archE1200ELNS1_3gpuE4ELNS1_3repE0EEENS1_30default_config_static_selectorELNS0_4arch9wavefront6targetE0EEEvT1_, .Lfunc_end384-_ZN7rocprim17ROCPRIM_400000_NS6detail17trampoline_kernelINS0_14default_configENS1_20scan_config_selectorIN3c104HalfEEEZZNS1_9scan_implILNS1_25lookback_scan_determinismE0ELb0ELb0ES3_PKS6_PS6_S6_ZZZN2at6native31launch_logcumsumexp_cuda_kernelERKNSD_10TensorBaseESH_lENKUlvE_clEvENKUlvE3_clEvEUlS6_S6_E_S6_EEDaPvRmT3_T4_T5_mT6_P12ihipStream_tbENKUlT_T0_E_clISt17integral_constantIbLb1EESY_EEDaST_SU_EUlST_E_NS1_11comp_targetILNS1_3genE10ELNS1_11target_archE1200ELNS1_3gpuE4ELNS1_3repE0EEENS1_30default_config_static_selectorELNS0_4arch9wavefront6targetE0EEEvT1_
                                        ; -- End function
	.set _ZN7rocprim17ROCPRIM_400000_NS6detail17trampoline_kernelINS0_14default_configENS1_20scan_config_selectorIN3c104HalfEEEZZNS1_9scan_implILNS1_25lookback_scan_determinismE0ELb0ELb0ES3_PKS6_PS6_S6_ZZZN2at6native31launch_logcumsumexp_cuda_kernelERKNSD_10TensorBaseESH_lENKUlvE_clEvENKUlvE3_clEvEUlS6_S6_E_S6_EEDaPvRmT3_T4_T5_mT6_P12ihipStream_tbENKUlT_T0_E_clISt17integral_constantIbLb1EESY_EEDaST_SU_EUlST_E_NS1_11comp_targetILNS1_3genE10ELNS1_11target_archE1200ELNS1_3gpuE4ELNS1_3repE0EEENS1_30default_config_static_selectorELNS0_4arch9wavefront6targetE0EEEvT1_.num_vgpr, 0
	.set _ZN7rocprim17ROCPRIM_400000_NS6detail17trampoline_kernelINS0_14default_configENS1_20scan_config_selectorIN3c104HalfEEEZZNS1_9scan_implILNS1_25lookback_scan_determinismE0ELb0ELb0ES3_PKS6_PS6_S6_ZZZN2at6native31launch_logcumsumexp_cuda_kernelERKNSD_10TensorBaseESH_lENKUlvE_clEvENKUlvE3_clEvEUlS6_S6_E_S6_EEDaPvRmT3_T4_T5_mT6_P12ihipStream_tbENKUlT_T0_E_clISt17integral_constantIbLb1EESY_EEDaST_SU_EUlST_E_NS1_11comp_targetILNS1_3genE10ELNS1_11target_archE1200ELNS1_3gpuE4ELNS1_3repE0EEENS1_30default_config_static_selectorELNS0_4arch9wavefront6targetE0EEEvT1_.num_agpr, 0
	.set _ZN7rocprim17ROCPRIM_400000_NS6detail17trampoline_kernelINS0_14default_configENS1_20scan_config_selectorIN3c104HalfEEEZZNS1_9scan_implILNS1_25lookback_scan_determinismE0ELb0ELb0ES3_PKS6_PS6_S6_ZZZN2at6native31launch_logcumsumexp_cuda_kernelERKNSD_10TensorBaseESH_lENKUlvE_clEvENKUlvE3_clEvEUlS6_S6_E_S6_EEDaPvRmT3_T4_T5_mT6_P12ihipStream_tbENKUlT_T0_E_clISt17integral_constantIbLb1EESY_EEDaST_SU_EUlST_E_NS1_11comp_targetILNS1_3genE10ELNS1_11target_archE1200ELNS1_3gpuE4ELNS1_3repE0EEENS1_30default_config_static_selectorELNS0_4arch9wavefront6targetE0EEEvT1_.numbered_sgpr, 0
	.set _ZN7rocprim17ROCPRIM_400000_NS6detail17trampoline_kernelINS0_14default_configENS1_20scan_config_selectorIN3c104HalfEEEZZNS1_9scan_implILNS1_25lookback_scan_determinismE0ELb0ELb0ES3_PKS6_PS6_S6_ZZZN2at6native31launch_logcumsumexp_cuda_kernelERKNSD_10TensorBaseESH_lENKUlvE_clEvENKUlvE3_clEvEUlS6_S6_E_S6_EEDaPvRmT3_T4_T5_mT6_P12ihipStream_tbENKUlT_T0_E_clISt17integral_constantIbLb1EESY_EEDaST_SU_EUlST_E_NS1_11comp_targetILNS1_3genE10ELNS1_11target_archE1200ELNS1_3gpuE4ELNS1_3repE0EEENS1_30default_config_static_selectorELNS0_4arch9wavefront6targetE0EEEvT1_.num_named_barrier, 0
	.set _ZN7rocprim17ROCPRIM_400000_NS6detail17trampoline_kernelINS0_14default_configENS1_20scan_config_selectorIN3c104HalfEEEZZNS1_9scan_implILNS1_25lookback_scan_determinismE0ELb0ELb0ES3_PKS6_PS6_S6_ZZZN2at6native31launch_logcumsumexp_cuda_kernelERKNSD_10TensorBaseESH_lENKUlvE_clEvENKUlvE3_clEvEUlS6_S6_E_S6_EEDaPvRmT3_T4_T5_mT6_P12ihipStream_tbENKUlT_T0_E_clISt17integral_constantIbLb1EESY_EEDaST_SU_EUlST_E_NS1_11comp_targetILNS1_3genE10ELNS1_11target_archE1200ELNS1_3gpuE4ELNS1_3repE0EEENS1_30default_config_static_selectorELNS0_4arch9wavefront6targetE0EEEvT1_.private_seg_size, 0
	.set _ZN7rocprim17ROCPRIM_400000_NS6detail17trampoline_kernelINS0_14default_configENS1_20scan_config_selectorIN3c104HalfEEEZZNS1_9scan_implILNS1_25lookback_scan_determinismE0ELb0ELb0ES3_PKS6_PS6_S6_ZZZN2at6native31launch_logcumsumexp_cuda_kernelERKNSD_10TensorBaseESH_lENKUlvE_clEvENKUlvE3_clEvEUlS6_S6_E_S6_EEDaPvRmT3_T4_T5_mT6_P12ihipStream_tbENKUlT_T0_E_clISt17integral_constantIbLb1EESY_EEDaST_SU_EUlST_E_NS1_11comp_targetILNS1_3genE10ELNS1_11target_archE1200ELNS1_3gpuE4ELNS1_3repE0EEENS1_30default_config_static_selectorELNS0_4arch9wavefront6targetE0EEEvT1_.uses_vcc, 0
	.set _ZN7rocprim17ROCPRIM_400000_NS6detail17trampoline_kernelINS0_14default_configENS1_20scan_config_selectorIN3c104HalfEEEZZNS1_9scan_implILNS1_25lookback_scan_determinismE0ELb0ELb0ES3_PKS6_PS6_S6_ZZZN2at6native31launch_logcumsumexp_cuda_kernelERKNSD_10TensorBaseESH_lENKUlvE_clEvENKUlvE3_clEvEUlS6_S6_E_S6_EEDaPvRmT3_T4_T5_mT6_P12ihipStream_tbENKUlT_T0_E_clISt17integral_constantIbLb1EESY_EEDaST_SU_EUlST_E_NS1_11comp_targetILNS1_3genE10ELNS1_11target_archE1200ELNS1_3gpuE4ELNS1_3repE0EEENS1_30default_config_static_selectorELNS0_4arch9wavefront6targetE0EEEvT1_.uses_flat_scratch, 0
	.set _ZN7rocprim17ROCPRIM_400000_NS6detail17trampoline_kernelINS0_14default_configENS1_20scan_config_selectorIN3c104HalfEEEZZNS1_9scan_implILNS1_25lookback_scan_determinismE0ELb0ELb0ES3_PKS6_PS6_S6_ZZZN2at6native31launch_logcumsumexp_cuda_kernelERKNSD_10TensorBaseESH_lENKUlvE_clEvENKUlvE3_clEvEUlS6_S6_E_S6_EEDaPvRmT3_T4_T5_mT6_P12ihipStream_tbENKUlT_T0_E_clISt17integral_constantIbLb1EESY_EEDaST_SU_EUlST_E_NS1_11comp_targetILNS1_3genE10ELNS1_11target_archE1200ELNS1_3gpuE4ELNS1_3repE0EEENS1_30default_config_static_selectorELNS0_4arch9wavefront6targetE0EEEvT1_.has_dyn_sized_stack, 0
	.set _ZN7rocprim17ROCPRIM_400000_NS6detail17trampoline_kernelINS0_14default_configENS1_20scan_config_selectorIN3c104HalfEEEZZNS1_9scan_implILNS1_25lookback_scan_determinismE0ELb0ELb0ES3_PKS6_PS6_S6_ZZZN2at6native31launch_logcumsumexp_cuda_kernelERKNSD_10TensorBaseESH_lENKUlvE_clEvENKUlvE3_clEvEUlS6_S6_E_S6_EEDaPvRmT3_T4_T5_mT6_P12ihipStream_tbENKUlT_T0_E_clISt17integral_constantIbLb1EESY_EEDaST_SU_EUlST_E_NS1_11comp_targetILNS1_3genE10ELNS1_11target_archE1200ELNS1_3gpuE4ELNS1_3repE0EEENS1_30default_config_static_selectorELNS0_4arch9wavefront6targetE0EEEvT1_.has_recursion, 0
	.set _ZN7rocprim17ROCPRIM_400000_NS6detail17trampoline_kernelINS0_14default_configENS1_20scan_config_selectorIN3c104HalfEEEZZNS1_9scan_implILNS1_25lookback_scan_determinismE0ELb0ELb0ES3_PKS6_PS6_S6_ZZZN2at6native31launch_logcumsumexp_cuda_kernelERKNSD_10TensorBaseESH_lENKUlvE_clEvENKUlvE3_clEvEUlS6_S6_E_S6_EEDaPvRmT3_T4_T5_mT6_P12ihipStream_tbENKUlT_T0_E_clISt17integral_constantIbLb1EESY_EEDaST_SU_EUlST_E_NS1_11comp_targetILNS1_3genE10ELNS1_11target_archE1200ELNS1_3gpuE4ELNS1_3repE0EEENS1_30default_config_static_selectorELNS0_4arch9wavefront6targetE0EEEvT1_.has_indirect_call, 0
	.section	.AMDGPU.csdata,"",@progbits
; Kernel info:
; codeLenInByte = 0
; TotalNumSgprs: 0
; NumVgprs: 0
; ScratchSize: 0
; MemoryBound: 0
; FloatMode: 240
; IeeeMode: 1
; LDSByteSize: 0 bytes/workgroup (compile time only)
; SGPRBlocks: 0
; VGPRBlocks: 0
; NumSGPRsForWavesPerEU: 1
; NumVGPRsForWavesPerEU: 1
; Occupancy: 16
; WaveLimiterHint : 0
; COMPUTE_PGM_RSRC2:SCRATCH_EN: 0
; COMPUTE_PGM_RSRC2:USER_SGPR: 2
; COMPUTE_PGM_RSRC2:TRAP_HANDLER: 0
; COMPUTE_PGM_RSRC2:TGID_X_EN: 1
; COMPUTE_PGM_RSRC2:TGID_Y_EN: 0
; COMPUTE_PGM_RSRC2:TGID_Z_EN: 0
; COMPUTE_PGM_RSRC2:TIDIG_COMP_CNT: 0
	.section	.text._ZN7rocprim17ROCPRIM_400000_NS6detail17trampoline_kernelINS0_14default_configENS1_20scan_config_selectorIN3c104HalfEEEZZNS1_9scan_implILNS1_25lookback_scan_determinismE0ELb0ELb0ES3_PKS6_PS6_S6_ZZZN2at6native31launch_logcumsumexp_cuda_kernelERKNSD_10TensorBaseESH_lENKUlvE_clEvENKUlvE3_clEvEUlS6_S6_E_S6_EEDaPvRmT3_T4_T5_mT6_P12ihipStream_tbENKUlT_T0_E_clISt17integral_constantIbLb1EESY_EEDaST_SU_EUlST_E_NS1_11comp_targetILNS1_3genE9ELNS1_11target_archE1100ELNS1_3gpuE3ELNS1_3repE0EEENS1_30default_config_static_selectorELNS0_4arch9wavefront6targetE0EEEvT1_,"axG",@progbits,_ZN7rocprim17ROCPRIM_400000_NS6detail17trampoline_kernelINS0_14default_configENS1_20scan_config_selectorIN3c104HalfEEEZZNS1_9scan_implILNS1_25lookback_scan_determinismE0ELb0ELb0ES3_PKS6_PS6_S6_ZZZN2at6native31launch_logcumsumexp_cuda_kernelERKNSD_10TensorBaseESH_lENKUlvE_clEvENKUlvE3_clEvEUlS6_S6_E_S6_EEDaPvRmT3_T4_T5_mT6_P12ihipStream_tbENKUlT_T0_E_clISt17integral_constantIbLb1EESY_EEDaST_SU_EUlST_E_NS1_11comp_targetILNS1_3genE9ELNS1_11target_archE1100ELNS1_3gpuE3ELNS1_3repE0EEENS1_30default_config_static_selectorELNS0_4arch9wavefront6targetE0EEEvT1_,comdat
	.globl	_ZN7rocprim17ROCPRIM_400000_NS6detail17trampoline_kernelINS0_14default_configENS1_20scan_config_selectorIN3c104HalfEEEZZNS1_9scan_implILNS1_25lookback_scan_determinismE0ELb0ELb0ES3_PKS6_PS6_S6_ZZZN2at6native31launch_logcumsumexp_cuda_kernelERKNSD_10TensorBaseESH_lENKUlvE_clEvENKUlvE3_clEvEUlS6_S6_E_S6_EEDaPvRmT3_T4_T5_mT6_P12ihipStream_tbENKUlT_T0_E_clISt17integral_constantIbLb1EESY_EEDaST_SU_EUlST_E_NS1_11comp_targetILNS1_3genE9ELNS1_11target_archE1100ELNS1_3gpuE3ELNS1_3repE0EEENS1_30default_config_static_selectorELNS0_4arch9wavefront6targetE0EEEvT1_ ; -- Begin function _ZN7rocprim17ROCPRIM_400000_NS6detail17trampoline_kernelINS0_14default_configENS1_20scan_config_selectorIN3c104HalfEEEZZNS1_9scan_implILNS1_25lookback_scan_determinismE0ELb0ELb0ES3_PKS6_PS6_S6_ZZZN2at6native31launch_logcumsumexp_cuda_kernelERKNSD_10TensorBaseESH_lENKUlvE_clEvENKUlvE3_clEvEUlS6_S6_E_S6_EEDaPvRmT3_T4_T5_mT6_P12ihipStream_tbENKUlT_T0_E_clISt17integral_constantIbLb1EESY_EEDaST_SU_EUlST_E_NS1_11comp_targetILNS1_3genE9ELNS1_11target_archE1100ELNS1_3gpuE3ELNS1_3repE0EEENS1_30default_config_static_selectorELNS0_4arch9wavefront6targetE0EEEvT1_
	.p2align	8
	.type	_ZN7rocprim17ROCPRIM_400000_NS6detail17trampoline_kernelINS0_14default_configENS1_20scan_config_selectorIN3c104HalfEEEZZNS1_9scan_implILNS1_25lookback_scan_determinismE0ELb0ELb0ES3_PKS6_PS6_S6_ZZZN2at6native31launch_logcumsumexp_cuda_kernelERKNSD_10TensorBaseESH_lENKUlvE_clEvENKUlvE3_clEvEUlS6_S6_E_S6_EEDaPvRmT3_T4_T5_mT6_P12ihipStream_tbENKUlT_T0_E_clISt17integral_constantIbLb1EESY_EEDaST_SU_EUlST_E_NS1_11comp_targetILNS1_3genE9ELNS1_11target_archE1100ELNS1_3gpuE3ELNS1_3repE0EEENS1_30default_config_static_selectorELNS0_4arch9wavefront6targetE0EEEvT1_,@function
_ZN7rocprim17ROCPRIM_400000_NS6detail17trampoline_kernelINS0_14default_configENS1_20scan_config_selectorIN3c104HalfEEEZZNS1_9scan_implILNS1_25lookback_scan_determinismE0ELb0ELb0ES3_PKS6_PS6_S6_ZZZN2at6native31launch_logcumsumexp_cuda_kernelERKNSD_10TensorBaseESH_lENKUlvE_clEvENKUlvE3_clEvEUlS6_S6_E_S6_EEDaPvRmT3_T4_T5_mT6_P12ihipStream_tbENKUlT_T0_E_clISt17integral_constantIbLb1EESY_EEDaST_SU_EUlST_E_NS1_11comp_targetILNS1_3genE9ELNS1_11target_archE1100ELNS1_3gpuE3ELNS1_3repE0EEENS1_30default_config_static_selectorELNS0_4arch9wavefront6targetE0EEEvT1_: ; @_ZN7rocprim17ROCPRIM_400000_NS6detail17trampoline_kernelINS0_14default_configENS1_20scan_config_selectorIN3c104HalfEEEZZNS1_9scan_implILNS1_25lookback_scan_determinismE0ELb0ELb0ES3_PKS6_PS6_S6_ZZZN2at6native31launch_logcumsumexp_cuda_kernelERKNSD_10TensorBaseESH_lENKUlvE_clEvENKUlvE3_clEvEUlS6_S6_E_S6_EEDaPvRmT3_T4_T5_mT6_P12ihipStream_tbENKUlT_T0_E_clISt17integral_constantIbLb1EESY_EEDaST_SU_EUlST_E_NS1_11comp_targetILNS1_3genE9ELNS1_11target_archE1100ELNS1_3gpuE3ELNS1_3repE0EEENS1_30default_config_static_selectorELNS0_4arch9wavefront6targetE0EEEvT1_
; %bb.0:
	.section	.rodata,"a",@progbits
	.p2align	6, 0x0
	.amdhsa_kernel _ZN7rocprim17ROCPRIM_400000_NS6detail17trampoline_kernelINS0_14default_configENS1_20scan_config_selectorIN3c104HalfEEEZZNS1_9scan_implILNS1_25lookback_scan_determinismE0ELb0ELb0ES3_PKS6_PS6_S6_ZZZN2at6native31launch_logcumsumexp_cuda_kernelERKNSD_10TensorBaseESH_lENKUlvE_clEvENKUlvE3_clEvEUlS6_S6_E_S6_EEDaPvRmT3_T4_T5_mT6_P12ihipStream_tbENKUlT_T0_E_clISt17integral_constantIbLb1EESY_EEDaST_SU_EUlST_E_NS1_11comp_targetILNS1_3genE9ELNS1_11target_archE1100ELNS1_3gpuE3ELNS1_3repE0EEENS1_30default_config_static_selectorELNS0_4arch9wavefront6targetE0EEEvT1_
		.amdhsa_group_segment_fixed_size 0
		.amdhsa_private_segment_fixed_size 0
		.amdhsa_kernarg_size 96
		.amdhsa_user_sgpr_count 2
		.amdhsa_user_sgpr_dispatch_ptr 0
		.amdhsa_user_sgpr_queue_ptr 0
		.amdhsa_user_sgpr_kernarg_segment_ptr 1
		.amdhsa_user_sgpr_dispatch_id 0
		.amdhsa_user_sgpr_private_segment_size 0
		.amdhsa_wavefront_size32 1
		.amdhsa_uses_dynamic_stack 0
		.amdhsa_enable_private_segment 0
		.amdhsa_system_sgpr_workgroup_id_x 1
		.amdhsa_system_sgpr_workgroup_id_y 0
		.amdhsa_system_sgpr_workgroup_id_z 0
		.amdhsa_system_sgpr_workgroup_info 0
		.amdhsa_system_vgpr_workitem_id 0
		.amdhsa_next_free_vgpr 1
		.amdhsa_next_free_sgpr 1
		.amdhsa_reserve_vcc 0
		.amdhsa_float_round_mode_32 0
		.amdhsa_float_round_mode_16_64 0
		.amdhsa_float_denorm_mode_32 3
		.amdhsa_float_denorm_mode_16_64 3
		.amdhsa_fp16_overflow 0
		.amdhsa_workgroup_processor_mode 1
		.amdhsa_memory_ordered 1
		.amdhsa_forward_progress 1
		.amdhsa_inst_pref_size 0
		.amdhsa_round_robin_scheduling 0
		.amdhsa_exception_fp_ieee_invalid_op 0
		.amdhsa_exception_fp_denorm_src 0
		.amdhsa_exception_fp_ieee_div_zero 0
		.amdhsa_exception_fp_ieee_overflow 0
		.amdhsa_exception_fp_ieee_underflow 0
		.amdhsa_exception_fp_ieee_inexact 0
		.amdhsa_exception_int_div_zero 0
	.end_amdhsa_kernel
	.section	.text._ZN7rocprim17ROCPRIM_400000_NS6detail17trampoline_kernelINS0_14default_configENS1_20scan_config_selectorIN3c104HalfEEEZZNS1_9scan_implILNS1_25lookback_scan_determinismE0ELb0ELb0ES3_PKS6_PS6_S6_ZZZN2at6native31launch_logcumsumexp_cuda_kernelERKNSD_10TensorBaseESH_lENKUlvE_clEvENKUlvE3_clEvEUlS6_S6_E_S6_EEDaPvRmT3_T4_T5_mT6_P12ihipStream_tbENKUlT_T0_E_clISt17integral_constantIbLb1EESY_EEDaST_SU_EUlST_E_NS1_11comp_targetILNS1_3genE9ELNS1_11target_archE1100ELNS1_3gpuE3ELNS1_3repE0EEENS1_30default_config_static_selectorELNS0_4arch9wavefront6targetE0EEEvT1_,"axG",@progbits,_ZN7rocprim17ROCPRIM_400000_NS6detail17trampoline_kernelINS0_14default_configENS1_20scan_config_selectorIN3c104HalfEEEZZNS1_9scan_implILNS1_25lookback_scan_determinismE0ELb0ELb0ES3_PKS6_PS6_S6_ZZZN2at6native31launch_logcumsumexp_cuda_kernelERKNSD_10TensorBaseESH_lENKUlvE_clEvENKUlvE3_clEvEUlS6_S6_E_S6_EEDaPvRmT3_T4_T5_mT6_P12ihipStream_tbENKUlT_T0_E_clISt17integral_constantIbLb1EESY_EEDaST_SU_EUlST_E_NS1_11comp_targetILNS1_3genE9ELNS1_11target_archE1100ELNS1_3gpuE3ELNS1_3repE0EEENS1_30default_config_static_selectorELNS0_4arch9wavefront6targetE0EEEvT1_,comdat
.Lfunc_end385:
	.size	_ZN7rocprim17ROCPRIM_400000_NS6detail17trampoline_kernelINS0_14default_configENS1_20scan_config_selectorIN3c104HalfEEEZZNS1_9scan_implILNS1_25lookback_scan_determinismE0ELb0ELb0ES3_PKS6_PS6_S6_ZZZN2at6native31launch_logcumsumexp_cuda_kernelERKNSD_10TensorBaseESH_lENKUlvE_clEvENKUlvE3_clEvEUlS6_S6_E_S6_EEDaPvRmT3_T4_T5_mT6_P12ihipStream_tbENKUlT_T0_E_clISt17integral_constantIbLb1EESY_EEDaST_SU_EUlST_E_NS1_11comp_targetILNS1_3genE9ELNS1_11target_archE1100ELNS1_3gpuE3ELNS1_3repE0EEENS1_30default_config_static_selectorELNS0_4arch9wavefront6targetE0EEEvT1_, .Lfunc_end385-_ZN7rocprim17ROCPRIM_400000_NS6detail17trampoline_kernelINS0_14default_configENS1_20scan_config_selectorIN3c104HalfEEEZZNS1_9scan_implILNS1_25lookback_scan_determinismE0ELb0ELb0ES3_PKS6_PS6_S6_ZZZN2at6native31launch_logcumsumexp_cuda_kernelERKNSD_10TensorBaseESH_lENKUlvE_clEvENKUlvE3_clEvEUlS6_S6_E_S6_EEDaPvRmT3_T4_T5_mT6_P12ihipStream_tbENKUlT_T0_E_clISt17integral_constantIbLb1EESY_EEDaST_SU_EUlST_E_NS1_11comp_targetILNS1_3genE9ELNS1_11target_archE1100ELNS1_3gpuE3ELNS1_3repE0EEENS1_30default_config_static_selectorELNS0_4arch9wavefront6targetE0EEEvT1_
                                        ; -- End function
	.set _ZN7rocprim17ROCPRIM_400000_NS6detail17trampoline_kernelINS0_14default_configENS1_20scan_config_selectorIN3c104HalfEEEZZNS1_9scan_implILNS1_25lookback_scan_determinismE0ELb0ELb0ES3_PKS6_PS6_S6_ZZZN2at6native31launch_logcumsumexp_cuda_kernelERKNSD_10TensorBaseESH_lENKUlvE_clEvENKUlvE3_clEvEUlS6_S6_E_S6_EEDaPvRmT3_T4_T5_mT6_P12ihipStream_tbENKUlT_T0_E_clISt17integral_constantIbLb1EESY_EEDaST_SU_EUlST_E_NS1_11comp_targetILNS1_3genE9ELNS1_11target_archE1100ELNS1_3gpuE3ELNS1_3repE0EEENS1_30default_config_static_selectorELNS0_4arch9wavefront6targetE0EEEvT1_.num_vgpr, 0
	.set _ZN7rocprim17ROCPRIM_400000_NS6detail17trampoline_kernelINS0_14default_configENS1_20scan_config_selectorIN3c104HalfEEEZZNS1_9scan_implILNS1_25lookback_scan_determinismE0ELb0ELb0ES3_PKS6_PS6_S6_ZZZN2at6native31launch_logcumsumexp_cuda_kernelERKNSD_10TensorBaseESH_lENKUlvE_clEvENKUlvE3_clEvEUlS6_S6_E_S6_EEDaPvRmT3_T4_T5_mT6_P12ihipStream_tbENKUlT_T0_E_clISt17integral_constantIbLb1EESY_EEDaST_SU_EUlST_E_NS1_11comp_targetILNS1_3genE9ELNS1_11target_archE1100ELNS1_3gpuE3ELNS1_3repE0EEENS1_30default_config_static_selectorELNS0_4arch9wavefront6targetE0EEEvT1_.num_agpr, 0
	.set _ZN7rocprim17ROCPRIM_400000_NS6detail17trampoline_kernelINS0_14default_configENS1_20scan_config_selectorIN3c104HalfEEEZZNS1_9scan_implILNS1_25lookback_scan_determinismE0ELb0ELb0ES3_PKS6_PS6_S6_ZZZN2at6native31launch_logcumsumexp_cuda_kernelERKNSD_10TensorBaseESH_lENKUlvE_clEvENKUlvE3_clEvEUlS6_S6_E_S6_EEDaPvRmT3_T4_T5_mT6_P12ihipStream_tbENKUlT_T0_E_clISt17integral_constantIbLb1EESY_EEDaST_SU_EUlST_E_NS1_11comp_targetILNS1_3genE9ELNS1_11target_archE1100ELNS1_3gpuE3ELNS1_3repE0EEENS1_30default_config_static_selectorELNS0_4arch9wavefront6targetE0EEEvT1_.numbered_sgpr, 0
	.set _ZN7rocprim17ROCPRIM_400000_NS6detail17trampoline_kernelINS0_14default_configENS1_20scan_config_selectorIN3c104HalfEEEZZNS1_9scan_implILNS1_25lookback_scan_determinismE0ELb0ELb0ES3_PKS6_PS6_S6_ZZZN2at6native31launch_logcumsumexp_cuda_kernelERKNSD_10TensorBaseESH_lENKUlvE_clEvENKUlvE3_clEvEUlS6_S6_E_S6_EEDaPvRmT3_T4_T5_mT6_P12ihipStream_tbENKUlT_T0_E_clISt17integral_constantIbLb1EESY_EEDaST_SU_EUlST_E_NS1_11comp_targetILNS1_3genE9ELNS1_11target_archE1100ELNS1_3gpuE3ELNS1_3repE0EEENS1_30default_config_static_selectorELNS0_4arch9wavefront6targetE0EEEvT1_.num_named_barrier, 0
	.set _ZN7rocprim17ROCPRIM_400000_NS6detail17trampoline_kernelINS0_14default_configENS1_20scan_config_selectorIN3c104HalfEEEZZNS1_9scan_implILNS1_25lookback_scan_determinismE0ELb0ELb0ES3_PKS6_PS6_S6_ZZZN2at6native31launch_logcumsumexp_cuda_kernelERKNSD_10TensorBaseESH_lENKUlvE_clEvENKUlvE3_clEvEUlS6_S6_E_S6_EEDaPvRmT3_T4_T5_mT6_P12ihipStream_tbENKUlT_T0_E_clISt17integral_constantIbLb1EESY_EEDaST_SU_EUlST_E_NS1_11comp_targetILNS1_3genE9ELNS1_11target_archE1100ELNS1_3gpuE3ELNS1_3repE0EEENS1_30default_config_static_selectorELNS0_4arch9wavefront6targetE0EEEvT1_.private_seg_size, 0
	.set _ZN7rocprim17ROCPRIM_400000_NS6detail17trampoline_kernelINS0_14default_configENS1_20scan_config_selectorIN3c104HalfEEEZZNS1_9scan_implILNS1_25lookback_scan_determinismE0ELb0ELb0ES3_PKS6_PS6_S6_ZZZN2at6native31launch_logcumsumexp_cuda_kernelERKNSD_10TensorBaseESH_lENKUlvE_clEvENKUlvE3_clEvEUlS6_S6_E_S6_EEDaPvRmT3_T4_T5_mT6_P12ihipStream_tbENKUlT_T0_E_clISt17integral_constantIbLb1EESY_EEDaST_SU_EUlST_E_NS1_11comp_targetILNS1_3genE9ELNS1_11target_archE1100ELNS1_3gpuE3ELNS1_3repE0EEENS1_30default_config_static_selectorELNS0_4arch9wavefront6targetE0EEEvT1_.uses_vcc, 0
	.set _ZN7rocprim17ROCPRIM_400000_NS6detail17trampoline_kernelINS0_14default_configENS1_20scan_config_selectorIN3c104HalfEEEZZNS1_9scan_implILNS1_25lookback_scan_determinismE0ELb0ELb0ES3_PKS6_PS6_S6_ZZZN2at6native31launch_logcumsumexp_cuda_kernelERKNSD_10TensorBaseESH_lENKUlvE_clEvENKUlvE3_clEvEUlS6_S6_E_S6_EEDaPvRmT3_T4_T5_mT6_P12ihipStream_tbENKUlT_T0_E_clISt17integral_constantIbLb1EESY_EEDaST_SU_EUlST_E_NS1_11comp_targetILNS1_3genE9ELNS1_11target_archE1100ELNS1_3gpuE3ELNS1_3repE0EEENS1_30default_config_static_selectorELNS0_4arch9wavefront6targetE0EEEvT1_.uses_flat_scratch, 0
	.set _ZN7rocprim17ROCPRIM_400000_NS6detail17trampoline_kernelINS0_14default_configENS1_20scan_config_selectorIN3c104HalfEEEZZNS1_9scan_implILNS1_25lookback_scan_determinismE0ELb0ELb0ES3_PKS6_PS6_S6_ZZZN2at6native31launch_logcumsumexp_cuda_kernelERKNSD_10TensorBaseESH_lENKUlvE_clEvENKUlvE3_clEvEUlS6_S6_E_S6_EEDaPvRmT3_T4_T5_mT6_P12ihipStream_tbENKUlT_T0_E_clISt17integral_constantIbLb1EESY_EEDaST_SU_EUlST_E_NS1_11comp_targetILNS1_3genE9ELNS1_11target_archE1100ELNS1_3gpuE3ELNS1_3repE0EEENS1_30default_config_static_selectorELNS0_4arch9wavefront6targetE0EEEvT1_.has_dyn_sized_stack, 0
	.set _ZN7rocprim17ROCPRIM_400000_NS6detail17trampoline_kernelINS0_14default_configENS1_20scan_config_selectorIN3c104HalfEEEZZNS1_9scan_implILNS1_25lookback_scan_determinismE0ELb0ELb0ES3_PKS6_PS6_S6_ZZZN2at6native31launch_logcumsumexp_cuda_kernelERKNSD_10TensorBaseESH_lENKUlvE_clEvENKUlvE3_clEvEUlS6_S6_E_S6_EEDaPvRmT3_T4_T5_mT6_P12ihipStream_tbENKUlT_T0_E_clISt17integral_constantIbLb1EESY_EEDaST_SU_EUlST_E_NS1_11comp_targetILNS1_3genE9ELNS1_11target_archE1100ELNS1_3gpuE3ELNS1_3repE0EEENS1_30default_config_static_selectorELNS0_4arch9wavefront6targetE0EEEvT1_.has_recursion, 0
	.set _ZN7rocprim17ROCPRIM_400000_NS6detail17trampoline_kernelINS0_14default_configENS1_20scan_config_selectorIN3c104HalfEEEZZNS1_9scan_implILNS1_25lookback_scan_determinismE0ELb0ELb0ES3_PKS6_PS6_S6_ZZZN2at6native31launch_logcumsumexp_cuda_kernelERKNSD_10TensorBaseESH_lENKUlvE_clEvENKUlvE3_clEvEUlS6_S6_E_S6_EEDaPvRmT3_T4_T5_mT6_P12ihipStream_tbENKUlT_T0_E_clISt17integral_constantIbLb1EESY_EEDaST_SU_EUlST_E_NS1_11comp_targetILNS1_3genE9ELNS1_11target_archE1100ELNS1_3gpuE3ELNS1_3repE0EEENS1_30default_config_static_selectorELNS0_4arch9wavefront6targetE0EEEvT1_.has_indirect_call, 0
	.section	.AMDGPU.csdata,"",@progbits
; Kernel info:
; codeLenInByte = 0
; TotalNumSgprs: 0
; NumVgprs: 0
; ScratchSize: 0
; MemoryBound: 0
; FloatMode: 240
; IeeeMode: 1
; LDSByteSize: 0 bytes/workgroup (compile time only)
; SGPRBlocks: 0
; VGPRBlocks: 0
; NumSGPRsForWavesPerEU: 1
; NumVGPRsForWavesPerEU: 1
; Occupancy: 16
; WaveLimiterHint : 0
; COMPUTE_PGM_RSRC2:SCRATCH_EN: 0
; COMPUTE_PGM_RSRC2:USER_SGPR: 2
; COMPUTE_PGM_RSRC2:TRAP_HANDLER: 0
; COMPUTE_PGM_RSRC2:TGID_X_EN: 1
; COMPUTE_PGM_RSRC2:TGID_Y_EN: 0
; COMPUTE_PGM_RSRC2:TGID_Z_EN: 0
; COMPUTE_PGM_RSRC2:TIDIG_COMP_CNT: 0
	.section	.text._ZN7rocprim17ROCPRIM_400000_NS6detail17trampoline_kernelINS0_14default_configENS1_20scan_config_selectorIN3c104HalfEEEZZNS1_9scan_implILNS1_25lookback_scan_determinismE0ELb0ELb0ES3_PKS6_PS6_S6_ZZZN2at6native31launch_logcumsumexp_cuda_kernelERKNSD_10TensorBaseESH_lENKUlvE_clEvENKUlvE3_clEvEUlS6_S6_E_S6_EEDaPvRmT3_T4_T5_mT6_P12ihipStream_tbENKUlT_T0_E_clISt17integral_constantIbLb1EESY_EEDaST_SU_EUlST_E_NS1_11comp_targetILNS1_3genE8ELNS1_11target_archE1030ELNS1_3gpuE2ELNS1_3repE0EEENS1_30default_config_static_selectorELNS0_4arch9wavefront6targetE0EEEvT1_,"axG",@progbits,_ZN7rocprim17ROCPRIM_400000_NS6detail17trampoline_kernelINS0_14default_configENS1_20scan_config_selectorIN3c104HalfEEEZZNS1_9scan_implILNS1_25lookback_scan_determinismE0ELb0ELb0ES3_PKS6_PS6_S6_ZZZN2at6native31launch_logcumsumexp_cuda_kernelERKNSD_10TensorBaseESH_lENKUlvE_clEvENKUlvE3_clEvEUlS6_S6_E_S6_EEDaPvRmT3_T4_T5_mT6_P12ihipStream_tbENKUlT_T0_E_clISt17integral_constantIbLb1EESY_EEDaST_SU_EUlST_E_NS1_11comp_targetILNS1_3genE8ELNS1_11target_archE1030ELNS1_3gpuE2ELNS1_3repE0EEENS1_30default_config_static_selectorELNS0_4arch9wavefront6targetE0EEEvT1_,comdat
	.globl	_ZN7rocprim17ROCPRIM_400000_NS6detail17trampoline_kernelINS0_14default_configENS1_20scan_config_selectorIN3c104HalfEEEZZNS1_9scan_implILNS1_25lookback_scan_determinismE0ELb0ELb0ES3_PKS6_PS6_S6_ZZZN2at6native31launch_logcumsumexp_cuda_kernelERKNSD_10TensorBaseESH_lENKUlvE_clEvENKUlvE3_clEvEUlS6_S6_E_S6_EEDaPvRmT3_T4_T5_mT6_P12ihipStream_tbENKUlT_T0_E_clISt17integral_constantIbLb1EESY_EEDaST_SU_EUlST_E_NS1_11comp_targetILNS1_3genE8ELNS1_11target_archE1030ELNS1_3gpuE2ELNS1_3repE0EEENS1_30default_config_static_selectorELNS0_4arch9wavefront6targetE0EEEvT1_ ; -- Begin function _ZN7rocprim17ROCPRIM_400000_NS6detail17trampoline_kernelINS0_14default_configENS1_20scan_config_selectorIN3c104HalfEEEZZNS1_9scan_implILNS1_25lookback_scan_determinismE0ELb0ELb0ES3_PKS6_PS6_S6_ZZZN2at6native31launch_logcumsumexp_cuda_kernelERKNSD_10TensorBaseESH_lENKUlvE_clEvENKUlvE3_clEvEUlS6_S6_E_S6_EEDaPvRmT3_T4_T5_mT6_P12ihipStream_tbENKUlT_T0_E_clISt17integral_constantIbLb1EESY_EEDaST_SU_EUlST_E_NS1_11comp_targetILNS1_3genE8ELNS1_11target_archE1030ELNS1_3gpuE2ELNS1_3repE0EEENS1_30default_config_static_selectorELNS0_4arch9wavefront6targetE0EEEvT1_
	.p2align	8
	.type	_ZN7rocprim17ROCPRIM_400000_NS6detail17trampoline_kernelINS0_14default_configENS1_20scan_config_selectorIN3c104HalfEEEZZNS1_9scan_implILNS1_25lookback_scan_determinismE0ELb0ELb0ES3_PKS6_PS6_S6_ZZZN2at6native31launch_logcumsumexp_cuda_kernelERKNSD_10TensorBaseESH_lENKUlvE_clEvENKUlvE3_clEvEUlS6_S6_E_S6_EEDaPvRmT3_T4_T5_mT6_P12ihipStream_tbENKUlT_T0_E_clISt17integral_constantIbLb1EESY_EEDaST_SU_EUlST_E_NS1_11comp_targetILNS1_3genE8ELNS1_11target_archE1030ELNS1_3gpuE2ELNS1_3repE0EEENS1_30default_config_static_selectorELNS0_4arch9wavefront6targetE0EEEvT1_,@function
_ZN7rocprim17ROCPRIM_400000_NS6detail17trampoline_kernelINS0_14default_configENS1_20scan_config_selectorIN3c104HalfEEEZZNS1_9scan_implILNS1_25lookback_scan_determinismE0ELb0ELb0ES3_PKS6_PS6_S6_ZZZN2at6native31launch_logcumsumexp_cuda_kernelERKNSD_10TensorBaseESH_lENKUlvE_clEvENKUlvE3_clEvEUlS6_S6_E_S6_EEDaPvRmT3_T4_T5_mT6_P12ihipStream_tbENKUlT_T0_E_clISt17integral_constantIbLb1EESY_EEDaST_SU_EUlST_E_NS1_11comp_targetILNS1_3genE8ELNS1_11target_archE1030ELNS1_3gpuE2ELNS1_3repE0EEENS1_30default_config_static_selectorELNS0_4arch9wavefront6targetE0EEEvT1_: ; @_ZN7rocprim17ROCPRIM_400000_NS6detail17trampoline_kernelINS0_14default_configENS1_20scan_config_selectorIN3c104HalfEEEZZNS1_9scan_implILNS1_25lookback_scan_determinismE0ELb0ELb0ES3_PKS6_PS6_S6_ZZZN2at6native31launch_logcumsumexp_cuda_kernelERKNSD_10TensorBaseESH_lENKUlvE_clEvENKUlvE3_clEvEUlS6_S6_E_S6_EEDaPvRmT3_T4_T5_mT6_P12ihipStream_tbENKUlT_T0_E_clISt17integral_constantIbLb1EESY_EEDaST_SU_EUlST_E_NS1_11comp_targetILNS1_3genE8ELNS1_11target_archE1030ELNS1_3gpuE2ELNS1_3repE0EEENS1_30default_config_static_selectorELNS0_4arch9wavefront6targetE0EEEvT1_
; %bb.0:
	.section	.rodata,"a",@progbits
	.p2align	6, 0x0
	.amdhsa_kernel _ZN7rocprim17ROCPRIM_400000_NS6detail17trampoline_kernelINS0_14default_configENS1_20scan_config_selectorIN3c104HalfEEEZZNS1_9scan_implILNS1_25lookback_scan_determinismE0ELb0ELb0ES3_PKS6_PS6_S6_ZZZN2at6native31launch_logcumsumexp_cuda_kernelERKNSD_10TensorBaseESH_lENKUlvE_clEvENKUlvE3_clEvEUlS6_S6_E_S6_EEDaPvRmT3_T4_T5_mT6_P12ihipStream_tbENKUlT_T0_E_clISt17integral_constantIbLb1EESY_EEDaST_SU_EUlST_E_NS1_11comp_targetILNS1_3genE8ELNS1_11target_archE1030ELNS1_3gpuE2ELNS1_3repE0EEENS1_30default_config_static_selectorELNS0_4arch9wavefront6targetE0EEEvT1_
		.amdhsa_group_segment_fixed_size 0
		.amdhsa_private_segment_fixed_size 0
		.amdhsa_kernarg_size 96
		.amdhsa_user_sgpr_count 2
		.amdhsa_user_sgpr_dispatch_ptr 0
		.amdhsa_user_sgpr_queue_ptr 0
		.amdhsa_user_sgpr_kernarg_segment_ptr 1
		.amdhsa_user_sgpr_dispatch_id 0
		.amdhsa_user_sgpr_private_segment_size 0
		.amdhsa_wavefront_size32 1
		.amdhsa_uses_dynamic_stack 0
		.amdhsa_enable_private_segment 0
		.amdhsa_system_sgpr_workgroup_id_x 1
		.amdhsa_system_sgpr_workgroup_id_y 0
		.amdhsa_system_sgpr_workgroup_id_z 0
		.amdhsa_system_sgpr_workgroup_info 0
		.amdhsa_system_vgpr_workitem_id 0
		.amdhsa_next_free_vgpr 1
		.amdhsa_next_free_sgpr 1
		.amdhsa_reserve_vcc 0
		.amdhsa_float_round_mode_32 0
		.amdhsa_float_round_mode_16_64 0
		.amdhsa_float_denorm_mode_32 3
		.amdhsa_float_denorm_mode_16_64 3
		.amdhsa_fp16_overflow 0
		.amdhsa_workgroup_processor_mode 1
		.amdhsa_memory_ordered 1
		.amdhsa_forward_progress 1
		.amdhsa_inst_pref_size 0
		.amdhsa_round_robin_scheduling 0
		.amdhsa_exception_fp_ieee_invalid_op 0
		.amdhsa_exception_fp_denorm_src 0
		.amdhsa_exception_fp_ieee_div_zero 0
		.amdhsa_exception_fp_ieee_overflow 0
		.amdhsa_exception_fp_ieee_underflow 0
		.amdhsa_exception_fp_ieee_inexact 0
		.amdhsa_exception_int_div_zero 0
	.end_amdhsa_kernel
	.section	.text._ZN7rocprim17ROCPRIM_400000_NS6detail17trampoline_kernelINS0_14default_configENS1_20scan_config_selectorIN3c104HalfEEEZZNS1_9scan_implILNS1_25lookback_scan_determinismE0ELb0ELb0ES3_PKS6_PS6_S6_ZZZN2at6native31launch_logcumsumexp_cuda_kernelERKNSD_10TensorBaseESH_lENKUlvE_clEvENKUlvE3_clEvEUlS6_S6_E_S6_EEDaPvRmT3_T4_T5_mT6_P12ihipStream_tbENKUlT_T0_E_clISt17integral_constantIbLb1EESY_EEDaST_SU_EUlST_E_NS1_11comp_targetILNS1_3genE8ELNS1_11target_archE1030ELNS1_3gpuE2ELNS1_3repE0EEENS1_30default_config_static_selectorELNS0_4arch9wavefront6targetE0EEEvT1_,"axG",@progbits,_ZN7rocprim17ROCPRIM_400000_NS6detail17trampoline_kernelINS0_14default_configENS1_20scan_config_selectorIN3c104HalfEEEZZNS1_9scan_implILNS1_25lookback_scan_determinismE0ELb0ELb0ES3_PKS6_PS6_S6_ZZZN2at6native31launch_logcumsumexp_cuda_kernelERKNSD_10TensorBaseESH_lENKUlvE_clEvENKUlvE3_clEvEUlS6_S6_E_S6_EEDaPvRmT3_T4_T5_mT6_P12ihipStream_tbENKUlT_T0_E_clISt17integral_constantIbLb1EESY_EEDaST_SU_EUlST_E_NS1_11comp_targetILNS1_3genE8ELNS1_11target_archE1030ELNS1_3gpuE2ELNS1_3repE0EEENS1_30default_config_static_selectorELNS0_4arch9wavefront6targetE0EEEvT1_,comdat
.Lfunc_end386:
	.size	_ZN7rocprim17ROCPRIM_400000_NS6detail17trampoline_kernelINS0_14default_configENS1_20scan_config_selectorIN3c104HalfEEEZZNS1_9scan_implILNS1_25lookback_scan_determinismE0ELb0ELb0ES3_PKS6_PS6_S6_ZZZN2at6native31launch_logcumsumexp_cuda_kernelERKNSD_10TensorBaseESH_lENKUlvE_clEvENKUlvE3_clEvEUlS6_S6_E_S6_EEDaPvRmT3_T4_T5_mT6_P12ihipStream_tbENKUlT_T0_E_clISt17integral_constantIbLb1EESY_EEDaST_SU_EUlST_E_NS1_11comp_targetILNS1_3genE8ELNS1_11target_archE1030ELNS1_3gpuE2ELNS1_3repE0EEENS1_30default_config_static_selectorELNS0_4arch9wavefront6targetE0EEEvT1_, .Lfunc_end386-_ZN7rocprim17ROCPRIM_400000_NS6detail17trampoline_kernelINS0_14default_configENS1_20scan_config_selectorIN3c104HalfEEEZZNS1_9scan_implILNS1_25lookback_scan_determinismE0ELb0ELb0ES3_PKS6_PS6_S6_ZZZN2at6native31launch_logcumsumexp_cuda_kernelERKNSD_10TensorBaseESH_lENKUlvE_clEvENKUlvE3_clEvEUlS6_S6_E_S6_EEDaPvRmT3_T4_T5_mT6_P12ihipStream_tbENKUlT_T0_E_clISt17integral_constantIbLb1EESY_EEDaST_SU_EUlST_E_NS1_11comp_targetILNS1_3genE8ELNS1_11target_archE1030ELNS1_3gpuE2ELNS1_3repE0EEENS1_30default_config_static_selectorELNS0_4arch9wavefront6targetE0EEEvT1_
                                        ; -- End function
	.set _ZN7rocprim17ROCPRIM_400000_NS6detail17trampoline_kernelINS0_14default_configENS1_20scan_config_selectorIN3c104HalfEEEZZNS1_9scan_implILNS1_25lookback_scan_determinismE0ELb0ELb0ES3_PKS6_PS6_S6_ZZZN2at6native31launch_logcumsumexp_cuda_kernelERKNSD_10TensorBaseESH_lENKUlvE_clEvENKUlvE3_clEvEUlS6_S6_E_S6_EEDaPvRmT3_T4_T5_mT6_P12ihipStream_tbENKUlT_T0_E_clISt17integral_constantIbLb1EESY_EEDaST_SU_EUlST_E_NS1_11comp_targetILNS1_3genE8ELNS1_11target_archE1030ELNS1_3gpuE2ELNS1_3repE0EEENS1_30default_config_static_selectorELNS0_4arch9wavefront6targetE0EEEvT1_.num_vgpr, 0
	.set _ZN7rocprim17ROCPRIM_400000_NS6detail17trampoline_kernelINS0_14default_configENS1_20scan_config_selectorIN3c104HalfEEEZZNS1_9scan_implILNS1_25lookback_scan_determinismE0ELb0ELb0ES3_PKS6_PS6_S6_ZZZN2at6native31launch_logcumsumexp_cuda_kernelERKNSD_10TensorBaseESH_lENKUlvE_clEvENKUlvE3_clEvEUlS6_S6_E_S6_EEDaPvRmT3_T4_T5_mT6_P12ihipStream_tbENKUlT_T0_E_clISt17integral_constantIbLb1EESY_EEDaST_SU_EUlST_E_NS1_11comp_targetILNS1_3genE8ELNS1_11target_archE1030ELNS1_3gpuE2ELNS1_3repE0EEENS1_30default_config_static_selectorELNS0_4arch9wavefront6targetE0EEEvT1_.num_agpr, 0
	.set _ZN7rocprim17ROCPRIM_400000_NS6detail17trampoline_kernelINS0_14default_configENS1_20scan_config_selectorIN3c104HalfEEEZZNS1_9scan_implILNS1_25lookback_scan_determinismE0ELb0ELb0ES3_PKS6_PS6_S6_ZZZN2at6native31launch_logcumsumexp_cuda_kernelERKNSD_10TensorBaseESH_lENKUlvE_clEvENKUlvE3_clEvEUlS6_S6_E_S6_EEDaPvRmT3_T4_T5_mT6_P12ihipStream_tbENKUlT_T0_E_clISt17integral_constantIbLb1EESY_EEDaST_SU_EUlST_E_NS1_11comp_targetILNS1_3genE8ELNS1_11target_archE1030ELNS1_3gpuE2ELNS1_3repE0EEENS1_30default_config_static_selectorELNS0_4arch9wavefront6targetE0EEEvT1_.numbered_sgpr, 0
	.set _ZN7rocprim17ROCPRIM_400000_NS6detail17trampoline_kernelINS0_14default_configENS1_20scan_config_selectorIN3c104HalfEEEZZNS1_9scan_implILNS1_25lookback_scan_determinismE0ELb0ELb0ES3_PKS6_PS6_S6_ZZZN2at6native31launch_logcumsumexp_cuda_kernelERKNSD_10TensorBaseESH_lENKUlvE_clEvENKUlvE3_clEvEUlS6_S6_E_S6_EEDaPvRmT3_T4_T5_mT6_P12ihipStream_tbENKUlT_T0_E_clISt17integral_constantIbLb1EESY_EEDaST_SU_EUlST_E_NS1_11comp_targetILNS1_3genE8ELNS1_11target_archE1030ELNS1_3gpuE2ELNS1_3repE0EEENS1_30default_config_static_selectorELNS0_4arch9wavefront6targetE0EEEvT1_.num_named_barrier, 0
	.set _ZN7rocprim17ROCPRIM_400000_NS6detail17trampoline_kernelINS0_14default_configENS1_20scan_config_selectorIN3c104HalfEEEZZNS1_9scan_implILNS1_25lookback_scan_determinismE0ELb0ELb0ES3_PKS6_PS6_S6_ZZZN2at6native31launch_logcumsumexp_cuda_kernelERKNSD_10TensorBaseESH_lENKUlvE_clEvENKUlvE3_clEvEUlS6_S6_E_S6_EEDaPvRmT3_T4_T5_mT6_P12ihipStream_tbENKUlT_T0_E_clISt17integral_constantIbLb1EESY_EEDaST_SU_EUlST_E_NS1_11comp_targetILNS1_3genE8ELNS1_11target_archE1030ELNS1_3gpuE2ELNS1_3repE0EEENS1_30default_config_static_selectorELNS0_4arch9wavefront6targetE0EEEvT1_.private_seg_size, 0
	.set _ZN7rocprim17ROCPRIM_400000_NS6detail17trampoline_kernelINS0_14default_configENS1_20scan_config_selectorIN3c104HalfEEEZZNS1_9scan_implILNS1_25lookback_scan_determinismE0ELb0ELb0ES3_PKS6_PS6_S6_ZZZN2at6native31launch_logcumsumexp_cuda_kernelERKNSD_10TensorBaseESH_lENKUlvE_clEvENKUlvE3_clEvEUlS6_S6_E_S6_EEDaPvRmT3_T4_T5_mT6_P12ihipStream_tbENKUlT_T0_E_clISt17integral_constantIbLb1EESY_EEDaST_SU_EUlST_E_NS1_11comp_targetILNS1_3genE8ELNS1_11target_archE1030ELNS1_3gpuE2ELNS1_3repE0EEENS1_30default_config_static_selectorELNS0_4arch9wavefront6targetE0EEEvT1_.uses_vcc, 0
	.set _ZN7rocprim17ROCPRIM_400000_NS6detail17trampoline_kernelINS0_14default_configENS1_20scan_config_selectorIN3c104HalfEEEZZNS1_9scan_implILNS1_25lookback_scan_determinismE0ELb0ELb0ES3_PKS6_PS6_S6_ZZZN2at6native31launch_logcumsumexp_cuda_kernelERKNSD_10TensorBaseESH_lENKUlvE_clEvENKUlvE3_clEvEUlS6_S6_E_S6_EEDaPvRmT3_T4_T5_mT6_P12ihipStream_tbENKUlT_T0_E_clISt17integral_constantIbLb1EESY_EEDaST_SU_EUlST_E_NS1_11comp_targetILNS1_3genE8ELNS1_11target_archE1030ELNS1_3gpuE2ELNS1_3repE0EEENS1_30default_config_static_selectorELNS0_4arch9wavefront6targetE0EEEvT1_.uses_flat_scratch, 0
	.set _ZN7rocprim17ROCPRIM_400000_NS6detail17trampoline_kernelINS0_14default_configENS1_20scan_config_selectorIN3c104HalfEEEZZNS1_9scan_implILNS1_25lookback_scan_determinismE0ELb0ELb0ES3_PKS6_PS6_S6_ZZZN2at6native31launch_logcumsumexp_cuda_kernelERKNSD_10TensorBaseESH_lENKUlvE_clEvENKUlvE3_clEvEUlS6_S6_E_S6_EEDaPvRmT3_T4_T5_mT6_P12ihipStream_tbENKUlT_T0_E_clISt17integral_constantIbLb1EESY_EEDaST_SU_EUlST_E_NS1_11comp_targetILNS1_3genE8ELNS1_11target_archE1030ELNS1_3gpuE2ELNS1_3repE0EEENS1_30default_config_static_selectorELNS0_4arch9wavefront6targetE0EEEvT1_.has_dyn_sized_stack, 0
	.set _ZN7rocprim17ROCPRIM_400000_NS6detail17trampoline_kernelINS0_14default_configENS1_20scan_config_selectorIN3c104HalfEEEZZNS1_9scan_implILNS1_25lookback_scan_determinismE0ELb0ELb0ES3_PKS6_PS6_S6_ZZZN2at6native31launch_logcumsumexp_cuda_kernelERKNSD_10TensorBaseESH_lENKUlvE_clEvENKUlvE3_clEvEUlS6_S6_E_S6_EEDaPvRmT3_T4_T5_mT6_P12ihipStream_tbENKUlT_T0_E_clISt17integral_constantIbLb1EESY_EEDaST_SU_EUlST_E_NS1_11comp_targetILNS1_3genE8ELNS1_11target_archE1030ELNS1_3gpuE2ELNS1_3repE0EEENS1_30default_config_static_selectorELNS0_4arch9wavefront6targetE0EEEvT1_.has_recursion, 0
	.set _ZN7rocprim17ROCPRIM_400000_NS6detail17trampoline_kernelINS0_14default_configENS1_20scan_config_selectorIN3c104HalfEEEZZNS1_9scan_implILNS1_25lookback_scan_determinismE0ELb0ELb0ES3_PKS6_PS6_S6_ZZZN2at6native31launch_logcumsumexp_cuda_kernelERKNSD_10TensorBaseESH_lENKUlvE_clEvENKUlvE3_clEvEUlS6_S6_E_S6_EEDaPvRmT3_T4_T5_mT6_P12ihipStream_tbENKUlT_T0_E_clISt17integral_constantIbLb1EESY_EEDaST_SU_EUlST_E_NS1_11comp_targetILNS1_3genE8ELNS1_11target_archE1030ELNS1_3gpuE2ELNS1_3repE0EEENS1_30default_config_static_selectorELNS0_4arch9wavefront6targetE0EEEvT1_.has_indirect_call, 0
	.section	.AMDGPU.csdata,"",@progbits
; Kernel info:
; codeLenInByte = 0
; TotalNumSgprs: 0
; NumVgprs: 0
; ScratchSize: 0
; MemoryBound: 0
; FloatMode: 240
; IeeeMode: 1
; LDSByteSize: 0 bytes/workgroup (compile time only)
; SGPRBlocks: 0
; VGPRBlocks: 0
; NumSGPRsForWavesPerEU: 1
; NumVGPRsForWavesPerEU: 1
; Occupancy: 16
; WaveLimiterHint : 0
; COMPUTE_PGM_RSRC2:SCRATCH_EN: 0
; COMPUTE_PGM_RSRC2:USER_SGPR: 2
; COMPUTE_PGM_RSRC2:TRAP_HANDLER: 0
; COMPUTE_PGM_RSRC2:TGID_X_EN: 1
; COMPUTE_PGM_RSRC2:TGID_Y_EN: 0
; COMPUTE_PGM_RSRC2:TGID_Z_EN: 0
; COMPUTE_PGM_RSRC2:TIDIG_COMP_CNT: 0
	.section	.text._ZN7rocprim17ROCPRIM_400000_NS6detail17trampoline_kernelINS0_14default_configENS1_20scan_config_selectorIN3c104HalfEEEZZNS1_9scan_implILNS1_25lookback_scan_determinismE0ELb0ELb0ES3_PKS6_PS6_S6_ZZZN2at6native31launch_logcumsumexp_cuda_kernelERKNSD_10TensorBaseESH_lENKUlvE_clEvENKUlvE3_clEvEUlS6_S6_E_S6_EEDaPvRmT3_T4_T5_mT6_P12ihipStream_tbENKUlT_T0_E_clISt17integral_constantIbLb1EESY_EEDaST_SU_EUlST_E0_NS1_11comp_targetILNS1_3genE0ELNS1_11target_archE4294967295ELNS1_3gpuE0ELNS1_3repE0EEENS1_30default_config_static_selectorELNS0_4arch9wavefront6targetE0EEEvT1_,"axG",@progbits,_ZN7rocprim17ROCPRIM_400000_NS6detail17trampoline_kernelINS0_14default_configENS1_20scan_config_selectorIN3c104HalfEEEZZNS1_9scan_implILNS1_25lookback_scan_determinismE0ELb0ELb0ES3_PKS6_PS6_S6_ZZZN2at6native31launch_logcumsumexp_cuda_kernelERKNSD_10TensorBaseESH_lENKUlvE_clEvENKUlvE3_clEvEUlS6_S6_E_S6_EEDaPvRmT3_T4_T5_mT6_P12ihipStream_tbENKUlT_T0_E_clISt17integral_constantIbLb1EESY_EEDaST_SU_EUlST_E0_NS1_11comp_targetILNS1_3genE0ELNS1_11target_archE4294967295ELNS1_3gpuE0ELNS1_3repE0EEENS1_30default_config_static_selectorELNS0_4arch9wavefront6targetE0EEEvT1_,comdat
	.globl	_ZN7rocprim17ROCPRIM_400000_NS6detail17trampoline_kernelINS0_14default_configENS1_20scan_config_selectorIN3c104HalfEEEZZNS1_9scan_implILNS1_25lookback_scan_determinismE0ELb0ELb0ES3_PKS6_PS6_S6_ZZZN2at6native31launch_logcumsumexp_cuda_kernelERKNSD_10TensorBaseESH_lENKUlvE_clEvENKUlvE3_clEvEUlS6_S6_E_S6_EEDaPvRmT3_T4_T5_mT6_P12ihipStream_tbENKUlT_T0_E_clISt17integral_constantIbLb1EESY_EEDaST_SU_EUlST_E0_NS1_11comp_targetILNS1_3genE0ELNS1_11target_archE4294967295ELNS1_3gpuE0ELNS1_3repE0EEENS1_30default_config_static_selectorELNS0_4arch9wavefront6targetE0EEEvT1_ ; -- Begin function _ZN7rocprim17ROCPRIM_400000_NS6detail17trampoline_kernelINS0_14default_configENS1_20scan_config_selectorIN3c104HalfEEEZZNS1_9scan_implILNS1_25lookback_scan_determinismE0ELb0ELb0ES3_PKS6_PS6_S6_ZZZN2at6native31launch_logcumsumexp_cuda_kernelERKNSD_10TensorBaseESH_lENKUlvE_clEvENKUlvE3_clEvEUlS6_S6_E_S6_EEDaPvRmT3_T4_T5_mT6_P12ihipStream_tbENKUlT_T0_E_clISt17integral_constantIbLb1EESY_EEDaST_SU_EUlST_E0_NS1_11comp_targetILNS1_3genE0ELNS1_11target_archE4294967295ELNS1_3gpuE0ELNS1_3repE0EEENS1_30default_config_static_selectorELNS0_4arch9wavefront6targetE0EEEvT1_
	.p2align	8
	.type	_ZN7rocprim17ROCPRIM_400000_NS6detail17trampoline_kernelINS0_14default_configENS1_20scan_config_selectorIN3c104HalfEEEZZNS1_9scan_implILNS1_25lookback_scan_determinismE0ELb0ELb0ES3_PKS6_PS6_S6_ZZZN2at6native31launch_logcumsumexp_cuda_kernelERKNSD_10TensorBaseESH_lENKUlvE_clEvENKUlvE3_clEvEUlS6_S6_E_S6_EEDaPvRmT3_T4_T5_mT6_P12ihipStream_tbENKUlT_T0_E_clISt17integral_constantIbLb1EESY_EEDaST_SU_EUlST_E0_NS1_11comp_targetILNS1_3genE0ELNS1_11target_archE4294967295ELNS1_3gpuE0ELNS1_3repE0EEENS1_30default_config_static_selectorELNS0_4arch9wavefront6targetE0EEEvT1_,@function
_ZN7rocprim17ROCPRIM_400000_NS6detail17trampoline_kernelINS0_14default_configENS1_20scan_config_selectorIN3c104HalfEEEZZNS1_9scan_implILNS1_25lookback_scan_determinismE0ELb0ELb0ES3_PKS6_PS6_S6_ZZZN2at6native31launch_logcumsumexp_cuda_kernelERKNSD_10TensorBaseESH_lENKUlvE_clEvENKUlvE3_clEvEUlS6_S6_E_S6_EEDaPvRmT3_T4_T5_mT6_P12ihipStream_tbENKUlT_T0_E_clISt17integral_constantIbLb1EESY_EEDaST_SU_EUlST_E0_NS1_11comp_targetILNS1_3genE0ELNS1_11target_archE4294967295ELNS1_3gpuE0ELNS1_3repE0EEENS1_30default_config_static_selectorELNS0_4arch9wavefront6targetE0EEEvT1_: ; @_ZN7rocprim17ROCPRIM_400000_NS6detail17trampoline_kernelINS0_14default_configENS1_20scan_config_selectorIN3c104HalfEEEZZNS1_9scan_implILNS1_25lookback_scan_determinismE0ELb0ELb0ES3_PKS6_PS6_S6_ZZZN2at6native31launch_logcumsumexp_cuda_kernelERKNSD_10TensorBaseESH_lENKUlvE_clEvENKUlvE3_clEvEUlS6_S6_E_S6_EEDaPvRmT3_T4_T5_mT6_P12ihipStream_tbENKUlT_T0_E_clISt17integral_constantIbLb1EESY_EEDaST_SU_EUlST_E0_NS1_11comp_targetILNS1_3genE0ELNS1_11target_archE4294967295ELNS1_3gpuE0ELNS1_3repE0EEENS1_30default_config_static_selectorELNS0_4arch9wavefront6targetE0EEEvT1_
; %bb.0:
	.section	.rodata,"a",@progbits
	.p2align	6, 0x0
	.amdhsa_kernel _ZN7rocprim17ROCPRIM_400000_NS6detail17trampoline_kernelINS0_14default_configENS1_20scan_config_selectorIN3c104HalfEEEZZNS1_9scan_implILNS1_25lookback_scan_determinismE0ELb0ELb0ES3_PKS6_PS6_S6_ZZZN2at6native31launch_logcumsumexp_cuda_kernelERKNSD_10TensorBaseESH_lENKUlvE_clEvENKUlvE3_clEvEUlS6_S6_E_S6_EEDaPvRmT3_T4_T5_mT6_P12ihipStream_tbENKUlT_T0_E_clISt17integral_constantIbLb1EESY_EEDaST_SU_EUlST_E0_NS1_11comp_targetILNS1_3genE0ELNS1_11target_archE4294967295ELNS1_3gpuE0ELNS1_3repE0EEENS1_30default_config_static_selectorELNS0_4arch9wavefront6targetE0EEEvT1_
		.amdhsa_group_segment_fixed_size 0
		.amdhsa_private_segment_fixed_size 0
		.amdhsa_kernarg_size 32
		.amdhsa_user_sgpr_count 2
		.amdhsa_user_sgpr_dispatch_ptr 0
		.amdhsa_user_sgpr_queue_ptr 0
		.amdhsa_user_sgpr_kernarg_segment_ptr 1
		.amdhsa_user_sgpr_dispatch_id 0
		.amdhsa_user_sgpr_private_segment_size 0
		.amdhsa_wavefront_size32 1
		.amdhsa_uses_dynamic_stack 0
		.amdhsa_enable_private_segment 0
		.amdhsa_system_sgpr_workgroup_id_x 1
		.amdhsa_system_sgpr_workgroup_id_y 0
		.amdhsa_system_sgpr_workgroup_id_z 0
		.amdhsa_system_sgpr_workgroup_info 0
		.amdhsa_system_vgpr_workitem_id 0
		.amdhsa_next_free_vgpr 1
		.amdhsa_next_free_sgpr 1
		.amdhsa_reserve_vcc 0
		.amdhsa_float_round_mode_32 0
		.amdhsa_float_round_mode_16_64 0
		.amdhsa_float_denorm_mode_32 3
		.amdhsa_float_denorm_mode_16_64 3
		.amdhsa_fp16_overflow 0
		.amdhsa_workgroup_processor_mode 1
		.amdhsa_memory_ordered 1
		.amdhsa_forward_progress 1
		.amdhsa_inst_pref_size 0
		.amdhsa_round_robin_scheduling 0
		.amdhsa_exception_fp_ieee_invalid_op 0
		.amdhsa_exception_fp_denorm_src 0
		.amdhsa_exception_fp_ieee_div_zero 0
		.amdhsa_exception_fp_ieee_overflow 0
		.amdhsa_exception_fp_ieee_underflow 0
		.amdhsa_exception_fp_ieee_inexact 0
		.amdhsa_exception_int_div_zero 0
	.end_amdhsa_kernel
	.section	.text._ZN7rocprim17ROCPRIM_400000_NS6detail17trampoline_kernelINS0_14default_configENS1_20scan_config_selectorIN3c104HalfEEEZZNS1_9scan_implILNS1_25lookback_scan_determinismE0ELb0ELb0ES3_PKS6_PS6_S6_ZZZN2at6native31launch_logcumsumexp_cuda_kernelERKNSD_10TensorBaseESH_lENKUlvE_clEvENKUlvE3_clEvEUlS6_S6_E_S6_EEDaPvRmT3_T4_T5_mT6_P12ihipStream_tbENKUlT_T0_E_clISt17integral_constantIbLb1EESY_EEDaST_SU_EUlST_E0_NS1_11comp_targetILNS1_3genE0ELNS1_11target_archE4294967295ELNS1_3gpuE0ELNS1_3repE0EEENS1_30default_config_static_selectorELNS0_4arch9wavefront6targetE0EEEvT1_,"axG",@progbits,_ZN7rocprim17ROCPRIM_400000_NS6detail17trampoline_kernelINS0_14default_configENS1_20scan_config_selectorIN3c104HalfEEEZZNS1_9scan_implILNS1_25lookback_scan_determinismE0ELb0ELb0ES3_PKS6_PS6_S6_ZZZN2at6native31launch_logcumsumexp_cuda_kernelERKNSD_10TensorBaseESH_lENKUlvE_clEvENKUlvE3_clEvEUlS6_S6_E_S6_EEDaPvRmT3_T4_T5_mT6_P12ihipStream_tbENKUlT_T0_E_clISt17integral_constantIbLb1EESY_EEDaST_SU_EUlST_E0_NS1_11comp_targetILNS1_3genE0ELNS1_11target_archE4294967295ELNS1_3gpuE0ELNS1_3repE0EEENS1_30default_config_static_selectorELNS0_4arch9wavefront6targetE0EEEvT1_,comdat
.Lfunc_end387:
	.size	_ZN7rocprim17ROCPRIM_400000_NS6detail17trampoline_kernelINS0_14default_configENS1_20scan_config_selectorIN3c104HalfEEEZZNS1_9scan_implILNS1_25lookback_scan_determinismE0ELb0ELb0ES3_PKS6_PS6_S6_ZZZN2at6native31launch_logcumsumexp_cuda_kernelERKNSD_10TensorBaseESH_lENKUlvE_clEvENKUlvE3_clEvEUlS6_S6_E_S6_EEDaPvRmT3_T4_T5_mT6_P12ihipStream_tbENKUlT_T0_E_clISt17integral_constantIbLb1EESY_EEDaST_SU_EUlST_E0_NS1_11comp_targetILNS1_3genE0ELNS1_11target_archE4294967295ELNS1_3gpuE0ELNS1_3repE0EEENS1_30default_config_static_selectorELNS0_4arch9wavefront6targetE0EEEvT1_, .Lfunc_end387-_ZN7rocprim17ROCPRIM_400000_NS6detail17trampoline_kernelINS0_14default_configENS1_20scan_config_selectorIN3c104HalfEEEZZNS1_9scan_implILNS1_25lookback_scan_determinismE0ELb0ELb0ES3_PKS6_PS6_S6_ZZZN2at6native31launch_logcumsumexp_cuda_kernelERKNSD_10TensorBaseESH_lENKUlvE_clEvENKUlvE3_clEvEUlS6_S6_E_S6_EEDaPvRmT3_T4_T5_mT6_P12ihipStream_tbENKUlT_T0_E_clISt17integral_constantIbLb1EESY_EEDaST_SU_EUlST_E0_NS1_11comp_targetILNS1_3genE0ELNS1_11target_archE4294967295ELNS1_3gpuE0ELNS1_3repE0EEENS1_30default_config_static_selectorELNS0_4arch9wavefront6targetE0EEEvT1_
                                        ; -- End function
	.set _ZN7rocprim17ROCPRIM_400000_NS6detail17trampoline_kernelINS0_14default_configENS1_20scan_config_selectorIN3c104HalfEEEZZNS1_9scan_implILNS1_25lookback_scan_determinismE0ELb0ELb0ES3_PKS6_PS6_S6_ZZZN2at6native31launch_logcumsumexp_cuda_kernelERKNSD_10TensorBaseESH_lENKUlvE_clEvENKUlvE3_clEvEUlS6_S6_E_S6_EEDaPvRmT3_T4_T5_mT6_P12ihipStream_tbENKUlT_T0_E_clISt17integral_constantIbLb1EESY_EEDaST_SU_EUlST_E0_NS1_11comp_targetILNS1_3genE0ELNS1_11target_archE4294967295ELNS1_3gpuE0ELNS1_3repE0EEENS1_30default_config_static_selectorELNS0_4arch9wavefront6targetE0EEEvT1_.num_vgpr, 0
	.set _ZN7rocprim17ROCPRIM_400000_NS6detail17trampoline_kernelINS0_14default_configENS1_20scan_config_selectorIN3c104HalfEEEZZNS1_9scan_implILNS1_25lookback_scan_determinismE0ELb0ELb0ES3_PKS6_PS6_S6_ZZZN2at6native31launch_logcumsumexp_cuda_kernelERKNSD_10TensorBaseESH_lENKUlvE_clEvENKUlvE3_clEvEUlS6_S6_E_S6_EEDaPvRmT3_T4_T5_mT6_P12ihipStream_tbENKUlT_T0_E_clISt17integral_constantIbLb1EESY_EEDaST_SU_EUlST_E0_NS1_11comp_targetILNS1_3genE0ELNS1_11target_archE4294967295ELNS1_3gpuE0ELNS1_3repE0EEENS1_30default_config_static_selectorELNS0_4arch9wavefront6targetE0EEEvT1_.num_agpr, 0
	.set _ZN7rocprim17ROCPRIM_400000_NS6detail17trampoline_kernelINS0_14default_configENS1_20scan_config_selectorIN3c104HalfEEEZZNS1_9scan_implILNS1_25lookback_scan_determinismE0ELb0ELb0ES3_PKS6_PS6_S6_ZZZN2at6native31launch_logcumsumexp_cuda_kernelERKNSD_10TensorBaseESH_lENKUlvE_clEvENKUlvE3_clEvEUlS6_S6_E_S6_EEDaPvRmT3_T4_T5_mT6_P12ihipStream_tbENKUlT_T0_E_clISt17integral_constantIbLb1EESY_EEDaST_SU_EUlST_E0_NS1_11comp_targetILNS1_3genE0ELNS1_11target_archE4294967295ELNS1_3gpuE0ELNS1_3repE0EEENS1_30default_config_static_selectorELNS0_4arch9wavefront6targetE0EEEvT1_.numbered_sgpr, 0
	.set _ZN7rocprim17ROCPRIM_400000_NS6detail17trampoline_kernelINS0_14default_configENS1_20scan_config_selectorIN3c104HalfEEEZZNS1_9scan_implILNS1_25lookback_scan_determinismE0ELb0ELb0ES3_PKS6_PS6_S6_ZZZN2at6native31launch_logcumsumexp_cuda_kernelERKNSD_10TensorBaseESH_lENKUlvE_clEvENKUlvE3_clEvEUlS6_S6_E_S6_EEDaPvRmT3_T4_T5_mT6_P12ihipStream_tbENKUlT_T0_E_clISt17integral_constantIbLb1EESY_EEDaST_SU_EUlST_E0_NS1_11comp_targetILNS1_3genE0ELNS1_11target_archE4294967295ELNS1_3gpuE0ELNS1_3repE0EEENS1_30default_config_static_selectorELNS0_4arch9wavefront6targetE0EEEvT1_.num_named_barrier, 0
	.set _ZN7rocprim17ROCPRIM_400000_NS6detail17trampoline_kernelINS0_14default_configENS1_20scan_config_selectorIN3c104HalfEEEZZNS1_9scan_implILNS1_25lookback_scan_determinismE0ELb0ELb0ES3_PKS6_PS6_S6_ZZZN2at6native31launch_logcumsumexp_cuda_kernelERKNSD_10TensorBaseESH_lENKUlvE_clEvENKUlvE3_clEvEUlS6_S6_E_S6_EEDaPvRmT3_T4_T5_mT6_P12ihipStream_tbENKUlT_T0_E_clISt17integral_constantIbLb1EESY_EEDaST_SU_EUlST_E0_NS1_11comp_targetILNS1_3genE0ELNS1_11target_archE4294967295ELNS1_3gpuE0ELNS1_3repE0EEENS1_30default_config_static_selectorELNS0_4arch9wavefront6targetE0EEEvT1_.private_seg_size, 0
	.set _ZN7rocprim17ROCPRIM_400000_NS6detail17trampoline_kernelINS0_14default_configENS1_20scan_config_selectorIN3c104HalfEEEZZNS1_9scan_implILNS1_25lookback_scan_determinismE0ELb0ELb0ES3_PKS6_PS6_S6_ZZZN2at6native31launch_logcumsumexp_cuda_kernelERKNSD_10TensorBaseESH_lENKUlvE_clEvENKUlvE3_clEvEUlS6_S6_E_S6_EEDaPvRmT3_T4_T5_mT6_P12ihipStream_tbENKUlT_T0_E_clISt17integral_constantIbLb1EESY_EEDaST_SU_EUlST_E0_NS1_11comp_targetILNS1_3genE0ELNS1_11target_archE4294967295ELNS1_3gpuE0ELNS1_3repE0EEENS1_30default_config_static_selectorELNS0_4arch9wavefront6targetE0EEEvT1_.uses_vcc, 0
	.set _ZN7rocprim17ROCPRIM_400000_NS6detail17trampoline_kernelINS0_14default_configENS1_20scan_config_selectorIN3c104HalfEEEZZNS1_9scan_implILNS1_25lookback_scan_determinismE0ELb0ELb0ES3_PKS6_PS6_S6_ZZZN2at6native31launch_logcumsumexp_cuda_kernelERKNSD_10TensorBaseESH_lENKUlvE_clEvENKUlvE3_clEvEUlS6_S6_E_S6_EEDaPvRmT3_T4_T5_mT6_P12ihipStream_tbENKUlT_T0_E_clISt17integral_constantIbLb1EESY_EEDaST_SU_EUlST_E0_NS1_11comp_targetILNS1_3genE0ELNS1_11target_archE4294967295ELNS1_3gpuE0ELNS1_3repE0EEENS1_30default_config_static_selectorELNS0_4arch9wavefront6targetE0EEEvT1_.uses_flat_scratch, 0
	.set _ZN7rocprim17ROCPRIM_400000_NS6detail17trampoline_kernelINS0_14default_configENS1_20scan_config_selectorIN3c104HalfEEEZZNS1_9scan_implILNS1_25lookback_scan_determinismE0ELb0ELb0ES3_PKS6_PS6_S6_ZZZN2at6native31launch_logcumsumexp_cuda_kernelERKNSD_10TensorBaseESH_lENKUlvE_clEvENKUlvE3_clEvEUlS6_S6_E_S6_EEDaPvRmT3_T4_T5_mT6_P12ihipStream_tbENKUlT_T0_E_clISt17integral_constantIbLb1EESY_EEDaST_SU_EUlST_E0_NS1_11comp_targetILNS1_3genE0ELNS1_11target_archE4294967295ELNS1_3gpuE0ELNS1_3repE0EEENS1_30default_config_static_selectorELNS0_4arch9wavefront6targetE0EEEvT1_.has_dyn_sized_stack, 0
	.set _ZN7rocprim17ROCPRIM_400000_NS6detail17trampoline_kernelINS0_14default_configENS1_20scan_config_selectorIN3c104HalfEEEZZNS1_9scan_implILNS1_25lookback_scan_determinismE0ELb0ELb0ES3_PKS6_PS6_S6_ZZZN2at6native31launch_logcumsumexp_cuda_kernelERKNSD_10TensorBaseESH_lENKUlvE_clEvENKUlvE3_clEvEUlS6_S6_E_S6_EEDaPvRmT3_T4_T5_mT6_P12ihipStream_tbENKUlT_T0_E_clISt17integral_constantIbLb1EESY_EEDaST_SU_EUlST_E0_NS1_11comp_targetILNS1_3genE0ELNS1_11target_archE4294967295ELNS1_3gpuE0ELNS1_3repE0EEENS1_30default_config_static_selectorELNS0_4arch9wavefront6targetE0EEEvT1_.has_recursion, 0
	.set _ZN7rocprim17ROCPRIM_400000_NS6detail17trampoline_kernelINS0_14default_configENS1_20scan_config_selectorIN3c104HalfEEEZZNS1_9scan_implILNS1_25lookback_scan_determinismE0ELb0ELb0ES3_PKS6_PS6_S6_ZZZN2at6native31launch_logcumsumexp_cuda_kernelERKNSD_10TensorBaseESH_lENKUlvE_clEvENKUlvE3_clEvEUlS6_S6_E_S6_EEDaPvRmT3_T4_T5_mT6_P12ihipStream_tbENKUlT_T0_E_clISt17integral_constantIbLb1EESY_EEDaST_SU_EUlST_E0_NS1_11comp_targetILNS1_3genE0ELNS1_11target_archE4294967295ELNS1_3gpuE0ELNS1_3repE0EEENS1_30default_config_static_selectorELNS0_4arch9wavefront6targetE0EEEvT1_.has_indirect_call, 0
	.section	.AMDGPU.csdata,"",@progbits
; Kernel info:
; codeLenInByte = 0
; TotalNumSgprs: 0
; NumVgprs: 0
; ScratchSize: 0
; MemoryBound: 0
; FloatMode: 240
; IeeeMode: 1
; LDSByteSize: 0 bytes/workgroup (compile time only)
; SGPRBlocks: 0
; VGPRBlocks: 0
; NumSGPRsForWavesPerEU: 1
; NumVGPRsForWavesPerEU: 1
; Occupancy: 16
; WaveLimiterHint : 0
; COMPUTE_PGM_RSRC2:SCRATCH_EN: 0
; COMPUTE_PGM_RSRC2:USER_SGPR: 2
; COMPUTE_PGM_RSRC2:TRAP_HANDLER: 0
; COMPUTE_PGM_RSRC2:TGID_X_EN: 1
; COMPUTE_PGM_RSRC2:TGID_Y_EN: 0
; COMPUTE_PGM_RSRC2:TGID_Z_EN: 0
; COMPUTE_PGM_RSRC2:TIDIG_COMP_CNT: 0
	.section	.text._ZN7rocprim17ROCPRIM_400000_NS6detail17trampoline_kernelINS0_14default_configENS1_20scan_config_selectorIN3c104HalfEEEZZNS1_9scan_implILNS1_25lookback_scan_determinismE0ELb0ELb0ES3_PKS6_PS6_S6_ZZZN2at6native31launch_logcumsumexp_cuda_kernelERKNSD_10TensorBaseESH_lENKUlvE_clEvENKUlvE3_clEvEUlS6_S6_E_S6_EEDaPvRmT3_T4_T5_mT6_P12ihipStream_tbENKUlT_T0_E_clISt17integral_constantIbLb1EESY_EEDaST_SU_EUlST_E0_NS1_11comp_targetILNS1_3genE5ELNS1_11target_archE942ELNS1_3gpuE9ELNS1_3repE0EEENS1_30default_config_static_selectorELNS0_4arch9wavefront6targetE0EEEvT1_,"axG",@progbits,_ZN7rocprim17ROCPRIM_400000_NS6detail17trampoline_kernelINS0_14default_configENS1_20scan_config_selectorIN3c104HalfEEEZZNS1_9scan_implILNS1_25lookback_scan_determinismE0ELb0ELb0ES3_PKS6_PS6_S6_ZZZN2at6native31launch_logcumsumexp_cuda_kernelERKNSD_10TensorBaseESH_lENKUlvE_clEvENKUlvE3_clEvEUlS6_S6_E_S6_EEDaPvRmT3_T4_T5_mT6_P12ihipStream_tbENKUlT_T0_E_clISt17integral_constantIbLb1EESY_EEDaST_SU_EUlST_E0_NS1_11comp_targetILNS1_3genE5ELNS1_11target_archE942ELNS1_3gpuE9ELNS1_3repE0EEENS1_30default_config_static_selectorELNS0_4arch9wavefront6targetE0EEEvT1_,comdat
	.globl	_ZN7rocprim17ROCPRIM_400000_NS6detail17trampoline_kernelINS0_14default_configENS1_20scan_config_selectorIN3c104HalfEEEZZNS1_9scan_implILNS1_25lookback_scan_determinismE0ELb0ELb0ES3_PKS6_PS6_S6_ZZZN2at6native31launch_logcumsumexp_cuda_kernelERKNSD_10TensorBaseESH_lENKUlvE_clEvENKUlvE3_clEvEUlS6_S6_E_S6_EEDaPvRmT3_T4_T5_mT6_P12ihipStream_tbENKUlT_T0_E_clISt17integral_constantIbLb1EESY_EEDaST_SU_EUlST_E0_NS1_11comp_targetILNS1_3genE5ELNS1_11target_archE942ELNS1_3gpuE9ELNS1_3repE0EEENS1_30default_config_static_selectorELNS0_4arch9wavefront6targetE0EEEvT1_ ; -- Begin function _ZN7rocprim17ROCPRIM_400000_NS6detail17trampoline_kernelINS0_14default_configENS1_20scan_config_selectorIN3c104HalfEEEZZNS1_9scan_implILNS1_25lookback_scan_determinismE0ELb0ELb0ES3_PKS6_PS6_S6_ZZZN2at6native31launch_logcumsumexp_cuda_kernelERKNSD_10TensorBaseESH_lENKUlvE_clEvENKUlvE3_clEvEUlS6_S6_E_S6_EEDaPvRmT3_T4_T5_mT6_P12ihipStream_tbENKUlT_T0_E_clISt17integral_constantIbLb1EESY_EEDaST_SU_EUlST_E0_NS1_11comp_targetILNS1_3genE5ELNS1_11target_archE942ELNS1_3gpuE9ELNS1_3repE0EEENS1_30default_config_static_selectorELNS0_4arch9wavefront6targetE0EEEvT1_
	.p2align	8
	.type	_ZN7rocprim17ROCPRIM_400000_NS6detail17trampoline_kernelINS0_14default_configENS1_20scan_config_selectorIN3c104HalfEEEZZNS1_9scan_implILNS1_25lookback_scan_determinismE0ELb0ELb0ES3_PKS6_PS6_S6_ZZZN2at6native31launch_logcumsumexp_cuda_kernelERKNSD_10TensorBaseESH_lENKUlvE_clEvENKUlvE3_clEvEUlS6_S6_E_S6_EEDaPvRmT3_T4_T5_mT6_P12ihipStream_tbENKUlT_T0_E_clISt17integral_constantIbLb1EESY_EEDaST_SU_EUlST_E0_NS1_11comp_targetILNS1_3genE5ELNS1_11target_archE942ELNS1_3gpuE9ELNS1_3repE0EEENS1_30default_config_static_selectorELNS0_4arch9wavefront6targetE0EEEvT1_,@function
_ZN7rocprim17ROCPRIM_400000_NS6detail17trampoline_kernelINS0_14default_configENS1_20scan_config_selectorIN3c104HalfEEEZZNS1_9scan_implILNS1_25lookback_scan_determinismE0ELb0ELb0ES3_PKS6_PS6_S6_ZZZN2at6native31launch_logcumsumexp_cuda_kernelERKNSD_10TensorBaseESH_lENKUlvE_clEvENKUlvE3_clEvEUlS6_S6_E_S6_EEDaPvRmT3_T4_T5_mT6_P12ihipStream_tbENKUlT_T0_E_clISt17integral_constantIbLb1EESY_EEDaST_SU_EUlST_E0_NS1_11comp_targetILNS1_3genE5ELNS1_11target_archE942ELNS1_3gpuE9ELNS1_3repE0EEENS1_30default_config_static_selectorELNS0_4arch9wavefront6targetE0EEEvT1_: ; @_ZN7rocprim17ROCPRIM_400000_NS6detail17trampoline_kernelINS0_14default_configENS1_20scan_config_selectorIN3c104HalfEEEZZNS1_9scan_implILNS1_25lookback_scan_determinismE0ELb0ELb0ES3_PKS6_PS6_S6_ZZZN2at6native31launch_logcumsumexp_cuda_kernelERKNSD_10TensorBaseESH_lENKUlvE_clEvENKUlvE3_clEvEUlS6_S6_E_S6_EEDaPvRmT3_T4_T5_mT6_P12ihipStream_tbENKUlT_T0_E_clISt17integral_constantIbLb1EESY_EEDaST_SU_EUlST_E0_NS1_11comp_targetILNS1_3genE5ELNS1_11target_archE942ELNS1_3gpuE9ELNS1_3repE0EEENS1_30default_config_static_selectorELNS0_4arch9wavefront6targetE0EEEvT1_
; %bb.0:
	.section	.rodata,"a",@progbits
	.p2align	6, 0x0
	.amdhsa_kernel _ZN7rocprim17ROCPRIM_400000_NS6detail17trampoline_kernelINS0_14default_configENS1_20scan_config_selectorIN3c104HalfEEEZZNS1_9scan_implILNS1_25lookback_scan_determinismE0ELb0ELb0ES3_PKS6_PS6_S6_ZZZN2at6native31launch_logcumsumexp_cuda_kernelERKNSD_10TensorBaseESH_lENKUlvE_clEvENKUlvE3_clEvEUlS6_S6_E_S6_EEDaPvRmT3_T4_T5_mT6_P12ihipStream_tbENKUlT_T0_E_clISt17integral_constantIbLb1EESY_EEDaST_SU_EUlST_E0_NS1_11comp_targetILNS1_3genE5ELNS1_11target_archE942ELNS1_3gpuE9ELNS1_3repE0EEENS1_30default_config_static_selectorELNS0_4arch9wavefront6targetE0EEEvT1_
		.amdhsa_group_segment_fixed_size 0
		.amdhsa_private_segment_fixed_size 0
		.amdhsa_kernarg_size 32
		.amdhsa_user_sgpr_count 2
		.amdhsa_user_sgpr_dispatch_ptr 0
		.amdhsa_user_sgpr_queue_ptr 0
		.amdhsa_user_sgpr_kernarg_segment_ptr 1
		.amdhsa_user_sgpr_dispatch_id 0
		.amdhsa_user_sgpr_private_segment_size 0
		.amdhsa_wavefront_size32 1
		.amdhsa_uses_dynamic_stack 0
		.amdhsa_enable_private_segment 0
		.amdhsa_system_sgpr_workgroup_id_x 1
		.amdhsa_system_sgpr_workgroup_id_y 0
		.amdhsa_system_sgpr_workgroup_id_z 0
		.amdhsa_system_sgpr_workgroup_info 0
		.amdhsa_system_vgpr_workitem_id 0
		.amdhsa_next_free_vgpr 1
		.amdhsa_next_free_sgpr 1
		.amdhsa_reserve_vcc 0
		.amdhsa_float_round_mode_32 0
		.amdhsa_float_round_mode_16_64 0
		.amdhsa_float_denorm_mode_32 3
		.amdhsa_float_denorm_mode_16_64 3
		.amdhsa_fp16_overflow 0
		.amdhsa_workgroup_processor_mode 1
		.amdhsa_memory_ordered 1
		.amdhsa_forward_progress 1
		.amdhsa_inst_pref_size 0
		.amdhsa_round_robin_scheduling 0
		.amdhsa_exception_fp_ieee_invalid_op 0
		.amdhsa_exception_fp_denorm_src 0
		.amdhsa_exception_fp_ieee_div_zero 0
		.amdhsa_exception_fp_ieee_overflow 0
		.amdhsa_exception_fp_ieee_underflow 0
		.amdhsa_exception_fp_ieee_inexact 0
		.amdhsa_exception_int_div_zero 0
	.end_amdhsa_kernel
	.section	.text._ZN7rocprim17ROCPRIM_400000_NS6detail17trampoline_kernelINS0_14default_configENS1_20scan_config_selectorIN3c104HalfEEEZZNS1_9scan_implILNS1_25lookback_scan_determinismE0ELb0ELb0ES3_PKS6_PS6_S6_ZZZN2at6native31launch_logcumsumexp_cuda_kernelERKNSD_10TensorBaseESH_lENKUlvE_clEvENKUlvE3_clEvEUlS6_S6_E_S6_EEDaPvRmT3_T4_T5_mT6_P12ihipStream_tbENKUlT_T0_E_clISt17integral_constantIbLb1EESY_EEDaST_SU_EUlST_E0_NS1_11comp_targetILNS1_3genE5ELNS1_11target_archE942ELNS1_3gpuE9ELNS1_3repE0EEENS1_30default_config_static_selectorELNS0_4arch9wavefront6targetE0EEEvT1_,"axG",@progbits,_ZN7rocprim17ROCPRIM_400000_NS6detail17trampoline_kernelINS0_14default_configENS1_20scan_config_selectorIN3c104HalfEEEZZNS1_9scan_implILNS1_25lookback_scan_determinismE0ELb0ELb0ES3_PKS6_PS6_S6_ZZZN2at6native31launch_logcumsumexp_cuda_kernelERKNSD_10TensorBaseESH_lENKUlvE_clEvENKUlvE3_clEvEUlS6_S6_E_S6_EEDaPvRmT3_T4_T5_mT6_P12ihipStream_tbENKUlT_T0_E_clISt17integral_constantIbLb1EESY_EEDaST_SU_EUlST_E0_NS1_11comp_targetILNS1_3genE5ELNS1_11target_archE942ELNS1_3gpuE9ELNS1_3repE0EEENS1_30default_config_static_selectorELNS0_4arch9wavefront6targetE0EEEvT1_,comdat
.Lfunc_end388:
	.size	_ZN7rocprim17ROCPRIM_400000_NS6detail17trampoline_kernelINS0_14default_configENS1_20scan_config_selectorIN3c104HalfEEEZZNS1_9scan_implILNS1_25lookback_scan_determinismE0ELb0ELb0ES3_PKS6_PS6_S6_ZZZN2at6native31launch_logcumsumexp_cuda_kernelERKNSD_10TensorBaseESH_lENKUlvE_clEvENKUlvE3_clEvEUlS6_S6_E_S6_EEDaPvRmT3_T4_T5_mT6_P12ihipStream_tbENKUlT_T0_E_clISt17integral_constantIbLb1EESY_EEDaST_SU_EUlST_E0_NS1_11comp_targetILNS1_3genE5ELNS1_11target_archE942ELNS1_3gpuE9ELNS1_3repE0EEENS1_30default_config_static_selectorELNS0_4arch9wavefront6targetE0EEEvT1_, .Lfunc_end388-_ZN7rocprim17ROCPRIM_400000_NS6detail17trampoline_kernelINS0_14default_configENS1_20scan_config_selectorIN3c104HalfEEEZZNS1_9scan_implILNS1_25lookback_scan_determinismE0ELb0ELb0ES3_PKS6_PS6_S6_ZZZN2at6native31launch_logcumsumexp_cuda_kernelERKNSD_10TensorBaseESH_lENKUlvE_clEvENKUlvE3_clEvEUlS6_S6_E_S6_EEDaPvRmT3_T4_T5_mT6_P12ihipStream_tbENKUlT_T0_E_clISt17integral_constantIbLb1EESY_EEDaST_SU_EUlST_E0_NS1_11comp_targetILNS1_3genE5ELNS1_11target_archE942ELNS1_3gpuE9ELNS1_3repE0EEENS1_30default_config_static_selectorELNS0_4arch9wavefront6targetE0EEEvT1_
                                        ; -- End function
	.set _ZN7rocprim17ROCPRIM_400000_NS6detail17trampoline_kernelINS0_14default_configENS1_20scan_config_selectorIN3c104HalfEEEZZNS1_9scan_implILNS1_25lookback_scan_determinismE0ELb0ELb0ES3_PKS6_PS6_S6_ZZZN2at6native31launch_logcumsumexp_cuda_kernelERKNSD_10TensorBaseESH_lENKUlvE_clEvENKUlvE3_clEvEUlS6_S6_E_S6_EEDaPvRmT3_T4_T5_mT6_P12ihipStream_tbENKUlT_T0_E_clISt17integral_constantIbLb1EESY_EEDaST_SU_EUlST_E0_NS1_11comp_targetILNS1_3genE5ELNS1_11target_archE942ELNS1_3gpuE9ELNS1_3repE0EEENS1_30default_config_static_selectorELNS0_4arch9wavefront6targetE0EEEvT1_.num_vgpr, 0
	.set _ZN7rocprim17ROCPRIM_400000_NS6detail17trampoline_kernelINS0_14default_configENS1_20scan_config_selectorIN3c104HalfEEEZZNS1_9scan_implILNS1_25lookback_scan_determinismE0ELb0ELb0ES3_PKS6_PS6_S6_ZZZN2at6native31launch_logcumsumexp_cuda_kernelERKNSD_10TensorBaseESH_lENKUlvE_clEvENKUlvE3_clEvEUlS6_S6_E_S6_EEDaPvRmT3_T4_T5_mT6_P12ihipStream_tbENKUlT_T0_E_clISt17integral_constantIbLb1EESY_EEDaST_SU_EUlST_E0_NS1_11comp_targetILNS1_3genE5ELNS1_11target_archE942ELNS1_3gpuE9ELNS1_3repE0EEENS1_30default_config_static_selectorELNS0_4arch9wavefront6targetE0EEEvT1_.num_agpr, 0
	.set _ZN7rocprim17ROCPRIM_400000_NS6detail17trampoline_kernelINS0_14default_configENS1_20scan_config_selectorIN3c104HalfEEEZZNS1_9scan_implILNS1_25lookback_scan_determinismE0ELb0ELb0ES3_PKS6_PS6_S6_ZZZN2at6native31launch_logcumsumexp_cuda_kernelERKNSD_10TensorBaseESH_lENKUlvE_clEvENKUlvE3_clEvEUlS6_S6_E_S6_EEDaPvRmT3_T4_T5_mT6_P12ihipStream_tbENKUlT_T0_E_clISt17integral_constantIbLb1EESY_EEDaST_SU_EUlST_E0_NS1_11comp_targetILNS1_3genE5ELNS1_11target_archE942ELNS1_3gpuE9ELNS1_3repE0EEENS1_30default_config_static_selectorELNS0_4arch9wavefront6targetE0EEEvT1_.numbered_sgpr, 0
	.set _ZN7rocprim17ROCPRIM_400000_NS6detail17trampoline_kernelINS0_14default_configENS1_20scan_config_selectorIN3c104HalfEEEZZNS1_9scan_implILNS1_25lookback_scan_determinismE0ELb0ELb0ES3_PKS6_PS6_S6_ZZZN2at6native31launch_logcumsumexp_cuda_kernelERKNSD_10TensorBaseESH_lENKUlvE_clEvENKUlvE3_clEvEUlS6_S6_E_S6_EEDaPvRmT3_T4_T5_mT6_P12ihipStream_tbENKUlT_T0_E_clISt17integral_constantIbLb1EESY_EEDaST_SU_EUlST_E0_NS1_11comp_targetILNS1_3genE5ELNS1_11target_archE942ELNS1_3gpuE9ELNS1_3repE0EEENS1_30default_config_static_selectorELNS0_4arch9wavefront6targetE0EEEvT1_.num_named_barrier, 0
	.set _ZN7rocprim17ROCPRIM_400000_NS6detail17trampoline_kernelINS0_14default_configENS1_20scan_config_selectorIN3c104HalfEEEZZNS1_9scan_implILNS1_25lookback_scan_determinismE0ELb0ELb0ES3_PKS6_PS6_S6_ZZZN2at6native31launch_logcumsumexp_cuda_kernelERKNSD_10TensorBaseESH_lENKUlvE_clEvENKUlvE3_clEvEUlS6_S6_E_S6_EEDaPvRmT3_T4_T5_mT6_P12ihipStream_tbENKUlT_T0_E_clISt17integral_constantIbLb1EESY_EEDaST_SU_EUlST_E0_NS1_11comp_targetILNS1_3genE5ELNS1_11target_archE942ELNS1_3gpuE9ELNS1_3repE0EEENS1_30default_config_static_selectorELNS0_4arch9wavefront6targetE0EEEvT1_.private_seg_size, 0
	.set _ZN7rocprim17ROCPRIM_400000_NS6detail17trampoline_kernelINS0_14default_configENS1_20scan_config_selectorIN3c104HalfEEEZZNS1_9scan_implILNS1_25lookback_scan_determinismE0ELb0ELb0ES3_PKS6_PS6_S6_ZZZN2at6native31launch_logcumsumexp_cuda_kernelERKNSD_10TensorBaseESH_lENKUlvE_clEvENKUlvE3_clEvEUlS6_S6_E_S6_EEDaPvRmT3_T4_T5_mT6_P12ihipStream_tbENKUlT_T0_E_clISt17integral_constantIbLb1EESY_EEDaST_SU_EUlST_E0_NS1_11comp_targetILNS1_3genE5ELNS1_11target_archE942ELNS1_3gpuE9ELNS1_3repE0EEENS1_30default_config_static_selectorELNS0_4arch9wavefront6targetE0EEEvT1_.uses_vcc, 0
	.set _ZN7rocprim17ROCPRIM_400000_NS6detail17trampoline_kernelINS0_14default_configENS1_20scan_config_selectorIN3c104HalfEEEZZNS1_9scan_implILNS1_25lookback_scan_determinismE0ELb0ELb0ES3_PKS6_PS6_S6_ZZZN2at6native31launch_logcumsumexp_cuda_kernelERKNSD_10TensorBaseESH_lENKUlvE_clEvENKUlvE3_clEvEUlS6_S6_E_S6_EEDaPvRmT3_T4_T5_mT6_P12ihipStream_tbENKUlT_T0_E_clISt17integral_constantIbLb1EESY_EEDaST_SU_EUlST_E0_NS1_11comp_targetILNS1_3genE5ELNS1_11target_archE942ELNS1_3gpuE9ELNS1_3repE0EEENS1_30default_config_static_selectorELNS0_4arch9wavefront6targetE0EEEvT1_.uses_flat_scratch, 0
	.set _ZN7rocprim17ROCPRIM_400000_NS6detail17trampoline_kernelINS0_14default_configENS1_20scan_config_selectorIN3c104HalfEEEZZNS1_9scan_implILNS1_25lookback_scan_determinismE0ELb0ELb0ES3_PKS6_PS6_S6_ZZZN2at6native31launch_logcumsumexp_cuda_kernelERKNSD_10TensorBaseESH_lENKUlvE_clEvENKUlvE3_clEvEUlS6_S6_E_S6_EEDaPvRmT3_T4_T5_mT6_P12ihipStream_tbENKUlT_T0_E_clISt17integral_constantIbLb1EESY_EEDaST_SU_EUlST_E0_NS1_11comp_targetILNS1_3genE5ELNS1_11target_archE942ELNS1_3gpuE9ELNS1_3repE0EEENS1_30default_config_static_selectorELNS0_4arch9wavefront6targetE0EEEvT1_.has_dyn_sized_stack, 0
	.set _ZN7rocprim17ROCPRIM_400000_NS6detail17trampoline_kernelINS0_14default_configENS1_20scan_config_selectorIN3c104HalfEEEZZNS1_9scan_implILNS1_25lookback_scan_determinismE0ELb0ELb0ES3_PKS6_PS6_S6_ZZZN2at6native31launch_logcumsumexp_cuda_kernelERKNSD_10TensorBaseESH_lENKUlvE_clEvENKUlvE3_clEvEUlS6_S6_E_S6_EEDaPvRmT3_T4_T5_mT6_P12ihipStream_tbENKUlT_T0_E_clISt17integral_constantIbLb1EESY_EEDaST_SU_EUlST_E0_NS1_11comp_targetILNS1_3genE5ELNS1_11target_archE942ELNS1_3gpuE9ELNS1_3repE0EEENS1_30default_config_static_selectorELNS0_4arch9wavefront6targetE0EEEvT1_.has_recursion, 0
	.set _ZN7rocprim17ROCPRIM_400000_NS6detail17trampoline_kernelINS0_14default_configENS1_20scan_config_selectorIN3c104HalfEEEZZNS1_9scan_implILNS1_25lookback_scan_determinismE0ELb0ELb0ES3_PKS6_PS6_S6_ZZZN2at6native31launch_logcumsumexp_cuda_kernelERKNSD_10TensorBaseESH_lENKUlvE_clEvENKUlvE3_clEvEUlS6_S6_E_S6_EEDaPvRmT3_T4_T5_mT6_P12ihipStream_tbENKUlT_T0_E_clISt17integral_constantIbLb1EESY_EEDaST_SU_EUlST_E0_NS1_11comp_targetILNS1_3genE5ELNS1_11target_archE942ELNS1_3gpuE9ELNS1_3repE0EEENS1_30default_config_static_selectorELNS0_4arch9wavefront6targetE0EEEvT1_.has_indirect_call, 0
	.section	.AMDGPU.csdata,"",@progbits
; Kernel info:
; codeLenInByte = 0
; TotalNumSgprs: 0
; NumVgprs: 0
; ScratchSize: 0
; MemoryBound: 0
; FloatMode: 240
; IeeeMode: 1
; LDSByteSize: 0 bytes/workgroup (compile time only)
; SGPRBlocks: 0
; VGPRBlocks: 0
; NumSGPRsForWavesPerEU: 1
; NumVGPRsForWavesPerEU: 1
; Occupancy: 16
; WaveLimiterHint : 0
; COMPUTE_PGM_RSRC2:SCRATCH_EN: 0
; COMPUTE_PGM_RSRC2:USER_SGPR: 2
; COMPUTE_PGM_RSRC2:TRAP_HANDLER: 0
; COMPUTE_PGM_RSRC2:TGID_X_EN: 1
; COMPUTE_PGM_RSRC2:TGID_Y_EN: 0
; COMPUTE_PGM_RSRC2:TGID_Z_EN: 0
; COMPUTE_PGM_RSRC2:TIDIG_COMP_CNT: 0
	.section	.text._ZN7rocprim17ROCPRIM_400000_NS6detail17trampoline_kernelINS0_14default_configENS1_20scan_config_selectorIN3c104HalfEEEZZNS1_9scan_implILNS1_25lookback_scan_determinismE0ELb0ELb0ES3_PKS6_PS6_S6_ZZZN2at6native31launch_logcumsumexp_cuda_kernelERKNSD_10TensorBaseESH_lENKUlvE_clEvENKUlvE3_clEvEUlS6_S6_E_S6_EEDaPvRmT3_T4_T5_mT6_P12ihipStream_tbENKUlT_T0_E_clISt17integral_constantIbLb1EESY_EEDaST_SU_EUlST_E0_NS1_11comp_targetILNS1_3genE4ELNS1_11target_archE910ELNS1_3gpuE8ELNS1_3repE0EEENS1_30default_config_static_selectorELNS0_4arch9wavefront6targetE0EEEvT1_,"axG",@progbits,_ZN7rocprim17ROCPRIM_400000_NS6detail17trampoline_kernelINS0_14default_configENS1_20scan_config_selectorIN3c104HalfEEEZZNS1_9scan_implILNS1_25lookback_scan_determinismE0ELb0ELb0ES3_PKS6_PS6_S6_ZZZN2at6native31launch_logcumsumexp_cuda_kernelERKNSD_10TensorBaseESH_lENKUlvE_clEvENKUlvE3_clEvEUlS6_S6_E_S6_EEDaPvRmT3_T4_T5_mT6_P12ihipStream_tbENKUlT_T0_E_clISt17integral_constantIbLb1EESY_EEDaST_SU_EUlST_E0_NS1_11comp_targetILNS1_3genE4ELNS1_11target_archE910ELNS1_3gpuE8ELNS1_3repE0EEENS1_30default_config_static_selectorELNS0_4arch9wavefront6targetE0EEEvT1_,comdat
	.globl	_ZN7rocprim17ROCPRIM_400000_NS6detail17trampoline_kernelINS0_14default_configENS1_20scan_config_selectorIN3c104HalfEEEZZNS1_9scan_implILNS1_25lookback_scan_determinismE0ELb0ELb0ES3_PKS6_PS6_S6_ZZZN2at6native31launch_logcumsumexp_cuda_kernelERKNSD_10TensorBaseESH_lENKUlvE_clEvENKUlvE3_clEvEUlS6_S6_E_S6_EEDaPvRmT3_T4_T5_mT6_P12ihipStream_tbENKUlT_T0_E_clISt17integral_constantIbLb1EESY_EEDaST_SU_EUlST_E0_NS1_11comp_targetILNS1_3genE4ELNS1_11target_archE910ELNS1_3gpuE8ELNS1_3repE0EEENS1_30default_config_static_selectorELNS0_4arch9wavefront6targetE0EEEvT1_ ; -- Begin function _ZN7rocprim17ROCPRIM_400000_NS6detail17trampoline_kernelINS0_14default_configENS1_20scan_config_selectorIN3c104HalfEEEZZNS1_9scan_implILNS1_25lookback_scan_determinismE0ELb0ELb0ES3_PKS6_PS6_S6_ZZZN2at6native31launch_logcumsumexp_cuda_kernelERKNSD_10TensorBaseESH_lENKUlvE_clEvENKUlvE3_clEvEUlS6_S6_E_S6_EEDaPvRmT3_T4_T5_mT6_P12ihipStream_tbENKUlT_T0_E_clISt17integral_constantIbLb1EESY_EEDaST_SU_EUlST_E0_NS1_11comp_targetILNS1_3genE4ELNS1_11target_archE910ELNS1_3gpuE8ELNS1_3repE0EEENS1_30default_config_static_selectorELNS0_4arch9wavefront6targetE0EEEvT1_
	.p2align	8
	.type	_ZN7rocprim17ROCPRIM_400000_NS6detail17trampoline_kernelINS0_14default_configENS1_20scan_config_selectorIN3c104HalfEEEZZNS1_9scan_implILNS1_25lookback_scan_determinismE0ELb0ELb0ES3_PKS6_PS6_S6_ZZZN2at6native31launch_logcumsumexp_cuda_kernelERKNSD_10TensorBaseESH_lENKUlvE_clEvENKUlvE3_clEvEUlS6_S6_E_S6_EEDaPvRmT3_T4_T5_mT6_P12ihipStream_tbENKUlT_T0_E_clISt17integral_constantIbLb1EESY_EEDaST_SU_EUlST_E0_NS1_11comp_targetILNS1_3genE4ELNS1_11target_archE910ELNS1_3gpuE8ELNS1_3repE0EEENS1_30default_config_static_selectorELNS0_4arch9wavefront6targetE0EEEvT1_,@function
_ZN7rocprim17ROCPRIM_400000_NS6detail17trampoline_kernelINS0_14default_configENS1_20scan_config_selectorIN3c104HalfEEEZZNS1_9scan_implILNS1_25lookback_scan_determinismE0ELb0ELb0ES3_PKS6_PS6_S6_ZZZN2at6native31launch_logcumsumexp_cuda_kernelERKNSD_10TensorBaseESH_lENKUlvE_clEvENKUlvE3_clEvEUlS6_S6_E_S6_EEDaPvRmT3_T4_T5_mT6_P12ihipStream_tbENKUlT_T0_E_clISt17integral_constantIbLb1EESY_EEDaST_SU_EUlST_E0_NS1_11comp_targetILNS1_3genE4ELNS1_11target_archE910ELNS1_3gpuE8ELNS1_3repE0EEENS1_30default_config_static_selectorELNS0_4arch9wavefront6targetE0EEEvT1_: ; @_ZN7rocprim17ROCPRIM_400000_NS6detail17trampoline_kernelINS0_14default_configENS1_20scan_config_selectorIN3c104HalfEEEZZNS1_9scan_implILNS1_25lookback_scan_determinismE0ELb0ELb0ES3_PKS6_PS6_S6_ZZZN2at6native31launch_logcumsumexp_cuda_kernelERKNSD_10TensorBaseESH_lENKUlvE_clEvENKUlvE3_clEvEUlS6_S6_E_S6_EEDaPvRmT3_T4_T5_mT6_P12ihipStream_tbENKUlT_T0_E_clISt17integral_constantIbLb1EESY_EEDaST_SU_EUlST_E0_NS1_11comp_targetILNS1_3genE4ELNS1_11target_archE910ELNS1_3gpuE8ELNS1_3repE0EEENS1_30default_config_static_selectorELNS0_4arch9wavefront6targetE0EEEvT1_
; %bb.0:
	.section	.rodata,"a",@progbits
	.p2align	6, 0x0
	.amdhsa_kernel _ZN7rocprim17ROCPRIM_400000_NS6detail17trampoline_kernelINS0_14default_configENS1_20scan_config_selectorIN3c104HalfEEEZZNS1_9scan_implILNS1_25lookback_scan_determinismE0ELb0ELb0ES3_PKS6_PS6_S6_ZZZN2at6native31launch_logcumsumexp_cuda_kernelERKNSD_10TensorBaseESH_lENKUlvE_clEvENKUlvE3_clEvEUlS6_S6_E_S6_EEDaPvRmT3_T4_T5_mT6_P12ihipStream_tbENKUlT_T0_E_clISt17integral_constantIbLb1EESY_EEDaST_SU_EUlST_E0_NS1_11comp_targetILNS1_3genE4ELNS1_11target_archE910ELNS1_3gpuE8ELNS1_3repE0EEENS1_30default_config_static_selectorELNS0_4arch9wavefront6targetE0EEEvT1_
		.amdhsa_group_segment_fixed_size 0
		.amdhsa_private_segment_fixed_size 0
		.amdhsa_kernarg_size 32
		.amdhsa_user_sgpr_count 2
		.amdhsa_user_sgpr_dispatch_ptr 0
		.amdhsa_user_sgpr_queue_ptr 0
		.amdhsa_user_sgpr_kernarg_segment_ptr 1
		.amdhsa_user_sgpr_dispatch_id 0
		.amdhsa_user_sgpr_private_segment_size 0
		.amdhsa_wavefront_size32 1
		.amdhsa_uses_dynamic_stack 0
		.amdhsa_enable_private_segment 0
		.amdhsa_system_sgpr_workgroup_id_x 1
		.amdhsa_system_sgpr_workgroup_id_y 0
		.amdhsa_system_sgpr_workgroup_id_z 0
		.amdhsa_system_sgpr_workgroup_info 0
		.amdhsa_system_vgpr_workitem_id 0
		.amdhsa_next_free_vgpr 1
		.amdhsa_next_free_sgpr 1
		.amdhsa_reserve_vcc 0
		.amdhsa_float_round_mode_32 0
		.amdhsa_float_round_mode_16_64 0
		.amdhsa_float_denorm_mode_32 3
		.amdhsa_float_denorm_mode_16_64 3
		.amdhsa_fp16_overflow 0
		.amdhsa_workgroup_processor_mode 1
		.amdhsa_memory_ordered 1
		.amdhsa_forward_progress 1
		.amdhsa_inst_pref_size 0
		.amdhsa_round_robin_scheduling 0
		.amdhsa_exception_fp_ieee_invalid_op 0
		.amdhsa_exception_fp_denorm_src 0
		.amdhsa_exception_fp_ieee_div_zero 0
		.amdhsa_exception_fp_ieee_overflow 0
		.amdhsa_exception_fp_ieee_underflow 0
		.amdhsa_exception_fp_ieee_inexact 0
		.amdhsa_exception_int_div_zero 0
	.end_amdhsa_kernel
	.section	.text._ZN7rocprim17ROCPRIM_400000_NS6detail17trampoline_kernelINS0_14default_configENS1_20scan_config_selectorIN3c104HalfEEEZZNS1_9scan_implILNS1_25lookback_scan_determinismE0ELb0ELb0ES3_PKS6_PS6_S6_ZZZN2at6native31launch_logcumsumexp_cuda_kernelERKNSD_10TensorBaseESH_lENKUlvE_clEvENKUlvE3_clEvEUlS6_S6_E_S6_EEDaPvRmT3_T4_T5_mT6_P12ihipStream_tbENKUlT_T0_E_clISt17integral_constantIbLb1EESY_EEDaST_SU_EUlST_E0_NS1_11comp_targetILNS1_3genE4ELNS1_11target_archE910ELNS1_3gpuE8ELNS1_3repE0EEENS1_30default_config_static_selectorELNS0_4arch9wavefront6targetE0EEEvT1_,"axG",@progbits,_ZN7rocprim17ROCPRIM_400000_NS6detail17trampoline_kernelINS0_14default_configENS1_20scan_config_selectorIN3c104HalfEEEZZNS1_9scan_implILNS1_25lookback_scan_determinismE0ELb0ELb0ES3_PKS6_PS6_S6_ZZZN2at6native31launch_logcumsumexp_cuda_kernelERKNSD_10TensorBaseESH_lENKUlvE_clEvENKUlvE3_clEvEUlS6_S6_E_S6_EEDaPvRmT3_T4_T5_mT6_P12ihipStream_tbENKUlT_T0_E_clISt17integral_constantIbLb1EESY_EEDaST_SU_EUlST_E0_NS1_11comp_targetILNS1_3genE4ELNS1_11target_archE910ELNS1_3gpuE8ELNS1_3repE0EEENS1_30default_config_static_selectorELNS0_4arch9wavefront6targetE0EEEvT1_,comdat
.Lfunc_end389:
	.size	_ZN7rocprim17ROCPRIM_400000_NS6detail17trampoline_kernelINS0_14default_configENS1_20scan_config_selectorIN3c104HalfEEEZZNS1_9scan_implILNS1_25lookback_scan_determinismE0ELb0ELb0ES3_PKS6_PS6_S6_ZZZN2at6native31launch_logcumsumexp_cuda_kernelERKNSD_10TensorBaseESH_lENKUlvE_clEvENKUlvE3_clEvEUlS6_S6_E_S6_EEDaPvRmT3_T4_T5_mT6_P12ihipStream_tbENKUlT_T0_E_clISt17integral_constantIbLb1EESY_EEDaST_SU_EUlST_E0_NS1_11comp_targetILNS1_3genE4ELNS1_11target_archE910ELNS1_3gpuE8ELNS1_3repE0EEENS1_30default_config_static_selectorELNS0_4arch9wavefront6targetE0EEEvT1_, .Lfunc_end389-_ZN7rocprim17ROCPRIM_400000_NS6detail17trampoline_kernelINS0_14default_configENS1_20scan_config_selectorIN3c104HalfEEEZZNS1_9scan_implILNS1_25lookback_scan_determinismE0ELb0ELb0ES3_PKS6_PS6_S6_ZZZN2at6native31launch_logcumsumexp_cuda_kernelERKNSD_10TensorBaseESH_lENKUlvE_clEvENKUlvE3_clEvEUlS6_S6_E_S6_EEDaPvRmT3_T4_T5_mT6_P12ihipStream_tbENKUlT_T0_E_clISt17integral_constantIbLb1EESY_EEDaST_SU_EUlST_E0_NS1_11comp_targetILNS1_3genE4ELNS1_11target_archE910ELNS1_3gpuE8ELNS1_3repE0EEENS1_30default_config_static_selectorELNS0_4arch9wavefront6targetE0EEEvT1_
                                        ; -- End function
	.set _ZN7rocprim17ROCPRIM_400000_NS6detail17trampoline_kernelINS0_14default_configENS1_20scan_config_selectorIN3c104HalfEEEZZNS1_9scan_implILNS1_25lookback_scan_determinismE0ELb0ELb0ES3_PKS6_PS6_S6_ZZZN2at6native31launch_logcumsumexp_cuda_kernelERKNSD_10TensorBaseESH_lENKUlvE_clEvENKUlvE3_clEvEUlS6_S6_E_S6_EEDaPvRmT3_T4_T5_mT6_P12ihipStream_tbENKUlT_T0_E_clISt17integral_constantIbLb1EESY_EEDaST_SU_EUlST_E0_NS1_11comp_targetILNS1_3genE4ELNS1_11target_archE910ELNS1_3gpuE8ELNS1_3repE0EEENS1_30default_config_static_selectorELNS0_4arch9wavefront6targetE0EEEvT1_.num_vgpr, 0
	.set _ZN7rocprim17ROCPRIM_400000_NS6detail17trampoline_kernelINS0_14default_configENS1_20scan_config_selectorIN3c104HalfEEEZZNS1_9scan_implILNS1_25lookback_scan_determinismE0ELb0ELb0ES3_PKS6_PS6_S6_ZZZN2at6native31launch_logcumsumexp_cuda_kernelERKNSD_10TensorBaseESH_lENKUlvE_clEvENKUlvE3_clEvEUlS6_S6_E_S6_EEDaPvRmT3_T4_T5_mT6_P12ihipStream_tbENKUlT_T0_E_clISt17integral_constantIbLb1EESY_EEDaST_SU_EUlST_E0_NS1_11comp_targetILNS1_3genE4ELNS1_11target_archE910ELNS1_3gpuE8ELNS1_3repE0EEENS1_30default_config_static_selectorELNS0_4arch9wavefront6targetE0EEEvT1_.num_agpr, 0
	.set _ZN7rocprim17ROCPRIM_400000_NS6detail17trampoline_kernelINS0_14default_configENS1_20scan_config_selectorIN3c104HalfEEEZZNS1_9scan_implILNS1_25lookback_scan_determinismE0ELb0ELb0ES3_PKS6_PS6_S6_ZZZN2at6native31launch_logcumsumexp_cuda_kernelERKNSD_10TensorBaseESH_lENKUlvE_clEvENKUlvE3_clEvEUlS6_S6_E_S6_EEDaPvRmT3_T4_T5_mT6_P12ihipStream_tbENKUlT_T0_E_clISt17integral_constantIbLb1EESY_EEDaST_SU_EUlST_E0_NS1_11comp_targetILNS1_3genE4ELNS1_11target_archE910ELNS1_3gpuE8ELNS1_3repE0EEENS1_30default_config_static_selectorELNS0_4arch9wavefront6targetE0EEEvT1_.numbered_sgpr, 0
	.set _ZN7rocprim17ROCPRIM_400000_NS6detail17trampoline_kernelINS0_14default_configENS1_20scan_config_selectorIN3c104HalfEEEZZNS1_9scan_implILNS1_25lookback_scan_determinismE0ELb0ELb0ES3_PKS6_PS6_S6_ZZZN2at6native31launch_logcumsumexp_cuda_kernelERKNSD_10TensorBaseESH_lENKUlvE_clEvENKUlvE3_clEvEUlS6_S6_E_S6_EEDaPvRmT3_T4_T5_mT6_P12ihipStream_tbENKUlT_T0_E_clISt17integral_constantIbLb1EESY_EEDaST_SU_EUlST_E0_NS1_11comp_targetILNS1_3genE4ELNS1_11target_archE910ELNS1_3gpuE8ELNS1_3repE0EEENS1_30default_config_static_selectorELNS0_4arch9wavefront6targetE0EEEvT1_.num_named_barrier, 0
	.set _ZN7rocprim17ROCPRIM_400000_NS6detail17trampoline_kernelINS0_14default_configENS1_20scan_config_selectorIN3c104HalfEEEZZNS1_9scan_implILNS1_25lookback_scan_determinismE0ELb0ELb0ES3_PKS6_PS6_S6_ZZZN2at6native31launch_logcumsumexp_cuda_kernelERKNSD_10TensorBaseESH_lENKUlvE_clEvENKUlvE3_clEvEUlS6_S6_E_S6_EEDaPvRmT3_T4_T5_mT6_P12ihipStream_tbENKUlT_T0_E_clISt17integral_constantIbLb1EESY_EEDaST_SU_EUlST_E0_NS1_11comp_targetILNS1_3genE4ELNS1_11target_archE910ELNS1_3gpuE8ELNS1_3repE0EEENS1_30default_config_static_selectorELNS0_4arch9wavefront6targetE0EEEvT1_.private_seg_size, 0
	.set _ZN7rocprim17ROCPRIM_400000_NS6detail17trampoline_kernelINS0_14default_configENS1_20scan_config_selectorIN3c104HalfEEEZZNS1_9scan_implILNS1_25lookback_scan_determinismE0ELb0ELb0ES3_PKS6_PS6_S6_ZZZN2at6native31launch_logcumsumexp_cuda_kernelERKNSD_10TensorBaseESH_lENKUlvE_clEvENKUlvE3_clEvEUlS6_S6_E_S6_EEDaPvRmT3_T4_T5_mT6_P12ihipStream_tbENKUlT_T0_E_clISt17integral_constantIbLb1EESY_EEDaST_SU_EUlST_E0_NS1_11comp_targetILNS1_3genE4ELNS1_11target_archE910ELNS1_3gpuE8ELNS1_3repE0EEENS1_30default_config_static_selectorELNS0_4arch9wavefront6targetE0EEEvT1_.uses_vcc, 0
	.set _ZN7rocprim17ROCPRIM_400000_NS6detail17trampoline_kernelINS0_14default_configENS1_20scan_config_selectorIN3c104HalfEEEZZNS1_9scan_implILNS1_25lookback_scan_determinismE0ELb0ELb0ES3_PKS6_PS6_S6_ZZZN2at6native31launch_logcumsumexp_cuda_kernelERKNSD_10TensorBaseESH_lENKUlvE_clEvENKUlvE3_clEvEUlS6_S6_E_S6_EEDaPvRmT3_T4_T5_mT6_P12ihipStream_tbENKUlT_T0_E_clISt17integral_constantIbLb1EESY_EEDaST_SU_EUlST_E0_NS1_11comp_targetILNS1_3genE4ELNS1_11target_archE910ELNS1_3gpuE8ELNS1_3repE0EEENS1_30default_config_static_selectorELNS0_4arch9wavefront6targetE0EEEvT1_.uses_flat_scratch, 0
	.set _ZN7rocprim17ROCPRIM_400000_NS6detail17trampoline_kernelINS0_14default_configENS1_20scan_config_selectorIN3c104HalfEEEZZNS1_9scan_implILNS1_25lookback_scan_determinismE0ELb0ELb0ES3_PKS6_PS6_S6_ZZZN2at6native31launch_logcumsumexp_cuda_kernelERKNSD_10TensorBaseESH_lENKUlvE_clEvENKUlvE3_clEvEUlS6_S6_E_S6_EEDaPvRmT3_T4_T5_mT6_P12ihipStream_tbENKUlT_T0_E_clISt17integral_constantIbLb1EESY_EEDaST_SU_EUlST_E0_NS1_11comp_targetILNS1_3genE4ELNS1_11target_archE910ELNS1_3gpuE8ELNS1_3repE0EEENS1_30default_config_static_selectorELNS0_4arch9wavefront6targetE0EEEvT1_.has_dyn_sized_stack, 0
	.set _ZN7rocprim17ROCPRIM_400000_NS6detail17trampoline_kernelINS0_14default_configENS1_20scan_config_selectorIN3c104HalfEEEZZNS1_9scan_implILNS1_25lookback_scan_determinismE0ELb0ELb0ES3_PKS6_PS6_S6_ZZZN2at6native31launch_logcumsumexp_cuda_kernelERKNSD_10TensorBaseESH_lENKUlvE_clEvENKUlvE3_clEvEUlS6_S6_E_S6_EEDaPvRmT3_T4_T5_mT6_P12ihipStream_tbENKUlT_T0_E_clISt17integral_constantIbLb1EESY_EEDaST_SU_EUlST_E0_NS1_11comp_targetILNS1_3genE4ELNS1_11target_archE910ELNS1_3gpuE8ELNS1_3repE0EEENS1_30default_config_static_selectorELNS0_4arch9wavefront6targetE0EEEvT1_.has_recursion, 0
	.set _ZN7rocprim17ROCPRIM_400000_NS6detail17trampoline_kernelINS0_14default_configENS1_20scan_config_selectorIN3c104HalfEEEZZNS1_9scan_implILNS1_25lookback_scan_determinismE0ELb0ELb0ES3_PKS6_PS6_S6_ZZZN2at6native31launch_logcumsumexp_cuda_kernelERKNSD_10TensorBaseESH_lENKUlvE_clEvENKUlvE3_clEvEUlS6_S6_E_S6_EEDaPvRmT3_T4_T5_mT6_P12ihipStream_tbENKUlT_T0_E_clISt17integral_constantIbLb1EESY_EEDaST_SU_EUlST_E0_NS1_11comp_targetILNS1_3genE4ELNS1_11target_archE910ELNS1_3gpuE8ELNS1_3repE0EEENS1_30default_config_static_selectorELNS0_4arch9wavefront6targetE0EEEvT1_.has_indirect_call, 0
	.section	.AMDGPU.csdata,"",@progbits
; Kernel info:
; codeLenInByte = 0
; TotalNumSgprs: 0
; NumVgprs: 0
; ScratchSize: 0
; MemoryBound: 0
; FloatMode: 240
; IeeeMode: 1
; LDSByteSize: 0 bytes/workgroup (compile time only)
; SGPRBlocks: 0
; VGPRBlocks: 0
; NumSGPRsForWavesPerEU: 1
; NumVGPRsForWavesPerEU: 1
; Occupancy: 16
; WaveLimiterHint : 0
; COMPUTE_PGM_RSRC2:SCRATCH_EN: 0
; COMPUTE_PGM_RSRC2:USER_SGPR: 2
; COMPUTE_PGM_RSRC2:TRAP_HANDLER: 0
; COMPUTE_PGM_RSRC2:TGID_X_EN: 1
; COMPUTE_PGM_RSRC2:TGID_Y_EN: 0
; COMPUTE_PGM_RSRC2:TGID_Z_EN: 0
; COMPUTE_PGM_RSRC2:TIDIG_COMP_CNT: 0
	.section	.text._ZN7rocprim17ROCPRIM_400000_NS6detail17trampoline_kernelINS0_14default_configENS1_20scan_config_selectorIN3c104HalfEEEZZNS1_9scan_implILNS1_25lookback_scan_determinismE0ELb0ELb0ES3_PKS6_PS6_S6_ZZZN2at6native31launch_logcumsumexp_cuda_kernelERKNSD_10TensorBaseESH_lENKUlvE_clEvENKUlvE3_clEvEUlS6_S6_E_S6_EEDaPvRmT3_T4_T5_mT6_P12ihipStream_tbENKUlT_T0_E_clISt17integral_constantIbLb1EESY_EEDaST_SU_EUlST_E0_NS1_11comp_targetILNS1_3genE3ELNS1_11target_archE908ELNS1_3gpuE7ELNS1_3repE0EEENS1_30default_config_static_selectorELNS0_4arch9wavefront6targetE0EEEvT1_,"axG",@progbits,_ZN7rocprim17ROCPRIM_400000_NS6detail17trampoline_kernelINS0_14default_configENS1_20scan_config_selectorIN3c104HalfEEEZZNS1_9scan_implILNS1_25lookback_scan_determinismE0ELb0ELb0ES3_PKS6_PS6_S6_ZZZN2at6native31launch_logcumsumexp_cuda_kernelERKNSD_10TensorBaseESH_lENKUlvE_clEvENKUlvE3_clEvEUlS6_S6_E_S6_EEDaPvRmT3_T4_T5_mT6_P12ihipStream_tbENKUlT_T0_E_clISt17integral_constantIbLb1EESY_EEDaST_SU_EUlST_E0_NS1_11comp_targetILNS1_3genE3ELNS1_11target_archE908ELNS1_3gpuE7ELNS1_3repE0EEENS1_30default_config_static_selectorELNS0_4arch9wavefront6targetE0EEEvT1_,comdat
	.globl	_ZN7rocprim17ROCPRIM_400000_NS6detail17trampoline_kernelINS0_14default_configENS1_20scan_config_selectorIN3c104HalfEEEZZNS1_9scan_implILNS1_25lookback_scan_determinismE0ELb0ELb0ES3_PKS6_PS6_S6_ZZZN2at6native31launch_logcumsumexp_cuda_kernelERKNSD_10TensorBaseESH_lENKUlvE_clEvENKUlvE3_clEvEUlS6_S6_E_S6_EEDaPvRmT3_T4_T5_mT6_P12ihipStream_tbENKUlT_T0_E_clISt17integral_constantIbLb1EESY_EEDaST_SU_EUlST_E0_NS1_11comp_targetILNS1_3genE3ELNS1_11target_archE908ELNS1_3gpuE7ELNS1_3repE0EEENS1_30default_config_static_selectorELNS0_4arch9wavefront6targetE0EEEvT1_ ; -- Begin function _ZN7rocprim17ROCPRIM_400000_NS6detail17trampoline_kernelINS0_14default_configENS1_20scan_config_selectorIN3c104HalfEEEZZNS1_9scan_implILNS1_25lookback_scan_determinismE0ELb0ELb0ES3_PKS6_PS6_S6_ZZZN2at6native31launch_logcumsumexp_cuda_kernelERKNSD_10TensorBaseESH_lENKUlvE_clEvENKUlvE3_clEvEUlS6_S6_E_S6_EEDaPvRmT3_T4_T5_mT6_P12ihipStream_tbENKUlT_T0_E_clISt17integral_constantIbLb1EESY_EEDaST_SU_EUlST_E0_NS1_11comp_targetILNS1_3genE3ELNS1_11target_archE908ELNS1_3gpuE7ELNS1_3repE0EEENS1_30default_config_static_selectorELNS0_4arch9wavefront6targetE0EEEvT1_
	.p2align	8
	.type	_ZN7rocprim17ROCPRIM_400000_NS6detail17trampoline_kernelINS0_14default_configENS1_20scan_config_selectorIN3c104HalfEEEZZNS1_9scan_implILNS1_25lookback_scan_determinismE0ELb0ELb0ES3_PKS6_PS6_S6_ZZZN2at6native31launch_logcumsumexp_cuda_kernelERKNSD_10TensorBaseESH_lENKUlvE_clEvENKUlvE3_clEvEUlS6_S6_E_S6_EEDaPvRmT3_T4_T5_mT6_P12ihipStream_tbENKUlT_T0_E_clISt17integral_constantIbLb1EESY_EEDaST_SU_EUlST_E0_NS1_11comp_targetILNS1_3genE3ELNS1_11target_archE908ELNS1_3gpuE7ELNS1_3repE0EEENS1_30default_config_static_selectorELNS0_4arch9wavefront6targetE0EEEvT1_,@function
_ZN7rocprim17ROCPRIM_400000_NS6detail17trampoline_kernelINS0_14default_configENS1_20scan_config_selectorIN3c104HalfEEEZZNS1_9scan_implILNS1_25lookback_scan_determinismE0ELb0ELb0ES3_PKS6_PS6_S6_ZZZN2at6native31launch_logcumsumexp_cuda_kernelERKNSD_10TensorBaseESH_lENKUlvE_clEvENKUlvE3_clEvEUlS6_S6_E_S6_EEDaPvRmT3_T4_T5_mT6_P12ihipStream_tbENKUlT_T0_E_clISt17integral_constantIbLb1EESY_EEDaST_SU_EUlST_E0_NS1_11comp_targetILNS1_3genE3ELNS1_11target_archE908ELNS1_3gpuE7ELNS1_3repE0EEENS1_30default_config_static_selectorELNS0_4arch9wavefront6targetE0EEEvT1_: ; @_ZN7rocprim17ROCPRIM_400000_NS6detail17trampoline_kernelINS0_14default_configENS1_20scan_config_selectorIN3c104HalfEEEZZNS1_9scan_implILNS1_25lookback_scan_determinismE0ELb0ELb0ES3_PKS6_PS6_S6_ZZZN2at6native31launch_logcumsumexp_cuda_kernelERKNSD_10TensorBaseESH_lENKUlvE_clEvENKUlvE3_clEvEUlS6_S6_E_S6_EEDaPvRmT3_T4_T5_mT6_P12ihipStream_tbENKUlT_T0_E_clISt17integral_constantIbLb1EESY_EEDaST_SU_EUlST_E0_NS1_11comp_targetILNS1_3genE3ELNS1_11target_archE908ELNS1_3gpuE7ELNS1_3repE0EEENS1_30default_config_static_selectorELNS0_4arch9wavefront6targetE0EEEvT1_
; %bb.0:
	.section	.rodata,"a",@progbits
	.p2align	6, 0x0
	.amdhsa_kernel _ZN7rocprim17ROCPRIM_400000_NS6detail17trampoline_kernelINS0_14default_configENS1_20scan_config_selectorIN3c104HalfEEEZZNS1_9scan_implILNS1_25lookback_scan_determinismE0ELb0ELb0ES3_PKS6_PS6_S6_ZZZN2at6native31launch_logcumsumexp_cuda_kernelERKNSD_10TensorBaseESH_lENKUlvE_clEvENKUlvE3_clEvEUlS6_S6_E_S6_EEDaPvRmT3_T4_T5_mT6_P12ihipStream_tbENKUlT_T0_E_clISt17integral_constantIbLb1EESY_EEDaST_SU_EUlST_E0_NS1_11comp_targetILNS1_3genE3ELNS1_11target_archE908ELNS1_3gpuE7ELNS1_3repE0EEENS1_30default_config_static_selectorELNS0_4arch9wavefront6targetE0EEEvT1_
		.amdhsa_group_segment_fixed_size 0
		.amdhsa_private_segment_fixed_size 0
		.amdhsa_kernarg_size 32
		.amdhsa_user_sgpr_count 2
		.amdhsa_user_sgpr_dispatch_ptr 0
		.amdhsa_user_sgpr_queue_ptr 0
		.amdhsa_user_sgpr_kernarg_segment_ptr 1
		.amdhsa_user_sgpr_dispatch_id 0
		.amdhsa_user_sgpr_private_segment_size 0
		.amdhsa_wavefront_size32 1
		.amdhsa_uses_dynamic_stack 0
		.amdhsa_enable_private_segment 0
		.amdhsa_system_sgpr_workgroup_id_x 1
		.amdhsa_system_sgpr_workgroup_id_y 0
		.amdhsa_system_sgpr_workgroup_id_z 0
		.amdhsa_system_sgpr_workgroup_info 0
		.amdhsa_system_vgpr_workitem_id 0
		.amdhsa_next_free_vgpr 1
		.amdhsa_next_free_sgpr 1
		.amdhsa_reserve_vcc 0
		.amdhsa_float_round_mode_32 0
		.amdhsa_float_round_mode_16_64 0
		.amdhsa_float_denorm_mode_32 3
		.amdhsa_float_denorm_mode_16_64 3
		.amdhsa_fp16_overflow 0
		.amdhsa_workgroup_processor_mode 1
		.amdhsa_memory_ordered 1
		.amdhsa_forward_progress 1
		.amdhsa_inst_pref_size 0
		.amdhsa_round_robin_scheduling 0
		.amdhsa_exception_fp_ieee_invalid_op 0
		.amdhsa_exception_fp_denorm_src 0
		.amdhsa_exception_fp_ieee_div_zero 0
		.amdhsa_exception_fp_ieee_overflow 0
		.amdhsa_exception_fp_ieee_underflow 0
		.amdhsa_exception_fp_ieee_inexact 0
		.amdhsa_exception_int_div_zero 0
	.end_amdhsa_kernel
	.section	.text._ZN7rocprim17ROCPRIM_400000_NS6detail17trampoline_kernelINS0_14default_configENS1_20scan_config_selectorIN3c104HalfEEEZZNS1_9scan_implILNS1_25lookback_scan_determinismE0ELb0ELb0ES3_PKS6_PS6_S6_ZZZN2at6native31launch_logcumsumexp_cuda_kernelERKNSD_10TensorBaseESH_lENKUlvE_clEvENKUlvE3_clEvEUlS6_S6_E_S6_EEDaPvRmT3_T4_T5_mT6_P12ihipStream_tbENKUlT_T0_E_clISt17integral_constantIbLb1EESY_EEDaST_SU_EUlST_E0_NS1_11comp_targetILNS1_3genE3ELNS1_11target_archE908ELNS1_3gpuE7ELNS1_3repE0EEENS1_30default_config_static_selectorELNS0_4arch9wavefront6targetE0EEEvT1_,"axG",@progbits,_ZN7rocprim17ROCPRIM_400000_NS6detail17trampoline_kernelINS0_14default_configENS1_20scan_config_selectorIN3c104HalfEEEZZNS1_9scan_implILNS1_25lookback_scan_determinismE0ELb0ELb0ES3_PKS6_PS6_S6_ZZZN2at6native31launch_logcumsumexp_cuda_kernelERKNSD_10TensorBaseESH_lENKUlvE_clEvENKUlvE3_clEvEUlS6_S6_E_S6_EEDaPvRmT3_T4_T5_mT6_P12ihipStream_tbENKUlT_T0_E_clISt17integral_constantIbLb1EESY_EEDaST_SU_EUlST_E0_NS1_11comp_targetILNS1_3genE3ELNS1_11target_archE908ELNS1_3gpuE7ELNS1_3repE0EEENS1_30default_config_static_selectorELNS0_4arch9wavefront6targetE0EEEvT1_,comdat
.Lfunc_end390:
	.size	_ZN7rocprim17ROCPRIM_400000_NS6detail17trampoline_kernelINS0_14default_configENS1_20scan_config_selectorIN3c104HalfEEEZZNS1_9scan_implILNS1_25lookback_scan_determinismE0ELb0ELb0ES3_PKS6_PS6_S6_ZZZN2at6native31launch_logcumsumexp_cuda_kernelERKNSD_10TensorBaseESH_lENKUlvE_clEvENKUlvE3_clEvEUlS6_S6_E_S6_EEDaPvRmT3_T4_T5_mT6_P12ihipStream_tbENKUlT_T0_E_clISt17integral_constantIbLb1EESY_EEDaST_SU_EUlST_E0_NS1_11comp_targetILNS1_3genE3ELNS1_11target_archE908ELNS1_3gpuE7ELNS1_3repE0EEENS1_30default_config_static_selectorELNS0_4arch9wavefront6targetE0EEEvT1_, .Lfunc_end390-_ZN7rocprim17ROCPRIM_400000_NS6detail17trampoline_kernelINS0_14default_configENS1_20scan_config_selectorIN3c104HalfEEEZZNS1_9scan_implILNS1_25lookback_scan_determinismE0ELb0ELb0ES3_PKS6_PS6_S6_ZZZN2at6native31launch_logcumsumexp_cuda_kernelERKNSD_10TensorBaseESH_lENKUlvE_clEvENKUlvE3_clEvEUlS6_S6_E_S6_EEDaPvRmT3_T4_T5_mT6_P12ihipStream_tbENKUlT_T0_E_clISt17integral_constantIbLb1EESY_EEDaST_SU_EUlST_E0_NS1_11comp_targetILNS1_3genE3ELNS1_11target_archE908ELNS1_3gpuE7ELNS1_3repE0EEENS1_30default_config_static_selectorELNS0_4arch9wavefront6targetE0EEEvT1_
                                        ; -- End function
	.set _ZN7rocprim17ROCPRIM_400000_NS6detail17trampoline_kernelINS0_14default_configENS1_20scan_config_selectorIN3c104HalfEEEZZNS1_9scan_implILNS1_25lookback_scan_determinismE0ELb0ELb0ES3_PKS6_PS6_S6_ZZZN2at6native31launch_logcumsumexp_cuda_kernelERKNSD_10TensorBaseESH_lENKUlvE_clEvENKUlvE3_clEvEUlS6_S6_E_S6_EEDaPvRmT3_T4_T5_mT6_P12ihipStream_tbENKUlT_T0_E_clISt17integral_constantIbLb1EESY_EEDaST_SU_EUlST_E0_NS1_11comp_targetILNS1_3genE3ELNS1_11target_archE908ELNS1_3gpuE7ELNS1_3repE0EEENS1_30default_config_static_selectorELNS0_4arch9wavefront6targetE0EEEvT1_.num_vgpr, 0
	.set _ZN7rocprim17ROCPRIM_400000_NS6detail17trampoline_kernelINS0_14default_configENS1_20scan_config_selectorIN3c104HalfEEEZZNS1_9scan_implILNS1_25lookback_scan_determinismE0ELb0ELb0ES3_PKS6_PS6_S6_ZZZN2at6native31launch_logcumsumexp_cuda_kernelERKNSD_10TensorBaseESH_lENKUlvE_clEvENKUlvE3_clEvEUlS6_S6_E_S6_EEDaPvRmT3_T4_T5_mT6_P12ihipStream_tbENKUlT_T0_E_clISt17integral_constantIbLb1EESY_EEDaST_SU_EUlST_E0_NS1_11comp_targetILNS1_3genE3ELNS1_11target_archE908ELNS1_3gpuE7ELNS1_3repE0EEENS1_30default_config_static_selectorELNS0_4arch9wavefront6targetE0EEEvT1_.num_agpr, 0
	.set _ZN7rocprim17ROCPRIM_400000_NS6detail17trampoline_kernelINS0_14default_configENS1_20scan_config_selectorIN3c104HalfEEEZZNS1_9scan_implILNS1_25lookback_scan_determinismE0ELb0ELb0ES3_PKS6_PS6_S6_ZZZN2at6native31launch_logcumsumexp_cuda_kernelERKNSD_10TensorBaseESH_lENKUlvE_clEvENKUlvE3_clEvEUlS6_S6_E_S6_EEDaPvRmT3_T4_T5_mT6_P12ihipStream_tbENKUlT_T0_E_clISt17integral_constantIbLb1EESY_EEDaST_SU_EUlST_E0_NS1_11comp_targetILNS1_3genE3ELNS1_11target_archE908ELNS1_3gpuE7ELNS1_3repE0EEENS1_30default_config_static_selectorELNS0_4arch9wavefront6targetE0EEEvT1_.numbered_sgpr, 0
	.set _ZN7rocprim17ROCPRIM_400000_NS6detail17trampoline_kernelINS0_14default_configENS1_20scan_config_selectorIN3c104HalfEEEZZNS1_9scan_implILNS1_25lookback_scan_determinismE0ELb0ELb0ES3_PKS6_PS6_S6_ZZZN2at6native31launch_logcumsumexp_cuda_kernelERKNSD_10TensorBaseESH_lENKUlvE_clEvENKUlvE3_clEvEUlS6_S6_E_S6_EEDaPvRmT3_T4_T5_mT6_P12ihipStream_tbENKUlT_T0_E_clISt17integral_constantIbLb1EESY_EEDaST_SU_EUlST_E0_NS1_11comp_targetILNS1_3genE3ELNS1_11target_archE908ELNS1_3gpuE7ELNS1_3repE0EEENS1_30default_config_static_selectorELNS0_4arch9wavefront6targetE0EEEvT1_.num_named_barrier, 0
	.set _ZN7rocprim17ROCPRIM_400000_NS6detail17trampoline_kernelINS0_14default_configENS1_20scan_config_selectorIN3c104HalfEEEZZNS1_9scan_implILNS1_25lookback_scan_determinismE0ELb0ELb0ES3_PKS6_PS6_S6_ZZZN2at6native31launch_logcumsumexp_cuda_kernelERKNSD_10TensorBaseESH_lENKUlvE_clEvENKUlvE3_clEvEUlS6_S6_E_S6_EEDaPvRmT3_T4_T5_mT6_P12ihipStream_tbENKUlT_T0_E_clISt17integral_constantIbLb1EESY_EEDaST_SU_EUlST_E0_NS1_11comp_targetILNS1_3genE3ELNS1_11target_archE908ELNS1_3gpuE7ELNS1_3repE0EEENS1_30default_config_static_selectorELNS0_4arch9wavefront6targetE0EEEvT1_.private_seg_size, 0
	.set _ZN7rocprim17ROCPRIM_400000_NS6detail17trampoline_kernelINS0_14default_configENS1_20scan_config_selectorIN3c104HalfEEEZZNS1_9scan_implILNS1_25lookback_scan_determinismE0ELb0ELb0ES3_PKS6_PS6_S6_ZZZN2at6native31launch_logcumsumexp_cuda_kernelERKNSD_10TensorBaseESH_lENKUlvE_clEvENKUlvE3_clEvEUlS6_S6_E_S6_EEDaPvRmT3_T4_T5_mT6_P12ihipStream_tbENKUlT_T0_E_clISt17integral_constantIbLb1EESY_EEDaST_SU_EUlST_E0_NS1_11comp_targetILNS1_3genE3ELNS1_11target_archE908ELNS1_3gpuE7ELNS1_3repE0EEENS1_30default_config_static_selectorELNS0_4arch9wavefront6targetE0EEEvT1_.uses_vcc, 0
	.set _ZN7rocprim17ROCPRIM_400000_NS6detail17trampoline_kernelINS0_14default_configENS1_20scan_config_selectorIN3c104HalfEEEZZNS1_9scan_implILNS1_25lookback_scan_determinismE0ELb0ELb0ES3_PKS6_PS6_S6_ZZZN2at6native31launch_logcumsumexp_cuda_kernelERKNSD_10TensorBaseESH_lENKUlvE_clEvENKUlvE3_clEvEUlS6_S6_E_S6_EEDaPvRmT3_T4_T5_mT6_P12ihipStream_tbENKUlT_T0_E_clISt17integral_constantIbLb1EESY_EEDaST_SU_EUlST_E0_NS1_11comp_targetILNS1_3genE3ELNS1_11target_archE908ELNS1_3gpuE7ELNS1_3repE0EEENS1_30default_config_static_selectorELNS0_4arch9wavefront6targetE0EEEvT1_.uses_flat_scratch, 0
	.set _ZN7rocprim17ROCPRIM_400000_NS6detail17trampoline_kernelINS0_14default_configENS1_20scan_config_selectorIN3c104HalfEEEZZNS1_9scan_implILNS1_25lookback_scan_determinismE0ELb0ELb0ES3_PKS6_PS6_S6_ZZZN2at6native31launch_logcumsumexp_cuda_kernelERKNSD_10TensorBaseESH_lENKUlvE_clEvENKUlvE3_clEvEUlS6_S6_E_S6_EEDaPvRmT3_T4_T5_mT6_P12ihipStream_tbENKUlT_T0_E_clISt17integral_constantIbLb1EESY_EEDaST_SU_EUlST_E0_NS1_11comp_targetILNS1_3genE3ELNS1_11target_archE908ELNS1_3gpuE7ELNS1_3repE0EEENS1_30default_config_static_selectorELNS0_4arch9wavefront6targetE0EEEvT1_.has_dyn_sized_stack, 0
	.set _ZN7rocprim17ROCPRIM_400000_NS6detail17trampoline_kernelINS0_14default_configENS1_20scan_config_selectorIN3c104HalfEEEZZNS1_9scan_implILNS1_25lookback_scan_determinismE0ELb0ELb0ES3_PKS6_PS6_S6_ZZZN2at6native31launch_logcumsumexp_cuda_kernelERKNSD_10TensorBaseESH_lENKUlvE_clEvENKUlvE3_clEvEUlS6_S6_E_S6_EEDaPvRmT3_T4_T5_mT6_P12ihipStream_tbENKUlT_T0_E_clISt17integral_constantIbLb1EESY_EEDaST_SU_EUlST_E0_NS1_11comp_targetILNS1_3genE3ELNS1_11target_archE908ELNS1_3gpuE7ELNS1_3repE0EEENS1_30default_config_static_selectorELNS0_4arch9wavefront6targetE0EEEvT1_.has_recursion, 0
	.set _ZN7rocprim17ROCPRIM_400000_NS6detail17trampoline_kernelINS0_14default_configENS1_20scan_config_selectorIN3c104HalfEEEZZNS1_9scan_implILNS1_25lookback_scan_determinismE0ELb0ELb0ES3_PKS6_PS6_S6_ZZZN2at6native31launch_logcumsumexp_cuda_kernelERKNSD_10TensorBaseESH_lENKUlvE_clEvENKUlvE3_clEvEUlS6_S6_E_S6_EEDaPvRmT3_T4_T5_mT6_P12ihipStream_tbENKUlT_T0_E_clISt17integral_constantIbLb1EESY_EEDaST_SU_EUlST_E0_NS1_11comp_targetILNS1_3genE3ELNS1_11target_archE908ELNS1_3gpuE7ELNS1_3repE0EEENS1_30default_config_static_selectorELNS0_4arch9wavefront6targetE0EEEvT1_.has_indirect_call, 0
	.section	.AMDGPU.csdata,"",@progbits
; Kernel info:
; codeLenInByte = 0
; TotalNumSgprs: 0
; NumVgprs: 0
; ScratchSize: 0
; MemoryBound: 0
; FloatMode: 240
; IeeeMode: 1
; LDSByteSize: 0 bytes/workgroup (compile time only)
; SGPRBlocks: 0
; VGPRBlocks: 0
; NumSGPRsForWavesPerEU: 1
; NumVGPRsForWavesPerEU: 1
; Occupancy: 16
; WaveLimiterHint : 0
; COMPUTE_PGM_RSRC2:SCRATCH_EN: 0
; COMPUTE_PGM_RSRC2:USER_SGPR: 2
; COMPUTE_PGM_RSRC2:TRAP_HANDLER: 0
; COMPUTE_PGM_RSRC2:TGID_X_EN: 1
; COMPUTE_PGM_RSRC2:TGID_Y_EN: 0
; COMPUTE_PGM_RSRC2:TGID_Z_EN: 0
; COMPUTE_PGM_RSRC2:TIDIG_COMP_CNT: 0
	.section	.text._ZN7rocprim17ROCPRIM_400000_NS6detail17trampoline_kernelINS0_14default_configENS1_20scan_config_selectorIN3c104HalfEEEZZNS1_9scan_implILNS1_25lookback_scan_determinismE0ELb0ELb0ES3_PKS6_PS6_S6_ZZZN2at6native31launch_logcumsumexp_cuda_kernelERKNSD_10TensorBaseESH_lENKUlvE_clEvENKUlvE3_clEvEUlS6_S6_E_S6_EEDaPvRmT3_T4_T5_mT6_P12ihipStream_tbENKUlT_T0_E_clISt17integral_constantIbLb1EESY_EEDaST_SU_EUlST_E0_NS1_11comp_targetILNS1_3genE2ELNS1_11target_archE906ELNS1_3gpuE6ELNS1_3repE0EEENS1_30default_config_static_selectorELNS0_4arch9wavefront6targetE0EEEvT1_,"axG",@progbits,_ZN7rocprim17ROCPRIM_400000_NS6detail17trampoline_kernelINS0_14default_configENS1_20scan_config_selectorIN3c104HalfEEEZZNS1_9scan_implILNS1_25lookback_scan_determinismE0ELb0ELb0ES3_PKS6_PS6_S6_ZZZN2at6native31launch_logcumsumexp_cuda_kernelERKNSD_10TensorBaseESH_lENKUlvE_clEvENKUlvE3_clEvEUlS6_S6_E_S6_EEDaPvRmT3_T4_T5_mT6_P12ihipStream_tbENKUlT_T0_E_clISt17integral_constantIbLb1EESY_EEDaST_SU_EUlST_E0_NS1_11comp_targetILNS1_3genE2ELNS1_11target_archE906ELNS1_3gpuE6ELNS1_3repE0EEENS1_30default_config_static_selectorELNS0_4arch9wavefront6targetE0EEEvT1_,comdat
	.globl	_ZN7rocprim17ROCPRIM_400000_NS6detail17trampoline_kernelINS0_14default_configENS1_20scan_config_selectorIN3c104HalfEEEZZNS1_9scan_implILNS1_25lookback_scan_determinismE0ELb0ELb0ES3_PKS6_PS6_S6_ZZZN2at6native31launch_logcumsumexp_cuda_kernelERKNSD_10TensorBaseESH_lENKUlvE_clEvENKUlvE3_clEvEUlS6_S6_E_S6_EEDaPvRmT3_T4_T5_mT6_P12ihipStream_tbENKUlT_T0_E_clISt17integral_constantIbLb1EESY_EEDaST_SU_EUlST_E0_NS1_11comp_targetILNS1_3genE2ELNS1_11target_archE906ELNS1_3gpuE6ELNS1_3repE0EEENS1_30default_config_static_selectorELNS0_4arch9wavefront6targetE0EEEvT1_ ; -- Begin function _ZN7rocprim17ROCPRIM_400000_NS6detail17trampoline_kernelINS0_14default_configENS1_20scan_config_selectorIN3c104HalfEEEZZNS1_9scan_implILNS1_25lookback_scan_determinismE0ELb0ELb0ES3_PKS6_PS6_S6_ZZZN2at6native31launch_logcumsumexp_cuda_kernelERKNSD_10TensorBaseESH_lENKUlvE_clEvENKUlvE3_clEvEUlS6_S6_E_S6_EEDaPvRmT3_T4_T5_mT6_P12ihipStream_tbENKUlT_T0_E_clISt17integral_constantIbLb1EESY_EEDaST_SU_EUlST_E0_NS1_11comp_targetILNS1_3genE2ELNS1_11target_archE906ELNS1_3gpuE6ELNS1_3repE0EEENS1_30default_config_static_selectorELNS0_4arch9wavefront6targetE0EEEvT1_
	.p2align	8
	.type	_ZN7rocprim17ROCPRIM_400000_NS6detail17trampoline_kernelINS0_14default_configENS1_20scan_config_selectorIN3c104HalfEEEZZNS1_9scan_implILNS1_25lookback_scan_determinismE0ELb0ELb0ES3_PKS6_PS6_S6_ZZZN2at6native31launch_logcumsumexp_cuda_kernelERKNSD_10TensorBaseESH_lENKUlvE_clEvENKUlvE3_clEvEUlS6_S6_E_S6_EEDaPvRmT3_T4_T5_mT6_P12ihipStream_tbENKUlT_T0_E_clISt17integral_constantIbLb1EESY_EEDaST_SU_EUlST_E0_NS1_11comp_targetILNS1_3genE2ELNS1_11target_archE906ELNS1_3gpuE6ELNS1_3repE0EEENS1_30default_config_static_selectorELNS0_4arch9wavefront6targetE0EEEvT1_,@function
_ZN7rocprim17ROCPRIM_400000_NS6detail17trampoline_kernelINS0_14default_configENS1_20scan_config_selectorIN3c104HalfEEEZZNS1_9scan_implILNS1_25lookback_scan_determinismE0ELb0ELb0ES3_PKS6_PS6_S6_ZZZN2at6native31launch_logcumsumexp_cuda_kernelERKNSD_10TensorBaseESH_lENKUlvE_clEvENKUlvE3_clEvEUlS6_S6_E_S6_EEDaPvRmT3_T4_T5_mT6_P12ihipStream_tbENKUlT_T0_E_clISt17integral_constantIbLb1EESY_EEDaST_SU_EUlST_E0_NS1_11comp_targetILNS1_3genE2ELNS1_11target_archE906ELNS1_3gpuE6ELNS1_3repE0EEENS1_30default_config_static_selectorELNS0_4arch9wavefront6targetE0EEEvT1_: ; @_ZN7rocprim17ROCPRIM_400000_NS6detail17trampoline_kernelINS0_14default_configENS1_20scan_config_selectorIN3c104HalfEEEZZNS1_9scan_implILNS1_25lookback_scan_determinismE0ELb0ELb0ES3_PKS6_PS6_S6_ZZZN2at6native31launch_logcumsumexp_cuda_kernelERKNSD_10TensorBaseESH_lENKUlvE_clEvENKUlvE3_clEvEUlS6_S6_E_S6_EEDaPvRmT3_T4_T5_mT6_P12ihipStream_tbENKUlT_T0_E_clISt17integral_constantIbLb1EESY_EEDaST_SU_EUlST_E0_NS1_11comp_targetILNS1_3genE2ELNS1_11target_archE906ELNS1_3gpuE6ELNS1_3repE0EEENS1_30default_config_static_selectorELNS0_4arch9wavefront6targetE0EEEvT1_
; %bb.0:
	.section	.rodata,"a",@progbits
	.p2align	6, 0x0
	.amdhsa_kernel _ZN7rocprim17ROCPRIM_400000_NS6detail17trampoline_kernelINS0_14default_configENS1_20scan_config_selectorIN3c104HalfEEEZZNS1_9scan_implILNS1_25lookback_scan_determinismE0ELb0ELb0ES3_PKS6_PS6_S6_ZZZN2at6native31launch_logcumsumexp_cuda_kernelERKNSD_10TensorBaseESH_lENKUlvE_clEvENKUlvE3_clEvEUlS6_S6_E_S6_EEDaPvRmT3_T4_T5_mT6_P12ihipStream_tbENKUlT_T0_E_clISt17integral_constantIbLb1EESY_EEDaST_SU_EUlST_E0_NS1_11comp_targetILNS1_3genE2ELNS1_11target_archE906ELNS1_3gpuE6ELNS1_3repE0EEENS1_30default_config_static_selectorELNS0_4arch9wavefront6targetE0EEEvT1_
		.amdhsa_group_segment_fixed_size 0
		.amdhsa_private_segment_fixed_size 0
		.amdhsa_kernarg_size 32
		.amdhsa_user_sgpr_count 2
		.amdhsa_user_sgpr_dispatch_ptr 0
		.amdhsa_user_sgpr_queue_ptr 0
		.amdhsa_user_sgpr_kernarg_segment_ptr 1
		.amdhsa_user_sgpr_dispatch_id 0
		.amdhsa_user_sgpr_private_segment_size 0
		.amdhsa_wavefront_size32 1
		.amdhsa_uses_dynamic_stack 0
		.amdhsa_enable_private_segment 0
		.amdhsa_system_sgpr_workgroup_id_x 1
		.amdhsa_system_sgpr_workgroup_id_y 0
		.amdhsa_system_sgpr_workgroup_id_z 0
		.amdhsa_system_sgpr_workgroup_info 0
		.amdhsa_system_vgpr_workitem_id 0
		.amdhsa_next_free_vgpr 1
		.amdhsa_next_free_sgpr 1
		.amdhsa_reserve_vcc 0
		.amdhsa_float_round_mode_32 0
		.amdhsa_float_round_mode_16_64 0
		.amdhsa_float_denorm_mode_32 3
		.amdhsa_float_denorm_mode_16_64 3
		.amdhsa_fp16_overflow 0
		.amdhsa_workgroup_processor_mode 1
		.amdhsa_memory_ordered 1
		.amdhsa_forward_progress 1
		.amdhsa_inst_pref_size 0
		.amdhsa_round_robin_scheduling 0
		.amdhsa_exception_fp_ieee_invalid_op 0
		.amdhsa_exception_fp_denorm_src 0
		.amdhsa_exception_fp_ieee_div_zero 0
		.amdhsa_exception_fp_ieee_overflow 0
		.amdhsa_exception_fp_ieee_underflow 0
		.amdhsa_exception_fp_ieee_inexact 0
		.amdhsa_exception_int_div_zero 0
	.end_amdhsa_kernel
	.section	.text._ZN7rocprim17ROCPRIM_400000_NS6detail17trampoline_kernelINS0_14default_configENS1_20scan_config_selectorIN3c104HalfEEEZZNS1_9scan_implILNS1_25lookback_scan_determinismE0ELb0ELb0ES3_PKS6_PS6_S6_ZZZN2at6native31launch_logcumsumexp_cuda_kernelERKNSD_10TensorBaseESH_lENKUlvE_clEvENKUlvE3_clEvEUlS6_S6_E_S6_EEDaPvRmT3_T4_T5_mT6_P12ihipStream_tbENKUlT_T0_E_clISt17integral_constantIbLb1EESY_EEDaST_SU_EUlST_E0_NS1_11comp_targetILNS1_3genE2ELNS1_11target_archE906ELNS1_3gpuE6ELNS1_3repE0EEENS1_30default_config_static_selectorELNS0_4arch9wavefront6targetE0EEEvT1_,"axG",@progbits,_ZN7rocprim17ROCPRIM_400000_NS6detail17trampoline_kernelINS0_14default_configENS1_20scan_config_selectorIN3c104HalfEEEZZNS1_9scan_implILNS1_25lookback_scan_determinismE0ELb0ELb0ES3_PKS6_PS6_S6_ZZZN2at6native31launch_logcumsumexp_cuda_kernelERKNSD_10TensorBaseESH_lENKUlvE_clEvENKUlvE3_clEvEUlS6_S6_E_S6_EEDaPvRmT3_T4_T5_mT6_P12ihipStream_tbENKUlT_T0_E_clISt17integral_constantIbLb1EESY_EEDaST_SU_EUlST_E0_NS1_11comp_targetILNS1_3genE2ELNS1_11target_archE906ELNS1_3gpuE6ELNS1_3repE0EEENS1_30default_config_static_selectorELNS0_4arch9wavefront6targetE0EEEvT1_,comdat
.Lfunc_end391:
	.size	_ZN7rocprim17ROCPRIM_400000_NS6detail17trampoline_kernelINS0_14default_configENS1_20scan_config_selectorIN3c104HalfEEEZZNS1_9scan_implILNS1_25lookback_scan_determinismE0ELb0ELb0ES3_PKS6_PS6_S6_ZZZN2at6native31launch_logcumsumexp_cuda_kernelERKNSD_10TensorBaseESH_lENKUlvE_clEvENKUlvE3_clEvEUlS6_S6_E_S6_EEDaPvRmT3_T4_T5_mT6_P12ihipStream_tbENKUlT_T0_E_clISt17integral_constantIbLb1EESY_EEDaST_SU_EUlST_E0_NS1_11comp_targetILNS1_3genE2ELNS1_11target_archE906ELNS1_3gpuE6ELNS1_3repE0EEENS1_30default_config_static_selectorELNS0_4arch9wavefront6targetE0EEEvT1_, .Lfunc_end391-_ZN7rocprim17ROCPRIM_400000_NS6detail17trampoline_kernelINS0_14default_configENS1_20scan_config_selectorIN3c104HalfEEEZZNS1_9scan_implILNS1_25lookback_scan_determinismE0ELb0ELb0ES3_PKS6_PS6_S6_ZZZN2at6native31launch_logcumsumexp_cuda_kernelERKNSD_10TensorBaseESH_lENKUlvE_clEvENKUlvE3_clEvEUlS6_S6_E_S6_EEDaPvRmT3_T4_T5_mT6_P12ihipStream_tbENKUlT_T0_E_clISt17integral_constantIbLb1EESY_EEDaST_SU_EUlST_E0_NS1_11comp_targetILNS1_3genE2ELNS1_11target_archE906ELNS1_3gpuE6ELNS1_3repE0EEENS1_30default_config_static_selectorELNS0_4arch9wavefront6targetE0EEEvT1_
                                        ; -- End function
	.set _ZN7rocprim17ROCPRIM_400000_NS6detail17trampoline_kernelINS0_14default_configENS1_20scan_config_selectorIN3c104HalfEEEZZNS1_9scan_implILNS1_25lookback_scan_determinismE0ELb0ELb0ES3_PKS6_PS6_S6_ZZZN2at6native31launch_logcumsumexp_cuda_kernelERKNSD_10TensorBaseESH_lENKUlvE_clEvENKUlvE3_clEvEUlS6_S6_E_S6_EEDaPvRmT3_T4_T5_mT6_P12ihipStream_tbENKUlT_T0_E_clISt17integral_constantIbLb1EESY_EEDaST_SU_EUlST_E0_NS1_11comp_targetILNS1_3genE2ELNS1_11target_archE906ELNS1_3gpuE6ELNS1_3repE0EEENS1_30default_config_static_selectorELNS0_4arch9wavefront6targetE0EEEvT1_.num_vgpr, 0
	.set _ZN7rocprim17ROCPRIM_400000_NS6detail17trampoline_kernelINS0_14default_configENS1_20scan_config_selectorIN3c104HalfEEEZZNS1_9scan_implILNS1_25lookback_scan_determinismE0ELb0ELb0ES3_PKS6_PS6_S6_ZZZN2at6native31launch_logcumsumexp_cuda_kernelERKNSD_10TensorBaseESH_lENKUlvE_clEvENKUlvE3_clEvEUlS6_S6_E_S6_EEDaPvRmT3_T4_T5_mT6_P12ihipStream_tbENKUlT_T0_E_clISt17integral_constantIbLb1EESY_EEDaST_SU_EUlST_E0_NS1_11comp_targetILNS1_3genE2ELNS1_11target_archE906ELNS1_3gpuE6ELNS1_3repE0EEENS1_30default_config_static_selectorELNS0_4arch9wavefront6targetE0EEEvT1_.num_agpr, 0
	.set _ZN7rocprim17ROCPRIM_400000_NS6detail17trampoline_kernelINS0_14default_configENS1_20scan_config_selectorIN3c104HalfEEEZZNS1_9scan_implILNS1_25lookback_scan_determinismE0ELb0ELb0ES3_PKS6_PS6_S6_ZZZN2at6native31launch_logcumsumexp_cuda_kernelERKNSD_10TensorBaseESH_lENKUlvE_clEvENKUlvE3_clEvEUlS6_S6_E_S6_EEDaPvRmT3_T4_T5_mT6_P12ihipStream_tbENKUlT_T0_E_clISt17integral_constantIbLb1EESY_EEDaST_SU_EUlST_E0_NS1_11comp_targetILNS1_3genE2ELNS1_11target_archE906ELNS1_3gpuE6ELNS1_3repE0EEENS1_30default_config_static_selectorELNS0_4arch9wavefront6targetE0EEEvT1_.numbered_sgpr, 0
	.set _ZN7rocprim17ROCPRIM_400000_NS6detail17trampoline_kernelINS0_14default_configENS1_20scan_config_selectorIN3c104HalfEEEZZNS1_9scan_implILNS1_25lookback_scan_determinismE0ELb0ELb0ES3_PKS6_PS6_S6_ZZZN2at6native31launch_logcumsumexp_cuda_kernelERKNSD_10TensorBaseESH_lENKUlvE_clEvENKUlvE3_clEvEUlS6_S6_E_S6_EEDaPvRmT3_T4_T5_mT6_P12ihipStream_tbENKUlT_T0_E_clISt17integral_constantIbLb1EESY_EEDaST_SU_EUlST_E0_NS1_11comp_targetILNS1_3genE2ELNS1_11target_archE906ELNS1_3gpuE6ELNS1_3repE0EEENS1_30default_config_static_selectorELNS0_4arch9wavefront6targetE0EEEvT1_.num_named_barrier, 0
	.set _ZN7rocprim17ROCPRIM_400000_NS6detail17trampoline_kernelINS0_14default_configENS1_20scan_config_selectorIN3c104HalfEEEZZNS1_9scan_implILNS1_25lookback_scan_determinismE0ELb0ELb0ES3_PKS6_PS6_S6_ZZZN2at6native31launch_logcumsumexp_cuda_kernelERKNSD_10TensorBaseESH_lENKUlvE_clEvENKUlvE3_clEvEUlS6_S6_E_S6_EEDaPvRmT3_T4_T5_mT6_P12ihipStream_tbENKUlT_T0_E_clISt17integral_constantIbLb1EESY_EEDaST_SU_EUlST_E0_NS1_11comp_targetILNS1_3genE2ELNS1_11target_archE906ELNS1_3gpuE6ELNS1_3repE0EEENS1_30default_config_static_selectorELNS0_4arch9wavefront6targetE0EEEvT1_.private_seg_size, 0
	.set _ZN7rocprim17ROCPRIM_400000_NS6detail17trampoline_kernelINS0_14default_configENS1_20scan_config_selectorIN3c104HalfEEEZZNS1_9scan_implILNS1_25lookback_scan_determinismE0ELb0ELb0ES3_PKS6_PS6_S6_ZZZN2at6native31launch_logcumsumexp_cuda_kernelERKNSD_10TensorBaseESH_lENKUlvE_clEvENKUlvE3_clEvEUlS6_S6_E_S6_EEDaPvRmT3_T4_T5_mT6_P12ihipStream_tbENKUlT_T0_E_clISt17integral_constantIbLb1EESY_EEDaST_SU_EUlST_E0_NS1_11comp_targetILNS1_3genE2ELNS1_11target_archE906ELNS1_3gpuE6ELNS1_3repE0EEENS1_30default_config_static_selectorELNS0_4arch9wavefront6targetE0EEEvT1_.uses_vcc, 0
	.set _ZN7rocprim17ROCPRIM_400000_NS6detail17trampoline_kernelINS0_14default_configENS1_20scan_config_selectorIN3c104HalfEEEZZNS1_9scan_implILNS1_25lookback_scan_determinismE0ELb0ELb0ES3_PKS6_PS6_S6_ZZZN2at6native31launch_logcumsumexp_cuda_kernelERKNSD_10TensorBaseESH_lENKUlvE_clEvENKUlvE3_clEvEUlS6_S6_E_S6_EEDaPvRmT3_T4_T5_mT6_P12ihipStream_tbENKUlT_T0_E_clISt17integral_constantIbLb1EESY_EEDaST_SU_EUlST_E0_NS1_11comp_targetILNS1_3genE2ELNS1_11target_archE906ELNS1_3gpuE6ELNS1_3repE0EEENS1_30default_config_static_selectorELNS0_4arch9wavefront6targetE0EEEvT1_.uses_flat_scratch, 0
	.set _ZN7rocprim17ROCPRIM_400000_NS6detail17trampoline_kernelINS0_14default_configENS1_20scan_config_selectorIN3c104HalfEEEZZNS1_9scan_implILNS1_25lookback_scan_determinismE0ELb0ELb0ES3_PKS6_PS6_S6_ZZZN2at6native31launch_logcumsumexp_cuda_kernelERKNSD_10TensorBaseESH_lENKUlvE_clEvENKUlvE3_clEvEUlS6_S6_E_S6_EEDaPvRmT3_T4_T5_mT6_P12ihipStream_tbENKUlT_T0_E_clISt17integral_constantIbLb1EESY_EEDaST_SU_EUlST_E0_NS1_11comp_targetILNS1_3genE2ELNS1_11target_archE906ELNS1_3gpuE6ELNS1_3repE0EEENS1_30default_config_static_selectorELNS0_4arch9wavefront6targetE0EEEvT1_.has_dyn_sized_stack, 0
	.set _ZN7rocprim17ROCPRIM_400000_NS6detail17trampoline_kernelINS0_14default_configENS1_20scan_config_selectorIN3c104HalfEEEZZNS1_9scan_implILNS1_25lookback_scan_determinismE0ELb0ELb0ES3_PKS6_PS6_S6_ZZZN2at6native31launch_logcumsumexp_cuda_kernelERKNSD_10TensorBaseESH_lENKUlvE_clEvENKUlvE3_clEvEUlS6_S6_E_S6_EEDaPvRmT3_T4_T5_mT6_P12ihipStream_tbENKUlT_T0_E_clISt17integral_constantIbLb1EESY_EEDaST_SU_EUlST_E0_NS1_11comp_targetILNS1_3genE2ELNS1_11target_archE906ELNS1_3gpuE6ELNS1_3repE0EEENS1_30default_config_static_selectorELNS0_4arch9wavefront6targetE0EEEvT1_.has_recursion, 0
	.set _ZN7rocprim17ROCPRIM_400000_NS6detail17trampoline_kernelINS0_14default_configENS1_20scan_config_selectorIN3c104HalfEEEZZNS1_9scan_implILNS1_25lookback_scan_determinismE0ELb0ELb0ES3_PKS6_PS6_S6_ZZZN2at6native31launch_logcumsumexp_cuda_kernelERKNSD_10TensorBaseESH_lENKUlvE_clEvENKUlvE3_clEvEUlS6_S6_E_S6_EEDaPvRmT3_T4_T5_mT6_P12ihipStream_tbENKUlT_T0_E_clISt17integral_constantIbLb1EESY_EEDaST_SU_EUlST_E0_NS1_11comp_targetILNS1_3genE2ELNS1_11target_archE906ELNS1_3gpuE6ELNS1_3repE0EEENS1_30default_config_static_selectorELNS0_4arch9wavefront6targetE0EEEvT1_.has_indirect_call, 0
	.section	.AMDGPU.csdata,"",@progbits
; Kernel info:
; codeLenInByte = 0
; TotalNumSgprs: 0
; NumVgprs: 0
; ScratchSize: 0
; MemoryBound: 0
; FloatMode: 240
; IeeeMode: 1
; LDSByteSize: 0 bytes/workgroup (compile time only)
; SGPRBlocks: 0
; VGPRBlocks: 0
; NumSGPRsForWavesPerEU: 1
; NumVGPRsForWavesPerEU: 1
; Occupancy: 16
; WaveLimiterHint : 0
; COMPUTE_PGM_RSRC2:SCRATCH_EN: 0
; COMPUTE_PGM_RSRC2:USER_SGPR: 2
; COMPUTE_PGM_RSRC2:TRAP_HANDLER: 0
; COMPUTE_PGM_RSRC2:TGID_X_EN: 1
; COMPUTE_PGM_RSRC2:TGID_Y_EN: 0
; COMPUTE_PGM_RSRC2:TGID_Z_EN: 0
; COMPUTE_PGM_RSRC2:TIDIG_COMP_CNT: 0
	.section	.text._ZN7rocprim17ROCPRIM_400000_NS6detail17trampoline_kernelINS0_14default_configENS1_20scan_config_selectorIN3c104HalfEEEZZNS1_9scan_implILNS1_25lookback_scan_determinismE0ELb0ELb0ES3_PKS6_PS6_S6_ZZZN2at6native31launch_logcumsumexp_cuda_kernelERKNSD_10TensorBaseESH_lENKUlvE_clEvENKUlvE3_clEvEUlS6_S6_E_S6_EEDaPvRmT3_T4_T5_mT6_P12ihipStream_tbENKUlT_T0_E_clISt17integral_constantIbLb1EESY_EEDaST_SU_EUlST_E0_NS1_11comp_targetILNS1_3genE10ELNS1_11target_archE1201ELNS1_3gpuE5ELNS1_3repE0EEENS1_30default_config_static_selectorELNS0_4arch9wavefront6targetE0EEEvT1_,"axG",@progbits,_ZN7rocprim17ROCPRIM_400000_NS6detail17trampoline_kernelINS0_14default_configENS1_20scan_config_selectorIN3c104HalfEEEZZNS1_9scan_implILNS1_25lookback_scan_determinismE0ELb0ELb0ES3_PKS6_PS6_S6_ZZZN2at6native31launch_logcumsumexp_cuda_kernelERKNSD_10TensorBaseESH_lENKUlvE_clEvENKUlvE3_clEvEUlS6_S6_E_S6_EEDaPvRmT3_T4_T5_mT6_P12ihipStream_tbENKUlT_T0_E_clISt17integral_constantIbLb1EESY_EEDaST_SU_EUlST_E0_NS1_11comp_targetILNS1_3genE10ELNS1_11target_archE1201ELNS1_3gpuE5ELNS1_3repE0EEENS1_30default_config_static_selectorELNS0_4arch9wavefront6targetE0EEEvT1_,comdat
	.globl	_ZN7rocprim17ROCPRIM_400000_NS6detail17trampoline_kernelINS0_14default_configENS1_20scan_config_selectorIN3c104HalfEEEZZNS1_9scan_implILNS1_25lookback_scan_determinismE0ELb0ELb0ES3_PKS6_PS6_S6_ZZZN2at6native31launch_logcumsumexp_cuda_kernelERKNSD_10TensorBaseESH_lENKUlvE_clEvENKUlvE3_clEvEUlS6_S6_E_S6_EEDaPvRmT3_T4_T5_mT6_P12ihipStream_tbENKUlT_T0_E_clISt17integral_constantIbLb1EESY_EEDaST_SU_EUlST_E0_NS1_11comp_targetILNS1_3genE10ELNS1_11target_archE1201ELNS1_3gpuE5ELNS1_3repE0EEENS1_30default_config_static_selectorELNS0_4arch9wavefront6targetE0EEEvT1_ ; -- Begin function _ZN7rocprim17ROCPRIM_400000_NS6detail17trampoline_kernelINS0_14default_configENS1_20scan_config_selectorIN3c104HalfEEEZZNS1_9scan_implILNS1_25lookback_scan_determinismE0ELb0ELb0ES3_PKS6_PS6_S6_ZZZN2at6native31launch_logcumsumexp_cuda_kernelERKNSD_10TensorBaseESH_lENKUlvE_clEvENKUlvE3_clEvEUlS6_S6_E_S6_EEDaPvRmT3_T4_T5_mT6_P12ihipStream_tbENKUlT_T0_E_clISt17integral_constantIbLb1EESY_EEDaST_SU_EUlST_E0_NS1_11comp_targetILNS1_3genE10ELNS1_11target_archE1201ELNS1_3gpuE5ELNS1_3repE0EEENS1_30default_config_static_selectorELNS0_4arch9wavefront6targetE0EEEvT1_
	.p2align	8
	.type	_ZN7rocprim17ROCPRIM_400000_NS6detail17trampoline_kernelINS0_14default_configENS1_20scan_config_selectorIN3c104HalfEEEZZNS1_9scan_implILNS1_25lookback_scan_determinismE0ELb0ELb0ES3_PKS6_PS6_S6_ZZZN2at6native31launch_logcumsumexp_cuda_kernelERKNSD_10TensorBaseESH_lENKUlvE_clEvENKUlvE3_clEvEUlS6_S6_E_S6_EEDaPvRmT3_T4_T5_mT6_P12ihipStream_tbENKUlT_T0_E_clISt17integral_constantIbLb1EESY_EEDaST_SU_EUlST_E0_NS1_11comp_targetILNS1_3genE10ELNS1_11target_archE1201ELNS1_3gpuE5ELNS1_3repE0EEENS1_30default_config_static_selectorELNS0_4arch9wavefront6targetE0EEEvT1_,@function
_ZN7rocprim17ROCPRIM_400000_NS6detail17trampoline_kernelINS0_14default_configENS1_20scan_config_selectorIN3c104HalfEEEZZNS1_9scan_implILNS1_25lookback_scan_determinismE0ELb0ELb0ES3_PKS6_PS6_S6_ZZZN2at6native31launch_logcumsumexp_cuda_kernelERKNSD_10TensorBaseESH_lENKUlvE_clEvENKUlvE3_clEvEUlS6_S6_E_S6_EEDaPvRmT3_T4_T5_mT6_P12ihipStream_tbENKUlT_T0_E_clISt17integral_constantIbLb1EESY_EEDaST_SU_EUlST_E0_NS1_11comp_targetILNS1_3genE10ELNS1_11target_archE1201ELNS1_3gpuE5ELNS1_3repE0EEENS1_30default_config_static_selectorELNS0_4arch9wavefront6targetE0EEEvT1_: ; @_ZN7rocprim17ROCPRIM_400000_NS6detail17trampoline_kernelINS0_14default_configENS1_20scan_config_selectorIN3c104HalfEEEZZNS1_9scan_implILNS1_25lookback_scan_determinismE0ELb0ELb0ES3_PKS6_PS6_S6_ZZZN2at6native31launch_logcumsumexp_cuda_kernelERKNSD_10TensorBaseESH_lENKUlvE_clEvENKUlvE3_clEvEUlS6_S6_E_S6_EEDaPvRmT3_T4_T5_mT6_P12ihipStream_tbENKUlT_T0_E_clISt17integral_constantIbLb1EESY_EEDaST_SU_EUlST_E0_NS1_11comp_targetILNS1_3genE10ELNS1_11target_archE1201ELNS1_3gpuE5ELNS1_3repE0EEENS1_30default_config_static_selectorELNS0_4arch9wavefront6targetE0EEEvT1_
; %bb.0:
	s_load_b128 s[16:19], s[0:1], 0x0
	v_mov_b32_e32 v1, 0
	s_wait_kmcnt 0x0
	global_load_u16 v1, v1, s[16:17]
	v_cmp_gt_u32_e32 vcc_lo, s18, v0
	s_wait_loadcnt 0x0
	v_dual_mov_b32 v2, v1 :: v_dual_lshlrev_b32 v7, 1, v0
	s_and_saveexec_b32 s2, vcc_lo
	s_cbranch_execz .LBB392_2
; %bb.1:
	global_load_u16 v2, v7, s[16:17]
.LBB392_2:
	s_or_b32 exec_lo, exec_lo, s2
	v_or_b32_e32 v3, 0x100, v0
	s_delay_alu instid0(VALU_DEP_1)
	v_cmp_gt_u32_e64 s2, s18, v3
	v_mov_b32_e32 v3, v1
	s_and_saveexec_b32 s3, s2
	s_cbranch_execz .LBB392_4
; %bb.3:
	global_load_u16 v3, v7, s[16:17] offset:512
.LBB392_4:
	s_or_b32 exec_lo, exec_lo, s3
	v_or_b32_e32 v4, 0x200, v0
	s_delay_alu instid0(VALU_DEP_1)
	v_cmp_gt_u32_e64 s3, s18, v4
	v_mov_b32_e32 v4, v1
	s_and_saveexec_b32 s4, s3
	s_cbranch_execz .LBB392_6
; %bb.5:
	global_load_u16 v4, v7, s[16:17] offset:1024
.LBB392_6:
	;; [unrolled: 10-line block ×10, first 2 shown]
	s_or_b32 exec_lo, exec_lo, s12
	v_or_b32_e32 v14, 0xb00, v0
	s_delay_alu instid0(VALU_DEP_1) | instskip(SKIP_2) | instid1(SALU_CYCLE_1)
	v_cmp_gt_u32_e64 s12, s18, v14
	v_cmp_le_u32_e64 s13, s18, v14
	s_and_saveexec_b32 s14, s13
	s_xor_b32 s13, exec_lo, s14
	s_delay_alu instid0(SALU_CYCLE_1)
	s_and_not1_saveexec_b32 s13, s13
	s_cbranch_execz .LBB392_24
; %bb.23:
	v_lshlrev_b32_e32 v1, 1, v0
	global_load_u16 v1, v1, s[16:17] offset:5632
.LBB392_24:
	s_or_b32 exec_lo, exec_lo, s13
	s_wait_loadcnt 0x0
	ds_store_b16 v7, v2
	ds_store_b16 v7, v3 offset:512
	ds_store_b16 v7, v4 offset:1024
	;; [unrolled: 1-line block ×11, first 2 shown]
	v_mad_u32_u24 v5, v0, 22, v7
	s_wait_dscnt 0x0
	s_barrier_signal -1
	s_barrier_wait -1
	global_inv scope:SCOPE_SE
	ds_load_2addr_b64 v[1:4], v5 offset1:1
	ds_load_b64 v[5:6], v5 offset:16
	s_wait_loadcnt_dscnt 0x0
	s_barrier_signal -1
	s_barrier_wait -1
	global_inv scope:SCOPE_SE
	v_lshrrev_b32_e32 v10, 16, v1
	v_cvt_f32_f16_e32 v8, v1
	v_cmp_u_f16_e64 s24, v1, v1
	v_dual_mov_b32 v17, v1 :: v_dual_mov_b32 v18, v1
	s_delay_alu instid0(VALU_DEP_4) | instskip(SKIP_2) | instid1(VALU_DEP_3)
	v_cvt_f32_f16_e32 v9, v10
	v_cmp_u_f16_e64 s13, v10, v10
	v_mov_b32_e32 v19, v8
	v_min_num_f32_e32 v15, v8, v9
	v_max_num_f32_e32 v16, v8, v9
	s_delay_alu instid0(VALU_DEP_2) | instskip(NEXT) | instid1(VALU_DEP_2)
	v_cndmask_b32_e64 v11, v15, v8, s24
	v_cndmask_b32_e64 v12, v16, v8, s24
	s_delay_alu instid0(VALU_DEP_2) | instskip(NEXT) | instid1(VALU_DEP_2)
	v_cndmask_b32_e64 v11, v11, v9, s13
	v_cndmask_b32_e64 v10, v12, v9, s13
	s_delay_alu instid0(VALU_DEP_2) | instskip(NEXT) | instid1(VALU_DEP_2)
	v_cmp_class_f32_e64 s15, v11, 0x1f8
	v_cmp_neq_f32_e64 s14, v11, v10
	s_or_b32 s14, s14, s15
	s_delay_alu instid0(SALU_CYCLE_1)
	s_and_saveexec_b32 s15, s14
	s_cbranch_execz .LBB392_26
; %bb.25:
	v_sub_f32_e32 v11, v11, v10
	s_delay_alu instid0(VALU_DEP_1) | instskip(NEXT) | instid1(VALU_DEP_1)
	v_mul_f32_e32 v12, 0x3fb8aa3b, v11
	v_fma_f32 v13, 0x3fb8aa3b, v11, -v12
	v_rndne_f32_e32 v14, v12
	s_delay_alu instid0(VALU_DEP_1) | instskip(NEXT) | instid1(VALU_DEP_1)
	v_dual_fmamk_f32 v13, v11, 0x32a5705f, v13 :: v_dual_sub_f32 v12, v12, v14
	v_add_f32_e32 v12, v12, v13
	v_cvt_i32_f32_e32 v13, v14
	v_cmp_ngt_f32_e64 s14, 0xc2ce8ed0, v11
	s_delay_alu instid0(VALU_DEP_3) | instskip(NEXT) | instid1(TRANS32_DEP_1)
	v_exp_f32_e32 v12, v12
	v_ldexp_f32 v12, v12, v13
	s_delay_alu instid0(VALU_DEP_1) | instskip(SKIP_2) | instid1(VALU_DEP_1)
	v_cndmask_b32_e64 v12, 0, v12, s14
	v_cmp_nlt_f32_e64 s14, 0x42b17218, v11
	s_wait_alu 0xf1ff
	v_cndmask_b32_e64 v13, 0x7f800000, v12, s14
	s_delay_alu instid0(VALU_DEP_1) | instskip(NEXT) | instid1(VALU_DEP_1)
	v_add_f32_e32 v14, 1.0, v13
	v_cvt_f64_f32_e32 v[11:12], v14
	s_delay_alu instid0(VALU_DEP_1) | instskip(SKIP_1) | instid1(VALU_DEP_1)
	v_frexp_exp_i32_f64_e32 v11, v[11:12]
	v_frexp_mant_f32_e32 v12, v14
	v_cmp_gt_f32_e64 s14, 0x3f2aaaab, v12
	v_add_f32_e32 v12, -1.0, v14
	s_delay_alu instid0(VALU_DEP_1) | instskip(NEXT) | instid1(VALU_DEP_1)
	v_sub_f32_e32 v18, v12, v14
	v_add_f32_e32 v18, 1.0, v18
	s_wait_alu 0xf1ff
	v_subrev_co_ci_u32_e64 v11, null, 0, v11, s14
	s_mov_b32 s14, 0x3e9b6dac
	v_sub_nc_u32_e32 v17, 0, v11
	v_cvt_f32_i32_e32 v11, v11
	s_delay_alu instid0(VALU_DEP_2) | instskip(NEXT) | instid1(VALU_DEP_1)
	v_ldexp_f32 v14, v14, v17
	v_dual_sub_f32 v12, v13, v12 :: v_dual_add_f32 v19, 1.0, v14
	s_delay_alu instid0(VALU_DEP_1) | instskip(NEXT) | instid1(VALU_DEP_2)
	v_add_f32_e32 v12, v12, v18
	v_add_f32_e32 v18, -1.0, v19
	s_delay_alu instid0(VALU_DEP_2) | instskip(SKIP_1) | instid1(VALU_DEP_3)
	v_ldexp_f32 v12, v12, v17
	v_add_f32_e32 v17, -1.0, v14
	v_sub_f32_e32 v18, v14, v18
	s_delay_alu instid0(VALU_DEP_2) | instskip(NEXT) | instid1(VALU_DEP_2)
	v_add_f32_e32 v20, 1.0, v17
	v_add_f32_e32 v18, v12, v18
	s_delay_alu instid0(VALU_DEP_2) | instskip(NEXT) | instid1(VALU_DEP_2)
	v_sub_f32_e32 v14, v14, v20
	v_add_f32_e32 v20, v19, v18
	s_delay_alu instid0(VALU_DEP_2) | instskip(NEXT) | instid1(VALU_DEP_2)
	v_add_f32_e32 v12, v12, v14
	v_rcp_f32_e32 v14, v20
	v_sub_f32_e32 v19, v19, v20
	s_delay_alu instid0(VALU_DEP_1) | instskip(NEXT) | instid1(VALU_DEP_1)
	v_dual_add_f32 v21, v17, v12 :: v_dual_add_f32 v18, v18, v19
	v_sub_f32_e32 v17, v17, v21
	s_delay_alu instid0(TRANS32_DEP_1) | instskip(NEXT) | instid1(VALU_DEP_2)
	v_mul_f32_e32 v22, v21, v14
	v_add_f32_e32 v12, v12, v17
	s_delay_alu instid0(VALU_DEP_2) | instskip(NEXT) | instid1(VALU_DEP_1)
	v_mul_f32_e32 v23, v20, v22
	v_fma_f32 v19, v22, v20, -v23
	s_delay_alu instid0(VALU_DEP_1) | instskip(NEXT) | instid1(VALU_DEP_1)
	v_fmac_f32_e32 v19, v22, v18
	v_add_f32_e32 v24, v23, v19
	s_delay_alu instid0(VALU_DEP_1) | instskip(SKIP_1) | instid1(VALU_DEP_2)
	v_sub_f32_e32 v25, v21, v24
	v_sub_f32_e32 v17, v24, v23
	v_sub_f32_e32 v21, v21, v25
	s_delay_alu instid0(VALU_DEP_2) | instskip(NEXT) | instid1(VALU_DEP_2)
	v_sub_f32_e32 v17, v17, v19
	v_sub_f32_e32 v21, v21, v24
	s_delay_alu instid0(VALU_DEP_1) | instskip(NEXT) | instid1(VALU_DEP_1)
	v_add_f32_e32 v12, v12, v21
	v_add_f32_e32 v12, v17, v12
	s_delay_alu instid0(VALU_DEP_1) | instskip(NEXT) | instid1(VALU_DEP_1)
	v_add_f32_e32 v17, v25, v12
	v_mul_f32_e32 v19, v14, v17
	s_delay_alu instid0(VALU_DEP_1) | instskip(NEXT) | instid1(VALU_DEP_1)
	v_dual_sub_f32 v24, v25, v17 :: v_dual_mul_f32 v21, v20, v19
	v_fma_f32 v20, v19, v20, -v21
	s_delay_alu instid0(VALU_DEP_1) | instskip(NEXT) | instid1(VALU_DEP_1)
	v_fmac_f32_e32 v20, v19, v18
	v_add_f32_e32 v18, v21, v20
	s_delay_alu instid0(VALU_DEP_1) | instskip(SKIP_1) | instid1(VALU_DEP_2)
	v_sub_f32_e32 v23, v17, v18
	v_dual_sub_f32 v21, v18, v21 :: v_dual_add_f32 v12, v12, v24
	v_sub_f32_e32 v17, v17, v23
	s_delay_alu instid0(VALU_DEP_1) | instskip(NEXT) | instid1(VALU_DEP_1)
	v_sub_f32_e32 v17, v17, v18
	v_dual_add_f32 v12, v12, v17 :: v_dual_add_f32 v17, v22, v19
	s_delay_alu instid0(VALU_DEP_4) | instskip(NEXT) | instid1(VALU_DEP_1)
	v_sub_f32_e32 v18, v21, v20
	v_add_f32_e32 v12, v18, v12
	s_delay_alu instid0(VALU_DEP_3) | instskip(NEXT) | instid1(VALU_DEP_2)
	v_sub_f32_e32 v18, v17, v22
	v_add_f32_e32 v12, v23, v12
	s_delay_alu instid0(VALU_DEP_2) | instskip(NEXT) | instid1(VALU_DEP_2)
	v_sub_f32_e32 v18, v19, v18
	v_mul_f32_e32 v12, v14, v12
	s_delay_alu instid0(VALU_DEP_1) | instskip(NEXT) | instid1(VALU_DEP_1)
	v_add_f32_e32 v12, v18, v12
	v_add_f32_e32 v14, v17, v12
	s_delay_alu instid0(VALU_DEP_1) | instskip(SKIP_1) | instid1(VALU_DEP_1)
	v_mul_f32_e32 v18, v14, v14
	s_wait_alu 0xfffe
	v_fmaak_f32 v19, s14, v18, 0x3ecc95a3
	v_mul_f32_e32 v20, v14, v18
	v_cmp_neq_f32_e64 s14, 0x7f800000, v13
	s_delay_alu instid0(VALU_DEP_3) | instskip(SKIP_2) | instid1(VALU_DEP_3)
	v_fmaak_f32 v18, v18, v19, 0x3f2aaada
	v_ldexp_f32 v19, v14, 1
	v_sub_f32_e32 v14, v14, v17
	v_mul_f32_e32 v18, v20, v18
	v_mul_f32_e32 v20, 0x3f317218, v11
	s_delay_alu instid0(VALU_DEP_3) | instskip(NEXT) | instid1(VALU_DEP_3)
	v_sub_f32_e32 v12, v12, v14
	v_add_f32_e32 v17, v19, v18
	s_delay_alu instid0(VALU_DEP_2) | instskip(NEXT) | instid1(VALU_DEP_2)
	v_ldexp_f32 v12, v12, 1
	v_sub_f32_e32 v14, v17, v19
	v_fma_f32 v19, 0x3f317218, v11, -v20
	s_delay_alu instid0(VALU_DEP_1) | instskip(NEXT) | instid1(VALU_DEP_1)
	v_dual_sub_f32 v14, v18, v14 :: v_dual_fmamk_f32 v11, v11, 0xb102e308, v19
	v_add_f32_e32 v12, v12, v14
	s_delay_alu instid0(VALU_DEP_2) | instskip(NEXT) | instid1(VALU_DEP_2)
	v_add_f32_e32 v14, v20, v11
	v_add_f32_e32 v18, v17, v12
	s_delay_alu instid0(VALU_DEP_2) | instskip(NEXT) | instid1(VALU_DEP_2)
	v_sub_f32_e32 v20, v14, v20
	v_add_f32_e32 v19, v14, v18
	v_sub_f32_e32 v17, v18, v17
	s_delay_alu instid0(VALU_DEP_3) | instskip(NEXT) | instid1(VALU_DEP_2)
	v_sub_f32_e32 v11, v11, v20
	v_dual_sub_f32 v21, v19, v14 :: v_dual_sub_f32 v12, v12, v17
	s_delay_alu instid0(VALU_DEP_1) | instskip(NEXT) | instid1(VALU_DEP_2)
	v_sub_f32_e32 v22, v19, v21
	v_dual_sub_f32 v17, v18, v21 :: v_dual_add_f32 v18, v11, v12
	s_delay_alu instid0(VALU_DEP_2) | instskip(NEXT) | instid1(VALU_DEP_1)
	v_sub_f32_e32 v14, v14, v22
	v_dual_add_f32 v14, v17, v14 :: v_dual_sub_f32 v17, v18, v11
	s_delay_alu instid0(VALU_DEP_1) | instskip(NEXT) | instid1(VALU_DEP_2)
	v_add_f32_e32 v14, v18, v14
	v_sub_f32_e32 v18, v18, v17
	v_sub_f32_e32 v12, v12, v17
	s_delay_alu instid0(VALU_DEP_3) | instskip(NEXT) | instid1(VALU_DEP_3)
	v_add_f32_e32 v20, v19, v14
	v_sub_f32_e32 v11, v11, v18
	s_delay_alu instid0(VALU_DEP_2) | instskip(NEXT) | instid1(VALU_DEP_1)
	v_sub_f32_e32 v17, v20, v19
	v_dual_add_f32 v11, v12, v11 :: v_dual_sub_f32 v12, v14, v17
	s_delay_alu instid0(VALU_DEP_1) | instskip(NEXT) | instid1(VALU_DEP_1)
	v_add_f32_e32 v11, v11, v12
	v_add_f32_e32 v11, v20, v11
	s_wait_alu 0xf1ff
	s_delay_alu instid0(VALU_DEP_1) | instskip(SKIP_2) | instid1(VALU_DEP_1)
	v_cndmask_b32_e64 v11, 0x7f800000, v11, s14
	v_cmp_gt_f32_e64 s14, 0x33800000, |v13|
	s_wait_alu 0xf1ff
	v_cndmask_b32_e64 v11, v11, v13, s14
	s_delay_alu instid0(VALU_DEP_1) | instskip(NEXT) | instid1(VALU_DEP_1)
	v_add_f32_e32 v10, v10, v11
	v_cvt_f16_f32_e32 v17, v10
	s_delay_alu instid0(VALU_DEP_1)
	v_cvt_f32_f16_e32 v19, v17
	v_mov_b32_e32 v18, v17
.LBB392_26:
	s_or_b32 exec_lo, exec_lo, s15
	v_cvt_f32_f16_e32 v10, v2
	s_delay_alu instid0(VALU_DEP_3) | instskip(SKIP_1) | instid1(VALU_DEP_2)
	v_max_num_f32_e32 v11, v19, v19
	v_cmp_u_f16_e64 s14, v17, v17
	v_min_num_f32_e32 v12, v11, v10
	v_max_num_f32_e32 v11, v11, v10
	s_wait_alu 0xf1ff
	s_delay_alu instid0(VALU_DEP_2) | instskip(NEXT) | instid1(VALU_DEP_2)
	v_cndmask_b32_e64 v12, v12, v19, s14
	v_cndmask_b32_e64 v11, v11, v19, s14
	v_cmp_u_f16_e64 s14, v2, v2
	s_wait_alu 0xf1ff
	s_delay_alu instid0(VALU_DEP_1) | instskip(NEXT) | instid1(VALU_DEP_3)
	v_cndmask_b32_e64 v12, v12, v10, s14
	v_cndmask_b32_e64 v11, v11, v10, s14
	s_delay_alu instid0(VALU_DEP_2) | instskip(NEXT) | instid1(VALU_DEP_2)
	v_cmp_class_f32_e64 s16, v12, 0x1f8
	v_cmp_neq_f32_e64 s15, v12, v11
	s_or_b32 s15, s15, s16
	s_wait_alu 0xfffe
	s_and_saveexec_b32 s16, s15
	s_cbranch_execz .LBB392_28
; %bb.27:
	v_sub_f32_e32 v12, v12, v11
	s_delay_alu instid0(VALU_DEP_1) | instskip(NEXT) | instid1(VALU_DEP_1)
	v_mul_f32_e32 v13, 0x3fb8aa3b, v12
	v_fma_f32 v14, 0x3fb8aa3b, v12, -v13
	v_rndne_f32_e32 v17, v13
	s_delay_alu instid0(VALU_DEP_1) | instskip(SKIP_1) | instid1(VALU_DEP_2)
	v_dual_sub_f32 v13, v13, v17 :: v_dual_fmamk_f32 v14, v12, 0x32a5705f, v14
	v_cmp_ngt_f32_e64 s15, 0xc2ce8ed0, v12
	v_add_f32_e32 v13, v13, v14
	v_cvt_i32_f32_e32 v14, v17
	s_delay_alu instid0(VALU_DEP_2) | instskip(NEXT) | instid1(TRANS32_DEP_1)
	v_exp_f32_e32 v13, v13
	v_ldexp_f32 v13, v13, v14
	s_wait_alu 0xf1ff
	s_delay_alu instid0(VALU_DEP_1) | instskip(SKIP_2) | instid1(VALU_DEP_1)
	v_cndmask_b32_e64 v13, 0, v13, s15
	v_cmp_nlt_f32_e64 s15, 0x42b17218, v12
	s_wait_alu 0xf1ff
	v_cndmask_b32_e64 v14, 0x7f800000, v13, s15
	s_delay_alu instid0(VALU_DEP_1) | instskip(NEXT) | instid1(VALU_DEP_1)
	v_add_f32_e32 v17, 1.0, v14
	v_cvt_f64_f32_e32 v[12:13], v17
	s_delay_alu instid0(VALU_DEP_1) | instskip(SKIP_1) | instid1(VALU_DEP_1)
	v_frexp_exp_i32_f64_e32 v12, v[12:13]
	v_frexp_mant_f32_e32 v13, v17
	v_cmp_gt_f32_e64 s15, 0x3f2aaaab, v13
	v_add_f32_e32 v13, -1.0, v17
	s_delay_alu instid0(VALU_DEP_1)
	v_sub_f32_e32 v19, v13, v17
	v_sub_f32_e32 v13, v14, v13
	s_wait_alu 0xf1ff
	v_subrev_co_ci_u32_e64 v12, null, 0, v12, s15
	s_mov_b32 s15, 0x3e9b6dac
	v_sub_nc_u32_e32 v18, 0, v12
	v_cvt_f32_i32_e32 v12, v12
	s_delay_alu instid0(VALU_DEP_2) | instskip(NEXT) | instid1(VALU_DEP_1)
	v_ldexp_f32 v17, v17, v18
	v_dual_add_f32 v20, 1.0, v17 :: v_dual_add_f32 v19, 1.0, v19
	s_delay_alu instid0(VALU_DEP_1) | instskip(NEXT) | instid1(VALU_DEP_2)
	v_add_f32_e32 v13, v13, v19
	v_add_f32_e32 v19, -1.0, v20
	s_delay_alu instid0(VALU_DEP_2) | instskip(NEXT) | instid1(VALU_DEP_2)
	v_ldexp_f32 v13, v13, v18
	v_dual_add_f32 v18, -1.0, v17 :: v_dual_sub_f32 v19, v17, v19
	s_delay_alu instid0(VALU_DEP_1) | instskip(NEXT) | instid1(VALU_DEP_2)
	v_add_f32_e32 v21, 1.0, v18
	v_add_f32_e32 v19, v13, v19
	s_delay_alu instid0(VALU_DEP_2) | instskip(NEXT) | instid1(VALU_DEP_2)
	v_sub_f32_e32 v17, v17, v21
	v_add_f32_e32 v21, v20, v19
	s_delay_alu instid0(VALU_DEP_2) | instskip(NEXT) | instid1(VALU_DEP_2)
	v_add_f32_e32 v13, v13, v17
	v_rcp_f32_e32 v17, v21
	v_sub_f32_e32 v20, v20, v21
	s_delay_alu instid0(VALU_DEP_1) | instskip(NEXT) | instid1(VALU_DEP_1)
	v_dual_add_f32 v22, v18, v13 :: v_dual_add_f32 v19, v19, v20
	v_sub_f32_e32 v18, v18, v22
	s_delay_alu instid0(TRANS32_DEP_1) | instskip(NEXT) | instid1(VALU_DEP_2)
	v_mul_f32_e32 v23, v22, v17
	v_add_f32_e32 v13, v13, v18
	s_delay_alu instid0(VALU_DEP_2) | instskip(NEXT) | instid1(VALU_DEP_1)
	v_mul_f32_e32 v24, v21, v23
	v_fma_f32 v20, v23, v21, -v24
	s_delay_alu instid0(VALU_DEP_1) | instskip(NEXT) | instid1(VALU_DEP_1)
	v_fmac_f32_e32 v20, v23, v19
	v_add_f32_e32 v25, v24, v20
	s_delay_alu instid0(VALU_DEP_1) | instskip(SKIP_1) | instid1(VALU_DEP_2)
	v_sub_f32_e32 v26, v22, v25
	v_sub_f32_e32 v18, v25, v24
	;; [unrolled: 1-line block ×3, first 2 shown]
	s_delay_alu instid0(VALU_DEP_2) | instskip(NEXT) | instid1(VALU_DEP_2)
	v_sub_f32_e32 v18, v18, v20
	v_sub_f32_e32 v22, v22, v25
	s_delay_alu instid0(VALU_DEP_1) | instskip(NEXT) | instid1(VALU_DEP_1)
	v_add_f32_e32 v13, v13, v22
	v_add_f32_e32 v13, v18, v13
	s_delay_alu instid0(VALU_DEP_1) | instskip(NEXT) | instid1(VALU_DEP_1)
	v_add_f32_e32 v18, v26, v13
	v_mul_f32_e32 v20, v17, v18
	s_delay_alu instid0(VALU_DEP_1) | instskip(NEXT) | instid1(VALU_DEP_1)
	v_dual_sub_f32 v25, v26, v18 :: v_dual_mul_f32 v22, v21, v20
	v_add_f32_e32 v13, v13, v25
	s_delay_alu instid0(VALU_DEP_2) | instskip(NEXT) | instid1(VALU_DEP_1)
	v_fma_f32 v21, v20, v21, -v22
	v_fmac_f32_e32 v21, v20, v19
	s_delay_alu instid0(VALU_DEP_1) | instskip(NEXT) | instid1(VALU_DEP_1)
	v_add_f32_e32 v19, v22, v21
	v_sub_f32_e32 v24, v18, v19
	v_sub_f32_e32 v22, v19, v22
	s_delay_alu instid0(VALU_DEP_2) | instskip(NEXT) | instid1(VALU_DEP_1)
	v_sub_f32_e32 v18, v18, v24
	v_sub_f32_e32 v18, v18, v19
	s_delay_alu instid0(VALU_DEP_3) | instskip(NEXT) | instid1(VALU_DEP_2)
	v_sub_f32_e32 v19, v22, v21
	v_dual_add_f32 v13, v13, v18 :: v_dual_add_f32 v18, v23, v20
	s_delay_alu instid0(VALU_DEP_1) | instskip(NEXT) | instid1(VALU_DEP_2)
	v_add_f32_e32 v13, v19, v13
	v_sub_f32_e32 v19, v18, v23
	s_delay_alu instid0(VALU_DEP_2) | instskip(NEXT) | instid1(VALU_DEP_2)
	v_add_f32_e32 v13, v24, v13
	v_sub_f32_e32 v19, v20, v19
	s_delay_alu instid0(VALU_DEP_2) | instskip(NEXT) | instid1(VALU_DEP_1)
	v_mul_f32_e32 v13, v17, v13
	v_add_f32_e32 v13, v19, v13
	s_delay_alu instid0(VALU_DEP_1) | instskip(NEXT) | instid1(VALU_DEP_1)
	v_add_f32_e32 v17, v18, v13
	v_mul_f32_e32 v19, v17, v17
	s_wait_alu 0xfffe
	s_delay_alu instid0(VALU_DEP_1) | instskip(SKIP_2) | instid1(VALU_DEP_3)
	v_fmaak_f32 v20, s15, v19, 0x3ecc95a3
	v_mul_f32_e32 v21, v17, v19
	v_cmp_neq_f32_e64 s15, 0x7f800000, v14
	v_fmaak_f32 v19, v19, v20, 0x3f2aaada
	v_ldexp_f32 v20, v17, 1
	v_sub_f32_e32 v17, v17, v18
	s_delay_alu instid0(VALU_DEP_3) | instskip(SKIP_1) | instid1(VALU_DEP_2)
	v_mul_f32_e32 v19, v21, v19
	v_mul_f32_e32 v21, 0x3f317218, v12
	v_dual_sub_f32 v13, v13, v17 :: v_dual_add_f32 v18, v20, v19
	s_delay_alu instid0(VALU_DEP_1) | instskip(NEXT) | instid1(VALU_DEP_2)
	v_ldexp_f32 v13, v13, 1
	v_sub_f32_e32 v17, v18, v20
	s_delay_alu instid0(VALU_DEP_4) | instskip(NEXT) | instid1(VALU_DEP_1)
	v_fma_f32 v20, 0x3f317218, v12, -v21
	v_dual_sub_f32 v17, v19, v17 :: v_dual_fmamk_f32 v12, v12, 0xb102e308, v20
	s_delay_alu instid0(VALU_DEP_1) | instskip(NEXT) | instid1(VALU_DEP_2)
	v_add_f32_e32 v13, v13, v17
	v_add_f32_e32 v17, v21, v12
	s_delay_alu instid0(VALU_DEP_2) | instskip(NEXT) | instid1(VALU_DEP_2)
	v_add_f32_e32 v19, v18, v13
	v_sub_f32_e32 v21, v17, v21
	s_delay_alu instid0(VALU_DEP_2) | instskip(SKIP_1) | instid1(VALU_DEP_3)
	v_add_f32_e32 v20, v17, v19
	v_sub_f32_e32 v18, v19, v18
	v_sub_f32_e32 v12, v12, v21
	s_delay_alu instid0(VALU_DEP_2) | instskip(NEXT) | instid1(VALU_DEP_1)
	v_dual_sub_f32 v22, v20, v17 :: v_dual_sub_f32 v13, v13, v18
	v_sub_f32_e32 v23, v20, v22
	s_delay_alu instid0(VALU_DEP_2) | instskip(NEXT) | instid1(VALU_DEP_2)
	v_dual_sub_f32 v18, v19, v22 :: v_dual_add_f32 v19, v12, v13
	v_sub_f32_e32 v17, v17, v23
	s_delay_alu instid0(VALU_DEP_1) | instskip(NEXT) | instid1(VALU_DEP_1)
	v_dual_add_f32 v17, v18, v17 :: v_dual_sub_f32 v18, v19, v12
	v_add_f32_e32 v17, v19, v17
	s_delay_alu instid0(VALU_DEP_2) | instskip(SKIP_1) | instid1(VALU_DEP_3)
	v_sub_f32_e32 v19, v19, v18
	v_sub_f32_e32 v13, v13, v18
	v_add_f32_e32 v21, v20, v17
	s_delay_alu instid0(VALU_DEP_3) | instskip(NEXT) | instid1(VALU_DEP_2)
	v_sub_f32_e32 v12, v12, v19
	v_sub_f32_e32 v18, v21, v20
	s_delay_alu instid0(VALU_DEP_2) | instskip(NEXT) | instid1(VALU_DEP_2)
	v_add_f32_e32 v12, v13, v12
	v_sub_f32_e32 v13, v17, v18
	s_delay_alu instid0(VALU_DEP_1) | instskip(NEXT) | instid1(VALU_DEP_1)
	v_add_f32_e32 v12, v12, v13
	v_add_f32_e32 v12, v21, v12
	s_wait_alu 0xf1ff
	s_delay_alu instid0(VALU_DEP_1) | instskip(SKIP_2) | instid1(VALU_DEP_1)
	v_cndmask_b32_e64 v12, 0x7f800000, v12, s15
	v_cmp_gt_f32_e64 s15, 0x33800000, |v14|
	s_wait_alu 0xf1ff
	v_cndmask_b32_e64 v12, v12, v14, s15
	s_delay_alu instid0(VALU_DEP_1) | instskip(NEXT) | instid1(VALU_DEP_1)
	v_add_f32_e32 v11, v11, v12
	v_cvt_f16_f32_e32 v17, v11
	s_delay_alu instid0(VALU_DEP_1)
	v_cvt_f32_f16_e32 v19, v17
	v_mov_b32_e32 v18, v17
.LBB392_28:
	s_or_b32 exec_lo, exec_lo, s16
	v_lshrrev_b32_e32 v2, 16, v2
	s_delay_alu instid0(VALU_DEP_3) | instskip(SKIP_1) | instid1(VALU_DEP_3)
	v_max_num_f32_e32 v12, v19, v19
	v_cmp_u_f16_e64 s15, v17, v17
	v_cvt_f32_f16_e32 v11, v2
	s_delay_alu instid0(VALU_DEP_1) | instskip(SKIP_2) | instid1(VALU_DEP_2)
	v_min_num_f32_e32 v13, v12, v11
	v_max_num_f32_e32 v12, v12, v11
	s_wait_alu 0xf1ff
	v_cndmask_b32_e64 v13, v13, v19, s15
	s_delay_alu instid0(VALU_DEP_2) | instskip(SKIP_2) | instid1(VALU_DEP_1)
	v_cndmask_b32_e64 v14, v12, v19, s15
	v_cmp_u_f16_e64 s15, v2, v2
	s_wait_alu 0xf1ff
	v_cndmask_b32_e64 v12, v13, v11, s15
	s_delay_alu instid0(VALU_DEP_3) | instskip(NEXT) | instid1(VALU_DEP_2)
	v_cndmask_b32_e64 v2, v14, v11, s15
	v_cmp_class_f32_e64 s17, v12, 0x1f8
	s_delay_alu instid0(VALU_DEP_2) | instskip(SKIP_1) | instid1(SALU_CYCLE_1)
	v_cmp_neq_f32_e64 s16, v12, v2
	s_or_b32 s16, s16, s17
	s_and_saveexec_b32 s17, s16
	s_cbranch_execz .LBB392_30
; %bb.29:
	v_sub_f32_e32 v12, v12, v2
	s_delay_alu instid0(VALU_DEP_1) | instskip(NEXT) | instid1(VALU_DEP_1)
	v_mul_f32_e32 v13, 0x3fb8aa3b, v12
	v_fma_f32 v14, 0x3fb8aa3b, v12, -v13
	v_rndne_f32_e32 v17, v13
	s_delay_alu instid0(VALU_DEP_1) | instskip(SKIP_1) | instid1(VALU_DEP_2)
	v_dual_sub_f32 v13, v13, v17 :: v_dual_fmamk_f32 v14, v12, 0x32a5705f, v14
	v_cmp_ngt_f32_e64 s16, 0xc2ce8ed0, v12
	v_add_f32_e32 v13, v13, v14
	v_cvt_i32_f32_e32 v14, v17
	s_delay_alu instid0(VALU_DEP_2) | instskip(NEXT) | instid1(TRANS32_DEP_1)
	v_exp_f32_e32 v13, v13
	v_ldexp_f32 v13, v13, v14
	s_delay_alu instid0(VALU_DEP_1) | instskip(SKIP_2) | instid1(VALU_DEP_1)
	v_cndmask_b32_e64 v13, 0, v13, s16
	v_cmp_nlt_f32_e64 s16, 0x42b17218, v12
	s_wait_alu 0xf1ff
	v_cndmask_b32_e64 v14, 0x7f800000, v13, s16
	s_delay_alu instid0(VALU_DEP_1) | instskip(NEXT) | instid1(VALU_DEP_1)
	v_add_f32_e32 v17, 1.0, v14
	v_cvt_f64_f32_e32 v[12:13], v17
	s_delay_alu instid0(VALU_DEP_1) | instskip(SKIP_1) | instid1(VALU_DEP_1)
	v_frexp_exp_i32_f64_e32 v12, v[12:13]
	v_frexp_mant_f32_e32 v13, v17
	v_cmp_gt_f32_e64 s16, 0x3f2aaaab, v13
	v_add_f32_e32 v13, -1.0, v17
	s_delay_alu instid0(VALU_DEP_1)
	v_sub_f32_e32 v19, v13, v17
	v_sub_f32_e32 v13, v14, v13
	s_wait_alu 0xf1ff
	v_subrev_co_ci_u32_e64 v12, null, 0, v12, s16
	s_mov_b32 s16, 0x3e9b6dac
	v_sub_nc_u32_e32 v18, 0, v12
	v_cvt_f32_i32_e32 v12, v12
	s_delay_alu instid0(VALU_DEP_2) | instskip(NEXT) | instid1(VALU_DEP_1)
	v_ldexp_f32 v17, v17, v18
	v_dual_add_f32 v20, 1.0, v17 :: v_dual_add_f32 v19, 1.0, v19
	s_delay_alu instid0(VALU_DEP_1) | instskip(NEXT) | instid1(VALU_DEP_2)
	v_add_f32_e32 v13, v13, v19
	v_add_f32_e32 v19, -1.0, v20
	s_delay_alu instid0(VALU_DEP_2) | instskip(NEXT) | instid1(VALU_DEP_2)
	v_ldexp_f32 v13, v13, v18
	v_dual_add_f32 v18, -1.0, v17 :: v_dual_sub_f32 v19, v17, v19
	s_delay_alu instid0(VALU_DEP_1) | instskip(NEXT) | instid1(VALU_DEP_2)
	v_add_f32_e32 v21, 1.0, v18
	v_add_f32_e32 v19, v13, v19
	s_delay_alu instid0(VALU_DEP_2) | instskip(NEXT) | instid1(VALU_DEP_2)
	v_sub_f32_e32 v17, v17, v21
	v_add_f32_e32 v21, v20, v19
	s_delay_alu instid0(VALU_DEP_2) | instskip(NEXT) | instid1(VALU_DEP_2)
	v_add_f32_e32 v13, v13, v17
	v_rcp_f32_e32 v17, v21
	v_sub_f32_e32 v20, v20, v21
	s_delay_alu instid0(VALU_DEP_1) | instskip(NEXT) | instid1(VALU_DEP_1)
	v_dual_add_f32 v22, v18, v13 :: v_dual_add_f32 v19, v19, v20
	v_sub_f32_e32 v18, v18, v22
	s_delay_alu instid0(TRANS32_DEP_1) | instskip(NEXT) | instid1(VALU_DEP_2)
	v_mul_f32_e32 v23, v22, v17
	v_add_f32_e32 v13, v13, v18
	s_delay_alu instid0(VALU_DEP_2) | instskip(NEXT) | instid1(VALU_DEP_1)
	v_mul_f32_e32 v24, v21, v23
	v_fma_f32 v20, v23, v21, -v24
	s_delay_alu instid0(VALU_DEP_1) | instskip(NEXT) | instid1(VALU_DEP_1)
	v_fmac_f32_e32 v20, v23, v19
	v_add_f32_e32 v25, v24, v20
	s_delay_alu instid0(VALU_DEP_1) | instskip(SKIP_1) | instid1(VALU_DEP_2)
	v_sub_f32_e32 v26, v22, v25
	v_sub_f32_e32 v18, v25, v24
	;; [unrolled: 1-line block ×3, first 2 shown]
	s_delay_alu instid0(VALU_DEP_2) | instskip(NEXT) | instid1(VALU_DEP_2)
	v_sub_f32_e32 v18, v18, v20
	v_sub_f32_e32 v22, v22, v25
	s_delay_alu instid0(VALU_DEP_1) | instskip(NEXT) | instid1(VALU_DEP_1)
	v_add_f32_e32 v13, v13, v22
	v_add_f32_e32 v13, v18, v13
	s_delay_alu instid0(VALU_DEP_1) | instskip(NEXT) | instid1(VALU_DEP_1)
	v_add_f32_e32 v18, v26, v13
	v_mul_f32_e32 v20, v17, v18
	s_delay_alu instid0(VALU_DEP_1) | instskip(NEXT) | instid1(VALU_DEP_1)
	v_dual_sub_f32 v25, v26, v18 :: v_dual_mul_f32 v22, v21, v20
	v_add_f32_e32 v13, v13, v25
	s_delay_alu instid0(VALU_DEP_2) | instskip(NEXT) | instid1(VALU_DEP_1)
	v_fma_f32 v21, v20, v21, -v22
	v_fmac_f32_e32 v21, v20, v19
	s_delay_alu instid0(VALU_DEP_1) | instskip(NEXT) | instid1(VALU_DEP_1)
	v_add_f32_e32 v19, v22, v21
	v_sub_f32_e32 v24, v18, v19
	v_sub_f32_e32 v22, v19, v22
	s_delay_alu instid0(VALU_DEP_2) | instskip(NEXT) | instid1(VALU_DEP_1)
	v_sub_f32_e32 v18, v18, v24
	v_sub_f32_e32 v18, v18, v19
	s_delay_alu instid0(VALU_DEP_3) | instskip(NEXT) | instid1(VALU_DEP_2)
	v_sub_f32_e32 v19, v22, v21
	v_dual_add_f32 v13, v13, v18 :: v_dual_add_f32 v18, v23, v20
	s_delay_alu instid0(VALU_DEP_1) | instskip(NEXT) | instid1(VALU_DEP_2)
	v_add_f32_e32 v13, v19, v13
	v_sub_f32_e32 v19, v18, v23
	s_delay_alu instid0(VALU_DEP_2) | instskip(NEXT) | instid1(VALU_DEP_2)
	v_add_f32_e32 v13, v24, v13
	v_sub_f32_e32 v19, v20, v19
	s_delay_alu instid0(VALU_DEP_2) | instskip(NEXT) | instid1(VALU_DEP_1)
	v_mul_f32_e32 v13, v17, v13
	v_add_f32_e32 v13, v19, v13
	s_delay_alu instid0(VALU_DEP_1) | instskip(NEXT) | instid1(VALU_DEP_1)
	v_add_f32_e32 v17, v18, v13
	v_mul_f32_e32 v19, v17, v17
	s_wait_alu 0xfffe
	s_delay_alu instid0(VALU_DEP_1) | instskip(SKIP_2) | instid1(VALU_DEP_3)
	v_fmaak_f32 v20, s16, v19, 0x3ecc95a3
	v_mul_f32_e32 v21, v17, v19
	v_cmp_neq_f32_e64 s16, 0x7f800000, v14
	v_fmaak_f32 v19, v19, v20, 0x3f2aaada
	v_ldexp_f32 v20, v17, 1
	v_sub_f32_e32 v17, v17, v18
	s_delay_alu instid0(VALU_DEP_3) | instskip(SKIP_1) | instid1(VALU_DEP_2)
	v_mul_f32_e32 v19, v21, v19
	v_mul_f32_e32 v21, 0x3f317218, v12
	v_dual_sub_f32 v13, v13, v17 :: v_dual_add_f32 v18, v20, v19
	s_delay_alu instid0(VALU_DEP_1) | instskip(NEXT) | instid1(VALU_DEP_2)
	v_ldexp_f32 v13, v13, 1
	v_sub_f32_e32 v17, v18, v20
	s_delay_alu instid0(VALU_DEP_4) | instskip(NEXT) | instid1(VALU_DEP_1)
	v_fma_f32 v20, 0x3f317218, v12, -v21
	v_dual_sub_f32 v17, v19, v17 :: v_dual_fmamk_f32 v12, v12, 0xb102e308, v20
	s_delay_alu instid0(VALU_DEP_1) | instskip(NEXT) | instid1(VALU_DEP_2)
	v_add_f32_e32 v13, v13, v17
	v_add_f32_e32 v17, v21, v12
	s_delay_alu instid0(VALU_DEP_2) | instskip(NEXT) | instid1(VALU_DEP_2)
	v_add_f32_e32 v19, v18, v13
	v_sub_f32_e32 v21, v17, v21
	s_delay_alu instid0(VALU_DEP_2) | instskip(SKIP_1) | instid1(VALU_DEP_3)
	v_add_f32_e32 v20, v17, v19
	v_sub_f32_e32 v18, v19, v18
	v_sub_f32_e32 v12, v12, v21
	s_delay_alu instid0(VALU_DEP_2) | instskip(NEXT) | instid1(VALU_DEP_1)
	v_dual_sub_f32 v22, v20, v17 :: v_dual_sub_f32 v13, v13, v18
	v_sub_f32_e32 v23, v20, v22
	s_delay_alu instid0(VALU_DEP_2) | instskip(NEXT) | instid1(VALU_DEP_2)
	v_dual_sub_f32 v18, v19, v22 :: v_dual_add_f32 v19, v12, v13
	v_sub_f32_e32 v17, v17, v23
	s_delay_alu instid0(VALU_DEP_1) | instskip(NEXT) | instid1(VALU_DEP_1)
	v_dual_add_f32 v17, v18, v17 :: v_dual_sub_f32 v18, v19, v12
	v_add_f32_e32 v17, v19, v17
	s_delay_alu instid0(VALU_DEP_2) | instskip(SKIP_1) | instid1(VALU_DEP_3)
	v_sub_f32_e32 v19, v19, v18
	v_sub_f32_e32 v13, v13, v18
	v_add_f32_e32 v21, v20, v17
	s_delay_alu instid0(VALU_DEP_3) | instskip(NEXT) | instid1(VALU_DEP_2)
	v_sub_f32_e32 v12, v12, v19
	v_sub_f32_e32 v18, v21, v20
	s_delay_alu instid0(VALU_DEP_2) | instskip(NEXT) | instid1(VALU_DEP_2)
	v_add_f32_e32 v12, v13, v12
	v_sub_f32_e32 v13, v17, v18
	s_delay_alu instid0(VALU_DEP_1) | instskip(NEXT) | instid1(VALU_DEP_1)
	v_add_f32_e32 v12, v12, v13
	v_add_f32_e32 v12, v21, v12
	s_wait_alu 0xf1ff
	s_delay_alu instid0(VALU_DEP_1) | instskip(SKIP_2) | instid1(VALU_DEP_1)
	v_cndmask_b32_e64 v12, 0x7f800000, v12, s16
	v_cmp_gt_f32_e64 s16, 0x33800000, |v14|
	s_wait_alu 0xf1ff
	v_cndmask_b32_e64 v12, v12, v14, s16
	s_delay_alu instid0(VALU_DEP_1) | instskip(NEXT) | instid1(VALU_DEP_1)
	v_add_f32_e32 v2, v2, v12
	v_cvt_f16_f32_e32 v17, v2
	s_delay_alu instid0(VALU_DEP_1)
	v_cvt_f32_f16_e32 v19, v17
	v_mov_b32_e32 v18, v17
.LBB392_30:
	s_or_b32 exec_lo, exec_lo, s17
	v_cvt_f32_f16_e32 v2, v3
	s_delay_alu instid0(VALU_DEP_3) | instskip(SKIP_1) | instid1(VALU_DEP_2)
	v_max_num_f32_e32 v12, v19, v19
	v_cmp_u_f16_e64 s16, v17, v17
	v_min_num_f32_e32 v13, v12, v2
	v_max_num_f32_e32 v12, v12, v2
	s_wait_alu 0xf1ff
	s_delay_alu instid0(VALU_DEP_2) | instskip(NEXT) | instid1(VALU_DEP_2)
	v_cndmask_b32_e64 v13, v13, v19, s16
	v_cndmask_b32_e64 v12, v12, v19, s16
	v_cmp_u_f16_e64 s16, v3, v3
	s_wait_alu 0xf1ff
	s_delay_alu instid0(VALU_DEP_1) | instskip(NEXT) | instid1(VALU_DEP_3)
	v_cndmask_b32_e64 v13, v13, v2, s16
	v_cndmask_b32_e64 v12, v12, v2, s16
	s_delay_alu instid0(VALU_DEP_2) | instskip(NEXT) | instid1(VALU_DEP_2)
	v_cmp_class_f32_e64 s18, v13, 0x1f8
	v_cmp_neq_f32_e64 s17, v13, v12
	s_or_b32 s17, s17, s18
	s_wait_alu 0xfffe
	s_and_saveexec_b32 s18, s17
	s_cbranch_execz .LBB392_32
; %bb.31:
	v_sub_f32_e32 v13, v13, v12
	s_delay_alu instid0(VALU_DEP_1) | instskip(NEXT) | instid1(VALU_DEP_1)
	v_mul_f32_e32 v14, 0x3fb8aa3b, v13
	v_fma_f32 v17, 0x3fb8aa3b, v13, -v14
	v_rndne_f32_e32 v18, v14
	s_delay_alu instid0(VALU_DEP_1) | instskip(SKIP_1) | instid1(VALU_DEP_2)
	v_dual_sub_f32 v14, v14, v18 :: v_dual_fmamk_f32 v17, v13, 0x32a5705f, v17
	v_cmp_ngt_f32_e64 s17, 0xc2ce8ed0, v13
	v_add_f32_e32 v14, v14, v17
	v_cvt_i32_f32_e32 v17, v18
	s_delay_alu instid0(VALU_DEP_2) | instskip(NEXT) | instid1(TRANS32_DEP_1)
	v_exp_f32_e32 v14, v14
	v_ldexp_f32 v14, v14, v17
	s_wait_alu 0xf1ff
	s_delay_alu instid0(VALU_DEP_1) | instskip(SKIP_2) | instid1(VALU_DEP_1)
	v_cndmask_b32_e64 v14, 0, v14, s17
	v_cmp_nlt_f32_e64 s17, 0x42b17218, v13
	s_wait_alu 0xf1ff
	v_cndmask_b32_e64 v17, 0x7f800000, v14, s17
	s_delay_alu instid0(VALU_DEP_1) | instskip(NEXT) | instid1(VALU_DEP_1)
	v_add_f32_e32 v18, 1.0, v17
	v_cvt_f64_f32_e32 v[13:14], v18
	s_delay_alu instid0(VALU_DEP_1) | instskip(SKIP_1) | instid1(VALU_DEP_1)
	v_frexp_exp_i32_f64_e32 v13, v[13:14]
	v_frexp_mant_f32_e32 v14, v18
	v_cmp_gt_f32_e64 s17, 0x3f2aaaab, v14
	v_add_f32_e32 v14, -1.0, v18
	s_delay_alu instid0(VALU_DEP_1)
	v_sub_f32_e32 v20, v14, v18
	v_sub_f32_e32 v14, v17, v14
	s_wait_alu 0xf1ff
	v_subrev_co_ci_u32_e64 v13, null, 0, v13, s17
	s_mov_b32 s17, 0x3e9b6dac
	v_sub_nc_u32_e32 v19, 0, v13
	v_cvt_f32_i32_e32 v13, v13
	s_delay_alu instid0(VALU_DEP_2) | instskip(NEXT) | instid1(VALU_DEP_1)
	v_ldexp_f32 v18, v18, v19
	v_dual_add_f32 v21, 1.0, v18 :: v_dual_add_f32 v20, 1.0, v20
	s_delay_alu instid0(VALU_DEP_1) | instskip(NEXT) | instid1(VALU_DEP_2)
	v_add_f32_e32 v14, v14, v20
	v_add_f32_e32 v20, -1.0, v21
	s_delay_alu instid0(VALU_DEP_2) | instskip(NEXT) | instid1(VALU_DEP_2)
	v_ldexp_f32 v14, v14, v19
	v_dual_add_f32 v19, -1.0, v18 :: v_dual_sub_f32 v20, v18, v20
	s_delay_alu instid0(VALU_DEP_1) | instskip(NEXT) | instid1(VALU_DEP_2)
	v_add_f32_e32 v22, 1.0, v19
	v_add_f32_e32 v20, v14, v20
	s_delay_alu instid0(VALU_DEP_2) | instskip(NEXT) | instid1(VALU_DEP_2)
	v_sub_f32_e32 v18, v18, v22
	v_add_f32_e32 v22, v21, v20
	s_delay_alu instid0(VALU_DEP_2) | instskip(NEXT) | instid1(VALU_DEP_2)
	v_add_f32_e32 v14, v14, v18
	v_rcp_f32_e32 v18, v22
	v_sub_f32_e32 v21, v21, v22
	s_delay_alu instid0(VALU_DEP_1) | instskip(NEXT) | instid1(VALU_DEP_1)
	v_dual_add_f32 v23, v19, v14 :: v_dual_add_f32 v20, v20, v21
	v_sub_f32_e32 v19, v19, v23
	s_delay_alu instid0(TRANS32_DEP_1) | instskip(NEXT) | instid1(VALU_DEP_2)
	v_mul_f32_e32 v24, v23, v18
	v_add_f32_e32 v14, v14, v19
	s_delay_alu instid0(VALU_DEP_2) | instskip(NEXT) | instid1(VALU_DEP_1)
	v_mul_f32_e32 v25, v22, v24
	v_fma_f32 v21, v24, v22, -v25
	s_delay_alu instid0(VALU_DEP_1) | instskip(NEXT) | instid1(VALU_DEP_1)
	v_fmac_f32_e32 v21, v24, v20
	v_add_f32_e32 v26, v25, v21
	s_delay_alu instid0(VALU_DEP_1) | instskip(SKIP_1) | instid1(VALU_DEP_2)
	v_sub_f32_e32 v27, v23, v26
	v_sub_f32_e32 v19, v26, v25
	;; [unrolled: 1-line block ×3, first 2 shown]
	s_delay_alu instid0(VALU_DEP_2) | instskip(NEXT) | instid1(VALU_DEP_2)
	v_sub_f32_e32 v19, v19, v21
	v_sub_f32_e32 v23, v23, v26
	s_delay_alu instid0(VALU_DEP_1) | instskip(NEXT) | instid1(VALU_DEP_1)
	v_add_f32_e32 v14, v14, v23
	v_add_f32_e32 v14, v19, v14
	s_delay_alu instid0(VALU_DEP_1) | instskip(NEXT) | instid1(VALU_DEP_1)
	v_add_f32_e32 v19, v27, v14
	v_mul_f32_e32 v21, v18, v19
	s_delay_alu instid0(VALU_DEP_1) | instskip(NEXT) | instid1(VALU_DEP_1)
	v_dual_sub_f32 v26, v27, v19 :: v_dual_mul_f32 v23, v22, v21
	v_add_f32_e32 v14, v14, v26
	s_delay_alu instid0(VALU_DEP_2) | instskip(NEXT) | instid1(VALU_DEP_1)
	v_fma_f32 v22, v21, v22, -v23
	v_fmac_f32_e32 v22, v21, v20
	s_delay_alu instid0(VALU_DEP_1) | instskip(NEXT) | instid1(VALU_DEP_1)
	v_add_f32_e32 v20, v23, v22
	v_sub_f32_e32 v25, v19, v20
	v_sub_f32_e32 v23, v20, v23
	s_delay_alu instid0(VALU_DEP_2) | instskip(NEXT) | instid1(VALU_DEP_1)
	v_sub_f32_e32 v19, v19, v25
	v_sub_f32_e32 v19, v19, v20
	s_delay_alu instid0(VALU_DEP_3) | instskip(NEXT) | instid1(VALU_DEP_2)
	v_sub_f32_e32 v20, v23, v22
	v_dual_add_f32 v14, v14, v19 :: v_dual_add_f32 v19, v24, v21
	s_delay_alu instid0(VALU_DEP_1) | instskip(NEXT) | instid1(VALU_DEP_2)
	v_add_f32_e32 v14, v20, v14
	v_sub_f32_e32 v20, v19, v24
	s_delay_alu instid0(VALU_DEP_2) | instskip(NEXT) | instid1(VALU_DEP_2)
	v_add_f32_e32 v14, v25, v14
	v_sub_f32_e32 v20, v21, v20
	s_delay_alu instid0(VALU_DEP_2) | instskip(NEXT) | instid1(VALU_DEP_1)
	v_mul_f32_e32 v14, v18, v14
	v_add_f32_e32 v14, v20, v14
	s_delay_alu instid0(VALU_DEP_1) | instskip(NEXT) | instid1(VALU_DEP_1)
	v_add_f32_e32 v18, v19, v14
	v_mul_f32_e32 v20, v18, v18
	s_wait_alu 0xfffe
	s_delay_alu instid0(VALU_DEP_1) | instskip(SKIP_2) | instid1(VALU_DEP_3)
	v_fmaak_f32 v21, s17, v20, 0x3ecc95a3
	v_mul_f32_e32 v22, v18, v20
	v_cmp_neq_f32_e64 s17, 0x7f800000, v17
	v_fmaak_f32 v20, v20, v21, 0x3f2aaada
	v_ldexp_f32 v21, v18, 1
	v_sub_f32_e32 v18, v18, v19
	s_delay_alu instid0(VALU_DEP_3) | instskip(SKIP_1) | instid1(VALU_DEP_2)
	v_mul_f32_e32 v20, v22, v20
	v_mul_f32_e32 v22, 0x3f317218, v13
	v_dual_sub_f32 v14, v14, v18 :: v_dual_add_f32 v19, v21, v20
	s_delay_alu instid0(VALU_DEP_1) | instskip(NEXT) | instid1(VALU_DEP_2)
	v_ldexp_f32 v14, v14, 1
	v_sub_f32_e32 v18, v19, v21
	s_delay_alu instid0(VALU_DEP_4) | instskip(NEXT) | instid1(VALU_DEP_1)
	v_fma_f32 v21, 0x3f317218, v13, -v22
	v_dual_sub_f32 v18, v20, v18 :: v_dual_fmamk_f32 v13, v13, 0xb102e308, v21
	s_delay_alu instid0(VALU_DEP_1) | instskip(NEXT) | instid1(VALU_DEP_2)
	v_add_f32_e32 v14, v14, v18
	v_add_f32_e32 v18, v22, v13
	s_delay_alu instid0(VALU_DEP_2) | instskip(NEXT) | instid1(VALU_DEP_2)
	v_add_f32_e32 v20, v19, v14
	v_sub_f32_e32 v22, v18, v22
	s_delay_alu instid0(VALU_DEP_2) | instskip(SKIP_1) | instid1(VALU_DEP_3)
	v_add_f32_e32 v21, v18, v20
	v_sub_f32_e32 v19, v20, v19
	v_sub_f32_e32 v13, v13, v22
	s_delay_alu instid0(VALU_DEP_2) | instskip(NEXT) | instid1(VALU_DEP_1)
	v_dual_sub_f32 v23, v21, v18 :: v_dual_sub_f32 v14, v14, v19
	v_sub_f32_e32 v24, v21, v23
	s_delay_alu instid0(VALU_DEP_2) | instskip(NEXT) | instid1(VALU_DEP_2)
	v_dual_sub_f32 v19, v20, v23 :: v_dual_add_f32 v20, v13, v14
	v_sub_f32_e32 v18, v18, v24
	s_delay_alu instid0(VALU_DEP_1) | instskip(NEXT) | instid1(VALU_DEP_1)
	v_dual_add_f32 v18, v19, v18 :: v_dual_sub_f32 v19, v20, v13
	v_add_f32_e32 v18, v20, v18
	s_delay_alu instid0(VALU_DEP_2) | instskip(SKIP_1) | instid1(VALU_DEP_3)
	v_sub_f32_e32 v20, v20, v19
	v_sub_f32_e32 v14, v14, v19
	v_add_f32_e32 v22, v21, v18
	s_delay_alu instid0(VALU_DEP_3) | instskip(NEXT) | instid1(VALU_DEP_2)
	v_sub_f32_e32 v13, v13, v20
	v_sub_f32_e32 v19, v22, v21
	s_delay_alu instid0(VALU_DEP_2) | instskip(NEXT) | instid1(VALU_DEP_2)
	v_add_f32_e32 v13, v14, v13
	v_sub_f32_e32 v14, v18, v19
	s_delay_alu instid0(VALU_DEP_1) | instskip(NEXT) | instid1(VALU_DEP_1)
	v_add_f32_e32 v13, v13, v14
	v_add_f32_e32 v13, v22, v13
	s_wait_alu 0xf1ff
	s_delay_alu instid0(VALU_DEP_1) | instskip(SKIP_2) | instid1(VALU_DEP_1)
	v_cndmask_b32_e64 v13, 0x7f800000, v13, s17
	v_cmp_gt_f32_e64 s17, 0x33800000, |v17|
	s_wait_alu 0xf1ff
	v_cndmask_b32_e64 v13, v13, v17, s17
	s_delay_alu instid0(VALU_DEP_1) | instskip(NEXT) | instid1(VALU_DEP_1)
	v_add_f32_e32 v12, v12, v13
	v_cvt_f16_f32_e32 v17, v12
	s_delay_alu instid0(VALU_DEP_1)
	v_cvt_f32_f16_e32 v19, v17
	v_mov_b32_e32 v18, v17
.LBB392_32:
	s_wait_alu 0xfffe
	s_or_b32 exec_lo, exec_lo, s18
	v_lshrrev_b32_e32 v3, 16, v3
	v_max_num_f32_e32 v13, v19, v19
	v_cmp_u_f16_e64 s17, v17, v17
	s_delay_alu instid0(VALU_DEP_3) | instskip(NEXT) | instid1(VALU_DEP_1)
	v_cvt_f32_f16_e32 v12, v3
	v_min_num_f32_e32 v14, v13, v12
	v_max_num_f32_e32 v13, v13, v12
	s_wait_alu 0xf1ff
	s_delay_alu instid0(VALU_DEP_2) | instskip(NEXT) | instid1(VALU_DEP_2)
	v_cndmask_b32_e64 v14, v14, v19, s17
	v_cndmask_b32_e64 v20, v13, v19, s17
	v_cmp_u_f16_e64 s17, v3, v3
	s_wait_alu 0xf1ff
	s_delay_alu instid0(VALU_DEP_1) | instskip(NEXT) | instid1(VALU_DEP_3)
	v_cndmask_b32_e64 v13, v14, v12, s17
	v_cndmask_b32_e64 v3, v20, v12, s17
	s_delay_alu instid0(VALU_DEP_2) | instskip(NEXT) | instid1(VALU_DEP_2)
	v_cmp_class_f32_e64 s19, v13, 0x1f8
	v_cmp_neq_f32_e64 s18, v13, v3
	s_or_b32 s18, s18, s19
	s_wait_alu 0xfffe
	s_and_saveexec_b32 s19, s18
	s_cbranch_execz .LBB392_34
; %bb.33:
	v_sub_f32_e32 v13, v13, v3
	s_delay_alu instid0(VALU_DEP_1) | instskip(NEXT) | instid1(VALU_DEP_1)
	v_mul_f32_e32 v14, 0x3fb8aa3b, v13
	v_fma_f32 v17, 0x3fb8aa3b, v13, -v14
	v_rndne_f32_e32 v18, v14
	s_delay_alu instid0(VALU_DEP_1) | instskip(SKIP_1) | instid1(VALU_DEP_2)
	v_dual_sub_f32 v14, v14, v18 :: v_dual_fmamk_f32 v17, v13, 0x32a5705f, v17
	v_cmp_ngt_f32_e64 s18, 0xc2ce8ed0, v13
	v_add_f32_e32 v14, v14, v17
	v_cvt_i32_f32_e32 v17, v18
	s_delay_alu instid0(VALU_DEP_2) | instskip(NEXT) | instid1(TRANS32_DEP_1)
	v_exp_f32_e32 v14, v14
	v_ldexp_f32 v14, v14, v17
	s_wait_alu 0xf1ff
	s_delay_alu instid0(VALU_DEP_1) | instskip(SKIP_2) | instid1(VALU_DEP_1)
	v_cndmask_b32_e64 v14, 0, v14, s18
	v_cmp_nlt_f32_e64 s18, 0x42b17218, v13
	s_wait_alu 0xf1ff
	v_cndmask_b32_e64 v17, 0x7f800000, v14, s18
	s_delay_alu instid0(VALU_DEP_1) | instskip(NEXT) | instid1(VALU_DEP_1)
	v_add_f32_e32 v18, 1.0, v17
	v_cvt_f64_f32_e32 v[13:14], v18
	s_delay_alu instid0(VALU_DEP_1) | instskip(SKIP_1) | instid1(VALU_DEP_1)
	v_frexp_exp_i32_f64_e32 v13, v[13:14]
	v_frexp_mant_f32_e32 v14, v18
	v_cmp_gt_f32_e64 s18, 0x3f2aaaab, v14
	v_add_f32_e32 v14, -1.0, v18
	s_delay_alu instid0(VALU_DEP_1)
	v_sub_f32_e32 v20, v14, v18
	v_sub_f32_e32 v14, v17, v14
	s_wait_alu 0xf1ff
	v_subrev_co_ci_u32_e64 v13, null, 0, v13, s18
	s_mov_b32 s18, 0x3e9b6dac
	v_sub_nc_u32_e32 v19, 0, v13
	v_cvt_f32_i32_e32 v13, v13
	s_delay_alu instid0(VALU_DEP_2) | instskip(NEXT) | instid1(VALU_DEP_1)
	v_ldexp_f32 v18, v18, v19
	v_dual_add_f32 v21, 1.0, v18 :: v_dual_add_f32 v20, 1.0, v20
	s_delay_alu instid0(VALU_DEP_1) | instskip(NEXT) | instid1(VALU_DEP_2)
	v_add_f32_e32 v14, v14, v20
	v_add_f32_e32 v20, -1.0, v21
	s_delay_alu instid0(VALU_DEP_2) | instskip(NEXT) | instid1(VALU_DEP_2)
	v_ldexp_f32 v14, v14, v19
	v_dual_add_f32 v19, -1.0, v18 :: v_dual_sub_f32 v20, v18, v20
	s_delay_alu instid0(VALU_DEP_1) | instskip(NEXT) | instid1(VALU_DEP_2)
	v_add_f32_e32 v22, 1.0, v19
	v_add_f32_e32 v20, v14, v20
	s_delay_alu instid0(VALU_DEP_2) | instskip(NEXT) | instid1(VALU_DEP_2)
	v_sub_f32_e32 v18, v18, v22
	v_add_f32_e32 v22, v21, v20
	s_delay_alu instid0(VALU_DEP_2) | instskip(NEXT) | instid1(VALU_DEP_2)
	v_add_f32_e32 v14, v14, v18
	v_rcp_f32_e32 v18, v22
	v_sub_f32_e32 v21, v21, v22
	s_delay_alu instid0(VALU_DEP_1) | instskip(NEXT) | instid1(VALU_DEP_1)
	v_dual_add_f32 v23, v19, v14 :: v_dual_add_f32 v20, v20, v21
	v_sub_f32_e32 v19, v19, v23
	s_delay_alu instid0(TRANS32_DEP_1) | instskip(NEXT) | instid1(VALU_DEP_2)
	v_mul_f32_e32 v24, v23, v18
	v_add_f32_e32 v14, v14, v19
	s_delay_alu instid0(VALU_DEP_2) | instskip(NEXT) | instid1(VALU_DEP_1)
	v_mul_f32_e32 v25, v22, v24
	v_fma_f32 v21, v24, v22, -v25
	s_delay_alu instid0(VALU_DEP_1) | instskip(NEXT) | instid1(VALU_DEP_1)
	v_fmac_f32_e32 v21, v24, v20
	v_add_f32_e32 v26, v25, v21
	s_delay_alu instid0(VALU_DEP_1) | instskip(SKIP_1) | instid1(VALU_DEP_2)
	v_sub_f32_e32 v27, v23, v26
	v_sub_f32_e32 v19, v26, v25
	v_sub_f32_e32 v23, v23, v27
	s_delay_alu instid0(VALU_DEP_2) | instskip(NEXT) | instid1(VALU_DEP_2)
	v_sub_f32_e32 v19, v19, v21
	v_sub_f32_e32 v23, v23, v26
	s_delay_alu instid0(VALU_DEP_1) | instskip(NEXT) | instid1(VALU_DEP_1)
	v_add_f32_e32 v14, v14, v23
	v_add_f32_e32 v14, v19, v14
	s_delay_alu instid0(VALU_DEP_1) | instskip(NEXT) | instid1(VALU_DEP_1)
	v_add_f32_e32 v19, v27, v14
	v_mul_f32_e32 v21, v18, v19
	s_delay_alu instid0(VALU_DEP_1) | instskip(NEXT) | instid1(VALU_DEP_1)
	v_dual_sub_f32 v26, v27, v19 :: v_dual_mul_f32 v23, v22, v21
	v_add_f32_e32 v14, v14, v26
	s_delay_alu instid0(VALU_DEP_2) | instskip(NEXT) | instid1(VALU_DEP_1)
	v_fma_f32 v22, v21, v22, -v23
	v_fmac_f32_e32 v22, v21, v20
	s_delay_alu instid0(VALU_DEP_1) | instskip(NEXT) | instid1(VALU_DEP_1)
	v_add_f32_e32 v20, v23, v22
	v_sub_f32_e32 v25, v19, v20
	v_sub_f32_e32 v23, v20, v23
	s_delay_alu instid0(VALU_DEP_2) | instskip(NEXT) | instid1(VALU_DEP_1)
	v_sub_f32_e32 v19, v19, v25
	v_sub_f32_e32 v19, v19, v20
	s_delay_alu instid0(VALU_DEP_3) | instskip(NEXT) | instid1(VALU_DEP_2)
	v_sub_f32_e32 v20, v23, v22
	v_dual_add_f32 v14, v14, v19 :: v_dual_add_f32 v19, v24, v21
	s_delay_alu instid0(VALU_DEP_1) | instskip(NEXT) | instid1(VALU_DEP_2)
	v_add_f32_e32 v14, v20, v14
	v_sub_f32_e32 v20, v19, v24
	s_delay_alu instid0(VALU_DEP_2) | instskip(NEXT) | instid1(VALU_DEP_2)
	v_add_f32_e32 v14, v25, v14
	v_sub_f32_e32 v20, v21, v20
	s_delay_alu instid0(VALU_DEP_2) | instskip(NEXT) | instid1(VALU_DEP_1)
	v_mul_f32_e32 v14, v18, v14
	v_add_f32_e32 v14, v20, v14
	s_delay_alu instid0(VALU_DEP_1) | instskip(NEXT) | instid1(VALU_DEP_1)
	v_add_f32_e32 v18, v19, v14
	v_mul_f32_e32 v20, v18, v18
	s_wait_alu 0xfffe
	s_delay_alu instid0(VALU_DEP_1) | instskip(SKIP_2) | instid1(VALU_DEP_3)
	v_fmaak_f32 v21, s18, v20, 0x3ecc95a3
	v_mul_f32_e32 v22, v18, v20
	v_cmp_neq_f32_e64 s18, 0x7f800000, v17
	v_fmaak_f32 v20, v20, v21, 0x3f2aaada
	v_ldexp_f32 v21, v18, 1
	v_sub_f32_e32 v18, v18, v19
	s_delay_alu instid0(VALU_DEP_3) | instskip(SKIP_1) | instid1(VALU_DEP_2)
	v_mul_f32_e32 v20, v22, v20
	v_mul_f32_e32 v22, 0x3f317218, v13
	v_dual_sub_f32 v14, v14, v18 :: v_dual_add_f32 v19, v21, v20
	s_delay_alu instid0(VALU_DEP_1) | instskip(NEXT) | instid1(VALU_DEP_2)
	v_ldexp_f32 v14, v14, 1
	v_sub_f32_e32 v18, v19, v21
	s_delay_alu instid0(VALU_DEP_4) | instskip(NEXT) | instid1(VALU_DEP_1)
	v_fma_f32 v21, 0x3f317218, v13, -v22
	v_dual_sub_f32 v18, v20, v18 :: v_dual_fmamk_f32 v13, v13, 0xb102e308, v21
	s_delay_alu instid0(VALU_DEP_1) | instskip(NEXT) | instid1(VALU_DEP_2)
	v_add_f32_e32 v14, v14, v18
	v_add_f32_e32 v18, v22, v13
	s_delay_alu instid0(VALU_DEP_2) | instskip(NEXT) | instid1(VALU_DEP_2)
	v_add_f32_e32 v20, v19, v14
	v_sub_f32_e32 v22, v18, v22
	s_delay_alu instid0(VALU_DEP_2) | instskip(SKIP_1) | instid1(VALU_DEP_3)
	v_add_f32_e32 v21, v18, v20
	v_sub_f32_e32 v19, v20, v19
	v_sub_f32_e32 v13, v13, v22
	s_delay_alu instid0(VALU_DEP_2) | instskip(NEXT) | instid1(VALU_DEP_1)
	v_dual_sub_f32 v23, v21, v18 :: v_dual_sub_f32 v14, v14, v19
	v_sub_f32_e32 v24, v21, v23
	s_delay_alu instid0(VALU_DEP_2) | instskip(NEXT) | instid1(VALU_DEP_2)
	v_dual_sub_f32 v19, v20, v23 :: v_dual_add_f32 v20, v13, v14
	v_sub_f32_e32 v18, v18, v24
	s_delay_alu instid0(VALU_DEP_1) | instskip(NEXT) | instid1(VALU_DEP_1)
	v_dual_add_f32 v18, v19, v18 :: v_dual_sub_f32 v19, v20, v13
	v_add_f32_e32 v18, v20, v18
	s_delay_alu instid0(VALU_DEP_2) | instskip(SKIP_1) | instid1(VALU_DEP_3)
	v_sub_f32_e32 v20, v20, v19
	v_sub_f32_e32 v14, v14, v19
	v_add_f32_e32 v22, v21, v18
	s_delay_alu instid0(VALU_DEP_3) | instskip(NEXT) | instid1(VALU_DEP_2)
	v_sub_f32_e32 v13, v13, v20
	v_sub_f32_e32 v19, v22, v21
	s_delay_alu instid0(VALU_DEP_2) | instskip(NEXT) | instid1(VALU_DEP_2)
	v_add_f32_e32 v13, v14, v13
	v_sub_f32_e32 v14, v18, v19
	s_delay_alu instid0(VALU_DEP_1) | instskip(NEXT) | instid1(VALU_DEP_1)
	v_add_f32_e32 v13, v13, v14
	v_add_f32_e32 v13, v22, v13
	s_wait_alu 0xf1ff
	s_delay_alu instid0(VALU_DEP_1) | instskip(SKIP_2) | instid1(VALU_DEP_1)
	v_cndmask_b32_e64 v13, 0x7f800000, v13, s18
	v_cmp_gt_f32_e64 s18, 0x33800000, |v17|
	s_wait_alu 0xf1ff
	v_cndmask_b32_e64 v13, v13, v17, s18
	s_delay_alu instid0(VALU_DEP_1) | instskip(NEXT) | instid1(VALU_DEP_1)
	v_add_f32_e32 v3, v3, v13
	v_cvt_f16_f32_e32 v17, v3
	s_delay_alu instid0(VALU_DEP_1)
	v_cvt_f32_f16_e32 v19, v17
	v_mov_b32_e32 v18, v17
.LBB392_34:
	s_wait_alu 0xfffe
	s_or_b32 exec_lo, exec_lo, s19
	v_cvt_f32_f16_e32 v3, v4
	v_max_num_f32_e32 v13, v19, v19
	v_cmp_u_f16_e64 s18, v17, v17
	s_delay_alu instid0(VALU_DEP_2) | instskip(SKIP_2) | instid1(VALU_DEP_2)
	v_min_num_f32_e32 v14, v13, v3
	v_max_num_f32_e32 v13, v13, v3
	s_wait_alu 0xf1ff
	v_cndmask_b32_e64 v14, v14, v19, s18
	s_delay_alu instid0(VALU_DEP_2) | instskip(SKIP_2) | instid1(VALU_DEP_1)
	v_cndmask_b32_e64 v13, v13, v19, s18
	v_cmp_u_f16_e64 s18, v4, v4
	s_wait_alu 0xf1ff
	v_cndmask_b32_e64 v14, v14, v3, s18
	s_delay_alu instid0(VALU_DEP_3) | instskip(NEXT) | instid1(VALU_DEP_2)
	v_cndmask_b32_e64 v13, v13, v3, s18
	v_cmp_class_f32_e64 s20, v14, 0x1f8
	s_delay_alu instid0(VALU_DEP_2)
	v_cmp_neq_f32_e64 s19, v14, v13
	s_or_b32 s19, s19, s20
	s_wait_alu 0xfffe
	s_and_saveexec_b32 s20, s19
	s_cbranch_execz .LBB392_36
; %bb.35:
	v_sub_f32_e32 v14, v14, v13
	s_delay_alu instid0(VALU_DEP_1) | instskip(NEXT) | instid1(VALU_DEP_1)
	v_mul_f32_e32 v17, 0x3fb8aa3b, v14
	v_fma_f32 v18, 0x3fb8aa3b, v14, -v17
	v_rndne_f32_e32 v19, v17
	s_delay_alu instid0(VALU_DEP_1) | instskip(SKIP_1) | instid1(VALU_DEP_2)
	v_dual_sub_f32 v17, v17, v19 :: v_dual_fmamk_f32 v18, v14, 0x32a5705f, v18
	v_cmp_ngt_f32_e64 s19, 0xc2ce8ed0, v14
	v_add_f32_e32 v17, v17, v18
	v_cvt_i32_f32_e32 v18, v19
	s_delay_alu instid0(VALU_DEP_2) | instskip(NEXT) | instid1(TRANS32_DEP_1)
	v_exp_f32_e32 v17, v17
	v_ldexp_f32 v17, v17, v18
	s_wait_alu 0xf1ff
	s_delay_alu instid0(VALU_DEP_1) | instskip(SKIP_2) | instid1(VALU_DEP_1)
	v_cndmask_b32_e64 v17, 0, v17, s19
	v_cmp_nlt_f32_e64 s19, 0x42b17218, v14
	s_wait_alu 0xf1ff
	v_cndmask_b32_e64 v14, 0x7f800000, v17, s19
	s_delay_alu instid0(VALU_DEP_1) | instskip(NEXT) | instid1(VALU_DEP_1)
	v_add_f32_e32 v19, 1.0, v14
	v_cvt_f64_f32_e32 v[17:18], v19
	s_delay_alu instid0(VALU_DEP_1) | instskip(SKIP_1) | instid1(VALU_DEP_1)
	v_frexp_exp_i32_f64_e32 v17, v[17:18]
	v_frexp_mant_f32_e32 v18, v19
	v_cmp_gt_f32_e64 s19, 0x3f2aaaab, v18
	v_add_f32_e32 v18, -1.0, v19
	s_delay_alu instid0(VALU_DEP_1) | instskip(NEXT) | instid1(VALU_DEP_1)
	v_sub_f32_e32 v21, v18, v19
	v_dual_sub_f32 v18, v14, v18 :: v_dual_add_f32 v21, 1.0, v21
	s_wait_alu 0xf1ff
	v_subrev_co_ci_u32_e64 v17, null, 0, v17, s19
	s_mov_b32 s19, 0x3e9b6dac
	v_sub_nc_u32_e32 v20, 0, v17
	v_cvt_f32_i32_e32 v17, v17
	s_delay_alu instid0(VALU_DEP_2) | instskip(NEXT) | instid1(VALU_DEP_1)
	v_ldexp_f32 v19, v19, v20
	v_add_f32_e32 v22, 1.0, v19
	s_delay_alu instid0(VALU_DEP_1) | instskip(NEXT) | instid1(VALU_DEP_1)
	v_dual_add_f32 v18, v18, v21 :: v_dual_add_f32 v21, -1.0, v22
	v_ldexp_f32 v18, v18, v20
	s_delay_alu instid0(VALU_DEP_2) | instskip(NEXT) | instid1(VALU_DEP_1)
	v_dual_add_f32 v20, -1.0, v19 :: v_dual_sub_f32 v21, v19, v21
	v_add_f32_e32 v23, 1.0, v20
	s_delay_alu instid0(VALU_DEP_2) | instskip(NEXT) | instid1(VALU_DEP_2)
	v_add_f32_e32 v21, v18, v21
	v_sub_f32_e32 v19, v19, v23
	s_delay_alu instid0(VALU_DEP_1) | instskip(NEXT) | instid1(VALU_DEP_1)
	v_add_f32_e32 v18, v18, v19
	v_dual_add_f32 v24, v20, v18 :: v_dual_add_f32 v23, v22, v21
	s_delay_alu instid0(VALU_DEP_1) | instskip(NEXT) | instid1(VALU_DEP_2)
	v_sub_f32_e32 v20, v20, v24
	v_rcp_f32_e32 v19, v23
	v_sub_f32_e32 v22, v22, v23
	s_delay_alu instid0(VALU_DEP_1) | instskip(NEXT) | instid1(TRANS32_DEP_1)
	v_dual_add_f32 v18, v18, v20 :: v_dual_add_f32 v21, v21, v22
	v_mul_f32_e32 v25, v24, v19
	s_delay_alu instid0(VALU_DEP_1) | instskip(NEXT) | instid1(VALU_DEP_1)
	v_mul_f32_e32 v26, v23, v25
	v_fma_f32 v22, v25, v23, -v26
	s_delay_alu instid0(VALU_DEP_1) | instskip(NEXT) | instid1(VALU_DEP_1)
	v_fmac_f32_e32 v22, v25, v21
	v_add_f32_e32 v27, v26, v22
	s_delay_alu instid0(VALU_DEP_1) | instskip(NEXT) | instid1(VALU_DEP_1)
	v_sub_f32_e32 v28, v24, v27
	v_sub_f32_e32 v24, v24, v28
	;; [unrolled: 1-line block ×3, first 2 shown]
	s_delay_alu instid0(VALU_DEP_2) | instskip(NEXT) | instid1(VALU_DEP_2)
	v_sub_f32_e32 v24, v24, v27
	v_sub_f32_e32 v20, v20, v22
	s_delay_alu instid0(VALU_DEP_2) | instskip(NEXT) | instid1(VALU_DEP_1)
	v_add_f32_e32 v18, v18, v24
	v_add_f32_e32 v18, v20, v18
	s_delay_alu instid0(VALU_DEP_1) | instskip(NEXT) | instid1(VALU_DEP_1)
	v_add_f32_e32 v20, v28, v18
	v_mul_f32_e32 v22, v19, v20
	s_delay_alu instid0(VALU_DEP_1) | instskip(NEXT) | instid1(VALU_DEP_1)
	v_dual_sub_f32 v27, v28, v20 :: v_dual_mul_f32 v24, v23, v22
	v_add_f32_e32 v18, v18, v27
	s_delay_alu instid0(VALU_DEP_2) | instskip(NEXT) | instid1(VALU_DEP_1)
	v_fma_f32 v23, v22, v23, -v24
	v_fmac_f32_e32 v23, v22, v21
	s_delay_alu instid0(VALU_DEP_1) | instskip(NEXT) | instid1(VALU_DEP_1)
	v_add_f32_e32 v21, v24, v23
	v_sub_f32_e32 v26, v20, v21
	v_sub_f32_e32 v24, v21, v24
	s_delay_alu instid0(VALU_DEP_2) | instskip(NEXT) | instid1(VALU_DEP_1)
	v_sub_f32_e32 v20, v20, v26
	v_sub_f32_e32 v20, v20, v21
	s_delay_alu instid0(VALU_DEP_1) | instskip(SKIP_1) | instid1(VALU_DEP_1)
	v_dual_sub_f32 v21, v24, v23 :: v_dual_add_f32 v18, v18, v20
	v_add_f32_e32 v20, v25, v22
	v_dual_add_f32 v18, v21, v18 :: v_dual_sub_f32 v21, v20, v25
	s_delay_alu instid0(VALU_DEP_1) | instskip(NEXT) | instid1(VALU_DEP_1)
	v_add_f32_e32 v18, v26, v18
	v_dual_sub_f32 v21, v22, v21 :: v_dual_mul_f32 v18, v19, v18
	s_delay_alu instid0(VALU_DEP_1) | instskip(NEXT) | instid1(VALU_DEP_1)
	v_add_f32_e32 v18, v21, v18
	v_add_f32_e32 v19, v20, v18
	s_delay_alu instid0(VALU_DEP_1) | instskip(SKIP_1) | instid1(VALU_DEP_1)
	v_mul_f32_e32 v21, v19, v19
	s_wait_alu 0xfffe
	v_fmaak_f32 v22, s19, v21, 0x3ecc95a3
	v_mul_f32_e32 v23, v19, v21
	v_cmp_neq_f32_e64 s19, 0x7f800000, v14
	s_delay_alu instid0(VALU_DEP_3) | instskip(SKIP_2) | instid1(VALU_DEP_3)
	v_fmaak_f32 v21, v21, v22, 0x3f2aaada
	v_ldexp_f32 v22, v19, 1
	v_sub_f32_e32 v19, v19, v20
	v_mul_f32_e32 v21, v23, v21
	s_delay_alu instid0(VALU_DEP_2) | instskip(NEXT) | instid1(VALU_DEP_2)
	v_dual_mul_f32 v23, 0x3f317218, v17 :: v_dual_sub_f32 v18, v18, v19
	v_add_f32_e32 v20, v22, v21
	s_delay_alu instid0(VALU_DEP_2) | instskip(NEXT) | instid1(VALU_DEP_2)
	v_ldexp_f32 v18, v18, 1
	v_sub_f32_e32 v19, v20, v22
	s_delay_alu instid0(VALU_DEP_4) | instskip(NEXT) | instid1(VALU_DEP_2)
	v_fma_f32 v22, 0x3f317218, v17, -v23
	v_sub_f32_e32 v19, v21, v19
	s_delay_alu instid0(VALU_DEP_1) | instskip(NEXT) | instid1(VALU_DEP_1)
	v_dual_fmamk_f32 v17, v17, 0xb102e308, v22 :: v_dual_add_f32 v18, v18, v19
	v_add_f32_e32 v19, v23, v17
	s_delay_alu instid0(VALU_DEP_1) | instskip(NEXT) | instid1(VALU_DEP_1)
	v_sub_f32_e32 v23, v19, v23
	v_sub_f32_e32 v17, v17, v23
	s_delay_alu instid0(VALU_DEP_4) | instskip(NEXT) | instid1(VALU_DEP_1)
	v_add_f32_e32 v21, v20, v18
	v_sub_f32_e32 v20, v21, v20
	s_delay_alu instid0(VALU_DEP_1) | instskip(SKIP_1) | instid1(VALU_DEP_1)
	v_sub_f32_e32 v18, v18, v20
	v_add_f32_e32 v22, v19, v21
	v_sub_f32_e32 v24, v22, v19
	s_delay_alu instid0(VALU_DEP_1) | instskip(NEXT) | instid1(VALU_DEP_4)
	v_sub_f32_e32 v20, v21, v24
	v_add_f32_e32 v21, v17, v18
	v_sub_f32_e32 v25, v22, v24
	s_delay_alu instid0(VALU_DEP_1) | instskip(NEXT) | instid1(VALU_DEP_1)
	v_sub_f32_e32 v19, v19, v25
	v_dual_add_f32 v19, v20, v19 :: v_dual_sub_f32 v20, v21, v17
	s_delay_alu instid0(VALU_DEP_1) | instskip(SKIP_1) | instid1(VALU_DEP_2)
	v_dual_add_f32 v19, v21, v19 :: v_dual_sub_f32 v18, v18, v20
	v_sub_f32_e32 v21, v21, v20
	v_add_f32_e32 v23, v22, v19
	s_delay_alu instid0(VALU_DEP_1) | instskip(NEXT) | instid1(VALU_DEP_1)
	v_dual_sub_f32 v17, v17, v21 :: v_dual_sub_f32 v20, v23, v22
	v_dual_add_f32 v17, v18, v17 :: v_dual_sub_f32 v18, v19, v20
	s_delay_alu instid0(VALU_DEP_1) | instskip(NEXT) | instid1(VALU_DEP_1)
	v_add_f32_e32 v17, v17, v18
	v_add_f32_e32 v17, v23, v17
	s_wait_alu 0xf1ff
	s_delay_alu instid0(VALU_DEP_1) | instskip(SKIP_2) | instid1(VALU_DEP_1)
	v_cndmask_b32_e64 v17, 0x7f800000, v17, s19
	v_cmp_gt_f32_e64 s19, 0x33800000, |v14|
	s_wait_alu 0xf1ff
	v_cndmask_b32_e64 v14, v17, v14, s19
	s_delay_alu instid0(VALU_DEP_1) | instskip(NEXT) | instid1(VALU_DEP_1)
	v_add_f32_e32 v13, v13, v14
	v_cvt_f16_f32_e32 v17, v13
	s_delay_alu instid0(VALU_DEP_1)
	v_cvt_f32_f16_e32 v19, v17
	v_mov_b32_e32 v18, v17
.LBB392_36:
	s_or_b32 exec_lo, exec_lo, s20
	v_lshrrev_b32_e32 v4, 16, v4
	s_delay_alu instid0(VALU_DEP_3) | instskip(SKIP_1) | instid1(VALU_DEP_3)
	v_max_num_f32_e32 v14, v19, v19
	v_cmp_u_f16_e64 s19, v17, v17
	v_cvt_f32_f16_e32 v13, v4
	s_delay_alu instid0(VALU_DEP_1) | instskip(SKIP_2) | instid1(VALU_DEP_2)
	v_min_num_f32_e32 v20, v14, v13
	v_max_num_f32_e32 v14, v14, v13
	s_wait_alu 0xf1ff
	v_cndmask_b32_e64 v20, v20, v19, s19
	s_delay_alu instid0(VALU_DEP_2) | instskip(SKIP_2) | instid1(VALU_DEP_1)
	v_cndmask_b32_e64 v21, v14, v19, s19
	v_cmp_u_f16_e64 s19, v4, v4
	s_wait_alu 0xf1ff
	v_cndmask_b32_e64 v14, v20, v13, s19
	s_delay_alu instid0(VALU_DEP_3) | instskip(NEXT) | instid1(VALU_DEP_2)
	v_cndmask_b32_e64 v4, v21, v13, s19
	v_cmp_class_f32_e64 s21, v14, 0x1f8
	s_delay_alu instid0(VALU_DEP_2) | instskip(SKIP_1) | instid1(SALU_CYCLE_1)
	v_cmp_neq_f32_e64 s20, v14, v4
	s_or_b32 s20, s20, s21
	s_and_saveexec_b32 s21, s20
	s_cbranch_execz .LBB392_38
; %bb.37:
	v_sub_f32_e32 v14, v14, v4
	s_delay_alu instid0(VALU_DEP_1) | instskip(NEXT) | instid1(VALU_DEP_1)
	v_mul_f32_e32 v17, 0x3fb8aa3b, v14
	v_fma_f32 v18, 0x3fb8aa3b, v14, -v17
	v_rndne_f32_e32 v19, v17
	s_delay_alu instid0(VALU_DEP_1) | instskip(SKIP_1) | instid1(VALU_DEP_2)
	v_dual_sub_f32 v17, v17, v19 :: v_dual_fmamk_f32 v18, v14, 0x32a5705f, v18
	v_cmp_ngt_f32_e64 s20, 0xc2ce8ed0, v14
	v_add_f32_e32 v17, v17, v18
	v_cvt_i32_f32_e32 v18, v19
	s_delay_alu instid0(VALU_DEP_2) | instskip(NEXT) | instid1(TRANS32_DEP_1)
	v_exp_f32_e32 v17, v17
	v_ldexp_f32 v17, v17, v18
	s_delay_alu instid0(VALU_DEP_1) | instskip(SKIP_2) | instid1(VALU_DEP_1)
	v_cndmask_b32_e64 v17, 0, v17, s20
	v_cmp_nlt_f32_e64 s20, 0x42b17218, v14
	s_wait_alu 0xf1ff
	v_cndmask_b32_e64 v14, 0x7f800000, v17, s20
	s_delay_alu instid0(VALU_DEP_1) | instskip(NEXT) | instid1(VALU_DEP_1)
	v_add_f32_e32 v19, 1.0, v14
	v_cvt_f64_f32_e32 v[17:18], v19
	s_delay_alu instid0(VALU_DEP_1) | instskip(SKIP_1) | instid1(VALU_DEP_1)
	v_frexp_exp_i32_f64_e32 v17, v[17:18]
	v_frexp_mant_f32_e32 v18, v19
	v_cmp_gt_f32_e64 s20, 0x3f2aaaab, v18
	v_add_f32_e32 v18, -1.0, v19
	s_delay_alu instid0(VALU_DEP_1) | instskip(NEXT) | instid1(VALU_DEP_1)
	v_sub_f32_e32 v21, v18, v19
	v_dual_sub_f32 v18, v14, v18 :: v_dual_add_f32 v21, 1.0, v21
	s_wait_alu 0xf1ff
	v_subrev_co_ci_u32_e64 v17, null, 0, v17, s20
	s_mov_b32 s20, 0x3e9b6dac
	v_sub_nc_u32_e32 v20, 0, v17
	v_cvt_f32_i32_e32 v17, v17
	s_delay_alu instid0(VALU_DEP_2) | instskip(NEXT) | instid1(VALU_DEP_1)
	v_ldexp_f32 v19, v19, v20
	v_add_f32_e32 v22, 1.0, v19
	s_delay_alu instid0(VALU_DEP_1) | instskip(NEXT) | instid1(VALU_DEP_1)
	v_dual_add_f32 v18, v18, v21 :: v_dual_add_f32 v21, -1.0, v22
	v_ldexp_f32 v18, v18, v20
	s_delay_alu instid0(VALU_DEP_2) | instskip(NEXT) | instid1(VALU_DEP_1)
	v_dual_add_f32 v20, -1.0, v19 :: v_dual_sub_f32 v21, v19, v21
	v_add_f32_e32 v23, 1.0, v20
	s_delay_alu instid0(VALU_DEP_2) | instskip(NEXT) | instid1(VALU_DEP_2)
	v_add_f32_e32 v21, v18, v21
	v_sub_f32_e32 v19, v19, v23
	s_delay_alu instid0(VALU_DEP_1) | instskip(NEXT) | instid1(VALU_DEP_1)
	v_add_f32_e32 v18, v18, v19
	v_dual_add_f32 v24, v20, v18 :: v_dual_add_f32 v23, v22, v21
	s_delay_alu instid0(VALU_DEP_1) | instskip(NEXT) | instid1(VALU_DEP_2)
	v_sub_f32_e32 v20, v20, v24
	v_rcp_f32_e32 v19, v23
	v_sub_f32_e32 v22, v22, v23
	s_delay_alu instid0(VALU_DEP_1) | instskip(NEXT) | instid1(TRANS32_DEP_1)
	v_dual_add_f32 v18, v18, v20 :: v_dual_add_f32 v21, v21, v22
	v_mul_f32_e32 v25, v24, v19
	s_delay_alu instid0(VALU_DEP_1) | instskip(NEXT) | instid1(VALU_DEP_1)
	v_mul_f32_e32 v26, v23, v25
	v_fma_f32 v22, v25, v23, -v26
	s_delay_alu instid0(VALU_DEP_1) | instskip(NEXT) | instid1(VALU_DEP_1)
	v_fmac_f32_e32 v22, v25, v21
	v_add_f32_e32 v27, v26, v22
	s_delay_alu instid0(VALU_DEP_1) | instskip(NEXT) | instid1(VALU_DEP_1)
	v_sub_f32_e32 v28, v24, v27
	v_sub_f32_e32 v24, v24, v28
	;; [unrolled: 1-line block ×3, first 2 shown]
	s_delay_alu instid0(VALU_DEP_2) | instskip(NEXT) | instid1(VALU_DEP_2)
	v_sub_f32_e32 v24, v24, v27
	v_sub_f32_e32 v20, v20, v22
	s_delay_alu instid0(VALU_DEP_2) | instskip(NEXT) | instid1(VALU_DEP_1)
	v_add_f32_e32 v18, v18, v24
	v_add_f32_e32 v18, v20, v18
	s_delay_alu instid0(VALU_DEP_1) | instskip(NEXT) | instid1(VALU_DEP_1)
	v_add_f32_e32 v20, v28, v18
	v_mul_f32_e32 v22, v19, v20
	s_delay_alu instid0(VALU_DEP_1) | instskip(NEXT) | instid1(VALU_DEP_1)
	v_dual_sub_f32 v27, v28, v20 :: v_dual_mul_f32 v24, v23, v22
	v_add_f32_e32 v18, v18, v27
	s_delay_alu instid0(VALU_DEP_2) | instskip(NEXT) | instid1(VALU_DEP_1)
	v_fma_f32 v23, v22, v23, -v24
	v_fmac_f32_e32 v23, v22, v21
	s_delay_alu instid0(VALU_DEP_1) | instskip(NEXT) | instid1(VALU_DEP_1)
	v_add_f32_e32 v21, v24, v23
	v_sub_f32_e32 v26, v20, v21
	v_sub_f32_e32 v24, v21, v24
	s_delay_alu instid0(VALU_DEP_2) | instskip(NEXT) | instid1(VALU_DEP_1)
	v_sub_f32_e32 v20, v20, v26
	v_sub_f32_e32 v20, v20, v21
	s_delay_alu instid0(VALU_DEP_1) | instskip(SKIP_1) | instid1(VALU_DEP_1)
	v_dual_sub_f32 v21, v24, v23 :: v_dual_add_f32 v18, v18, v20
	v_add_f32_e32 v20, v25, v22
	v_dual_add_f32 v18, v21, v18 :: v_dual_sub_f32 v21, v20, v25
	s_delay_alu instid0(VALU_DEP_1) | instskip(NEXT) | instid1(VALU_DEP_1)
	v_add_f32_e32 v18, v26, v18
	v_dual_sub_f32 v21, v22, v21 :: v_dual_mul_f32 v18, v19, v18
	s_delay_alu instid0(VALU_DEP_1) | instskip(NEXT) | instid1(VALU_DEP_1)
	v_add_f32_e32 v18, v21, v18
	v_add_f32_e32 v19, v20, v18
	s_delay_alu instid0(VALU_DEP_1) | instskip(SKIP_1) | instid1(VALU_DEP_1)
	v_mul_f32_e32 v21, v19, v19
	s_wait_alu 0xfffe
	v_fmaak_f32 v22, s20, v21, 0x3ecc95a3
	v_mul_f32_e32 v23, v19, v21
	v_cmp_neq_f32_e64 s20, 0x7f800000, v14
	s_delay_alu instid0(VALU_DEP_3) | instskip(SKIP_2) | instid1(VALU_DEP_3)
	v_fmaak_f32 v21, v21, v22, 0x3f2aaada
	v_ldexp_f32 v22, v19, 1
	v_sub_f32_e32 v19, v19, v20
	v_mul_f32_e32 v21, v23, v21
	s_delay_alu instid0(VALU_DEP_2) | instskip(NEXT) | instid1(VALU_DEP_2)
	v_dual_mul_f32 v23, 0x3f317218, v17 :: v_dual_sub_f32 v18, v18, v19
	v_add_f32_e32 v20, v22, v21
	s_delay_alu instid0(VALU_DEP_2) | instskip(NEXT) | instid1(VALU_DEP_2)
	v_ldexp_f32 v18, v18, 1
	v_sub_f32_e32 v19, v20, v22
	s_delay_alu instid0(VALU_DEP_4) | instskip(NEXT) | instid1(VALU_DEP_2)
	v_fma_f32 v22, 0x3f317218, v17, -v23
	v_sub_f32_e32 v19, v21, v19
	s_delay_alu instid0(VALU_DEP_1) | instskip(NEXT) | instid1(VALU_DEP_1)
	v_dual_fmamk_f32 v17, v17, 0xb102e308, v22 :: v_dual_add_f32 v18, v18, v19
	v_add_f32_e32 v19, v23, v17
	s_delay_alu instid0(VALU_DEP_1) | instskip(NEXT) | instid1(VALU_DEP_1)
	v_sub_f32_e32 v23, v19, v23
	v_sub_f32_e32 v17, v17, v23
	s_delay_alu instid0(VALU_DEP_4) | instskip(NEXT) | instid1(VALU_DEP_1)
	v_add_f32_e32 v21, v20, v18
	v_sub_f32_e32 v20, v21, v20
	s_delay_alu instid0(VALU_DEP_1) | instskip(SKIP_1) | instid1(VALU_DEP_1)
	v_sub_f32_e32 v18, v18, v20
	v_add_f32_e32 v22, v19, v21
	v_sub_f32_e32 v24, v22, v19
	s_delay_alu instid0(VALU_DEP_1) | instskip(NEXT) | instid1(VALU_DEP_4)
	v_sub_f32_e32 v20, v21, v24
	v_add_f32_e32 v21, v17, v18
	v_sub_f32_e32 v25, v22, v24
	s_delay_alu instid0(VALU_DEP_1) | instskip(NEXT) | instid1(VALU_DEP_1)
	v_sub_f32_e32 v19, v19, v25
	v_dual_add_f32 v19, v20, v19 :: v_dual_sub_f32 v20, v21, v17
	s_delay_alu instid0(VALU_DEP_1) | instskip(SKIP_1) | instid1(VALU_DEP_2)
	v_dual_add_f32 v19, v21, v19 :: v_dual_sub_f32 v18, v18, v20
	v_sub_f32_e32 v21, v21, v20
	v_add_f32_e32 v23, v22, v19
	s_delay_alu instid0(VALU_DEP_1) | instskip(NEXT) | instid1(VALU_DEP_1)
	v_dual_sub_f32 v17, v17, v21 :: v_dual_sub_f32 v20, v23, v22
	v_dual_add_f32 v17, v18, v17 :: v_dual_sub_f32 v18, v19, v20
	s_delay_alu instid0(VALU_DEP_1) | instskip(NEXT) | instid1(VALU_DEP_1)
	v_add_f32_e32 v17, v17, v18
	v_add_f32_e32 v17, v23, v17
	s_wait_alu 0xf1ff
	s_delay_alu instid0(VALU_DEP_1) | instskip(SKIP_2) | instid1(VALU_DEP_1)
	v_cndmask_b32_e64 v17, 0x7f800000, v17, s20
	v_cmp_gt_f32_e64 s20, 0x33800000, |v14|
	s_wait_alu 0xf1ff
	v_cndmask_b32_e64 v14, v17, v14, s20
	s_delay_alu instid0(VALU_DEP_1) | instskip(NEXT) | instid1(VALU_DEP_1)
	v_add_f32_e32 v4, v4, v14
	v_cvt_f16_f32_e32 v17, v4
	s_delay_alu instid0(VALU_DEP_1)
	v_cvt_f32_f16_e32 v19, v17
	v_mov_b32_e32 v18, v17
.LBB392_38:
	s_or_b32 exec_lo, exec_lo, s21
	v_cvt_f32_f16_e32 v4, v5
	s_delay_alu instid0(VALU_DEP_3) | instskip(SKIP_1) | instid1(VALU_DEP_2)
	v_max_num_f32_e32 v14, v19, v19
	v_cmp_u_f16_e64 s20, v17, v17
	v_min_num_f32_e32 v20, v14, v4
	v_max_num_f32_e32 v14, v14, v4
	s_wait_alu 0xf1ff
	s_delay_alu instid0(VALU_DEP_2) | instskip(NEXT) | instid1(VALU_DEP_2)
	v_cndmask_b32_e64 v20, v20, v19, s20
	v_cndmask_b32_e64 v14, v14, v19, s20
	v_cmp_u_f16_e64 s20, v5, v5
	s_wait_alu 0xf1ff
	s_delay_alu instid0(VALU_DEP_1) | instskip(NEXT) | instid1(VALU_DEP_3)
	v_cndmask_b32_e64 v20, v20, v4, s20
	v_cndmask_b32_e64 v14, v14, v4, s20
	s_delay_alu instid0(VALU_DEP_2) | instskip(NEXT) | instid1(VALU_DEP_2)
	v_cmp_class_f32_e64 s22, v20, 0x1f8
	v_cmp_neq_f32_e64 s21, v20, v14
	s_or_b32 s21, s21, s22
	s_wait_alu 0xfffe
	s_and_saveexec_b32 s22, s21
	s_cbranch_execz .LBB392_40
; %bb.39:
	v_sub_f32_e32 v17, v20, v14
	s_delay_alu instid0(VALU_DEP_1) | instskip(NEXT) | instid1(VALU_DEP_1)
	v_mul_f32_e32 v18, 0x3fb8aa3b, v17
	v_fma_f32 v19, 0x3fb8aa3b, v17, -v18
	v_rndne_f32_e32 v20, v18
	s_delay_alu instid0(VALU_DEP_1) | instskip(SKIP_1) | instid1(VALU_DEP_2)
	v_dual_sub_f32 v18, v18, v20 :: v_dual_fmamk_f32 v19, v17, 0x32a5705f, v19
	v_cmp_ngt_f32_e64 s21, 0xc2ce8ed0, v17
	v_add_f32_e32 v18, v18, v19
	v_cvt_i32_f32_e32 v19, v20
	s_delay_alu instid0(VALU_DEP_2) | instskip(NEXT) | instid1(TRANS32_DEP_1)
	v_exp_f32_e32 v18, v18
	v_ldexp_f32 v18, v18, v19
	s_wait_alu 0xf1ff
	s_delay_alu instid0(VALU_DEP_1) | instskip(SKIP_2) | instid1(VALU_DEP_1)
	v_cndmask_b32_e64 v18, 0, v18, s21
	v_cmp_nlt_f32_e64 s21, 0x42b17218, v17
	s_wait_alu 0xf1ff
	v_cndmask_b32_e64 v19, 0x7f800000, v18, s21
	s_delay_alu instid0(VALU_DEP_1) | instskip(NEXT) | instid1(VALU_DEP_1)
	v_add_f32_e32 v20, 1.0, v19
	v_cvt_f64_f32_e32 v[17:18], v20
	s_delay_alu instid0(VALU_DEP_1) | instskip(SKIP_1) | instid1(VALU_DEP_1)
	v_frexp_exp_i32_f64_e32 v17, v[17:18]
	v_frexp_mant_f32_e32 v18, v20
	v_cmp_gt_f32_e64 s21, 0x3f2aaaab, v18
	v_add_f32_e32 v18, -1.0, v20
	s_delay_alu instid0(VALU_DEP_1)
	v_sub_f32_e32 v22, v18, v20
	v_sub_f32_e32 v18, v19, v18
	s_wait_alu 0xf1ff
	v_subrev_co_ci_u32_e64 v17, null, 0, v17, s21
	s_mov_b32 s21, 0x3e9b6dac
	v_sub_nc_u32_e32 v21, 0, v17
	v_cvt_f32_i32_e32 v17, v17
	s_delay_alu instid0(VALU_DEP_2) | instskip(NEXT) | instid1(VALU_DEP_1)
	v_ldexp_f32 v20, v20, v21
	v_dual_add_f32 v23, 1.0, v20 :: v_dual_add_f32 v22, 1.0, v22
	s_delay_alu instid0(VALU_DEP_1) | instskip(NEXT) | instid1(VALU_DEP_2)
	v_add_f32_e32 v18, v18, v22
	v_add_f32_e32 v22, -1.0, v23
	s_delay_alu instid0(VALU_DEP_2) | instskip(NEXT) | instid1(VALU_DEP_2)
	v_ldexp_f32 v18, v18, v21
	v_dual_add_f32 v21, -1.0, v20 :: v_dual_sub_f32 v22, v20, v22
	s_delay_alu instid0(VALU_DEP_1) | instskip(NEXT) | instid1(VALU_DEP_2)
	v_add_f32_e32 v24, 1.0, v21
	v_add_f32_e32 v22, v18, v22
	s_delay_alu instid0(VALU_DEP_2) | instskip(NEXT) | instid1(VALU_DEP_2)
	v_sub_f32_e32 v20, v20, v24
	v_add_f32_e32 v24, v23, v22
	s_delay_alu instid0(VALU_DEP_2) | instskip(NEXT) | instid1(VALU_DEP_2)
	v_add_f32_e32 v18, v18, v20
	v_rcp_f32_e32 v20, v24
	v_sub_f32_e32 v23, v23, v24
	s_delay_alu instid0(VALU_DEP_1) | instskip(NEXT) | instid1(VALU_DEP_1)
	v_dual_add_f32 v25, v21, v18 :: v_dual_add_f32 v22, v22, v23
	v_sub_f32_e32 v21, v21, v25
	s_delay_alu instid0(TRANS32_DEP_1) | instskip(NEXT) | instid1(VALU_DEP_1)
	v_mul_f32_e32 v26, v25, v20
	v_dual_add_f32 v18, v18, v21 :: v_dual_mul_f32 v27, v24, v26
	s_delay_alu instid0(VALU_DEP_1) | instskip(NEXT) | instid1(VALU_DEP_1)
	v_fma_f32 v23, v26, v24, -v27
	v_fmac_f32_e32 v23, v26, v22
	s_delay_alu instid0(VALU_DEP_1) | instskip(NEXT) | instid1(VALU_DEP_1)
	v_add_f32_e32 v28, v27, v23
	v_sub_f32_e32 v29, v25, v28
	v_sub_f32_e32 v21, v28, v27
	s_delay_alu instid0(VALU_DEP_2) | instskip(NEXT) | instid1(VALU_DEP_2)
	v_sub_f32_e32 v25, v25, v29
	v_sub_f32_e32 v21, v21, v23
	s_delay_alu instid0(VALU_DEP_2) | instskip(NEXT) | instid1(VALU_DEP_1)
	v_sub_f32_e32 v25, v25, v28
	v_add_f32_e32 v18, v18, v25
	s_delay_alu instid0(VALU_DEP_1) | instskip(NEXT) | instid1(VALU_DEP_1)
	v_add_f32_e32 v18, v21, v18
	v_add_f32_e32 v21, v29, v18
	s_delay_alu instid0(VALU_DEP_1) | instskip(NEXT) | instid1(VALU_DEP_1)
	v_mul_f32_e32 v23, v20, v21
	v_dual_sub_f32 v28, v29, v21 :: v_dual_mul_f32 v25, v24, v23
	s_delay_alu instid0(VALU_DEP_1) | instskip(NEXT) | instid1(VALU_DEP_2)
	v_add_f32_e32 v18, v18, v28
	v_fma_f32 v24, v23, v24, -v25
	s_delay_alu instid0(VALU_DEP_1) | instskip(NEXT) | instid1(VALU_DEP_1)
	v_fmac_f32_e32 v24, v23, v22
	v_add_f32_e32 v22, v25, v24
	s_delay_alu instid0(VALU_DEP_1) | instskip(SKIP_1) | instid1(VALU_DEP_2)
	v_sub_f32_e32 v27, v21, v22
	v_sub_f32_e32 v25, v22, v25
	;; [unrolled: 1-line block ×3, first 2 shown]
	s_delay_alu instid0(VALU_DEP_1) | instskip(NEXT) | instid1(VALU_DEP_3)
	v_sub_f32_e32 v21, v21, v22
	v_sub_f32_e32 v22, v25, v24
	s_delay_alu instid0(VALU_DEP_2) | instskip(SKIP_1) | instid1(VALU_DEP_2)
	v_add_f32_e32 v18, v18, v21
	v_add_f32_e32 v21, v26, v23
	;; [unrolled: 1-line block ×3, first 2 shown]
	s_delay_alu instid0(VALU_DEP_2) | instskip(NEXT) | instid1(VALU_DEP_2)
	v_sub_f32_e32 v22, v21, v26
	v_add_f32_e32 v18, v27, v18
	s_delay_alu instid0(VALU_DEP_2) | instskip(NEXT) | instid1(VALU_DEP_2)
	v_sub_f32_e32 v22, v23, v22
	v_mul_f32_e32 v18, v20, v18
	s_delay_alu instid0(VALU_DEP_1) | instskip(NEXT) | instid1(VALU_DEP_1)
	v_add_f32_e32 v18, v22, v18
	v_add_f32_e32 v20, v21, v18
	s_delay_alu instid0(VALU_DEP_1) | instskip(SKIP_1) | instid1(VALU_DEP_1)
	v_mul_f32_e32 v22, v20, v20
	s_wait_alu 0xfffe
	v_fmaak_f32 v23, s21, v22, 0x3ecc95a3
	v_mul_f32_e32 v24, v20, v22
	v_cmp_neq_f32_e64 s21, 0x7f800000, v19
	s_delay_alu instid0(VALU_DEP_3) | instskip(SKIP_2) | instid1(VALU_DEP_3)
	v_fmaak_f32 v22, v22, v23, 0x3f2aaada
	v_ldexp_f32 v23, v20, 1
	v_sub_f32_e32 v20, v20, v21
	v_mul_f32_e32 v22, v24, v22
	v_mul_f32_e32 v24, 0x3f317218, v17
	s_delay_alu instid0(VALU_DEP_2) | instskip(NEXT) | instid1(VALU_DEP_1)
	v_dual_sub_f32 v18, v18, v20 :: v_dual_add_f32 v21, v23, v22
	v_ldexp_f32 v18, v18, 1
	s_delay_alu instid0(VALU_DEP_2) | instskip(NEXT) | instid1(VALU_DEP_4)
	v_sub_f32_e32 v20, v21, v23
	v_fma_f32 v23, 0x3f317218, v17, -v24
	s_delay_alu instid0(VALU_DEP_1) | instskip(NEXT) | instid1(VALU_DEP_1)
	v_dual_sub_f32 v20, v22, v20 :: v_dual_fmamk_f32 v17, v17, 0xb102e308, v23
	v_add_f32_e32 v18, v18, v20
	s_delay_alu instid0(VALU_DEP_2) | instskip(NEXT) | instid1(VALU_DEP_2)
	v_add_f32_e32 v20, v24, v17
	v_add_f32_e32 v22, v21, v18
	s_delay_alu instid0(VALU_DEP_2) | instskip(NEXT) | instid1(VALU_DEP_2)
	v_sub_f32_e32 v24, v20, v24
	v_add_f32_e32 v23, v20, v22
	v_sub_f32_e32 v21, v22, v21
	s_delay_alu instid0(VALU_DEP_3) | instskip(NEXT) | instid1(VALU_DEP_2)
	v_sub_f32_e32 v17, v17, v24
	v_dual_sub_f32 v25, v23, v20 :: v_dual_sub_f32 v18, v18, v21
	s_delay_alu instid0(VALU_DEP_1) | instskip(NEXT) | instid1(VALU_DEP_2)
	v_sub_f32_e32 v26, v23, v25
	v_dual_sub_f32 v21, v22, v25 :: v_dual_add_f32 v22, v17, v18
	s_delay_alu instid0(VALU_DEP_2) | instskip(NEXT) | instid1(VALU_DEP_1)
	v_sub_f32_e32 v20, v20, v26
	v_dual_add_f32 v20, v21, v20 :: v_dual_sub_f32 v21, v22, v17
	s_delay_alu instid0(VALU_DEP_1) | instskip(NEXT) | instid1(VALU_DEP_2)
	v_add_f32_e32 v20, v22, v20
	v_sub_f32_e32 v22, v22, v21
	v_sub_f32_e32 v18, v18, v21
	s_delay_alu instid0(VALU_DEP_2) | instskip(NEXT) | instid1(VALU_DEP_1)
	v_dual_add_f32 v24, v23, v20 :: v_dual_sub_f32 v17, v17, v22
	v_sub_f32_e32 v21, v24, v23
	s_delay_alu instid0(VALU_DEP_2) | instskip(NEXT) | instid1(VALU_DEP_2)
	v_add_f32_e32 v17, v18, v17
	v_sub_f32_e32 v18, v20, v21
	s_delay_alu instid0(VALU_DEP_1) | instskip(NEXT) | instid1(VALU_DEP_1)
	v_add_f32_e32 v17, v17, v18
	v_add_f32_e32 v17, v24, v17
	s_wait_alu 0xf1ff
	s_delay_alu instid0(VALU_DEP_1) | instskip(SKIP_2) | instid1(VALU_DEP_1)
	v_cndmask_b32_e64 v17, 0x7f800000, v17, s21
	v_cmp_gt_f32_e64 s21, 0x33800000, |v19|
	s_wait_alu 0xf1ff
	v_cndmask_b32_e64 v17, v17, v19, s21
	s_delay_alu instid0(VALU_DEP_1) | instskip(NEXT) | instid1(VALU_DEP_1)
	v_add_f32_e32 v14, v14, v17
	v_cvt_f16_f32_e32 v17, v14
	s_delay_alu instid0(VALU_DEP_1)
	v_cvt_f32_f16_e32 v19, v17
	v_mov_b32_e32 v18, v17
.LBB392_40:
	s_or_b32 exec_lo, exec_lo, s22
	v_lshrrev_b32_e32 v5, 16, v5
	s_delay_alu instid0(VALU_DEP_3) | instskip(SKIP_1) | instid1(VALU_DEP_3)
	v_max_num_f32_e32 v20, v19, v19
	v_cmp_u_f16_e64 s21, v17, v17
	v_cvt_f32_f16_e32 v14, v5
	s_delay_alu instid0(VALU_DEP_1) | instskip(SKIP_2) | instid1(VALU_DEP_2)
	v_min_num_f32_e32 v21, v20, v14
	v_max_num_f32_e32 v20, v20, v14
	s_wait_alu 0xf1ff
	v_cndmask_b32_e64 v21, v21, v19, s21
	s_delay_alu instid0(VALU_DEP_2) | instskip(SKIP_2) | instid1(VALU_DEP_1)
	v_cndmask_b32_e64 v22, v20, v19, s21
	v_cmp_u_f16_e64 s21, v5, v5
	s_wait_alu 0xf1ff
	v_cndmask_b32_e64 v20, v21, v14, s21
	s_delay_alu instid0(VALU_DEP_3) | instskip(NEXT) | instid1(VALU_DEP_2)
	v_cndmask_b32_e64 v5, v22, v14, s21
	v_cmp_class_f32_e64 s23, v20, 0x1f8
	s_delay_alu instid0(VALU_DEP_2) | instskip(SKIP_1) | instid1(SALU_CYCLE_1)
	v_cmp_neq_f32_e64 s22, v20, v5
	s_or_b32 s22, s22, s23
	s_and_saveexec_b32 s23, s22
	s_cbranch_execz .LBB392_42
; %bb.41:
	v_sub_f32_e32 v17, v20, v5
	s_delay_alu instid0(VALU_DEP_1) | instskip(NEXT) | instid1(VALU_DEP_1)
	v_mul_f32_e32 v18, 0x3fb8aa3b, v17
	v_fma_f32 v19, 0x3fb8aa3b, v17, -v18
	v_rndne_f32_e32 v20, v18
	s_delay_alu instid0(VALU_DEP_1) | instskip(SKIP_1) | instid1(VALU_DEP_2)
	v_dual_sub_f32 v18, v18, v20 :: v_dual_fmamk_f32 v19, v17, 0x32a5705f, v19
	v_cmp_ngt_f32_e64 s22, 0xc2ce8ed0, v17
	v_add_f32_e32 v18, v18, v19
	v_cvt_i32_f32_e32 v19, v20
	s_delay_alu instid0(VALU_DEP_2) | instskip(NEXT) | instid1(TRANS32_DEP_1)
	v_exp_f32_e32 v18, v18
	v_ldexp_f32 v18, v18, v19
	s_delay_alu instid0(VALU_DEP_1) | instskip(SKIP_2) | instid1(VALU_DEP_1)
	v_cndmask_b32_e64 v18, 0, v18, s22
	v_cmp_nlt_f32_e64 s22, 0x42b17218, v17
	s_wait_alu 0xf1ff
	v_cndmask_b32_e64 v19, 0x7f800000, v18, s22
	s_delay_alu instid0(VALU_DEP_1) | instskip(NEXT) | instid1(VALU_DEP_1)
	v_add_f32_e32 v20, 1.0, v19
	v_cvt_f64_f32_e32 v[17:18], v20
	s_delay_alu instid0(VALU_DEP_1) | instskip(SKIP_1) | instid1(VALU_DEP_1)
	v_frexp_exp_i32_f64_e32 v17, v[17:18]
	v_frexp_mant_f32_e32 v18, v20
	v_cmp_gt_f32_e64 s22, 0x3f2aaaab, v18
	v_add_f32_e32 v18, -1.0, v20
	s_delay_alu instid0(VALU_DEP_1)
	v_sub_f32_e32 v22, v18, v20
	v_sub_f32_e32 v18, v19, v18
	s_wait_alu 0xf1ff
	v_subrev_co_ci_u32_e64 v17, null, 0, v17, s22
	s_mov_b32 s22, 0x3e9b6dac
	v_sub_nc_u32_e32 v21, 0, v17
	v_cvt_f32_i32_e32 v17, v17
	s_delay_alu instid0(VALU_DEP_2) | instskip(NEXT) | instid1(VALU_DEP_1)
	v_ldexp_f32 v20, v20, v21
	v_dual_add_f32 v23, 1.0, v20 :: v_dual_add_f32 v22, 1.0, v22
	s_delay_alu instid0(VALU_DEP_1) | instskip(NEXT) | instid1(VALU_DEP_2)
	v_add_f32_e32 v18, v18, v22
	v_add_f32_e32 v22, -1.0, v23
	s_delay_alu instid0(VALU_DEP_2) | instskip(NEXT) | instid1(VALU_DEP_2)
	v_ldexp_f32 v18, v18, v21
	v_dual_add_f32 v21, -1.0, v20 :: v_dual_sub_f32 v22, v20, v22
	s_delay_alu instid0(VALU_DEP_1) | instskip(NEXT) | instid1(VALU_DEP_2)
	v_add_f32_e32 v24, 1.0, v21
	v_add_f32_e32 v22, v18, v22
	s_delay_alu instid0(VALU_DEP_2) | instskip(NEXT) | instid1(VALU_DEP_2)
	v_sub_f32_e32 v20, v20, v24
	v_add_f32_e32 v24, v23, v22
	s_delay_alu instid0(VALU_DEP_2) | instskip(NEXT) | instid1(VALU_DEP_2)
	v_add_f32_e32 v18, v18, v20
	v_rcp_f32_e32 v20, v24
	v_sub_f32_e32 v23, v23, v24
	s_delay_alu instid0(VALU_DEP_1) | instskip(NEXT) | instid1(VALU_DEP_1)
	v_dual_add_f32 v25, v21, v18 :: v_dual_add_f32 v22, v22, v23
	v_sub_f32_e32 v21, v21, v25
	s_delay_alu instid0(TRANS32_DEP_1) | instskip(NEXT) | instid1(VALU_DEP_1)
	v_mul_f32_e32 v26, v25, v20
	v_dual_add_f32 v18, v18, v21 :: v_dual_mul_f32 v27, v24, v26
	s_delay_alu instid0(VALU_DEP_1) | instskip(NEXT) | instid1(VALU_DEP_1)
	v_fma_f32 v23, v26, v24, -v27
	v_fmac_f32_e32 v23, v26, v22
	s_delay_alu instid0(VALU_DEP_1) | instskip(NEXT) | instid1(VALU_DEP_1)
	v_add_f32_e32 v28, v27, v23
	v_sub_f32_e32 v29, v25, v28
	v_sub_f32_e32 v21, v28, v27
	s_delay_alu instid0(VALU_DEP_2) | instskip(NEXT) | instid1(VALU_DEP_2)
	v_sub_f32_e32 v25, v25, v29
	v_sub_f32_e32 v21, v21, v23
	s_delay_alu instid0(VALU_DEP_2) | instskip(NEXT) | instid1(VALU_DEP_1)
	v_sub_f32_e32 v25, v25, v28
	v_add_f32_e32 v18, v18, v25
	s_delay_alu instid0(VALU_DEP_1) | instskip(NEXT) | instid1(VALU_DEP_1)
	v_add_f32_e32 v18, v21, v18
	v_add_f32_e32 v21, v29, v18
	s_delay_alu instid0(VALU_DEP_1) | instskip(NEXT) | instid1(VALU_DEP_1)
	v_mul_f32_e32 v23, v20, v21
	v_dual_sub_f32 v28, v29, v21 :: v_dual_mul_f32 v25, v24, v23
	s_delay_alu instid0(VALU_DEP_1) | instskip(NEXT) | instid1(VALU_DEP_2)
	v_add_f32_e32 v18, v18, v28
	v_fma_f32 v24, v23, v24, -v25
	s_delay_alu instid0(VALU_DEP_1) | instskip(NEXT) | instid1(VALU_DEP_1)
	v_fmac_f32_e32 v24, v23, v22
	v_add_f32_e32 v22, v25, v24
	s_delay_alu instid0(VALU_DEP_1) | instskip(SKIP_1) | instid1(VALU_DEP_2)
	v_sub_f32_e32 v27, v21, v22
	v_sub_f32_e32 v25, v22, v25
	;; [unrolled: 1-line block ×3, first 2 shown]
	s_delay_alu instid0(VALU_DEP_1) | instskip(NEXT) | instid1(VALU_DEP_3)
	v_sub_f32_e32 v21, v21, v22
	v_sub_f32_e32 v22, v25, v24
	s_delay_alu instid0(VALU_DEP_2) | instskip(SKIP_1) | instid1(VALU_DEP_2)
	v_add_f32_e32 v18, v18, v21
	v_add_f32_e32 v21, v26, v23
	;; [unrolled: 1-line block ×3, first 2 shown]
	s_delay_alu instid0(VALU_DEP_2) | instskip(NEXT) | instid1(VALU_DEP_2)
	v_sub_f32_e32 v22, v21, v26
	v_add_f32_e32 v18, v27, v18
	s_delay_alu instid0(VALU_DEP_2) | instskip(NEXT) | instid1(VALU_DEP_2)
	v_sub_f32_e32 v22, v23, v22
	v_mul_f32_e32 v18, v20, v18
	s_delay_alu instid0(VALU_DEP_1) | instskip(NEXT) | instid1(VALU_DEP_1)
	v_add_f32_e32 v18, v22, v18
	v_add_f32_e32 v20, v21, v18
	s_delay_alu instid0(VALU_DEP_1) | instskip(SKIP_1) | instid1(VALU_DEP_1)
	v_mul_f32_e32 v22, v20, v20
	s_wait_alu 0xfffe
	v_fmaak_f32 v23, s22, v22, 0x3ecc95a3
	v_mul_f32_e32 v24, v20, v22
	v_cmp_neq_f32_e64 s22, 0x7f800000, v19
	s_delay_alu instid0(VALU_DEP_3) | instskip(SKIP_2) | instid1(VALU_DEP_3)
	v_fmaak_f32 v22, v22, v23, 0x3f2aaada
	v_ldexp_f32 v23, v20, 1
	v_sub_f32_e32 v20, v20, v21
	v_mul_f32_e32 v22, v24, v22
	v_mul_f32_e32 v24, 0x3f317218, v17
	s_delay_alu instid0(VALU_DEP_2) | instskip(NEXT) | instid1(VALU_DEP_1)
	v_dual_sub_f32 v18, v18, v20 :: v_dual_add_f32 v21, v23, v22
	v_ldexp_f32 v18, v18, 1
	s_delay_alu instid0(VALU_DEP_2) | instskip(NEXT) | instid1(VALU_DEP_4)
	v_sub_f32_e32 v20, v21, v23
	v_fma_f32 v23, 0x3f317218, v17, -v24
	s_delay_alu instid0(VALU_DEP_1) | instskip(NEXT) | instid1(VALU_DEP_1)
	v_dual_sub_f32 v20, v22, v20 :: v_dual_fmamk_f32 v17, v17, 0xb102e308, v23
	v_add_f32_e32 v18, v18, v20
	s_delay_alu instid0(VALU_DEP_2) | instskip(NEXT) | instid1(VALU_DEP_2)
	v_add_f32_e32 v20, v24, v17
	v_add_f32_e32 v22, v21, v18
	s_delay_alu instid0(VALU_DEP_2) | instskip(NEXT) | instid1(VALU_DEP_2)
	v_sub_f32_e32 v24, v20, v24
	v_add_f32_e32 v23, v20, v22
	v_sub_f32_e32 v21, v22, v21
	s_delay_alu instid0(VALU_DEP_3) | instskip(NEXT) | instid1(VALU_DEP_2)
	v_sub_f32_e32 v17, v17, v24
	v_dual_sub_f32 v25, v23, v20 :: v_dual_sub_f32 v18, v18, v21
	s_delay_alu instid0(VALU_DEP_1) | instskip(NEXT) | instid1(VALU_DEP_2)
	v_sub_f32_e32 v26, v23, v25
	v_dual_sub_f32 v21, v22, v25 :: v_dual_add_f32 v22, v17, v18
	s_delay_alu instid0(VALU_DEP_2) | instskip(NEXT) | instid1(VALU_DEP_1)
	v_sub_f32_e32 v20, v20, v26
	v_dual_add_f32 v20, v21, v20 :: v_dual_sub_f32 v21, v22, v17
	s_delay_alu instid0(VALU_DEP_1) | instskip(NEXT) | instid1(VALU_DEP_2)
	v_add_f32_e32 v20, v22, v20
	v_sub_f32_e32 v22, v22, v21
	v_sub_f32_e32 v18, v18, v21
	s_delay_alu instid0(VALU_DEP_2) | instskip(NEXT) | instid1(VALU_DEP_1)
	v_dual_add_f32 v24, v23, v20 :: v_dual_sub_f32 v17, v17, v22
	v_sub_f32_e32 v21, v24, v23
	s_delay_alu instid0(VALU_DEP_2) | instskip(NEXT) | instid1(VALU_DEP_2)
	v_add_f32_e32 v17, v18, v17
	v_sub_f32_e32 v18, v20, v21
	s_delay_alu instid0(VALU_DEP_1) | instskip(NEXT) | instid1(VALU_DEP_1)
	v_add_f32_e32 v17, v17, v18
	v_add_f32_e32 v17, v24, v17
	s_wait_alu 0xf1ff
	s_delay_alu instid0(VALU_DEP_1) | instskip(SKIP_2) | instid1(VALU_DEP_1)
	v_cndmask_b32_e64 v17, 0x7f800000, v17, s22
	v_cmp_gt_f32_e64 s22, 0x33800000, |v19|
	s_wait_alu 0xf1ff
	v_cndmask_b32_e64 v17, v17, v19, s22
	s_delay_alu instid0(VALU_DEP_1) | instskip(NEXT) | instid1(VALU_DEP_1)
	v_add_f32_e32 v5, v5, v17
	v_cvt_f16_f32_e32 v17, v5
	s_delay_alu instid0(VALU_DEP_1)
	v_cvt_f32_f16_e32 v19, v17
	v_mov_b32_e32 v18, v17
.LBB392_42:
	s_or_b32 exec_lo, exec_lo, s23
	v_cvt_f32_f16_e32 v5, v6
	s_delay_alu instid0(VALU_DEP_3) | instskip(SKIP_1) | instid1(VALU_DEP_2)
	v_max_num_f32_e32 v20, v19, v19
	v_cmp_u_f16_e64 s22, v17, v17
	v_min_num_f32_e32 v21, v20, v5
	v_max_num_f32_e32 v20, v20, v5
	s_wait_alu 0xf1ff
	s_delay_alu instid0(VALU_DEP_2) | instskip(NEXT) | instid1(VALU_DEP_2)
	v_cndmask_b32_e64 v21, v21, v19, s22
	v_cndmask_b32_e64 v20, v20, v19, s22
	v_cmp_u_f16_e64 s22, v6, v6
	s_wait_alu 0xf1ff
	s_delay_alu instid0(VALU_DEP_1) | instskip(NEXT) | instid1(VALU_DEP_3)
	v_cndmask_b32_e64 v21, v21, v5, s22
	v_cndmask_b32_e64 v20, v20, v5, s22
	s_delay_alu instid0(VALU_DEP_2) | instskip(NEXT) | instid1(VALU_DEP_2)
	v_cmp_class_f32_e64 s25, v21, 0x1f8
	v_cmp_neq_f32_e64 s23, v21, v20
	s_or_b32 s23, s23, s25
	s_wait_alu 0xfffe
	s_and_saveexec_b32 s25, s23
	s_cbranch_execz .LBB392_44
; %bb.43:
	v_sub_f32_e32 v17, v21, v20
	s_delay_alu instid0(VALU_DEP_1) | instskip(NEXT) | instid1(VALU_DEP_1)
	v_mul_f32_e32 v18, 0x3fb8aa3b, v17
	v_fma_f32 v19, 0x3fb8aa3b, v17, -v18
	v_rndne_f32_e32 v21, v18
	s_delay_alu instid0(VALU_DEP_1) | instskip(SKIP_1) | instid1(VALU_DEP_2)
	v_dual_sub_f32 v18, v18, v21 :: v_dual_fmamk_f32 v19, v17, 0x32a5705f, v19
	v_cmp_ngt_f32_e64 s23, 0xc2ce8ed0, v17
	v_add_f32_e32 v18, v18, v19
	v_cvt_i32_f32_e32 v19, v21
	s_delay_alu instid0(VALU_DEP_2) | instskip(NEXT) | instid1(TRANS32_DEP_1)
	v_exp_f32_e32 v18, v18
	v_ldexp_f32 v18, v18, v19
	s_wait_alu 0xf1ff
	s_delay_alu instid0(VALU_DEP_1) | instskip(SKIP_2) | instid1(VALU_DEP_1)
	v_cndmask_b32_e64 v18, 0, v18, s23
	v_cmp_nlt_f32_e64 s23, 0x42b17218, v17
	s_wait_alu 0xf1ff
	v_cndmask_b32_e64 v19, 0x7f800000, v18, s23
	s_delay_alu instid0(VALU_DEP_1) | instskip(NEXT) | instid1(VALU_DEP_1)
	v_add_f32_e32 v21, 1.0, v19
	v_cvt_f64_f32_e32 v[17:18], v21
	s_delay_alu instid0(VALU_DEP_1) | instskip(SKIP_1) | instid1(VALU_DEP_1)
	v_frexp_exp_i32_f64_e32 v17, v[17:18]
	v_frexp_mant_f32_e32 v18, v21
	v_cmp_gt_f32_e64 s23, 0x3f2aaaab, v18
	v_add_f32_e32 v18, -1.0, v21
	s_delay_alu instid0(VALU_DEP_1) | instskip(SKIP_1) | instid1(VALU_DEP_3)
	v_dual_sub_f32 v23, v18, v21 :: v_dual_sub_f32 v18, v19, v18
	s_wait_alu 0xf1ff
	v_subrev_co_ci_u32_e64 v17, null, 0, v17, s23
	s_mov_b32 s23, 0x3e9b6dac
	v_sub_nc_u32_e32 v22, 0, v17
	v_cvt_f32_i32_e32 v17, v17
	s_delay_alu instid0(VALU_DEP_2) | instskip(NEXT) | instid1(VALU_DEP_1)
	v_ldexp_f32 v21, v21, v22
	v_dual_add_f32 v23, 1.0, v23 :: v_dual_add_f32 v24, 1.0, v21
	s_delay_alu instid0(VALU_DEP_1) | instskip(NEXT) | instid1(VALU_DEP_1)
	v_dual_add_f32 v18, v18, v23 :: v_dual_add_f32 v23, -1.0, v24
	v_ldexp_f32 v18, v18, v22
	s_delay_alu instid0(VALU_DEP_2) | instskip(NEXT) | instid1(VALU_DEP_1)
	v_dual_add_f32 v22, -1.0, v21 :: v_dual_sub_f32 v23, v21, v23
	v_add_f32_e32 v25, 1.0, v22
	s_delay_alu instid0(VALU_DEP_2) | instskip(NEXT) | instid1(VALU_DEP_2)
	v_add_f32_e32 v23, v18, v23
	v_sub_f32_e32 v21, v21, v25
	s_delay_alu instid0(VALU_DEP_1) | instskip(NEXT) | instid1(VALU_DEP_1)
	v_dual_add_f32 v25, v24, v23 :: v_dual_add_f32 v18, v18, v21
	v_rcp_f32_e32 v21, v25
	v_sub_f32_e32 v24, v24, v25
	s_delay_alu instid0(VALU_DEP_1) | instskip(NEXT) | instid1(VALU_DEP_1)
	v_dual_add_f32 v26, v22, v18 :: v_dual_add_f32 v23, v23, v24
	v_sub_f32_e32 v22, v22, v26
	s_delay_alu instid0(TRANS32_DEP_1) | instskip(NEXT) | instid1(VALU_DEP_2)
	v_mul_f32_e32 v27, v26, v21
	v_add_f32_e32 v18, v18, v22
	s_delay_alu instid0(VALU_DEP_2) | instskip(NEXT) | instid1(VALU_DEP_1)
	v_mul_f32_e32 v28, v25, v27
	v_fma_f32 v24, v27, v25, -v28
	s_delay_alu instid0(VALU_DEP_1) | instskip(NEXT) | instid1(VALU_DEP_1)
	v_fmac_f32_e32 v24, v27, v23
	v_add_f32_e32 v29, v28, v24
	s_delay_alu instid0(VALU_DEP_1) | instskip(SKIP_1) | instid1(VALU_DEP_2)
	v_sub_f32_e32 v30, v26, v29
	v_sub_f32_e32 v22, v29, v28
	;; [unrolled: 1-line block ×3, first 2 shown]
	s_delay_alu instid0(VALU_DEP_2) | instskip(NEXT) | instid1(VALU_DEP_2)
	v_sub_f32_e32 v22, v22, v24
	v_sub_f32_e32 v26, v26, v29
	s_delay_alu instid0(VALU_DEP_1) | instskip(NEXT) | instid1(VALU_DEP_1)
	v_add_f32_e32 v18, v18, v26
	v_add_f32_e32 v18, v22, v18
	s_delay_alu instid0(VALU_DEP_1) | instskip(NEXT) | instid1(VALU_DEP_1)
	v_add_f32_e32 v22, v30, v18
	v_mul_f32_e32 v24, v21, v22
	s_delay_alu instid0(VALU_DEP_1) | instskip(NEXT) | instid1(VALU_DEP_1)
	v_mul_f32_e32 v26, v25, v24
	v_fma_f32 v25, v24, v25, -v26
	s_delay_alu instid0(VALU_DEP_1) | instskip(SKIP_1) | instid1(VALU_DEP_2)
	v_fmac_f32_e32 v25, v24, v23
	v_sub_f32_e32 v29, v30, v22
	v_add_f32_e32 v23, v26, v25
	s_delay_alu instid0(VALU_DEP_2) | instskip(NEXT) | instid1(VALU_DEP_2)
	v_add_f32_e32 v18, v18, v29
	v_sub_f32_e32 v28, v22, v23
	v_sub_f32_e32 v26, v23, v26
	s_delay_alu instid0(VALU_DEP_2) | instskip(NEXT) | instid1(VALU_DEP_1)
	v_sub_f32_e32 v22, v22, v28
	v_sub_f32_e32 v22, v22, v23
	s_delay_alu instid0(VALU_DEP_3) | instskip(NEXT) | instid1(VALU_DEP_2)
	v_sub_f32_e32 v23, v26, v25
	v_add_f32_e32 v18, v18, v22
	v_add_f32_e32 v22, v27, v24
	s_delay_alu instid0(VALU_DEP_1) | instskip(NEXT) | instid1(VALU_DEP_1)
	v_dual_add_f32 v18, v23, v18 :: v_dual_sub_f32 v23, v22, v27
	v_add_f32_e32 v18, v28, v18
	s_delay_alu instid0(VALU_DEP_1) | instskip(NEXT) | instid1(VALU_DEP_1)
	v_dual_sub_f32 v23, v24, v23 :: v_dual_mul_f32 v18, v21, v18
	v_add_f32_e32 v18, v23, v18
	s_delay_alu instid0(VALU_DEP_1) | instskip(NEXT) | instid1(VALU_DEP_1)
	v_add_f32_e32 v21, v22, v18
	v_mul_f32_e32 v23, v21, v21
	s_wait_alu 0xfffe
	s_delay_alu instid0(VALU_DEP_1) | instskip(SKIP_2) | instid1(VALU_DEP_3)
	v_fmaak_f32 v24, s23, v23, 0x3ecc95a3
	v_mul_f32_e32 v25, v21, v23
	v_cmp_neq_f32_e64 s23, 0x7f800000, v19
	v_fmaak_f32 v23, v23, v24, 0x3f2aaada
	v_ldexp_f32 v24, v21, 1
	v_sub_f32_e32 v21, v21, v22
	s_delay_alu instid0(VALU_DEP_3) | instskip(SKIP_1) | instid1(VALU_DEP_3)
	v_mul_f32_e32 v23, v25, v23
	v_mul_f32_e32 v25, 0x3f317218, v17
	v_sub_f32_e32 v18, v18, v21
	s_delay_alu instid0(VALU_DEP_3) | instskip(NEXT) | instid1(VALU_DEP_2)
	v_add_f32_e32 v22, v24, v23
	v_ldexp_f32 v18, v18, 1
	s_delay_alu instid0(VALU_DEP_2) | instskip(SKIP_1) | instid1(VALU_DEP_2)
	v_sub_f32_e32 v21, v22, v24
	v_fma_f32 v24, 0x3f317218, v17, -v25
	v_sub_f32_e32 v21, v23, v21
	s_delay_alu instid0(VALU_DEP_1) | instskip(NEXT) | instid1(VALU_DEP_1)
	v_dual_fmamk_f32 v17, v17, 0xb102e308, v24 :: v_dual_add_f32 v18, v18, v21
	v_add_f32_e32 v21, v25, v17
	s_delay_alu instid0(VALU_DEP_2) | instskip(NEXT) | instid1(VALU_DEP_2)
	v_add_f32_e32 v23, v22, v18
	v_sub_f32_e32 v25, v21, v25
	s_delay_alu instid0(VALU_DEP_2) | instskip(NEXT) | instid1(VALU_DEP_2)
	v_add_f32_e32 v24, v21, v23
	v_sub_f32_e32 v17, v17, v25
	s_delay_alu instid0(VALU_DEP_2) | instskip(SKIP_1) | instid1(VALU_DEP_2)
	v_sub_f32_e32 v26, v24, v21
	v_sub_f32_e32 v22, v23, v22
	;; [unrolled: 1-line block ×3, first 2 shown]
	s_delay_alu instid0(VALU_DEP_2) | instskip(NEXT) | instid1(VALU_DEP_2)
	v_sub_f32_e32 v18, v18, v22
	v_dual_sub_f32 v22, v23, v26 :: v_dual_sub_f32 v21, v21, v27
	s_delay_alu instid0(VALU_DEP_2) | instskip(NEXT) | instid1(VALU_DEP_2)
	v_add_f32_e32 v23, v17, v18
	v_add_f32_e32 v21, v22, v21
	s_delay_alu instid0(VALU_DEP_2) | instskip(NEXT) | instid1(VALU_DEP_2)
	v_sub_f32_e32 v22, v23, v17
	v_add_f32_e32 v21, v23, v21
	s_delay_alu instid0(VALU_DEP_2) | instskip(NEXT) | instid1(VALU_DEP_2)
	v_sub_f32_e32 v23, v23, v22
	v_dual_sub_f32 v18, v18, v22 :: v_dual_add_f32 v25, v24, v21
	s_delay_alu instid0(VALU_DEP_2) | instskip(NEXT) | instid1(VALU_DEP_1)
	v_sub_f32_e32 v17, v17, v23
	v_dual_sub_f32 v22, v25, v24 :: v_dual_add_f32 v17, v18, v17
	s_delay_alu instid0(VALU_DEP_1) | instskip(NEXT) | instid1(VALU_DEP_1)
	v_sub_f32_e32 v18, v21, v22
	v_add_f32_e32 v17, v17, v18
	s_delay_alu instid0(VALU_DEP_1) | instskip(SKIP_1) | instid1(VALU_DEP_1)
	v_add_f32_e32 v17, v25, v17
	s_wait_alu 0xf1ff
	v_cndmask_b32_e64 v17, 0x7f800000, v17, s23
	v_cmp_gt_f32_e64 s23, 0x33800000, |v19|
	s_wait_alu 0xf1ff
	s_delay_alu instid0(VALU_DEP_1) | instskip(NEXT) | instid1(VALU_DEP_1)
	v_cndmask_b32_e64 v17, v17, v19, s23
	v_add_f32_e32 v17, v20, v17
	s_delay_alu instid0(VALU_DEP_1) | instskip(NEXT) | instid1(VALU_DEP_1)
	v_cvt_f16_f32_e32 v17, v17
	v_cvt_f32_f16_e32 v19, v17
	v_mov_b32_e32 v18, v17
.LBB392_44:
	s_wait_alu 0xfffe
	s_or_b32 exec_lo, exec_lo, s25
	v_lshrrev_b32_e32 v20, 16, v6
	v_max_num_f32_e32 v21, v19, v19
	v_cmp_u_f16_e64 s23, v17, v17
	s_delay_alu instid0(VALU_DEP_3) | instskip(NEXT) | instid1(VALU_DEP_1)
	v_cvt_f32_f16_e32 v6, v20
	v_min_num_f32_e32 v22, v21, v6
	v_max_num_f32_e32 v21, v21, v6
	s_wait_alu 0xf1ff
	s_delay_alu instid0(VALU_DEP_2) | instskip(NEXT) | instid1(VALU_DEP_2)
	v_cndmask_b32_e64 v17, v22, v19, s23
	v_cndmask_b32_e64 v21, v21, v19, s23
	v_cmp_u_f16_e64 s23, v20, v20
	s_wait_alu 0xf1ff
	s_delay_alu instid0(VALU_DEP_1) | instskip(NEXT) | instid1(VALU_DEP_3)
	v_cndmask_b32_e64 v19, v17, v6, s23
	v_cndmask_b32_e64 v17, v21, v6, s23
	s_delay_alu instid0(VALU_DEP_2) | instskip(NEXT) | instid1(VALU_DEP_2)
	v_cmp_class_f32_e64 s26, v19, 0x1f8
	v_cmp_neq_f32_e64 s25, v19, v17
	s_or_b32 s25, s25, s26
	s_wait_alu 0xfffe
	s_and_saveexec_b32 s26, s25
	s_cbranch_execz .LBB392_46
; %bb.45:
	v_sub_f32_e32 v18, v19, v17
	s_delay_alu instid0(VALU_DEP_1) | instskip(SKIP_1) | instid1(VALU_DEP_2)
	v_mul_f32_e32 v19, 0x3fb8aa3b, v18
	v_cmp_ngt_f32_e64 s25, 0xc2ce8ed0, v18
	v_fma_f32 v20, 0x3fb8aa3b, v18, -v19
	v_rndne_f32_e32 v21, v19
	s_delay_alu instid0(VALU_DEP_1) | instskip(NEXT) | instid1(VALU_DEP_1)
	v_dual_fmamk_f32 v20, v18, 0x32a5705f, v20 :: v_dual_sub_f32 v19, v19, v21
	v_add_f32_e32 v19, v19, v20
	v_cvt_i32_f32_e32 v20, v21
	s_delay_alu instid0(VALU_DEP_2) | instskip(NEXT) | instid1(TRANS32_DEP_1)
	v_exp_f32_e32 v19, v19
	v_ldexp_f32 v19, v19, v20
	s_wait_alu 0xf1ff
	s_delay_alu instid0(VALU_DEP_1) | instskip(SKIP_2) | instid1(VALU_DEP_1)
	v_cndmask_b32_e64 v19, 0, v19, s25
	v_cmp_nlt_f32_e64 s25, 0x42b17218, v18
	s_wait_alu 0xf1ff
	v_cndmask_b32_e64 v20, 0x7f800000, v19, s25
	s_delay_alu instid0(VALU_DEP_1) | instskip(NEXT) | instid1(VALU_DEP_1)
	v_add_f32_e32 v21, 1.0, v20
	v_cvt_f64_f32_e32 v[18:19], v21
	s_delay_alu instid0(VALU_DEP_1) | instskip(SKIP_1) | instid1(VALU_DEP_1)
	v_frexp_exp_i32_f64_e32 v18, v[18:19]
	v_frexp_mant_f32_e32 v19, v21
	v_cmp_gt_f32_e64 s25, 0x3f2aaaab, v19
	v_add_f32_e32 v19, -1.0, v21
	s_delay_alu instid0(VALU_DEP_1)
	v_sub_f32_e32 v23, v19, v21
	v_sub_f32_e32 v19, v20, v19
	s_wait_alu 0xf1ff
	v_subrev_co_ci_u32_e64 v18, null, 0, v18, s25
	s_mov_b32 s25, 0x3e9b6dac
	v_sub_nc_u32_e32 v22, 0, v18
	v_cvt_f32_i32_e32 v18, v18
	s_delay_alu instid0(VALU_DEP_2) | instskip(NEXT) | instid1(VALU_DEP_1)
	v_ldexp_f32 v21, v21, v22
	v_dual_add_f32 v24, 1.0, v21 :: v_dual_add_f32 v23, 1.0, v23
	s_delay_alu instid0(VALU_DEP_1) | instskip(NEXT) | instid1(VALU_DEP_2)
	v_add_f32_e32 v19, v19, v23
	v_add_f32_e32 v23, -1.0, v24
	s_delay_alu instid0(VALU_DEP_2) | instskip(NEXT) | instid1(VALU_DEP_2)
	v_ldexp_f32 v19, v19, v22
	v_dual_add_f32 v22, -1.0, v21 :: v_dual_sub_f32 v23, v21, v23
	s_delay_alu instid0(VALU_DEP_1) | instskip(NEXT) | instid1(VALU_DEP_2)
	v_add_f32_e32 v25, 1.0, v22
	v_add_f32_e32 v23, v19, v23
	s_delay_alu instid0(VALU_DEP_2) | instskip(NEXT) | instid1(VALU_DEP_2)
	v_sub_f32_e32 v21, v21, v25
	v_add_f32_e32 v25, v24, v23
	s_delay_alu instid0(VALU_DEP_2) | instskip(NEXT) | instid1(VALU_DEP_2)
	v_add_f32_e32 v19, v19, v21
	v_rcp_f32_e32 v21, v25
	v_sub_f32_e32 v24, v24, v25
	s_delay_alu instid0(VALU_DEP_1) | instskip(NEXT) | instid1(VALU_DEP_1)
	v_dual_add_f32 v26, v22, v19 :: v_dual_add_f32 v23, v23, v24
	v_sub_f32_e32 v22, v22, v26
	s_delay_alu instid0(TRANS32_DEP_1) | instskip(NEXT) | instid1(VALU_DEP_1)
	v_mul_f32_e32 v27, v26, v21
	v_dual_add_f32 v19, v19, v22 :: v_dual_mul_f32 v28, v25, v27
	s_delay_alu instid0(VALU_DEP_1) | instskip(NEXT) | instid1(VALU_DEP_1)
	v_fma_f32 v24, v27, v25, -v28
	v_fmac_f32_e32 v24, v27, v23
	s_delay_alu instid0(VALU_DEP_1) | instskip(NEXT) | instid1(VALU_DEP_1)
	v_add_f32_e32 v29, v28, v24
	v_sub_f32_e32 v30, v26, v29
	v_sub_f32_e32 v22, v29, v28
	s_delay_alu instid0(VALU_DEP_2) | instskip(NEXT) | instid1(VALU_DEP_2)
	v_sub_f32_e32 v26, v26, v30
	v_sub_f32_e32 v22, v22, v24
	s_delay_alu instid0(VALU_DEP_2) | instskip(NEXT) | instid1(VALU_DEP_1)
	v_sub_f32_e32 v26, v26, v29
	v_add_f32_e32 v19, v19, v26
	s_delay_alu instid0(VALU_DEP_1) | instskip(NEXT) | instid1(VALU_DEP_1)
	v_add_f32_e32 v19, v22, v19
	v_add_f32_e32 v22, v30, v19
	s_delay_alu instid0(VALU_DEP_1) | instskip(NEXT) | instid1(VALU_DEP_1)
	v_mul_f32_e32 v24, v21, v22
	v_dual_sub_f32 v29, v30, v22 :: v_dual_mul_f32 v26, v25, v24
	s_delay_alu instid0(VALU_DEP_1) | instskip(NEXT) | instid1(VALU_DEP_2)
	v_add_f32_e32 v19, v19, v29
	v_fma_f32 v25, v24, v25, -v26
	s_delay_alu instid0(VALU_DEP_1) | instskip(NEXT) | instid1(VALU_DEP_1)
	v_fmac_f32_e32 v25, v24, v23
	v_add_f32_e32 v23, v26, v25
	s_delay_alu instid0(VALU_DEP_1) | instskip(SKIP_1) | instid1(VALU_DEP_2)
	v_sub_f32_e32 v28, v22, v23
	v_sub_f32_e32 v26, v23, v26
	;; [unrolled: 1-line block ×3, first 2 shown]
	s_delay_alu instid0(VALU_DEP_1) | instskip(NEXT) | instid1(VALU_DEP_3)
	v_sub_f32_e32 v22, v22, v23
	v_sub_f32_e32 v23, v26, v25
	s_delay_alu instid0(VALU_DEP_2) | instskip(SKIP_1) | instid1(VALU_DEP_2)
	v_add_f32_e32 v19, v19, v22
	v_add_f32_e32 v22, v27, v24
	;; [unrolled: 1-line block ×3, first 2 shown]
	s_delay_alu instid0(VALU_DEP_2) | instskip(NEXT) | instid1(VALU_DEP_2)
	v_sub_f32_e32 v23, v22, v27
	v_add_f32_e32 v19, v28, v19
	s_delay_alu instid0(VALU_DEP_2) | instskip(NEXT) | instid1(VALU_DEP_2)
	v_sub_f32_e32 v23, v24, v23
	v_mul_f32_e32 v19, v21, v19
	s_delay_alu instid0(VALU_DEP_1) | instskip(NEXT) | instid1(VALU_DEP_1)
	v_add_f32_e32 v19, v23, v19
	v_add_f32_e32 v21, v22, v19
	s_delay_alu instid0(VALU_DEP_1) | instskip(SKIP_1) | instid1(VALU_DEP_1)
	v_mul_f32_e32 v23, v21, v21
	s_wait_alu 0xfffe
	v_fmaak_f32 v24, s25, v23, 0x3ecc95a3
	v_mul_f32_e32 v25, v21, v23
	v_cmp_neq_f32_e64 s25, 0x7f800000, v20
	s_delay_alu instid0(VALU_DEP_3) | instskip(SKIP_2) | instid1(VALU_DEP_3)
	v_fmaak_f32 v23, v23, v24, 0x3f2aaada
	v_ldexp_f32 v24, v21, 1
	v_sub_f32_e32 v21, v21, v22
	v_mul_f32_e32 v23, v25, v23
	v_mul_f32_e32 v25, 0x3f317218, v18
	s_delay_alu instid0(VALU_DEP_2) | instskip(NEXT) | instid1(VALU_DEP_1)
	v_dual_sub_f32 v19, v19, v21 :: v_dual_add_f32 v22, v24, v23
	v_ldexp_f32 v19, v19, 1
	s_delay_alu instid0(VALU_DEP_2) | instskip(NEXT) | instid1(VALU_DEP_4)
	v_sub_f32_e32 v21, v22, v24
	v_fma_f32 v24, 0x3f317218, v18, -v25
	s_delay_alu instid0(VALU_DEP_1) | instskip(NEXT) | instid1(VALU_DEP_1)
	v_dual_sub_f32 v21, v23, v21 :: v_dual_fmamk_f32 v18, v18, 0xb102e308, v24
	v_add_f32_e32 v19, v19, v21
	s_delay_alu instid0(VALU_DEP_2) | instskip(NEXT) | instid1(VALU_DEP_2)
	v_add_f32_e32 v21, v25, v18
	v_add_f32_e32 v23, v22, v19
	s_delay_alu instid0(VALU_DEP_2) | instskip(NEXT) | instid1(VALU_DEP_2)
	v_sub_f32_e32 v25, v21, v25
	v_add_f32_e32 v24, v21, v23
	v_sub_f32_e32 v22, v23, v22
	s_delay_alu instid0(VALU_DEP_3) | instskip(NEXT) | instid1(VALU_DEP_2)
	v_sub_f32_e32 v18, v18, v25
	v_dual_sub_f32 v26, v24, v21 :: v_dual_sub_f32 v19, v19, v22
	s_delay_alu instid0(VALU_DEP_1) | instskip(NEXT) | instid1(VALU_DEP_2)
	v_sub_f32_e32 v27, v24, v26
	v_dual_sub_f32 v22, v23, v26 :: v_dual_add_f32 v23, v18, v19
	s_delay_alu instid0(VALU_DEP_2) | instskip(NEXT) | instid1(VALU_DEP_1)
	v_sub_f32_e32 v21, v21, v27
	v_dual_add_f32 v21, v22, v21 :: v_dual_sub_f32 v22, v23, v18
	s_delay_alu instid0(VALU_DEP_1) | instskip(NEXT) | instid1(VALU_DEP_2)
	v_add_f32_e32 v21, v23, v21
	v_sub_f32_e32 v23, v23, v22
	v_sub_f32_e32 v19, v19, v22
	s_delay_alu instid0(VALU_DEP_2) | instskip(NEXT) | instid1(VALU_DEP_1)
	v_dual_add_f32 v25, v24, v21 :: v_dual_sub_f32 v18, v18, v23
	v_sub_f32_e32 v22, v25, v24
	s_delay_alu instid0(VALU_DEP_2) | instskip(NEXT) | instid1(VALU_DEP_2)
	v_add_f32_e32 v18, v19, v18
	v_sub_f32_e32 v19, v21, v22
	s_delay_alu instid0(VALU_DEP_1) | instskip(NEXT) | instid1(VALU_DEP_1)
	v_add_f32_e32 v18, v18, v19
	v_add_f32_e32 v18, v25, v18
	s_wait_alu 0xf1ff
	s_delay_alu instid0(VALU_DEP_1) | instskip(SKIP_2) | instid1(VALU_DEP_1)
	v_cndmask_b32_e64 v18, 0x7f800000, v18, s25
	v_cmp_gt_f32_e64 s25, 0x33800000, |v20|
	s_wait_alu 0xf1ff
	v_cndmask_b32_e64 v18, v18, v20, s25
	s_delay_alu instid0(VALU_DEP_1) | instskip(NEXT) | instid1(VALU_DEP_1)
	v_add_f32_e32 v17, v17, v18
	v_cvt_f16_f32_e32 v18, v17
.LBB392_46:
	s_or_b32 exec_lo, exec_lo, s26
	s_load_b64 s[26:27], s[0:1], 0x18
	v_lshrrev_b32_e32 v17, 4, v0
	s_mov_b32 s25, exec_lo
	s_delay_alu instid0(VALU_DEP_1) | instskip(NEXT) | instid1(VALU_DEP_1)
	v_and_b32_e32 v17, 14, v17
	v_lshl_add_u32 v17, v0, 1, v17
	ds_store_b16 v17, v18
	s_wait_loadcnt_dscnt 0x0
	s_barrier_signal -1
	s_barrier_wait -1
	global_inv scope:SCOPE_SE
	v_cmpx_gt_u32_e32 32, v0
	s_cbranch_execz .LBB392_98
; %bb.47:
	v_lshrrev_b32_e32 v17, 1, v0
	v_lshlrev_b32_e32 v19, 4, v0
	s_delay_alu instid0(VALU_DEP_2) | instskip(NEXT) | instid1(VALU_DEP_1)
	v_and_b32_e32 v17, 0x7e, v17
	v_add_nc_u32_e32 v17, v17, v19
	ds_load_u16 v22, v17
	ds_load_u16 v20, v17 offset:2
	s_wait_dscnt 0x1
	v_cvt_f32_f16_e32 v19, v22
	s_wait_dscnt 0x0
	v_cvt_f32_f16_e32 v21, v20
	v_cmp_u_f16_e64 s0, v22, v22
	v_cmp_u_f16_e64 s1, v20, v20
	v_mov_b32_e32 v20, v19
	s_delay_alu instid0(VALU_DEP_4) | instskip(SKIP_1) | instid1(VALU_DEP_2)
	v_min_num_f32_e32 v23, v19, v21
	v_max_num_f32_e32 v24, v19, v21
	v_cndmask_b32_e64 v23, v23, v19, s0
	s_delay_alu instid0(VALU_DEP_2) | instskip(NEXT) | instid1(VALU_DEP_2)
	v_cndmask_b32_e64 v24, v24, v19, s0
	v_cndmask_b32_e64 v23, v23, v21, s1
	s_delay_alu instid0(VALU_DEP_2) | instskip(NEXT) | instid1(VALU_DEP_2)
	v_cndmask_b32_e64 v21, v24, v21, s1
	v_cmp_class_f32_e64 s28, v23, 0x1f8
	s_delay_alu instid0(VALU_DEP_2)
	v_cmp_neq_f32_e64 s1, v23, v21
	s_or_b32 s1, s1, s28
	s_wait_alu 0xfffe
	s_and_saveexec_b32 s28, s1
	s_cbranch_execz .LBB392_49
; %bb.48:
	v_sub_f32_e32 v20, v23, v21
	s_delay_alu instid0(VALU_DEP_1) | instskip(SKIP_1) | instid1(VALU_DEP_2)
	v_mul_f32_e32 v22, 0x3fb8aa3b, v20
	v_cmp_ngt_f32_e64 s1, 0xc2ce8ed0, v20
	v_fma_f32 v23, 0x3fb8aa3b, v20, -v22
	v_rndne_f32_e32 v24, v22
	s_delay_alu instid0(VALU_DEP_1) | instskip(NEXT) | instid1(VALU_DEP_1)
	v_dual_fmamk_f32 v23, v20, 0x32a5705f, v23 :: v_dual_sub_f32 v22, v22, v24
	v_add_f32_e32 v22, v22, v23
	v_cvt_i32_f32_e32 v23, v24
	s_delay_alu instid0(VALU_DEP_2) | instskip(NEXT) | instid1(TRANS32_DEP_1)
	v_exp_f32_e32 v22, v22
	v_ldexp_f32 v22, v22, v23
	s_wait_alu 0xf1ff
	s_delay_alu instid0(VALU_DEP_1) | instskip(SKIP_2) | instid1(VALU_DEP_1)
	v_cndmask_b32_e64 v22, 0, v22, s1
	v_cmp_nlt_f32_e64 s1, 0x42b17218, v20
	s_wait_alu 0xf1ff
	v_cndmask_b32_e64 v20, 0x7f800000, v22, s1
	s_delay_alu instid0(VALU_DEP_1) | instskip(NEXT) | instid1(VALU_DEP_1)
	v_add_f32_e32 v24, 1.0, v20
	v_cvt_f64_f32_e32 v[22:23], v24
	s_delay_alu instid0(VALU_DEP_1) | instskip(SKIP_1) | instid1(VALU_DEP_1)
	v_frexp_exp_i32_f64_e32 v22, v[22:23]
	v_frexp_mant_f32_e32 v23, v24
	v_cmp_gt_f32_e64 s1, 0x3f2aaaab, v23
	v_add_f32_e32 v23, -1.0, v24
	s_delay_alu instid0(VALU_DEP_1) | instskip(NEXT) | instid1(VALU_DEP_1)
	v_dual_sub_f32 v26, v23, v24 :: v_dual_sub_f32 v23, v20, v23
	v_add_f32_e32 v26, 1.0, v26
	s_delay_alu instid0(VALU_DEP_1)
	v_add_f32_e32 v23, v23, v26
	s_wait_alu 0xf1ff
	v_subrev_co_ci_u32_e64 v22, null, 0, v22, s1
	s_mov_b32 s1, 0x3e9b6dac
	v_sub_nc_u32_e32 v25, 0, v22
	v_cvt_f32_i32_e32 v22, v22
	s_delay_alu instid0(VALU_DEP_2) | instskip(SKIP_1) | instid1(VALU_DEP_2)
	v_ldexp_f32 v24, v24, v25
	v_ldexp_f32 v23, v23, v25
	v_add_f32_e32 v27, 1.0, v24
	s_delay_alu instid0(VALU_DEP_1) | instskip(NEXT) | instid1(VALU_DEP_1)
	v_dual_add_f32 v25, -1.0, v24 :: v_dual_add_f32 v26, -1.0, v27
	v_add_f32_e32 v28, 1.0, v25
	s_delay_alu instid0(VALU_DEP_2) | instskip(NEXT) | instid1(VALU_DEP_2)
	v_sub_f32_e32 v26, v24, v26
	v_sub_f32_e32 v24, v24, v28
	s_delay_alu instid0(VALU_DEP_2) | instskip(NEXT) | instid1(VALU_DEP_2)
	v_add_f32_e32 v26, v23, v26
	v_add_f32_e32 v23, v23, v24
	s_delay_alu instid0(VALU_DEP_1) | instskip(NEXT) | instid1(VALU_DEP_1)
	v_dual_add_f32 v29, v25, v23 :: v_dual_add_f32 v28, v27, v26
	v_sub_f32_e32 v25, v25, v29
	s_delay_alu instid0(VALU_DEP_2) | instskip(SKIP_1) | instid1(VALU_DEP_1)
	v_rcp_f32_e32 v24, v28
	v_sub_f32_e32 v27, v27, v28
	v_dual_add_f32 v23, v23, v25 :: v_dual_add_f32 v26, v26, v27
	s_delay_alu instid0(TRANS32_DEP_1) | instskip(NEXT) | instid1(VALU_DEP_1)
	v_mul_f32_e32 v30, v29, v24
	v_mul_f32_e32 v31, v28, v30
	s_delay_alu instid0(VALU_DEP_1) | instskip(NEXT) | instid1(VALU_DEP_1)
	v_fma_f32 v27, v30, v28, -v31
	v_fmac_f32_e32 v27, v30, v26
	s_delay_alu instid0(VALU_DEP_1) | instskip(NEXT) | instid1(VALU_DEP_1)
	v_add_f32_e32 v32, v31, v27
	v_sub_f32_e32 v33, v29, v32
	v_sub_f32_e32 v25, v32, v31
	s_delay_alu instid0(VALU_DEP_2) | instskip(NEXT) | instid1(VALU_DEP_2)
	v_sub_f32_e32 v29, v29, v33
	v_sub_f32_e32 v25, v25, v27
	s_delay_alu instid0(VALU_DEP_2) | instskip(NEXT) | instid1(VALU_DEP_1)
	v_sub_f32_e32 v29, v29, v32
	v_add_f32_e32 v23, v23, v29
	s_delay_alu instid0(VALU_DEP_1) | instskip(NEXT) | instid1(VALU_DEP_1)
	v_add_f32_e32 v23, v25, v23
	v_add_f32_e32 v25, v33, v23
	s_delay_alu instid0(VALU_DEP_1) | instskip(NEXT) | instid1(VALU_DEP_1)
	v_mul_f32_e32 v27, v24, v25
	v_dual_sub_f32 v32, v33, v25 :: v_dual_mul_f32 v29, v28, v27
	s_delay_alu instid0(VALU_DEP_1) | instskip(NEXT) | instid1(VALU_DEP_2)
	v_add_f32_e32 v23, v23, v32
	v_fma_f32 v28, v27, v28, -v29
	s_delay_alu instid0(VALU_DEP_1) | instskip(NEXT) | instid1(VALU_DEP_1)
	v_fmac_f32_e32 v28, v27, v26
	v_add_f32_e32 v26, v29, v28
	s_delay_alu instid0(VALU_DEP_1) | instskip(NEXT) | instid1(VALU_DEP_1)
	v_sub_f32_e32 v31, v25, v26
	v_sub_f32_e32 v25, v25, v31
	s_delay_alu instid0(VALU_DEP_1) | instskip(NEXT) | instid1(VALU_DEP_1)
	v_sub_f32_e32 v25, v25, v26
	v_add_f32_e32 v23, v23, v25
	v_add_f32_e32 v25, v30, v27
	v_sub_f32_e32 v29, v26, v29
	s_delay_alu instid0(VALU_DEP_1) | instskip(NEXT) | instid1(VALU_DEP_1)
	v_sub_f32_e32 v26, v29, v28
	v_dual_add_f32 v23, v26, v23 :: v_dual_sub_f32 v26, v25, v30
	s_delay_alu instid0(VALU_DEP_1) | instskip(NEXT) | instid1(VALU_DEP_1)
	v_add_f32_e32 v23, v31, v23
	v_dual_sub_f32 v26, v27, v26 :: v_dual_mul_f32 v23, v24, v23
	s_delay_alu instid0(VALU_DEP_1) | instskip(NEXT) | instid1(VALU_DEP_1)
	v_add_f32_e32 v23, v26, v23
	v_add_f32_e32 v24, v25, v23
	s_delay_alu instid0(VALU_DEP_1) | instskip(SKIP_1) | instid1(VALU_DEP_1)
	v_mul_f32_e32 v26, v24, v24
	s_wait_alu 0xfffe
	v_fmaak_f32 v27, s1, v26, 0x3ecc95a3
	v_mul_f32_e32 v28, v24, v26
	v_cmp_neq_f32_e64 s1, 0x7f800000, v20
	s_delay_alu instid0(VALU_DEP_3) | instskip(SKIP_2) | instid1(VALU_DEP_3)
	v_fmaak_f32 v26, v26, v27, 0x3f2aaada
	v_ldexp_f32 v27, v24, 1
	v_sub_f32_e32 v24, v24, v25
	v_mul_f32_e32 v26, v28, v26
	s_delay_alu instid0(VALU_DEP_2) | instskip(NEXT) | instid1(VALU_DEP_2)
	v_dual_mul_f32 v28, 0x3f317218, v22 :: v_dual_sub_f32 v23, v23, v24
	v_add_f32_e32 v25, v27, v26
	s_delay_alu instid0(VALU_DEP_2) | instskip(NEXT) | instid1(VALU_DEP_2)
	v_ldexp_f32 v23, v23, 1
	v_sub_f32_e32 v24, v25, v27
	s_delay_alu instid0(VALU_DEP_4) | instskip(NEXT) | instid1(VALU_DEP_2)
	v_fma_f32 v27, 0x3f317218, v22, -v28
	v_sub_f32_e32 v24, v26, v24
	s_delay_alu instid0(VALU_DEP_1) | instskip(NEXT) | instid1(VALU_DEP_1)
	v_dual_fmamk_f32 v22, v22, 0xb102e308, v27 :: v_dual_add_f32 v23, v23, v24
	v_add_f32_e32 v24, v28, v22
	s_delay_alu instid0(VALU_DEP_1) | instskip(NEXT) | instid1(VALU_DEP_1)
	v_sub_f32_e32 v28, v24, v28
	v_sub_f32_e32 v22, v22, v28
	s_delay_alu instid0(VALU_DEP_4) | instskip(NEXT) | instid1(VALU_DEP_1)
	v_add_f32_e32 v26, v25, v23
	v_sub_f32_e32 v25, v26, v25
	s_delay_alu instid0(VALU_DEP_1) | instskip(SKIP_1) | instid1(VALU_DEP_1)
	v_sub_f32_e32 v23, v23, v25
	v_add_f32_e32 v27, v24, v26
	v_sub_f32_e32 v29, v27, v24
	s_delay_alu instid0(VALU_DEP_1) | instskip(NEXT) | instid1(VALU_DEP_4)
	v_sub_f32_e32 v25, v26, v29
	v_add_f32_e32 v26, v22, v23
	v_sub_f32_e32 v30, v27, v29
	s_delay_alu instid0(VALU_DEP_1) | instskip(NEXT) | instid1(VALU_DEP_1)
	v_sub_f32_e32 v24, v24, v30
	v_dual_add_f32 v24, v25, v24 :: v_dual_sub_f32 v25, v26, v22
	s_delay_alu instid0(VALU_DEP_1) | instskip(SKIP_1) | instid1(VALU_DEP_2)
	v_dual_add_f32 v24, v26, v24 :: v_dual_sub_f32 v23, v23, v25
	v_sub_f32_e32 v26, v26, v25
	v_add_f32_e32 v28, v27, v24
	s_delay_alu instid0(VALU_DEP_1) | instskip(NEXT) | instid1(VALU_DEP_1)
	v_dual_sub_f32 v22, v22, v26 :: v_dual_sub_f32 v25, v28, v27
	v_dual_add_f32 v22, v23, v22 :: v_dual_sub_f32 v23, v24, v25
	s_delay_alu instid0(VALU_DEP_1) | instskip(NEXT) | instid1(VALU_DEP_1)
	v_add_f32_e32 v22, v22, v23
	v_add_f32_e32 v22, v28, v22
	s_wait_alu 0xf1ff
	s_delay_alu instid0(VALU_DEP_1) | instskip(SKIP_2) | instid1(VALU_DEP_1)
	v_cndmask_b32_e64 v22, 0x7f800000, v22, s1
	v_cmp_gt_f32_e64 s1, 0x33800000, |v20|
	s_wait_alu 0xf1ff
	v_cndmask_b32_e64 v20, v22, v20, s1
	s_delay_alu instid0(VALU_DEP_1) | instskip(NEXT) | instid1(VALU_DEP_1)
	v_add_f32_e32 v20, v21, v20
	v_cvt_f16_f32_e32 v22, v20
	s_delay_alu instid0(VALU_DEP_1)
	v_cvt_f32_f16_e32 v20, v22
.LBB392_49:
	s_or_b32 exec_lo, exec_lo, s28
	ds_load_u16 v21, v17 offset:4
	v_max_num_f32_e32 v23, v20, v20
	v_cmp_u_f16_e64 s1, v22, v22
	s_wait_dscnt 0x0
	v_cvt_f32_f16_e32 v24, v21
	s_delay_alu instid0(VALU_DEP_1) | instskip(SKIP_2) | instid1(VALU_DEP_2)
	v_min_num_f32_e32 v25, v23, v24
	v_max_num_f32_e32 v23, v23, v24
	s_wait_alu 0xf1ff
	v_cndmask_b32_e64 v25, v25, v20, s1
	s_delay_alu instid0(VALU_DEP_2) | instskip(SKIP_2) | instid1(VALU_DEP_1)
	v_cndmask_b32_e64 v26, v23, v20, s1
	v_cmp_u_f16_e64 s1, v21, v21
	s_wait_alu 0xf1ff
	v_cndmask_b32_e64 v23, v25, v24, s1
	s_delay_alu instid0(VALU_DEP_3) | instskip(NEXT) | instid1(VALU_DEP_2)
	v_cndmask_b32_e64 v21, v26, v24, s1
	v_cmp_class_f32_e64 s28, v23, 0x1f8
	s_delay_alu instid0(VALU_DEP_2)
	v_cmp_neq_f32_e64 s1, v23, v21
	s_or_b32 s1, s1, s28
	s_wait_alu 0xfffe
	s_and_saveexec_b32 s28, s1
	s_cbranch_execz .LBB392_51
; %bb.50:
	v_sub_f32_e32 v20, v23, v21
	s_delay_alu instid0(VALU_DEP_1) | instskip(SKIP_1) | instid1(VALU_DEP_2)
	v_mul_f32_e32 v22, 0x3fb8aa3b, v20
	v_cmp_ngt_f32_e64 s1, 0xc2ce8ed0, v20
	v_fma_f32 v23, 0x3fb8aa3b, v20, -v22
	v_rndne_f32_e32 v24, v22
	s_delay_alu instid0(VALU_DEP_1) | instskip(NEXT) | instid1(VALU_DEP_1)
	v_dual_fmamk_f32 v23, v20, 0x32a5705f, v23 :: v_dual_sub_f32 v22, v22, v24
	v_add_f32_e32 v22, v22, v23
	v_cvt_i32_f32_e32 v23, v24
	s_delay_alu instid0(VALU_DEP_2) | instskip(NEXT) | instid1(TRANS32_DEP_1)
	v_exp_f32_e32 v22, v22
	v_ldexp_f32 v22, v22, v23
	s_wait_alu 0xf1ff
	s_delay_alu instid0(VALU_DEP_1) | instskip(SKIP_2) | instid1(VALU_DEP_1)
	v_cndmask_b32_e64 v22, 0, v22, s1
	v_cmp_nlt_f32_e64 s1, 0x42b17218, v20
	s_wait_alu 0xf1ff
	v_cndmask_b32_e64 v20, 0x7f800000, v22, s1
	s_delay_alu instid0(VALU_DEP_1) | instskip(NEXT) | instid1(VALU_DEP_1)
	v_add_f32_e32 v24, 1.0, v20
	v_cvt_f64_f32_e32 v[22:23], v24
	s_delay_alu instid0(VALU_DEP_1) | instskip(SKIP_1) | instid1(VALU_DEP_1)
	v_frexp_exp_i32_f64_e32 v22, v[22:23]
	v_frexp_mant_f32_e32 v23, v24
	v_cmp_gt_f32_e64 s1, 0x3f2aaaab, v23
	v_add_f32_e32 v23, -1.0, v24
	s_delay_alu instid0(VALU_DEP_1) | instskip(NEXT) | instid1(VALU_DEP_1)
	v_dual_sub_f32 v26, v23, v24 :: v_dual_sub_f32 v23, v20, v23
	v_add_f32_e32 v26, 1.0, v26
	s_delay_alu instid0(VALU_DEP_1)
	v_add_f32_e32 v23, v23, v26
	s_wait_alu 0xf1ff
	v_subrev_co_ci_u32_e64 v22, null, 0, v22, s1
	s_mov_b32 s1, 0x3e9b6dac
	v_sub_nc_u32_e32 v25, 0, v22
	v_cvt_f32_i32_e32 v22, v22
	s_delay_alu instid0(VALU_DEP_2) | instskip(SKIP_1) | instid1(VALU_DEP_2)
	v_ldexp_f32 v24, v24, v25
	v_ldexp_f32 v23, v23, v25
	v_add_f32_e32 v27, 1.0, v24
	s_delay_alu instid0(VALU_DEP_1) | instskip(NEXT) | instid1(VALU_DEP_1)
	v_dual_add_f32 v25, -1.0, v24 :: v_dual_add_f32 v26, -1.0, v27
	v_add_f32_e32 v28, 1.0, v25
	s_delay_alu instid0(VALU_DEP_2) | instskip(NEXT) | instid1(VALU_DEP_2)
	v_sub_f32_e32 v26, v24, v26
	v_sub_f32_e32 v24, v24, v28
	s_delay_alu instid0(VALU_DEP_2) | instskip(NEXT) | instid1(VALU_DEP_2)
	v_add_f32_e32 v26, v23, v26
	v_add_f32_e32 v23, v23, v24
	s_delay_alu instid0(VALU_DEP_1) | instskip(NEXT) | instid1(VALU_DEP_1)
	v_dual_add_f32 v29, v25, v23 :: v_dual_add_f32 v28, v27, v26
	v_sub_f32_e32 v25, v25, v29
	s_delay_alu instid0(VALU_DEP_2) | instskip(SKIP_1) | instid1(VALU_DEP_1)
	v_rcp_f32_e32 v24, v28
	v_sub_f32_e32 v27, v27, v28
	v_dual_add_f32 v23, v23, v25 :: v_dual_add_f32 v26, v26, v27
	s_delay_alu instid0(TRANS32_DEP_1) | instskip(NEXT) | instid1(VALU_DEP_1)
	v_mul_f32_e32 v30, v29, v24
	v_mul_f32_e32 v31, v28, v30
	s_delay_alu instid0(VALU_DEP_1) | instskip(NEXT) | instid1(VALU_DEP_1)
	v_fma_f32 v27, v30, v28, -v31
	v_fmac_f32_e32 v27, v30, v26
	s_delay_alu instid0(VALU_DEP_1) | instskip(NEXT) | instid1(VALU_DEP_1)
	v_add_f32_e32 v32, v31, v27
	v_sub_f32_e32 v33, v29, v32
	v_sub_f32_e32 v25, v32, v31
	s_delay_alu instid0(VALU_DEP_2) | instskip(NEXT) | instid1(VALU_DEP_2)
	v_sub_f32_e32 v29, v29, v33
	v_sub_f32_e32 v25, v25, v27
	s_delay_alu instid0(VALU_DEP_2) | instskip(NEXT) | instid1(VALU_DEP_1)
	v_sub_f32_e32 v29, v29, v32
	v_add_f32_e32 v23, v23, v29
	s_delay_alu instid0(VALU_DEP_1) | instskip(NEXT) | instid1(VALU_DEP_1)
	v_add_f32_e32 v23, v25, v23
	v_add_f32_e32 v25, v33, v23
	s_delay_alu instid0(VALU_DEP_1) | instskip(NEXT) | instid1(VALU_DEP_1)
	v_mul_f32_e32 v27, v24, v25
	v_dual_sub_f32 v32, v33, v25 :: v_dual_mul_f32 v29, v28, v27
	s_delay_alu instid0(VALU_DEP_1) | instskip(NEXT) | instid1(VALU_DEP_2)
	v_add_f32_e32 v23, v23, v32
	v_fma_f32 v28, v27, v28, -v29
	s_delay_alu instid0(VALU_DEP_1) | instskip(NEXT) | instid1(VALU_DEP_1)
	v_fmac_f32_e32 v28, v27, v26
	v_add_f32_e32 v26, v29, v28
	s_delay_alu instid0(VALU_DEP_1) | instskip(NEXT) | instid1(VALU_DEP_1)
	v_sub_f32_e32 v31, v25, v26
	v_sub_f32_e32 v25, v25, v31
	s_delay_alu instid0(VALU_DEP_1) | instskip(NEXT) | instid1(VALU_DEP_1)
	v_sub_f32_e32 v25, v25, v26
	v_add_f32_e32 v23, v23, v25
	v_add_f32_e32 v25, v30, v27
	v_sub_f32_e32 v29, v26, v29
	s_delay_alu instid0(VALU_DEP_1) | instskip(NEXT) | instid1(VALU_DEP_1)
	v_sub_f32_e32 v26, v29, v28
	v_dual_add_f32 v23, v26, v23 :: v_dual_sub_f32 v26, v25, v30
	s_delay_alu instid0(VALU_DEP_1) | instskip(NEXT) | instid1(VALU_DEP_1)
	v_add_f32_e32 v23, v31, v23
	v_dual_sub_f32 v26, v27, v26 :: v_dual_mul_f32 v23, v24, v23
	s_delay_alu instid0(VALU_DEP_1) | instskip(NEXT) | instid1(VALU_DEP_1)
	v_add_f32_e32 v23, v26, v23
	v_add_f32_e32 v24, v25, v23
	s_delay_alu instid0(VALU_DEP_1) | instskip(SKIP_1) | instid1(VALU_DEP_1)
	v_mul_f32_e32 v26, v24, v24
	s_wait_alu 0xfffe
	v_fmaak_f32 v27, s1, v26, 0x3ecc95a3
	v_mul_f32_e32 v28, v24, v26
	v_cmp_neq_f32_e64 s1, 0x7f800000, v20
	s_delay_alu instid0(VALU_DEP_3) | instskip(SKIP_2) | instid1(VALU_DEP_3)
	v_fmaak_f32 v26, v26, v27, 0x3f2aaada
	v_ldexp_f32 v27, v24, 1
	v_sub_f32_e32 v24, v24, v25
	v_mul_f32_e32 v26, v28, v26
	s_delay_alu instid0(VALU_DEP_2) | instskip(NEXT) | instid1(VALU_DEP_2)
	v_dual_mul_f32 v28, 0x3f317218, v22 :: v_dual_sub_f32 v23, v23, v24
	v_add_f32_e32 v25, v27, v26
	s_delay_alu instid0(VALU_DEP_2) | instskip(NEXT) | instid1(VALU_DEP_2)
	v_ldexp_f32 v23, v23, 1
	v_sub_f32_e32 v24, v25, v27
	s_delay_alu instid0(VALU_DEP_4) | instskip(NEXT) | instid1(VALU_DEP_2)
	v_fma_f32 v27, 0x3f317218, v22, -v28
	v_sub_f32_e32 v24, v26, v24
	s_delay_alu instid0(VALU_DEP_1) | instskip(NEXT) | instid1(VALU_DEP_1)
	v_dual_fmamk_f32 v22, v22, 0xb102e308, v27 :: v_dual_add_f32 v23, v23, v24
	v_add_f32_e32 v24, v28, v22
	s_delay_alu instid0(VALU_DEP_1) | instskip(NEXT) | instid1(VALU_DEP_1)
	v_sub_f32_e32 v28, v24, v28
	v_sub_f32_e32 v22, v22, v28
	s_delay_alu instid0(VALU_DEP_4) | instskip(NEXT) | instid1(VALU_DEP_1)
	v_add_f32_e32 v26, v25, v23
	v_sub_f32_e32 v25, v26, v25
	s_delay_alu instid0(VALU_DEP_1) | instskip(SKIP_1) | instid1(VALU_DEP_1)
	v_sub_f32_e32 v23, v23, v25
	v_add_f32_e32 v27, v24, v26
	v_sub_f32_e32 v29, v27, v24
	s_delay_alu instid0(VALU_DEP_1) | instskip(NEXT) | instid1(VALU_DEP_4)
	v_sub_f32_e32 v25, v26, v29
	v_add_f32_e32 v26, v22, v23
	v_sub_f32_e32 v30, v27, v29
	s_delay_alu instid0(VALU_DEP_1) | instskip(NEXT) | instid1(VALU_DEP_1)
	v_sub_f32_e32 v24, v24, v30
	v_dual_add_f32 v24, v25, v24 :: v_dual_sub_f32 v25, v26, v22
	s_delay_alu instid0(VALU_DEP_1) | instskip(SKIP_1) | instid1(VALU_DEP_2)
	v_dual_add_f32 v24, v26, v24 :: v_dual_sub_f32 v23, v23, v25
	v_sub_f32_e32 v26, v26, v25
	v_add_f32_e32 v28, v27, v24
	s_delay_alu instid0(VALU_DEP_1) | instskip(NEXT) | instid1(VALU_DEP_1)
	v_dual_sub_f32 v22, v22, v26 :: v_dual_sub_f32 v25, v28, v27
	v_dual_add_f32 v22, v23, v22 :: v_dual_sub_f32 v23, v24, v25
	s_delay_alu instid0(VALU_DEP_1) | instskip(NEXT) | instid1(VALU_DEP_1)
	v_add_f32_e32 v22, v22, v23
	v_add_f32_e32 v22, v28, v22
	s_wait_alu 0xf1ff
	s_delay_alu instid0(VALU_DEP_1) | instskip(SKIP_2) | instid1(VALU_DEP_1)
	v_cndmask_b32_e64 v22, 0x7f800000, v22, s1
	v_cmp_gt_f32_e64 s1, 0x33800000, |v20|
	s_wait_alu 0xf1ff
	v_cndmask_b32_e64 v20, v22, v20, s1
	s_delay_alu instid0(VALU_DEP_1) | instskip(NEXT) | instid1(VALU_DEP_1)
	v_add_f32_e32 v20, v21, v20
	v_cvt_f16_f32_e32 v22, v20
	s_delay_alu instid0(VALU_DEP_1)
	v_cvt_f32_f16_e32 v20, v22
.LBB392_51:
	s_or_b32 exec_lo, exec_lo, s28
	ds_load_u16 v21, v17 offset:6
	v_max_num_f32_e32 v23, v20, v20
	v_cmp_u_f16_e64 s1, v22, v22
	s_wait_dscnt 0x0
	v_cvt_f32_f16_e32 v24, v21
	s_delay_alu instid0(VALU_DEP_1) | instskip(SKIP_2) | instid1(VALU_DEP_2)
	v_min_num_f32_e32 v25, v23, v24
	v_max_num_f32_e32 v23, v23, v24
	s_wait_alu 0xf1ff
	v_cndmask_b32_e64 v25, v25, v20, s1
	s_delay_alu instid0(VALU_DEP_2) | instskip(SKIP_2) | instid1(VALU_DEP_1)
	v_cndmask_b32_e64 v26, v23, v20, s1
	v_cmp_u_f16_e64 s1, v21, v21
	s_wait_alu 0xf1ff
	v_cndmask_b32_e64 v23, v25, v24, s1
	s_delay_alu instid0(VALU_DEP_3) | instskip(NEXT) | instid1(VALU_DEP_2)
	v_cndmask_b32_e64 v21, v26, v24, s1
	v_cmp_class_f32_e64 s28, v23, 0x1f8
	s_delay_alu instid0(VALU_DEP_2)
	v_cmp_neq_f32_e64 s1, v23, v21
	s_or_b32 s1, s1, s28
	s_wait_alu 0xfffe
	s_and_saveexec_b32 s28, s1
	s_cbranch_execz .LBB392_53
; %bb.52:
	v_sub_f32_e32 v20, v23, v21
	s_delay_alu instid0(VALU_DEP_1) | instskip(SKIP_1) | instid1(VALU_DEP_2)
	v_mul_f32_e32 v22, 0x3fb8aa3b, v20
	v_cmp_ngt_f32_e64 s1, 0xc2ce8ed0, v20
	v_fma_f32 v23, 0x3fb8aa3b, v20, -v22
	v_rndne_f32_e32 v24, v22
	s_delay_alu instid0(VALU_DEP_1) | instskip(NEXT) | instid1(VALU_DEP_1)
	v_dual_fmamk_f32 v23, v20, 0x32a5705f, v23 :: v_dual_sub_f32 v22, v22, v24
	v_add_f32_e32 v22, v22, v23
	v_cvt_i32_f32_e32 v23, v24
	s_delay_alu instid0(VALU_DEP_2) | instskip(NEXT) | instid1(TRANS32_DEP_1)
	v_exp_f32_e32 v22, v22
	v_ldexp_f32 v22, v22, v23
	s_wait_alu 0xf1ff
	s_delay_alu instid0(VALU_DEP_1) | instskip(SKIP_2) | instid1(VALU_DEP_1)
	v_cndmask_b32_e64 v22, 0, v22, s1
	v_cmp_nlt_f32_e64 s1, 0x42b17218, v20
	s_wait_alu 0xf1ff
	v_cndmask_b32_e64 v20, 0x7f800000, v22, s1
	s_delay_alu instid0(VALU_DEP_1) | instskip(NEXT) | instid1(VALU_DEP_1)
	v_add_f32_e32 v24, 1.0, v20
	v_cvt_f64_f32_e32 v[22:23], v24
	s_delay_alu instid0(VALU_DEP_1) | instskip(SKIP_1) | instid1(VALU_DEP_1)
	v_frexp_exp_i32_f64_e32 v22, v[22:23]
	v_frexp_mant_f32_e32 v23, v24
	v_cmp_gt_f32_e64 s1, 0x3f2aaaab, v23
	v_add_f32_e32 v23, -1.0, v24
	s_delay_alu instid0(VALU_DEP_1) | instskip(NEXT) | instid1(VALU_DEP_1)
	v_dual_sub_f32 v26, v23, v24 :: v_dual_sub_f32 v23, v20, v23
	v_add_f32_e32 v26, 1.0, v26
	s_delay_alu instid0(VALU_DEP_1)
	v_add_f32_e32 v23, v23, v26
	s_wait_alu 0xf1ff
	v_subrev_co_ci_u32_e64 v22, null, 0, v22, s1
	s_mov_b32 s1, 0x3e9b6dac
	v_sub_nc_u32_e32 v25, 0, v22
	v_cvt_f32_i32_e32 v22, v22
	s_delay_alu instid0(VALU_DEP_2) | instskip(SKIP_1) | instid1(VALU_DEP_2)
	v_ldexp_f32 v24, v24, v25
	v_ldexp_f32 v23, v23, v25
	v_add_f32_e32 v27, 1.0, v24
	s_delay_alu instid0(VALU_DEP_1) | instskip(NEXT) | instid1(VALU_DEP_1)
	v_dual_add_f32 v25, -1.0, v24 :: v_dual_add_f32 v26, -1.0, v27
	v_add_f32_e32 v28, 1.0, v25
	s_delay_alu instid0(VALU_DEP_2) | instskip(NEXT) | instid1(VALU_DEP_2)
	v_sub_f32_e32 v26, v24, v26
	v_sub_f32_e32 v24, v24, v28
	s_delay_alu instid0(VALU_DEP_2) | instskip(NEXT) | instid1(VALU_DEP_2)
	v_add_f32_e32 v26, v23, v26
	v_add_f32_e32 v23, v23, v24
	s_delay_alu instid0(VALU_DEP_1) | instskip(NEXT) | instid1(VALU_DEP_1)
	v_dual_add_f32 v29, v25, v23 :: v_dual_add_f32 v28, v27, v26
	v_sub_f32_e32 v25, v25, v29
	s_delay_alu instid0(VALU_DEP_2) | instskip(SKIP_1) | instid1(VALU_DEP_1)
	v_rcp_f32_e32 v24, v28
	v_sub_f32_e32 v27, v27, v28
	v_dual_add_f32 v23, v23, v25 :: v_dual_add_f32 v26, v26, v27
	s_delay_alu instid0(TRANS32_DEP_1) | instskip(NEXT) | instid1(VALU_DEP_1)
	v_mul_f32_e32 v30, v29, v24
	v_mul_f32_e32 v31, v28, v30
	s_delay_alu instid0(VALU_DEP_1) | instskip(NEXT) | instid1(VALU_DEP_1)
	v_fma_f32 v27, v30, v28, -v31
	v_fmac_f32_e32 v27, v30, v26
	s_delay_alu instid0(VALU_DEP_1) | instskip(NEXT) | instid1(VALU_DEP_1)
	v_add_f32_e32 v32, v31, v27
	v_sub_f32_e32 v33, v29, v32
	v_sub_f32_e32 v25, v32, v31
	s_delay_alu instid0(VALU_DEP_2) | instskip(NEXT) | instid1(VALU_DEP_2)
	v_sub_f32_e32 v29, v29, v33
	v_sub_f32_e32 v25, v25, v27
	s_delay_alu instid0(VALU_DEP_2) | instskip(NEXT) | instid1(VALU_DEP_1)
	v_sub_f32_e32 v29, v29, v32
	v_add_f32_e32 v23, v23, v29
	s_delay_alu instid0(VALU_DEP_1) | instskip(NEXT) | instid1(VALU_DEP_1)
	v_add_f32_e32 v23, v25, v23
	v_add_f32_e32 v25, v33, v23
	s_delay_alu instid0(VALU_DEP_1) | instskip(NEXT) | instid1(VALU_DEP_1)
	v_mul_f32_e32 v27, v24, v25
	v_dual_sub_f32 v32, v33, v25 :: v_dual_mul_f32 v29, v28, v27
	s_delay_alu instid0(VALU_DEP_1) | instskip(NEXT) | instid1(VALU_DEP_2)
	v_add_f32_e32 v23, v23, v32
	v_fma_f32 v28, v27, v28, -v29
	s_delay_alu instid0(VALU_DEP_1) | instskip(NEXT) | instid1(VALU_DEP_1)
	v_fmac_f32_e32 v28, v27, v26
	v_add_f32_e32 v26, v29, v28
	s_delay_alu instid0(VALU_DEP_1) | instskip(NEXT) | instid1(VALU_DEP_1)
	v_sub_f32_e32 v31, v25, v26
	v_sub_f32_e32 v25, v25, v31
	s_delay_alu instid0(VALU_DEP_1) | instskip(NEXT) | instid1(VALU_DEP_1)
	v_sub_f32_e32 v25, v25, v26
	v_add_f32_e32 v23, v23, v25
	v_add_f32_e32 v25, v30, v27
	v_sub_f32_e32 v29, v26, v29
	s_delay_alu instid0(VALU_DEP_1) | instskip(NEXT) | instid1(VALU_DEP_1)
	v_sub_f32_e32 v26, v29, v28
	v_dual_add_f32 v23, v26, v23 :: v_dual_sub_f32 v26, v25, v30
	s_delay_alu instid0(VALU_DEP_1) | instskip(NEXT) | instid1(VALU_DEP_1)
	v_add_f32_e32 v23, v31, v23
	v_dual_sub_f32 v26, v27, v26 :: v_dual_mul_f32 v23, v24, v23
	s_delay_alu instid0(VALU_DEP_1) | instskip(NEXT) | instid1(VALU_DEP_1)
	v_add_f32_e32 v23, v26, v23
	v_add_f32_e32 v24, v25, v23
	s_delay_alu instid0(VALU_DEP_1) | instskip(SKIP_1) | instid1(VALU_DEP_1)
	v_mul_f32_e32 v26, v24, v24
	s_wait_alu 0xfffe
	v_fmaak_f32 v27, s1, v26, 0x3ecc95a3
	v_mul_f32_e32 v28, v24, v26
	v_cmp_neq_f32_e64 s1, 0x7f800000, v20
	s_delay_alu instid0(VALU_DEP_3) | instskip(SKIP_2) | instid1(VALU_DEP_3)
	v_fmaak_f32 v26, v26, v27, 0x3f2aaada
	v_ldexp_f32 v27, v24, 1
	v_sub_f32_e32 v24, v24, v25
	v_mul_f32_e32 v26, v28, v26
	s_delay_alu instid0(VALU_DEP_2) | instskip(NEXT) | instid1(VALU_DEP_2)
	v_dual_mul_f32 v28, 0x3f317218, v22 :: v_dual_sub_f32 v23, v23, v24
	v_add_f32_e32 v25, v27, v26
	s_delay_alu instid0(VALU_DEP_2) | instskip(NEXT) | instid1(VALU_DEP_2)
	v_ldexp_f32 v23, v23, 1
	v_sub_f32_e32 v24, v25, v27
	s_delay_alu instid0(VALU_DEP_4) | instskip(NEXT) | instid1(VALU_DEP_2)
	v_fma_f32 v27, 0x3f317218, v22, -v28
	v_sub_f32_e32 v24, v26, v24
	s_delay_alu instid0(VALU_DEP_1) | instskip(NEXT) | instid1(VALU_DEP_1)
	v_dual_fmamk_f32 v22, v22, 0xb102e308, v27 :: v_dual_add_f32 v23, v23, v24
	v_add_f32_e32 v24, v28, v22
	s_delay_alu instid0(VALU_DEP_1) | instskip(NEXT) | instid1(VALU_DEP_1)
	v_sub_f32_e32 v28, v24, v28
	v_sub_f32_e32 v22, v22, v28
	s_delay_alu instid0(VALU_DEP_4) | instskip(NEXT) | instid1(VALU_DEP_1)
	v_add_f32_e32 v26, v25, v23
	v_sub_f32_e32 v25, v26, v25
	s_delay_alu instid0(VALU_DEP_1) | instskip(SKIP_1) | instid1(VALU_DEP_1)
	v_sub_f32_e32 v23, v23, v25
	v_add_f32_e32 v27, v24, v26
	v_sub_f32_e32 v29, v27, v24
	s_delay_alu instid0(VALU_DEP_1) | instskip(NEXT) | instid1(VALU_DEP_4)
	v_sub_f32_e32 v25, v26, v29
	v_add_f32_e32 v26, v22, v23
	v_sub_f32_e32 v30, v27, v29
	s_delay_alu instid0(VALU_DEP_1) | instskip(NEXT) | instid1(VALU_DEP_1)
	v_sub_f32_e32 v24, v24, v30
	v_dual_add_f32 v24, v25, v24 :: v_dual_sub_f32 v25, v26, v22
	s_delay_alu instid0(VALU_DEP_1) | instskip(SKIP_1) | instid1(VALU_DEP_2)
	v_dual_add_f32 v24, v26, v24 :: v_dual_sub_f32 v23, v23, v25
	v_sub_f32_e32 v26, v26, v25
	v_add_f32_e32 v28, v27, v24
	s_delay_alu instid0(VALU_DEP_1) | instskip(NEXT) | instid1(VALU_DEP_1)
	v_dual_sub_f32 v22, v22, v26 :: v_dual_sub_f32 v25, v28, v27
	v_dual_add_f32 v22, v23, v22 :: v_dual_sub_f32 v23, v24, v25
	s_delay_alu instid0(VALU_DEP_1) | instskip(NEXT) | instid1(VALU_DEP_1)
	v_add_f32_e32 v22, v22, v23
	v_add_f32_e32 v22, v28, v22
	s_wait_alu 0xf1ff
	s_delay_alu instid0(VALU_DEP_1) | instskip(SKIP_2) | instid1(VALU_DEP_1)
	v_cndmask_b32_e64 v22, 0x7f800000, v22, s1
	v_cmp_gt_f32_e64 s1, 0x33800000, |v20|
	s_wait_alu 0xf1ff
	v_cndmask_b32_e64 v20, v22, v20, s1
	s_delay_alu instid0(VALU_DEP_1) | instskip(NEXT) | instid1(VALU_DEP_1)
	v_add_f32_e32 v20, v21, v20
	v_cvt_f16_f32_e32 v22, v20
	s_delay_alu instid0(VALU_DEP_1)
	v_cvt_f32_f16_e32 v20, v22
.LBB392_53:
	s_or_b32 exec_lo, exec_lo, s28
	ds_load_u16 v21, v17 offset:8
	v_max_num_f32_e32 v23, v20, v20
	v_cmp_u_f16_e64 s1, v22, v22
	s_wait_dscnt 0x0
	v_cvt_f32_f16_e32 v24, v21
	s_delay_alu instid0(VALU_DEP_1) | instskip(SKIP_2) | instid1(VALU_DEP_2)
	v_min_num_f32_e32 v25, v23, v24
	v_max_num_f32_e32 v23, v23, v24
	s_wait_alu 0xf1ff
	v_cndmask_b32_e64 v25, v25, v20, s1
	s_delay_alu instid0(VALU_DEP_2) | instskip(SKIP_2) | instid1(VALU_DEP_1)
	v_cndmask_b32_e64 v26, v23, v20, s1
	v_cmp_u_f16_e64 s1, v21, v21
	s_wait_alu 0xf1ff
	v_cndmask_b32_e64 v23, v25, v24, s1
	s_delay_alu instid0(VALU_DEP_3) | instskip(NEXT) | instid1(VALU_DEP_2)
	v_cndmask_b32_e64 v21, v26, v24, s1
	v_cmp_class_f32_e64 s28, v23, 0x1f8
	s_delay_alu instid0(VALU_DEP_2)
	v_cmp_neq_f32_e64 s1, v23, v21
	s_or_b32 s1, s1, s28
	s_wait_alu 0xfffe
	s_and_saveexec_b32 s28, s1
	s_cbranch_execz .LBB392_55
; %bb.54:
	v_sub_f32_e32 v20, v23, v21
	s_delay_alu instid0(VALU_DEP_1) | instskip(SKIP_1) | instid1(VALU_DEP_2)
	v_mul_f32_e32 v22, 0x3fb8aa3b, v20
	v_cmp_ngt_f32_e64 s1, 0xc2ce8ed0, v20
	v_fma_f32 v23, 0x3fb8aa3b, v20, -v22
	v_rndne_f32_e32 v24, v22
	s_delay_alu instid0(VALU_DEP_1) | instskip(NEXT) | instid1(VALU_DEP_1)
	v_dual_fmamk_f32 v23, v20, 0x32a5705f, v23 :: v_dual_sub_f32 v22, v22, v24
	v_add_f32_e32 v22, v22, v23
	v_cvt_i32_f32_e32 v23, v24
	s_delay_alu instid0(VALU_DEP_2) | instskip(NEXT) | instid1(TRANS32_DEP_1)
	v_exp_f32_e32 v22, v22
	v_ldexp_f32 v22, v22, v23
	s_wait_alu 0xf1ff
	s_delay_alu instid0(VALU_DEP_1) | instskip(SKIP_2) | instid1(VALU_DEP_1)
	v_cndmask_b32_e64 v22, 0, v22, s1
	v_cmp_nlt_f32_e64 s1, 0x42b17218, v20
	s_wait_alu 0xf1ff
	v_cndmask_b32_e64 v20, 0x7f800000, v22, s1
	s_delay_alu instid0(VALU_DEP_1) | instskip(NEXT) | instid1(VALU_DEP_1)
	v_add_f32_e32 v24, 1.0, v20
	v_cvt_f64_f32_e32 v[22:23], v24
	s_delay_alu instid0(VALU_DEP_1) | instskip(SKIP_1) | instid1(VALU_DEP_1)
	v_frexp_exp_i32_f64_e32 v22, v[22:23]
	v_frexp_mant_f32_e32 v23, v24
	v_cmp_gt_f32_e64 s1, 0x3f2aaaab, v23
	v_add_f32_e32 v23, -1.0, v24
	s_delay_alu instid0(VALU_DEP_1) | instskip(NEXT) | instid1(VALU_DEP_1)
	v_dual_sub_f32 v26, v23, v24 :: v_dual_sub_f32 v23, v20, v23
	v_add_f32_e32 v26, 1.0, v26
	s_delay_alu instid0(VALU_DEP_1)
	v_add_f32_e32 v23, v23, v26
	s_wait_alu 0xf1ff
	v_subrev_co_ci_u32_e64 v22, null, 0, v22, s1
	s_mov_b32 s1, 0x3e9b6dac
	v_sub_nc_u32_e32 v25, 0, v22
	v_cvt_f32_i32_e32 v22, v22
	s_delay_alu instid0(VALU_DEP_2) | instskip(SKIP_1) | instid1(VALU_DEP_2)
	v_ldexp_f32 v24, v24, v25
	v_ldexp_f32 v23, v23, v25
	v_add_f32_e32 v27, 1.0, v24
	s_delay_alu instid0(VALU_DEP_1) | instskip(NEXT) | instid1(VALU_DEP_1)
	v_dual_add_f32 v25, -1.0, v24 :: v_dual_add_f32 v26, -1.0, v27
	v_add_f32_e32 v28, 1.0, v25
	s_delay_alu instid0(VALU_DEP_2) | instskip(NEXT) | instid1(VALU_DEP_2)
	v_sub_f32_e32 v26, v24, v26
	v_sub_f32_e32 v24, v24, v28
	s_delay_alu instid0(VALU_DEP_2) | instskip(NEXT) | instid1(VALU_DEP_2)
	v_add_f32_e32 v26, v23, v26
	v_add_f32_e32 v23, v23, v24
	s_delay_alu instid0(VALU_DEP_1) | instskip(NEXT) | instid1(VALU_DEP_1)
	v_dual_add_f32 v29, v25, v23 :: v_dual_add_f32 v28, v27, v26
	v_sub_f32_e32 v25, v25, v29
	s_delay_alu instid0(VALU_DEP_2) | instskip(SKIP_1) | instid1(VALU_DEP_1)
	v_rcp_f32_e32 v24, v28
	v_sub_f32_e32 v27, v27, v28
	v_dual_add_f32 v23, v23, v25 :: v_dual_add_f32 v26, v26, v27
	s_delay_alu instid0(TRANS32_DEP_1) | instskip(NEXT) | instid1(VALU_DEP_1)
	v_mul_f32_e32 v30, v29, v24
	v_mul_f32_e32 v31, v28, v30
	s_delay_alu instid0(VALU_DEP_1) | instskip(NEXT) | instid1(VALU_DEP_1)
	v_fma_f32 v27, v30, v28, -v31
	v_fmac_f32_e32 v27, v30, v26
	s_delay_alu instid0(VALU_DEP_1) | instskip(NEXT) | instid1(VALU_DEP_1)
	v_add_f32_e32 v32, v31, v27
	v_sub_f32_e32 v33, v29, v32
	v_sub_f32_e32 v25, v32, v31
	s_delay_alu instid0(VALU_DEP_2) | instskip(NEXT) | instid1(VALU_DEP_2)
	v_sub_f32_e32 v29, v29, v33
	v_sub_f32_e32 v25, v25, v27
	s_delay_alu instid0(VALU_DEP_2) | instskip(NEXT) | instid1(VALU_DEP_1)
	v_sub_f32_e32 v29, v29, v32
	v_add_f32_e32 v23, v23, v29
	s_delay_alu instid0(VALU_DEP_1) | instskip(NEXT) | instid1(VALU_DEP_1)
	v_add_f32_e32 v23, v25, v23
	v_add_f32_e32 v25, v33, v23
	s_delay_alu instid0(VALU_DEP_1) | instskip(NEXT) | instid1(VALU_DEP_1)
	v_mul_f32_e32 v27, v24, v25
	v_dual_sub_f32 v32, v33, v25 :: v_dual_mul_f32 v29, v28, v27
	s_delay_alu instid0(VALU_DEP_1) | instskip(NEXT) | instid1(VALU_DEP_2)
	v_add_f32_e32 v23, v23, v32
	v_fma_f32 v28, v27, v28, -v29
	s_delay_alu instid0(VALU_DEP_1) | instskip(NEXT) | instid1(VALU_DEP_1)
	v_fmac_f32_e32 v28, v27, v26
	v_add_f32_e32 v26, v29, v28
	s_delay_alu instid0(VALU_DEP_1) | instskip(NEXT) | instid1(VALU_DEP_1)
	v_sub_f32_e32 v31, v25, v26
	v_sub_f32_e32 v25, v25, v31
	s_delay_alu instid0(VALU_DEP_1) | instskip(NEXT) | instid1(VALU_DEP_1)
	v_sub_f32_e32 v25, v25, v26
	v_add_f32_e32 v23, v23, v25
	v_add_f32_e32 v25, v30, v27
	v_sub_f32_e32 v29, v26, v29
	s_delay_alu instid0(VALU_DEP_1) | instskip(NEXT) | instid1(VALU_DEP_1)
	v_sub_f32_e32 v26, v29, v28
	v_dual_add_f32 v23, v26, v23 :: v_dual_sub_f32 v26, v25, v30
	s_delay_alu instid0(VALU_DEP_1) | instskip(NEXT) | instid1(VALU_DEP_1)
	v_add_f32_e32 v23, v31, v23
	v_dual_sub_f32 v26, v27, v26 :: v_dual_mul_f32 v23, v24, v23
	s_delay_alu instid0(VALU_DEP_1) | instskip(NEXT) | instid1(VALU_DEP_1)
	v_add_f32_e32 v23, v26, v23
	v_add_f32_e32 v24, v25, v23
	s_delay_alu instid0(VALU_DEP_1) | instskip(SKIP_1) | instid1(VALU_DEP_1)
	v_mul_f32_e32 v26, v24, v24
	s_wait_alu 0xfffe
	v_fmaak_f32 v27, s1, v26, 0x3ecc95a3
	v_mul_f32_e32 v28, v24, v26
	v_cmp_neq_f32_e64 s1, 0x7f800000, v20
	s_delay_alu instid0(VALU_DEP_3) | instskip(SKIP_2) | instid1(VALU_DEP_3)
	v_fmaak_f32 v26, v26, v27, 0x3f2aaada
	v_ldexp_f32 v27, v24, 1
	v_sub_f32_e32 v24, v24, v25
	v_mul_f32_e32 v26, v28, v26
	s_delay_alu instid0(VALU_DEP_2) | instskip(NEXT) | instid1(VALU_DEP_2)
	v_dual_mul_f32 v28, 0x3f317218, v22 :: v_dual_sub_f32 v23, v23, v24
	v_add_f32_e32 v25, v27, v26
	s_delay_alu instid0(VALU_DEP_2) | instskip(NEXT) | instid1(VALU_DEP_2)
	v_ldexp_f32 v23, v23, 1
	v_sub_f32_e32 v24, v25, v27
	s_delay_alu instid0(VALU_DEP_4) | instskip(NEXT) | instid1(VALU_DEP_2)
	v_fma_f32 v27, 0x3f317218, v22, -v28
	v_sub_f32_e32 v24, v26, v24
	s_delay_alu instid0(VALU_DEP_1) | instskip(NEXT) | instid1(VALU_DEP_1)
	v_dual_fmamk_f32 v22, v22, 0xb102e308, v27 :: v_dual_add_f32 v23, v23, v24
	v_add_f32_e32 v24, v28, v22
	s_delay_alu instid0(VALU_DEP_1) | instskip(NEXT) | instid1(VALU_DEP_1)
	v_sub_f32_e32 v28, v24, v28
	v_sub_f32_e32 v22, v22, v28
	s_delay_alu instid0(VALU_DEP_4) | instskip(NEXT) | instid1(VALU_DEP_1)
	v_add_f32_e32 v26, v25, v23
	v_sub_f32_e32 v25, v26, v25
	s_delay_alu instid0(VALU_DEP_1) | instskip(SKIP_1) | instid1(VALU_DEP_1)
	v_sub_f32_e32 v23, v23, v25
	v_add_f32_e32 v27, v24, v26
	v_sub_f32_e32 v29, v27, v24
	s_delay_alu instid0(VALU_DEP_1) | instskip(NEXT) | instid1(VALU_DEP_4)
	v_sub_f32_e32 v25, v26, v29
	v_add_f32_e32 v26, v22, v23
	v_sub_f32_e32 v30, v27, v29
	s_delay_alu instid0(VALU_DEP_1) | instskip(NEXT) | instid1(VALU_DEP_1)
	v_sub_f32_e32 v24, v24, v30
	v_dual_add_f32 v24, v25, v24 :: v_dual_sub_f32 v25, v26, v22
	s_delay_alu instid0(VALU_DEP_1) | instskip(SKIP_1) | instid1(VALU_DEP_2)
	v_dual_add_f32 v24, v26, v24 :: v_dual_sub_f32 v23, v23, v25
	v_sub_f32_e32 v26, v26, v25
	v_add_f32_e32 v28, v27, v24
	s_delay_alu instid0(VALU_DEP_1) | instskip(NEXT) | instid1(VALU_DEP_1)
	v_dual_sub_f32 v22, v22, v26 :: v_dual_sub_f32 v25, v28, v27
	v_dual_add_f32 v22, v23, v22 :: v_dual_sub_f32 v23, v24, v25
	s_delay_alu instid0(VALU_DEP_1) | instskip(NEXT) | instid1(VALU_DEP_1)
	v_add_f32_e32 v22, v22, v23
	v_add_f32_e32 v22, v28, v22
	s_wait_alu 0xf1ff
	s_delay_alu instid0(VALU_DEP_1) | instskip(SKIP_2) | instid1(VALU_DEP_1)
	v_cndmask_b32_e64 v22, 0x7f800000, v22, s1
	v_cmp_gt_f32_e64 s1, 0x33800000, |v20|
	s_wait_alu 0xf1ff
	v_cndmask_b32_e64 v20, v22, v20, s1
	s_delay_alu instid0(VALU_DEP_1) | instskip(NEXT) | instid1(VALU_DEP_1)
	v_add_f32_e32 v20, v21, v20
	v_cvt_f16_f32_e32 v22, v20
	s_delay_alu instid0(VALU_DEP_1)
	v_cvt_f32_f16_e32 v20, v22
.LBB392_55:
	s_or_b32 exec_lo, exec_lo, s28
	ds_load_u16 v21, v17 offset:10
	v_max_num_f32_e32 v23, v20, v20
	v_cmp_u_f16_e64 s1, v22, v22
	s_wait_dscnt 0x0
	v_cvt_f32_f16_e32 v24, v21
	s_delay_alu instid0(VALU_DEP_1) | instskip(SKIP_2) | instid1(VALU_DEP_2)
	v_min_num_f32_e32 v25, v23, v24
	v_max_num_f32_e32 v23, v23, v24
	s_wait_alu 0xf1ff
	v_cndmask_b32_e64 v25, v25, v20, s1
	s_delay_alu instid0(VALU_DEP_2) | instskip(SKIP_2) | instid1(VALU_DEP_1)
	v_cndmask_b32_e64 v26, v23, v20, s1
	v_cmp_u_f16_e64 s1, v21, v21
	s_wait_alu 0xf1ff
	v_cndmask_b32_e64 v23, v25, v24, s1
	s_delay_alu instid0(VALU_DEP_3) | instskip(NEXT) | instid1(VALU_DEP_2)
	v_cndmask_b32_e64 v21, v26, v24, s1
	v_cmp_class_f32_e64 s28, v23, 0x1f8
	s_delay_alu instid0(VALU_DEP_2)
	v_cmp_neq_f32_e64 s1, v23, v21
	s_or_b32 s1, s1, s28
	s_wait_alu 0xfffe
	s_and_saveexec_b32 s28, s1
	s_cbranch_execz .LBB392_57
; %bb.56:
	v_sub_f32_e32 v20, v23, v21
	s_delay_alu instid0(VALU_DEP_1) | instskip(SKIP_1) | instid1(VALU_DEP_2)
	v_mul_f32_e32 v22, 0x3fb8aa3b, v20
	v_cmp_ngt_f32_e64 s1, 0xc2ce8ed0, v20
	v_fma_f32 v23, 0x3fb8aa3b, v20, -v22
	v_rndne_f32_e32 v24, v22
	s_delay_alu instid0(VALU_DEP_1) | instskip(NEXT) | instid1(VALU_DEP_1)
	v_dual_fmamk_f32 v23, v20, 0x32a5705f, v23 :: v_dual_sub_f32 v22, v22, v24
	v_add_f32_e32 v22, v22, v23
	v_cvt_i32_f32_e32 v23, v24
	s_delay_alu instid0(VALU_DEP_2) | instskip(NEXT) | instid1(TRANS32_DEP_1)
	v_exp_f32_e32 v22, v22
	v_ldexp_f32 v22, v22, v23
	s_wait_alu 0xf1ff
	s_delay_alu instid0(VALU_DEP_1) | instskip(SKIP_2) | instid1(VALU_DEP_1)
	v_cndmask_b32_e64 v22, 0, v22, s1
	v_cmp_nlt_f32_e64 s1, 0x42b17218, v20
	s_wait_alu 0xf1ff
	v_cndmask_b32_e64 v20, 0x7f800000, v22, s1
	s_delay_alu instid0(VALU_DEP_1) | instskip(NEXT) | instid1(VALU_DEP_1)
	v_add_f32_e32 v24, 1.0, v20
	v_cvt_f64_f32_e32 v[22:23], v24
	s_delay_alu instid0(VALU_DEP_1) | instskip(SKIP_1) | instid1(VALU_DEP_1)
	v_frexp_exp_i32_f64_e32 v22, v[22:23]
	v_frexp_mant_f32_e32 v23, v24
	v_cmp_gt_f32_e64 s1, 0x3f2aaaab, v23
	v_add_f32_e32 v23, -1.0, v24
	s_delay_alu instid0(VALU_DEP_1) | instskip(NEXT) | instid1(VALU_DEP_1)
	v_dual_sub_f32 v26, v23, v24 :: v_dual_sub_f32 v23, v20, v23
	v_add_f32_e32 v26, 1.0, v26
	s_delay_alu instid0(VALU_DEP_1)
	v_add_f32_e32 v23, v23, v26
	s_wait_alu 0xf1ff
	v_subrev_co_ci_u32_e64 v22, null, 0, v22, s1
	s_mov_b32 s1, 0x3e9b6dac
	v_sub_nc_u32_e32 v25, 0, v22
	v_cvt_f32_i32_e32 v22, v22
	s_delay_alu instid0(VALU_DEP_2) | instskip(SKIP_1) | instid1(VALU_DEP_2)
	v_ldexp_f32 v24, v24, v25
	v_ldexp_f32 v23, v23, v25
	v_add_f32_e32 v27, 1.0, v24
	s_delay_alu instid0(VALU_DEP_1) | instskip(NEXT) | instid1(VALU_DEP_1)
	v_dual_add_f32 v25, -1.0, v24 :: v_dual_add_f32 v26, -1.0, v27
	v_add_f32_e32 v28, 1.0, v25
	s_delay_alu instid0(VALU_DEP_2) | instskip(NEXT) | instid1(VALU_DEP_2)
	v_sub_f32_e32 v26, v24, v26
	v_sub_f32_e32 v24, v24, v28
	s_delay_alu instid0(VALU_DEP_2) | instskip(NEXT) | instid1(VALU_DEP_2)
	v_add_f32_e32 v26, v23, v26
	v_add_f32_e32 v23, v23, v24
	s_delay_alu instid0(VALU_DEP_1) | instskip(NEXT) | instid1(VALU_DEP_1)
	v_dual_add_f32 v29, v25, v23 :: v_dual_add_f32 v28, v27, v26
	v_sub_f32_e32 v25, v25, v29
	s_delay_alu instid0(VALU_DEP_2) | instskip(SKIP_1) | instid1(VALU_DEP_1)
	v_rcp_f32_e32 v24, v28
	v_sub_f32_e32 v27, v27, v28
	v_dual_add_f32 v23, v23, v25 :: v_dual_add_f32 v26, v26, v27
	s_delay_alu instid0(TRANS32_DEP_1) | instskip(NEXT) | instid1(VALU_DEP_1)
	v_mul_f32_e32 v30, v29, v24
	v_mul_f32_e32 v31, v28, v30
	s_delay_alu instid0(VALU_DEP_1) | instskip(NEXT) | instid1(VALU_DEP_1)
	v_fma_f32 v27, v30, v28, -v31
	v_fmac_f32_e32 v27, v30, v26
	s_delay_alu instid0(VALU_DEP_1) | instskip(NEXT) | instid1(VALU_DEP_1)
	v_add_f32_e32 v32, v31, v27
	v_sub_f32_e32 v33, v29, v32
	v_sub_f32_e32 v25, v32, v31
	s_delay_alu instid0(VALU_DEP_2) | instskip(NEXT) | instid1(VALU_DEP_2)
	v_sub_f32_e32 v29, v29, v33
	v_sub_f32_e32 v25, v25, v27
	s_delay_alu instid0(VALU_DEP_2) | instskip(NEXT) | instid1(VALU_DEP_1)
	v_sub_f32_e32 v29, v29, v32
	v_add_f32_e32 v23, v23, v29
	s_delay_alu instid0(VALU_DEP_1) | instskip(NEXT) | instid1(VALU_DEP_1)
	v_add_f32_e32 v23, v25, v23
	v_add_f32_e32 v25, v33, v23
	s_delay_alu instid0(VALU_DEP_1) | instskip(NEXT) | instid1(VALU_DEP_1)
	v_mul_f32_e32 v27, v24, v25
	v_dual_sub_f32 v32, v33, v25 :: v_dual_mul_f32 v29, v28, v27
	s_delay_alu instid0(VALU_DEP_1) | instskip(NEXT) | instid1(VALU_DEP_2)
	v_add_f32_e32 v23, v23, v32
	v_fma_f32 v28, v27, v28, -v29
	s_delay_alu instid0(VALU_DEP_1) | instskip(NEXT) | instid1(VALU_DEP_1)
	v_fmac_f32_e32 v28, v27, v26
	v_add_f32_e32 v26, v29, v28
	s_delay_alu instid0(VALU_DEP_1) | instskip(NEXT) | instid1(VALU_DEP_1)
	v_sub_f32_e32 v31, v25, v26
	v_sub_f32_e32 v25, v25, v31
	s_delay_alu instid0(VALU_DEP_1) | instskip(NEXT) | instid1(VALU_DEP_1)
	v_sub_f32_e32 v25, v25, v26
	v_add_f32_e32 v23, v23, v25
	v_add_f32_e32 v25, v30, v27
	v_sub_f32_e32 v29, v26, v29
	s_delay_alu instid0(VALU_DEP_1) | instskip(NEXT) | instid1(VALU_DEP_1)
	v_sub_f32_e32 v26, v29, v28
	v_dual_add_f32 v23, v26, v23 :: v_dual_sub_f32 v26, v25, v30
	s_delay_alu instid0(VALU_DEP_1) | instskip(NEXT) | instid1(VALU_DEP_1)
	v_add_f32_e32 v23, v31, v23
	v_dual_sub_f32 v26, v27, v26 :: v_dual_mul_f32 v23, v24, v23
	s_delay_alu instid0(VALU_DEP_1) | instskip(NEXT) | instid1(VALU_DEP_1)
	v_add_f32_e32 v23, v26, v23
	v_add_f32_e32 v24, v25, v23
	s_delay_alu instid0(VALU_DEP_1) | instskip(SKIP_1) | instid1(VALU_DEP_1)
	v_mul_f32_e32 v26, v24, v24
	s_wait_alu 0xfffe
	v_fmaak_f32 v27, s1, v26, 0x3ecc95a3
	v_mul_f32_e32 v28, v24, v26
	v_cmp_neq_f32_e64 s1, 0x7f800000, v20
	s_delay_alu instid0(VALU_DEP_3) | instskip(SKIP_2) | instid1(VALU_DEP_3)
	v_fmaak_f32 v26, v26, v27, 0x3f2aaada
	v_ldexp_f32 v27, v24, 1
	v_sub_f32_e32 v24, v24, v25
	v_mul_f32_e32 v26, v28, v26
	s_delay_alu instid0(VALU_DEP_2) | instskip(NEXT) | instid1(VALU_DEP_2)
	v_dual_mul_f32 v28, 0x3f317218, v22 :: v_dual_sub_f32 v23, v23, v24
	v_add_f32_e32 v25, v27, v26
	s_delay_alu instid0(VALU_DEP_2) | instskip(NEXT) | instid1(VALU_DEP_2)
	v_ldexp_f32 v23, v23, 1
	v_sub_f32_e32 v24, v25, v27
	s_delay_alu instid0(VALU_DEP_4) | instskip(NEXT) | instid1(VALU_DEP_2)
	v_fma_f32 v27, 0x3f317218, v22, -v28
	v_sub_f32_e32 v24, v26, v24
	s_delay_alu instid0(VALU_DEP_1) | instskip(NEXT) | instid1(VALU_DEP_1)
	v_dual_fmamk_f32 v22, v22, 0xb102e308, v27 :: v_dual_add_f32 v23, v23, v24
	v_add_f32_e32 v24, v28, v22
	s_delay_alu instid0(VALU_DEP_1) | instskip(NEXT) | instid1(VALU_DEP_1)
	v_sub_f32_e32 v28, v24, v28
	v_sub_f32_e32 v22, v22, v28
	s_delay_alu instid0(VALU_DEP_4) | instskip(NEXT) | instid1(VALU_DEP_1)
	v_add_f32_e32 v26, v25, v23
	v_sub_f32_e32 v25, v26, v25
	s_delay_alu instid0(VALU_DEP_1) | instskip(SKIP_1) | instid1(VALU_DEP_1)
	v_sub_f32_e32 v23, v23, v25
	v_add_f32_e32 v27, v24, v26
	v_sub_f32_e32 v29, v27, v24
	s_delay_alu instid0(VALU_DEP_1) | instskip(NEXT) | instid1(VALU_DEP_4)
	v_sub_f32_e32 v25, v26, v29
	v_add_f32_e32 v26, v22, v23
	v_sub_f32_e32 v30, v27, v29
	s_delay_alu instid0(VALU_DEP_1) | instskip(NEXT) | instid1(VALU_DEP_1)
	v_sub_f32_e32 v24, v24, v30
	v_dual_add_f32 v24, v25, v24 :: v_dual_sub_f32 v25, v26, v22
	s_delay_alu instid0(VALU_DEP_1) | instskip(SKIP_1) | instid1(VALU_DEP_2)
	v_dual_add_f32 v24, v26, v24 :: v_dual_sub_f32 v23, v23, v25
	v_sub_f32_e32 v26, v26, v25
	v_add_f32_e32 v28, v27, v24
	s_delay_alu instid0(VALU_DEP_1) | instskip(NEXT) | instid1(VALU_DEP_1)
	v_dual_sub_f32 v22, v22, v26 :: v_dual_sub_f32 v25, v28, v27
	v_dual_add_f32 v22, v23, v22 :: v_dual_sub_f32 v23, v24, v25
	s_delay_alu instid0(VALU_DEP_1) | instskip(NEXT) | instid1(VALU_DEP_1)
	v_add_f32_e32 v22, v22, v23
	v_add_f32_e32 v22, v28, v22
	s_wait_alu 0xf1ff
	s_delay_alu instid0(VALU_DEP_1) | instskip(SKIP_2) | instid1(VALU_DEP_1)
	v_cndmask_b32_e64 v22, 0x7f800000, v22, s1
	v_cmp_gt_f32_e64 s1, 0x33800000, |v20|
	s_wait_alu 0xf1ff
	v_cndmask_b32_e64 v20, v22, v20, s1
	s_delay_alu instid0(VALU_DEP_1) | instskip(NEXT) | instid1(VALU_DEP_1)
	v_add_f32_e32 v20, v21, v20
	v_cvt_f16_f32_e32 v22, v20
	s_delay_alu instid0(VALU_DEP_1)
	v_cvt_f32_f16_e32 v20, v22
.LBB392_57:
	s_or_b32 exec_lo, exec_lo, s28
	ds_load_u16 v21, v17 offset:12
	v_max_num_f32_e32 v23, v20, v20
	v_cmp_u_f16_e64 s1, v22, v22
	s_wait_dscnt 0x0
	v_cvt_f32_f16_e32 v24, v21
	s_delay_alu instid0(VALU_DEP_1) | instskip(SKIP_2) | instid1(VALU_DEP_2)
	v_min_num_f32_e32 v25, v23, v24
	v_max_num_f32_e32 v23, v23, v24
	s_wait_alu 0xf1ff
	v_cndmask_b32_e64 v25, v25, v20, s1
	s_delay_alu instid0(VALU_DEP_2) | instskip(SKIP_2) | instid1(VALU_DEP_1)
	v_cndmask_b32_e64 v26, v23, v20, s1
	v_cmp_u_f16_e64 s1, v21, v21
	s_wait_alu 0xf1ff
	v_cndmask_b32_e64 v23, v25, v24, s1
	s_delay_alu instid0(VALU_DEP_3) | instskip(NEXT) | instid1(VALU_DEP_2)
	v_cndmask_b32_e64 v21, v26, v24, s1
	v_cmp_class_f32_e64 s28, v23, 0x1f8
	s_delay_alu instid0(VALU_DEP_2)
	v_cmp_neq_f32_e64 s1, v23, v21
	s_or_b32 s1, s1, s28
	s_wait_alu 0xfffe
	s_and_saveexec_b32 s28, s1
	s_cbranch_execz .LBB392_59
; %bb.58:
	v_sub_f32_e32 v20, v23, v21
	s_delay_alu instid0(VALU_DEP_1) | instskip(SKIP_1) | instid1(VALU_DEP_2)
	v_mul_f32_e32 v22, 0x3fb8aa3b, v20
	v_cmp_ngt_f32_e64 s1, 0xc2ce8ed0, v20
	v_fma_f32 v23, 0x3fb8aa3b, v20, -v22
	v_rndne_f32_e32 v24, v22
	s_delay_alu instid0(VALU_DEP_1) | instskip(NEXT) | instid1(VALU_DEP_1)
	v_dual_fmamk_f32 v23, v20, 0x32a5705f, v23 :: v_dual_sub_f32 v22, v22, v24
	v_add_f32_e32 v22, v22, v23
	v_cvt_i32_f32_e32 v23, v24
	s_delay_alu instid0(VALU_DEP_2) | instskip(NEXT) | instid1(TRANS32_DEP_1)
	v_exp_f32_e32 v22, v22
	v_ldexp_f32 v22, v22, v23
	s_wait_alu 0xf1ff
	s_delay_alu instid0(VALU_DEP_1) | instskip(SKIP_2) | instid1(VALU_DEP_1)
	v_cndmask_b32_e64 v22, 0, v22, s1
	v_cmp_nlt_f32_e64 s1, 0x42b17218, v20
	s_wait_alu 0xf1ff
	v_cndmask_b32_e64 v20, 0x7f800000, v22, s1
	s_delay_alu instid0(VALU_DEP_1) | instskip(NEXT) | instid1(VALU_DEP_1)
	v_add_f32_e32 v24, 1.0, v20
	v_cvt_f64_f32_e32 v[22:23], v24
	s_delay_alu instid0(VALU_DEP_1) | instskip(SKIP_1) | instid1(VALU_DEP_1)
	v_frexp_exp_i32_f64_e32 v22, v[22:23]
	v_frexp_mant_f32_e32 v23, v24
	v_cmp_gt_f32_e64 s1, 0x3f2aaaab, v23
	v_add_f32_e32 v23, -1.0, v24
	s_delay_alu instid0(VALU_DEP_1) | instskip(NEXT) | instid1(VALU_DEP_1)
	v_dual_sub_f32 v26, v23, v24 :: v_dual_sub_f32 v23, v20, v23
	v_add_f32_e32 v26, 1.0, v26
	s_delay_alu instid0(VALU_DEP_1)
	v_add_f32_e32 v23, v23, v26
	s_wait_alu 0xf1ff
	v_subrev_co_ci_u32_e64 v22, null, 0, v22, s1
	s_mov_b32 s1, 0x3e9b6dac
	v_sub_nc_u32_e32 v25, 0, v22
	v_cvt_f32_i32_e32 v22, v22
	s_delay_alu instid0(VALU_DEP_2) | instskip(SKIP_1) | instid1(VALU_DEP_2)
	v_ldexp_f32 v24, v24, v25
	v_ldexp_f32 v23, v23, v25
	v_add_f32_e32 v27, 1.0, v24
	s_delay_alu instid0(VALU_DEP_1) | instskip(NEXT) | instid1(VALU_DEP_1)
	v_dual_add_f32 v25, -1.0, v24 :: v_dual_add_f32 v26, -1.0, v27
	v_add_f32_e32 v28, 1.0, v25
	s_delay_alu instid0(VALU_DEP_2) | instskip(NEXT) | instid1(VALU_DEP_2)
	v_sub_f32_e32 v26, v24, v26
	v_sub_f32_e32 v24, v24, v28
	s_delay_alu instid0(VALU_DEP_2) | instskip(NEXT) | instid1(VALU_DEP_2)
	v_add_f32_e32 v26, v23, v26
	v_add_f32_e32 v23, v23, v24
	s_delay_alu instid0(VALU_DEP_1) | instskip(NEXT) | instid1(VALU_DEP_1)
	v_dual_add_f32 v29, v25, v23 :: v_dual_add_f32 v28, v27, v26
	v_sub_f32_e32 v25, v25, v29
	s_delay_alu instid0(VALU_DEP_2) | instskip(SKIP_1) | instid1(VALU_DEP_1)
	v_rcp_f32_e32 v24, v28
	v_sub_f32_e32 v27, v27, v28
	v_dual_add_f32 v23, v23, v25 :: v_dual_add_f32 v26, v26, v27
	s_delay_alu instid0(TRANS32_DEP_1) | instskip(NEXT) | instid1(VALU_DEP_1)
	v_mul_f32_e32 v30, v29, v24
	v_mul_f32_e32 v31, v28, v30
	s_delay_alu instid0(VALU_DEP_1) | instskip(NEXT) | instid1(VALU_DEP_1)
	v_fma_f32 v27, v30, v28, -v31
	v_fmac_f32_e32 v27, v30, v26
	s_delay_alu instid0(VALU_DEP_1) | instskip(NEXT) | instid1(VALU_DEP_1)
	v_add_f32_e32 v32, v31, v27
	v_sub_f32_e32 v33, v29, v32
	v_sub_f32_e32 v25, v32, v31
	s_delay_alu instid0(VALU_DEP_2) | instskip(NEXT) | instid1(VALU_DEP_2)
	v_sub_f32_e32 v29, v29, v33
	v_sub_f32_e32 v25, v25, v27
	s_delay_alu instid0(VALU_DEP_2) | instskip(NEXT) | instid1(VALU_DEP_1)
	v_sub_f32_e32 v29, v29, v32
	v_add_f32_e32 v23, v23, v29
	s_delay_alu instid0(VALU_DEP_1) | instskip(NEXT) | instid1(VALU_DEP_1)
	v_add_f32_e32 v23, v25, v23
	v_add_f32_e32 v25, v33, v23
	s_delay_alu instid0(VALU_DEP_1) | instskip(NEXT) | instid1(VALU_DEP_1)
	v_mul_f32_e32 v27, v24, v25
	v_dual_sub_f32 v32, v33, v25 :: v_dual_mul_f32 v29, v28, v27
	s_delay_alu instid0(VALU_DEP_1) | instskip(NEXT) | instid1(VALU_DEP_2)
	v_add_f32_e32 v23, v23, v32
	v_fma_f32 v28, v27, v28, -v29
	s_delay_alu instid0(VALU_DEP_1) | instskip(NEXT) | instid1(VALU_DEP_1)
	v_fmac_f32_e32 v28, v27, v26
	v_add_f32_e32 v26, v29, v28
	s_delay_alu instid0(VALU_DEP_1) | instskip(NEXT) | instid1(VALU_DEP_1)
	v_sub_f32_e32 v31, v25, v26
	v_sub_f32_e32 v25, v25, v31
	s_delay_alu instid0(VALU_DEP_1) | instskip(NEXT) | instid1(VALU_DEP_1)
	v_sub_f32_e32 v25, v25, v26
	v_add_f32_e32 v23, v23, v25
	v_add_f32_e32 v25, v30, v27
	v_sub_f32_e32 v29, v26, v29
	s_delay_alu instid0(VALU_DEP_1) | instskip(NEXT) | instid1(VALU_DEP_1)
	v_sub_f32_e32 v26, v29, v28
	v_dual_add_f32 v23, v26, v23 :: v_dual_sub_f32 v26, v25, v30
	s_delay_alu instid0(VALU_DEP_1) | instskip(NEXT) | instid1(VALU_DEP_1)
	v_add_f32_e32 v23, v31, v23
	v_dual_sub_f32 v26, v27, v26 :: v_dual_mul_f32 v23, v24, v23
	s_delay_alu instid0(VALU_DEP_1) | instskip(NEXT) | instid1(VALU_DEP_1)
	v_add_f32_e32 v23, v26, v23
	v_add_f32_e32 v24, v25, v23
	s_delay_alu instid0(VALU_DEP_1) | instskip(SKIP_1) | instid1(VALU_DEP_1)
	v_mul_f32_e32 v26, v24, v24
	s_wait_alu 0xfffe
	v_fmaak_f32 v27, s1, v26, 0x3ecc95a3
	v_mul_f32_e32 v28, v24, v26
	v_cmp_neq_f32_e64 s1, 0x7f800000, v20
	s_delay_alu instid0(VALU_DEP_3) | instskip(SKIP_2) | instid1(VALU_DEP_3)
	v_fmaak_f32 v26, v26, v27, 0x3f2aaada
	v_ldexp_f32 v27, v24, 1
	v_sub_f32_e32 v24, v24, v25
	v_mul_f32_e32 v26, v28, v26
	s_delay_alu instid0(VALU_DEP_2) | instskip(NEXT) | instid1(VALU_DEP_2)
	v_dual_mul_f32 v28, 0x3f317218, v22 :: v_dual_sub_f32 v23, v23, v24
	v_add_f32_e32 v25, v27, v26
	s_delay_alu instid0(VALU_DEP_2) | instskip(NEXT) | instid1(VALU_DEP_2)
	v_ldexp_f32 v23, v23, 1
	v_sub_f32_e32 v24, v25, v27
	s_delay_alu instid0(VALU_DEP_4) | instskip(NEXT) | instid1(VALU_DEP_2)
	v_fma_f32 v27, 0x3f317218, v22, -v28
	v_sub_f32_e32 v24, v26, v24
	s_delay_alu instid0(VALU_DEP_1) | instskip(NEXT) | instid1(VALU_DEP_1)
	v_dual_fmamk_f32 v22, v22, 0xb102e308, v27 :: v_dual_add_f32 v23, v23, v24
	v_add_f32_e32 v24, v28, v22
	s_delay_alu instid0(VALU_DEP_1) | instskip(NEXT) | instid1(VALU_DEP_1)
	v_sub_f32_e32 v28, v24, v28
	v_sub_f32_e32 v22, v22, v28
	s_delay_alu instid0(VALU_DEP_4) | instskip(NEXT) | instid1(VALU_DEP_1)
	v_add_f32_e32 v26, v25, v23
	v_sub_f32_e32 v25, v26, v25
	s_delay_alu instid0(VALU_DEP_1) | instskip(SKIP_1) | instid1(VALU_DEP_1)
	v_sub_f32_e32 v23, v23, v25
	v_add_f32_e32 v27, v24, v26
	v_sub_f32_e32 v29, v27, v24
	s_delay_alu instid0(VALU_DEP_1) | instskip(NEXT) | instid1(VALU_DEP_4)
	v_sub_f32_e32 v25, v26, v29
	v_add_f32_e32 v26, v22, v23
	v_sub_f32_e32 v30, v27, v29
	s_delay_alu instid0(VALU_DEP_1) | instskip(NEXT) | instid1(VALU_DEP_1)
	v_sub_f32_e32 v24, v24, v30
	v_dual_add_f32 v24, v25, v24 :: v_dual_sub_f32 v25, v26, v22
	s_delay_alu instid0(VALU_DEP_1) | instskip(SKIP_1) | instid1(VALU_DEP_2)
	v_dual_add_f32 v24, v26, v24 :: v_dual_sub_f32 v23, v23, v25
	v_sub_f32_e32 v26, v26, v25
	v_add_f32_e32 v28, v27, v24
	s_delay_alu instid0(VALU_DEP_1) | instskip(NEXT) | instid1(VALU_DEP_1)
	v_dual_sub_f32 v22, v22, v26 :: v_dual_sub_f32 v25, v28, v27
	v_dual_add_f32 v22, v23, v22 :: v_dual_sub_f32 v23, v24, v25
	s_delay_alu instid0(VALU_DEP_1) | instskip(NEXT) | instid1(VALU_DEP_1)
	v_add_f32_e32 v22, v22, v23
	v_add_f32_e32 v22, v28, v22
	s_wait_alu 0xf1ff
	s_delay_alu instid0(VALU_DEP_1) | instskip(SKIP_2) | instid1(VALU_DEP_1)
	v_cndmask_b32_e64 v22, 0x7f800000, v22, s1
	v_cmp_gt_f32_e64 s1, 0x33800000, |v20|
	s_wait_alu 0xf1ff
	v_cndmask_b32_e64 v20, v22, v20, s1
	s_delay_alu instid0(VALU_DEP_1) | instskip(NEXT) | instid1(VALU_DEP_1)
	v_add_f32_e32 v20, v21, v20
	v_cvt_f16_f32_e32 v22, v20
	s_delay_alu instid0(VALU_DEP_1)
	v_cvt_f32_f16_e32 v20, v22
.LBB392_59:
	s_or_b32 exec_lo, exec_lo, s28
	ds_load_u16 v21, v17 offset:14
	v_max_num_f32_e32 v23, v20, v20
	v_cmp_u_f16_e64 s1, v22, v22
	s_wait_dscnt 0x0
	v_cvt_f32_f16_e32 v24, v21
	s_delay_alu instid0(VALU_DEP_1) | instskip(SKIP_2) | instid1(VALU_DEP_2)
	v_min_num_f32_e32 v25, v23, v24
	v_max_num_f32_e32 v23, v23, v24
	s_wait_alu 0xf1ff
	v_cndmask_b32_e64 v25, v25, v20, s1
	s_delay_alu instid0(VALU_DEP_2) | instskip(SKIP_2) | instid1(VALU_DEP_1)
	v_cndmask_b32_e64 v20, v23, v20, s1
	v_cmp_u_f16_e64 s1, v21, v21
	s_wait_alu 0xf1ff
	v_cndmask_b32_e64 v21, v25, v24, s1
	s_delay_alu instid0(VALU_DEP_3) | instskip(NEXT) | instid1(VALU_DEP_2)
	v_cndmask_b32_e64 v20, v20, v24, s1
	v_cmp_class_f32_e64 s28, v21, 0x1f8
	s_delay_alu instid0(VALU_DEP_2)
	v_cmp_neq_f32_e64 s1, v21, v20
	s_or_b32 s1, s1, s28
	s_wait_alu 0xfffe
	s_and_saveexec_b32 s28, s1
	s_cbranch_execz .LBB392_61
; %bb.60:
	v_sub_f32_e32 v21, v21, v20
	s_delay_alu instid0(VALU_DEP_1) | instskip(NEXT) | instid1(VALU_DEP_1)
	v_mul_f32_e32 v22, 0x3fb8aa3b, v21
	v_fma_f32 v23, 0x3fb8aa3b, v21, -v22
	v_rndne_f32_e32 v24, v22
	s_delay_alu instid0(VALU_DEP_1) | instskip(NEXT) | instid1(VALU_DEP_1)
	v_dual_fmamk_f32 v23, v21, 0x32a5705f, v23 :: v_dual_sub_f32 v22, v22, v24
	v_add_f32_e32 v22, v22, v23
	v_cvt_i32_f32_e32 v23, v24
	v_cmp_ngt_f32_e64 s1, 0xc2ce8ed0, v21
	s_delay_alu instid0(VALU_DEP_3) | instskip(NEXT) | instid1(TRANS32_DEP_1)
	v_exp_f32_e32 v22, v22
	v_ldexp_f32 v22, v22, v23
	s_wait_alu 0xf1ff
	s_delay_alu instid0(VALU_DEP_1) | instskip(SKIP_2) | instid1(VALU_DEP_1)
	v_cndmask_b32_e64 v22, 0, v22, s1
	v_cmp_nlt_f32_e64 s1, 0x42b17218, v21
	s_wait_alu 0xf1ff
	v_cndmask_b32_e64 v23, 0x7f800000, v22, s1
	s_delay_alu instid0(VALU_DEP_1) | instskip(NEXT) | instid1(VALU_DEP_1)
	v_add_f32_e32 v24, 1.0, v23
	v_cvt_f64_f32_e32 v[21:22], v24
	s_delay_alu instid0(VALU_DEP_1) | instskip(SKIP_1) | instid1(VALU_DEP_1)
	v_frexp_exp_i32_f64_e32 v21, v[21:22]
	v_frexp_mant_f32_e32 v22, v24
	v_cmp_gt_f32_e64 s1, 0x3f2aaaab, v22
	v_add_f32_e32 v22, -1.0, v24
	s_delay_alu instid0(VALU_DEP_1) | instskip(SKIP_1) | instid1(VALU_DEP_3)
	v_sub_f32_e32 v26, v22, v24
	s_wait_alu 0xf1ff
	v_subrev_co_ci_u32_e64 v21, null, 0, v21, s1
	s_mov_b32 s1, 0x3e9b6dac
	v_sub_nc_u32_e32 v25, 0, v21
	v_cvt_f32_i32_e32 v21, v21
	s_delay_alu instid0(VALU_DEP_2) | instskip(NEXT) | instid1(VALU_DEP_1)
	v_ldexp_f32 v24, v24, v25
	v_dual_sub_f32 v22, v23, v22 :: v_dual_add_f32 v27, 1.0, v24
	v_add_f32_e32 v26, 1.0, v26
	s_delay_alu instid0(VALU_DEP_1) | instskip(NEXT) | instid1(VALU_DEP_3)
	v_add_f32_e32 v22, v22, v26
	v_add_f32_e32 v26, -1.0, v27
	s_delay_alu instid0(VALU_DEP_2) | instskip(NEXT) | instid1(VALU_DEP_2)
	v_ldexp_f32 v22, v22, v25
	v_dual_add_f32 v25, -1.0, v24 :: v_dual_sub_f32 v26, v24, v26
	s_delay_alu instid0(VALU_DEP_1) | instskip(NEXT) | instid1(VALU_DEP_2)
	v_add_f32_e32 v28, 1.0, v25
	v_add_f32_e32 v26, v22, v26
	s_delay_alu instid0(VALU_DEP_2) | instskip(NEXT) | instid1(VALU_DEP_2)
	v_sub_f32_e32 v24, v24, v28
	v_add_f32_e32 v28, v27, v26
	s_delay_alu instid0(VALU_DEP_2) | instskip(NEXT) | instid1(VALU_DEP_2)
	v_add_f32_e32 v22, v22, v24
	v_rcp_f32_e32 v24, v28
	v_sub_f32_e32 v27, v27, v28
	s_delay_alu instid0(VALU_DEP_1) | instskip(NEXT) | instid1(VALU_DEP_1)
	v_dual_add_f32 v29, v25, v22 :: v_dual_add_f32 v26, v26, v27
	v_sub_f32_e32 v25, v25, v29
	s_delay_alu instid0(TRANS32_DEP_1) | instskip(NEXT) | instid1(VALU_DEP_1)
	v_mul_f32_e32 v30, v29, v24
	v_dual_add_f32 v22, v22, v25 :: v_dual_mul_f32 v31, v28, v30
	s_delay_alu instid0(VALU_DEP_1) | instskip(NEXT) | instid1(VALU_DEP_1)
	v_fma_f32 v27, v30, v28, -v31
	v_fmac_f32_e32 v27, v30, v26
	s_delay_alu instid0(VALU_DEP_1) | instskip(NEXT) | instid1(VALU_DEP_1)
	v_add_f32_e32 v32, v31, v27
	v_sub_f32_e32 v33, v29, v32
	v_sub_f32_e32 v25, v32, v31
	s_delay_alu instid0(VALU_DEP_2) | instskip(NEXT) | instid1(VALU_DEP_2)
	v_sub_f32_e32 v29, v29, v33
	v_sub_f32_e32 v25, v25, v27
	s_delay_alu instid0(VALU_DEP_2) | instskip(NEXT) | instid1(VALU_DEP_1)
	v_sub_f32_e32 v29, v29, v32
	v_add_f32_e32 v22, v22, v29
	s_delay_alu instid0(VALU_DEP_1) | instskip(NEXT) | instid1(VALU_DEP_1)
	v_add_f32_e32 v22, v25, v22
	v_add_f32_e32 v25, v33, v22
	s_delay_alu instid0(VALU_DEP_1) | instskip(NEXT) | instid1(VALU_DEP_1)
	v_mul_f32_e32 v27, v24, v25
	v_dual_sub_f32 v32, v33, v25 :: v_dual_mul_f32 v29, v28, v27
	s_delay_alu instid0(VALU_DEP_1) | instskip(NEXT) | instid1(VALU_DEP_2)
	v_add_f32_e32 v22, v22, v32
	v_fma_f32 v28, v27, v28, -v29
	s_delay_alu instid0(VALU_DEP_1) | instskip(NEXT) | instid1(VALU_DEP_1)
	v_fmac_f32_e32 v28, v27, v26
	v_add_f32_e32 v26, v29, v28
	s_delay_alu instid0(VALU_DEP_1) | instskip(SKIP_1) | instid1(VALU_DEP_2)
	v_sub_f32_e32 v31, v25, v26
	v_sub_f32_e32 v29, v26, v29
	;; [unrolled: 1-line block ×3, first 2 shown]
	s_delay_alu instid0(VALU_DEP_1) | instskip(NEXT) | instid1(VALU_DEP_3)
	v_sub_f32_e32 v25, v25, v26
	v_sub_f32_e32 v26, v29, v28
	s_delay_alu instid0(VALU_DEP_2) | instskip(SKIP_1) | instid1(VALU_DEP_2)
	v_add_f32_e32 v22, v22, v25
	v_add_f32_e32 v25, v30, v27
	;; [unrolled: 1-line block ×3, first 2 shown]
	s_delay_alu instid0(VALU_DEP_2) | instskip(NEXT) | instid1(VALU_DEP_2)
	v_sub_f32_e32 v26, v25, v30
	v_add_f32_e32 v22, v31, v22
	s_delay_alu instid0(VALU_DEP_2) | instskip(NEXT) | instid1(VALU_DEP_2)
	v_sub_f32_e32 v26, v27, v26
	v_mul_f32_e32 v22, v24, v22
	s_delay_alu instid0(VALU_DEP_1) | instskip(NEXT) | instid1(VALU_DEP_1)
	v_add_f32_e32 v22, v26, v22
	v_add_f32_e32 v24, v25, v22
	s_delay_alu instid0(VALU_DEP_1) | instskip(SKIP_1) | instid1(VALU_DEP_1)
	v_mul_f32_e32 v26, v24, v24
	s_wait_alu 0xfffe
	v_fmaak_f32 v27, s1, v26, 0x3ecc95a3
	v_mul_f32_e32 v28, v24, v26
	v_cmp_neq_f32_e64 s1, 0x7f800000, v23
	s_delay_alu instid0(VALU_DEP_3) | instskip(SKIP_2) | instid1(VALU_DEP_3)
	v_fmaak_f32 v26, v26, v27, 0x3f2aaada
	v_ldexp_f32 v27, v24, 1
	v_sub_f32_e32 v24, v24, v25
	v_mul_f32_e32 v26, v28, v26
	v_mul_f32_e32 v28, 0x3f317218, v21
	s_delay_alu instid0(VALU_DEP_2) | instskip(NEXT) | instid1(VALU_DEP_1)
	v_dual_sub_f32 v22, v22, v24 :: v_dual_add_f32 v25, v27, v26
	v_ldexp_f32 v22, v22, 1
	s_delay_alu instid0(VALU_DEP_2) | instskip(NEXT) | instid1(VALU_DEP_4)
	v_sub_f32_e32 v24, v25, v27
	v_fma_f32 v27, 0x3f317218, v21, -v28
	s_delay_alu instid0(VALU_DEP_1) | instskip(NEXT) | instid1(VALU_DEP_1)
	v_dual_sub_f32 v24, v26, v24 :: v_dual_fmamk_f32 v21, v21, 0xb102e308, v27
	v_add_f32_e32 v22, v22, v24
	s_delay_alu instid0(VALU_DEP_2) | instskip(NEXT) | instid1(VALU_DEP_2)
	v_add_f32_e32 v24, v28, v21
	v_add_f32_e32 v26, v25, v22
	s_delay_alu instid0(VALU_DEP_2) | instskip(NEXT) | instid1(VALU_DEP_2)
	v_sub_f32_e32 v28, v24, v28
	v_add_f32_e32 v27, v24, v26
	v_sub_f32_e32 v25, v26, v25
	s_delay_alu instid0(VALU_DEP_3) | instskip(NEXT) | instid1(VALU_DEP_2)
	v_sub_f32_e32 v21, v21, v28
	v_dual_sub_f32 v29, v27, v24 :: v_dual_sub_f32 v22, v22, v25
	s_delay_alu instid0(VALU_DEP_1) | instskip(NEXT) | instid1(VALU_DEP_2)
	v_sub_f32_e32 v30, v27, v29
	v_dual_sub_f32 v25, v26, v29 :: v_dual_add_f32 v26, v21, v22
	s_delay_alu instid0(VALU_DEP_2) | instskip(NEXT) | instid1(VALU_DEP_1)
	v_sub_f32_e32 v24, v24, v30
	v_dual_add_f32 v24, v25, v24 :: v_dual_sub_f32 v25, v26, v21
	s_delay_alu instid0(VALU_DEP_1) | instskip(NEXT) | instid1(VALU_DEP_2)
	v_add_f32_e32 v24, v26, v24
	v_sub_f32_e32 v26, v26, v25
	v_sub_f32_e32 v22, v22, v25
	s_delay_alu instid0(VALU_DEP_2) | instskip(NEXT) | instid1(VALU_DEP_1)
	v_dual_add_f32 v28, v27, v24 :: v_dual_sub_f32 v21, v21, v26
	v_sub_f32_e32 v25, v28, v27
	s_delay_alu instid0(VALU_DEP_2) | instskip(NEXT) | instid1(VALU_DEP_2)
	v_add_f32_e32 v21, v22, v21
	v_sub_f32_e32 v22, v24, v25
	s_delay_alu instid0(VALU_DEP_1) | instskip(NEXT) | instid1(VALU_DEP_1)
	v_add_f32_e32 v21, v21, v22
	v_add_f32_e32 v21, v28, v21
	s_wait_alu 0xf1ff
	s_delay_alu instid0(VALU_DEP_1) | instskip(SKIP_2) | instid1(VALU_DEP_1)
	v_cndmask_b32_e64 v21, 0x7f800000, v21, s1
	v_cmp_gt_f32_e64 s1, 0x33800000, |v23|
	s_wait_alu 0xf1ff
	v_cndmask_b32_e64 v21, v21, v23, s1
	s_delay_alu instid0(VALU_DEP_1) | instskip(NEXT) | instid1(VALU_DEP_1)
	v_add_f32_e32 v20, v20, v21
	v_cvt_f16_f32_e32 v22, v20
.LBB392_61:
	s_or_b32 exec_lo, exec_lo, s28
	v_mbcnt_lo_u32_b32 v20, -1, 0
	s_delay_alu instid0(VALU_DEP_2) | instskip(SKIP_1) | instid1(VALU_DEP_2)
	v_and_b32_e32 v23, 0xffff, v22
	s_mov_b32 s28, exec_lo
	v_and_b32_e32 v21, 15, v20
	s_delay_alu instid0(VALU_DEP_2) | instskip(NEXT) | instid1(VALU_DEP_2)
	v_mov_b32_dpp v24, v23 row_shr:1 row_mask:0xf bank_mask:0xf
	v_cmpx_ne_u32_e32 0, v21
	s_xor_b32 s28, exec_lo, s28
	s_cbranch_execz .LBB392_65
; %bb.62:
	s_delay_alu instid0(VALU_DEP_2) | instskip(SKIP_2) | instid1(VALU_DEP_2)
	v_cvt_f32_f16_e32 v23, v24
	v_cvt_f32_f16_e32 v25, v22
	v_cmp_u_f16_e64 s1, v24, v24
	v_min_num_f32_e32 v26, v23, v25
	v_max_num_f32_e32 v27, v23, v25
	s_wait_alu 0xf1ff
	s_delay_alu instid0(VALU_DEP_2) | instskip(NEXT) | instid1(VALU_DEP_2)
	v_cndmask_b32_e64 v26, v26, v23, s1
	v_cndmask_b32_e64 v27, v27, v23, s1
	v_cmp_u_f16_e64 s1, v22, v22
	s_wait_alu 0xf1ff
	s_delay_alu instid0(VALU_DEP_1) | instskip(NEXT) | instid1(VALU_DEP_3)
	v_cndmask_b32_e64 v23, v26, v25, s1
	v_cndmask_b32_e64 v22, v27, v25, s1
	s_delay_alu instid0(VALU_DEP_2) | instskip(NEXT) | instid1(VALU_DEP_2)
	v_cmp_class_f32_e64 s29, v23, 0x1f8
	v_cmp_neq_f32_e64 s1, v23, v22
	s_or_b32 s1, s1, s29
	s_wait_alu 0xfffe
	s_and_saveexec_b32 s29, s1
	s_cbranch_execz .LBB392_64
; %bb.63:
	v_sub_f32_e32 v23, v23, v22
	s_delay_alu instid0(VALU_DEP_1) | instskip(NEXT) | instid1(VALU_DEP_1)
	v_mul_f32_e32 v24, 0x3fb8aa3b, v23
	v_fma_f32 v25, 0x3fb8aa3b, v23, -v24
	v_rndne_f32_e32 v26, v24
	s_delay_alu instid0(VALU_DEP_1) | instskip(NEXT) | instid1(VALU_DEP_1)
	v_dual_fmamk_f32 v25, v23, 0x32a5705f, v25 :: v_dual_sub_f32 v24, v24, v26
	v_add_f32_e32 v24, v24, v25
	v_cvt_i32_f32_e32 v25, v26
	v_cmp_ngt_f32_e64 s1, 0xc2ce8ed0, v23
	s_delay_alu instid0(VALU_DEP_3) | instskip(NEXT) | instid1(TRANS32_DEP_1)
	v_exp_f32_e32 v24, v24
	v_ldexp_f32 v24, v24, v25
	s_wait_alu 0xf1ff
	s_delay_alu instid0(VALU_DEP_1) | instskip(SKIP_2) | instid1(VALU_DEP_1)
	v_cndmask_b32_e64 v24, 0, v24, s1
	v_cmp_nlt_f32_e64 s1, 0x42b17218, v23
	s_wait_alu 0xf1ff
	v_cndmask_b32_e64 v25, 0x7f800000, v24, s1
	s_delay_alu instid0(VALU_DEP_1) | instskip(NEXT) | instid1(VALU_DEP_1)
	v_add_f32_e32 v26, 1.0, v25
	v_cvt_f64_f32_e32 v[23:24], v26
	s_delay_alu instid0(VALU_DEP_1) | instskip(SKIP_1) | instid1(VALU_DEP_1)
	v_frexp_exp_i32_f64_e32 v23, v[23:24]
	v_frexp_mant_f32_e32 v24, v26
	v_cmp_gt_f32_e64 s1, 0x3f2aaaab, v24
	v_add_f32_e32 v24, -1.0, v26
	s_delay_alu instid0(VALU_DEP_1) | instskip(SKIP_1) | instid1(VALU_DEP_3)
	v_sub_f32_e32 v28, v24, v26
	s_wait_alu 0xf1ff
	v_subrev_co_ci_u32_e64 v23, null, 0, v23, s1
	s_mov_b32 s1, 0x3e9b6dac
	v_sub_nc_u32_e32 v27, 0, v23
	v_cvt_f32_i32_e32 v23, v23
	s_delay_alu instid0(VALU_DEP_2) | instskip(NEXT) | instid1(VALU_DEP_1)
	v_ldexp_f32 v26, v26, v27
	v_dual_sub_f32 v24, v25, v24 :: v_dual_add_f32 v29, 1.0, v26
	v_add_f32_e32 v28, 1.0, v28
	s_delay_alu instid0(VALU_DEP_1) | instskip(NEXT) | instid1(VALU_DEP_3)
	v_add_f32_e32 v24, v24, v28
	v_add_f32_e32 v28, -1.0, v29
	s_delay_alu instid0(VALU_DEP_2) | instskip(NEXT) | instid1(VALU_DEP_2)
	v_ldexp_f32 v24, v24, v27
	v_dual_add_f32 v27, -1.0, v26 :: v_dual_sub_f32 v28, v26, v28
	s_delay_alu instid0(VALU_DEP_1) | instskip(NEXT) | instid1(VALU_DEP_2)
	v_add_f32_e32 v30, 1.0, v27
	v_add_f32_e32 v28, v24, v28
	s_delay_alu instid0(VALU_DEP_2) | instskip(NEXT) | instid1(VALU_DEP_2)
	v_sub_f32_e32 v26, v26, v30
	v_add_f32_e32 v30, v29, v28
	s_delay_alu instid0(VALU_DEP_2) | instskip(NEXT) | instid1(VALU_DEP_2)
	v_add_f32_e32 v24, v24, v26
	v_rcp_f32_e32 v26, v30
	v_sub_f32_e32 v29, v29, v30
	s_delay_alu instid0(VALU_DEP_1) | instskip(NEXT) | instid1(VALU_DEP_1)
	v_dual_add_f32 v31, v27, v24 :: v_dual_add_f32 v28, v28, v29
	v_sub_f32_e32 v27, v27, v31
	s_delay_alu instid0(TRANS32_DEP_1) | instskip(NEXT) | instid1(VALU_DEP_1)
	v_mul_f32_e32 v32, v31, v26
	v_dual_add_f32 v24, v24, v27 :: v_dual_mul_f32 v33, v30, v32
	s_delay_alu instid0(VALU_DEP_1) | instskip(NEXT) | instid1(VALU_DEP_1)
	v_fma_f32 v29, v32, v30, -v33
	v_fmac_f32_e32 v29, v32, v28
	s_delay_alu instid0(VALU_DEP_1) | instskip(NEXT) | instid1(VALU_DEP_1)
	v_add_f32_e32 v34, v33, v29
	v_sub_f32_e32 v35, v31, v34
	v_sub_f32_e32 v27, v34, v33
	s_delay_alu instid0(VALU_DEP_2) | instskip(NEXT) | instid1(VALU_DEP_2)
	v_sub_f32_e32 v31, v31, v35
	v_sub_f32_e32 v27, v27, v29
	s_delay_alu instid0(VALU_DEP_2) | instskip(NEXT) | instid1(VALU_DEP_1)
	v_sub_f32_e32 v31, v31, v34
	v_add_f32_e32 v24, v24, v31
	s_delay_alu instid0(VALU_DEP_1) | instskip(NEXT) | instid1(VALU_DEP_1)
	v_add_f32_e32 v24, v27, v24
	v_add_f32_e32 v27, v35, v24
	s_delay_alu instid0(VALU_DEP_1) | instskip(NEXT) | instid1(VALU_DEP_1)
	v_mul_f32_e32 v29, v26, v27
	v_dual_sub_f32 v34, v35, v27 :: v_dual_mul_f32 v31, v30, v29
	s_delay_alu instid0(VALU_DEP_1) | instskip(NEXT) | instid1(VALU_DEP_2)
	v_add_f32_e32 v24, v24, v34
	v_fma_f32 v30, v29, v30, -v31
	s_delay_alu instid0(VALU_DEP_1) | instskip(NEXT) | instid1(VALU_DEP_1)
	v_fmac_f32_e32 v30, v29, v28
	v_add_f32_e32 v28, v31, v30
	s_delay_alu instid0(VALU_DEP_1) | instskip(SKIP_1) | instid1(VALU_DEP_2)
	v_sub_f32_e32 v33, v27, v28
	v_sub_f32_e32 v31, v28, v31
	;; [unrolled: 1-line block ×3, first 2 shown]
	s_delay_alu instid0(VALU_DEP_1) | instskip(NEXT) | instid1(VALU_DEP_3)
	v_sub_f32_e32 v27, v27, v28
	v_sub_f32_e32 v28, v31, v30
	s_delay_alu instid0(VALU_DEP_2) | instskip(SKIP_1) | instid1(VALU_DEP_2)
	v_add_f32_e32 v24, v24, v27
	v_add_f32_e32 v27, v32, v29
	;; [unrolled: 1-line block ×3, first 2 shown]
	s_delay_alu instid0(VALU_DEP_2) | instskip(NEXT) | instid1(VALU_DEP_2)
	v_sub_f32_e32 v28, v27, v32
	v_add_f32_e32 v24, v33, v24
	s_delay_alu instid0(VALU_DEP_2) | instskip(NEXT) | instid1(VALU_DEP_2)
	v_sub_f32_e32 v28, v29, v28
	v_mul_f32_e32 v24, v26, v24
	s_delay_alu instid0(VALU_DEP_1) | instskip(NEXT) | instid1(VALU_DEP_1)
	v_add_f32_e32 v24, v28, v24
	v_add_f32_e32 v26, v27, v24
	s_delay_alu instid0(VALU_DEP_1) | instskip(SKIP_1) | instid1(VALU_DEP_1)
	v_mul_f32_e32 v28, v26, v26
	s_wait_alu 0xfffe
	v_fmaak_f32 v29, s1, v28, 0x3ecc95a3
	v_mul_f32_e32 v30, v26, v28
	v_cmp_neq_f32_e64 s1, 0x7f800000, v25
	s_delay_alu instid0(VALU_DEP_3) | instskip(SKIP_2) | instid1(VALU_DEP_3)
	v_fmaak_f32 v28, v28, v29, 0x3f2aaada
	v_ldexp_f32 v29, v26, 1
	v_sub_f32_e32 v26, v26, v27
	v_mul_f32_e32 v28, v30, v28
	v_mul_f32_e32 v30, 0x3f317218, v23
	s_delay_alu instid0(VALU_DEP_2) | instskip(NEXT) | instid1(VALU_DEP_1)
	v_dual_sub_f32 v24, v24, v26 :: v_dual_add_f32 v27, v29, v28
	v_ldexp_f32 v24, v24, 1
	s_delay_alu instid0(VALU_DEP_2) | instskip(NEXT) | instid1(VALU_DEP_4)
	v_sub_f32_e32 v26, v27, v29
	v_fma_f32 v29, 0x3f317218, v23, -v30
	s_delay_alu instid0(VALU_DEP_1) | instskip(NEXT) | instid1(VALU_DEP_1)
	v_dual_sub_f32 v26, v28, v26 :: v_dual_fmamk_f32 v23, v23, 0xb102e308, v29
	v_add_f32_e32 v24, v24, v26
	s_delay_alu instid0(VALU_DEP_2) | instskip(NEXT) | instid1(VALU_DEP_2)
	v_add_f32_e32 v26, v30, v23
	v_add_f32_e32 v28, v27, v24
	s_delay_alu instid0(VALU_DEP_2) | instskip(NEXT) | instid1(VALU_DEP_2)
	v_sub_f32_e32 v30, v26, v30
	v_add_f32_e32 v29, v26, v28
	v_sub_f32_e32 v27, v28, v27
	s_delay_alu instid0(VALU_DEP_3) | instskip(NEXT) | instid1(VALU_DEP_2)
	v_sub_f32_e32 v23, v23, v30
	v_dual_sub_f32 v31, v29, v26 :: v_dual_sub_f32 v24, v24, v27
	s_delay_alu instid0(VALU_DEP_1) | instskip(NEXT) | instid1(VALU_DEP_2)
	v_sub_f32_e32 v32, v29, v31
	v_dual_sub_f32 v27, v28, v31 :: v_dual_add_f32 v28, v23, v24
	s_delay_alu instid0(VALU_DEP_2) | instskip(NEXT) | instid1(VALU_DEP_1)
	v_sub_f32_e32 v26, v26, v32
	v_dual_add_f32 v26, v27, v26 :: v_dual_sub_f32 v27, v28, v23
	s_delay_alu instid0(VALU_DEP_1) | instskip(NEXT) | instid1(VALU_DEP_2)
	v_add_f32_e32 v26, v28, v26
	v_sub_f32_e32 v28, v28, v27
	v_sub_f32_e32 v24, v24, v27
	s_delay_alu instid0(VALU_DEP_2) | instskip(NEXT) | instid1(VALU_DEP_1)
	v_dual_add_f32 v30, v29, v26 :: v_dual_sub_f32 v23, v23, v28
	v_sub_f32_e32 v27, v30, v29
	s_delay_alu instid0(VALU_DEP_2) | instskip(NEXT) | instid1(VALU_DEP_2)
	v_add_f32_e32 v23, v24, v23
	v_sub_f32_e32 v24, v26, v27
	s_delay_alu instid0(VALU_DEP_1) | instskip(NEXT) | instid1(VALU_DEP_1)
	v_add_f32_e32 v23, v23, v24
	v_add_f32_e32 v23, v30, v23
	s_wait_alu 0xf1ff
	s_delay_alu instid0(VALU_DEP_1) | instskip(SKIP_2) | instid1(VALU_DEP_1)
	v_cndmask_b32_e64 v23, 0x7f800000, v23, s1
	v_cmp_gt_f32_e64 s1, 0x33800000, |v25|
	s_wait_alu 0xf1ff
	v_cndmask_b32_e64 v23, v23, v25, s1
	s_delay_alu instid0(VALU_DEP_1) | instskip(NEXT) | instid1(VALU_DEP_1)
	v_add_f32_e32 v22, v22, v23
	v_cvt_f16_f32_e32 v24, v22
.LBB392_64:
	s_or_b32 exec_lo, exec_lo, s29
	s_delay_alu instid0(VALU_DEP_1)
	v_dual_mov_b32 v22, v24 :: v_dual_and_b32 v23, 0xffff, v24
.LBB392_65:
	s_or_b32 exec_lo, exec_lo, s28
	s_delay_alu instid0(VALU_DEP_1)
	v_mov_b32_dpp v24, v23 row_shr:2 row_mask:0xf bank_mask:0xf
	s_mov_b32 s28, exec_lo
	v_cmpx_lt_u32_e32 1, v21
	s_cbranch_execz .LBB392_69
; %bb.66:
	s_delay_alu instid0(VALU_DEP_2) | instskip(SKIP_2) | instid1(VALU_DEP_2)
	v_cvt_f32_f16_e32 v23, v24
	v_cvt_f32_f16_e32 v25, v22
	v_cmp_u_f16_e64 s1, v24, v24
	v_min_num_f32_e32 v26, v23, v25
	v_max_num_f32_e32 v27, v23, v25
	s_wait_alu 0xf1ff
	s_delay_alu instid0(VALU_DEP_2) | instskip(NEXT) | instid1(VALU_DEP_2)
	v_cndmask_b32_e64 v26, v26, v23, s1
	v_cndmask_b32_e64 v27, v27, v23, s1
	v_cmp_u_f16_e64 s1, v22, v22
	s_wait_alu 0xf1ff
	s_delay_alu instid0(VALU_DEP_1) | instskip(NEXT) | instid1(VALU_DEP_3)
	v_cndmask_b32_e64 v23, v26, v25, s1
	v_cndmask_b32_e64 v22, v27, v25, s1
	s_delay_alu instid0(VALU_DEP_2) | instskip(NEXT) | instid1(VALU_DEP_2)
	v_cmp_class_f32_e64 s29, v23, 0x1f8
	v_cmp_neq_f32_e64 s1, v23, v22
	s_or_b32 s1, s1, s29
	s_wait_alu 0xfffe
	s_and_saveexec_b32 s29, s1
	s_cbranch_execz .LBB392_68
; %bb.67:
	v_sub_f32_e32 v23, v23, v22
	s_delay_alu instid0(VALU_DEP_1) | instskip(NEXT) | instid1(VALU_DEP_1)
	v_mul_f32_e32 v24, 0x3fb8aa3b, v23
	v_fma_f32 v25, 0x3fb8aa3b, v23, -v24
	v_rndne_f32_e32 v26, v24
	s_delay_alu instid0(VALU_DEP_1) | instskip(NEXT) | instid1(VALU_DEP_1)
	v_dual_fmamk_f32 v25, v23, 0x32a5705f, v25 :: v_dual_sub_f32 v24, v24, v26
	v_add_f32_e32 v24, v24, v25
	v_cvt_i32_f32_e32 v25, v26
	v_cmp_ngt_f32_e64 s1, 0xc2ce8ed0, v23
	s_delay_alu instid0(VALU_DEP_3) | instskip(NEXT) | instid1(TRANS32_DEP_1)
	v_exp_f32_e32 v24, v24
	v_ldexp_f32 v24, v24, v25
	s_wait_alu 0xf1ff
	s_delay_alu instid0(VALU_DEP_1) | instskip(SKIP_2) | instid1(VALU_DEP_1)
	v_cndmask_b32_e64 v24, 0, v24, s1
	v_cmp_nlt_f32_e64 s1, 0x42b17218, v23
	s_wait_alu 0xf1ff
	v_cndmask_b32_e64 v25, 0x7f800000, v24, s1
	s_delay_alu instid0(VALU_DEP_1) | instskip(NEXT) | instid1(VALU_DEP_1)
	v_add_f32_e32 v26, 1.0, v25
	v_cvt_f64_f32_e32 v[23:24], v26
	s_delay_alu instid0(VALU_DEP_1) | instskip(SKIP_1) | instid1(VALU_DEP_1)
	v_frexp_exp_i32_f64_e32 v23, v[23:24]
	v_frexp_mant_f32_e32 v24, v26
	v_cmp_gt_f32_e64 s1, 0x3f2aaaab, v24
	v_add_f32_e32 v24, -1.0, v26
	s_delay_alu instid0(VALU_DEP_1) | instskip(SKIP_1) | instid1(VALU_DEP_3)
	v_sub_f32_e32 v28, v24, v26
	s_wait_alu 0xf1ff
	v_subrev_co_ci_u32_e64 v23, null, 0, v23, s1
	s_mov_b32 s1, 0x3e9b6dac
	v_sub_nc_u32_e32 v27, 0, v23
	v_cvt_f32_i32_e32 v23, v23
	s_delay_alu instid0(VALU_DEP_2) | instskip(NEXT) | instid1(VALU_DEP_1)
	v_ldexp_f32 v26, v26, v27
	v_dual_sub_f32 v24, v25, v24 :: v_dual_add_f32 v29, 1.0, v26
	v_add_f32_e32 v28, 1.0, v28
	s_delay_alu instid0(VALU_DEP_1) | instskip(NEXT) | instid1(VALU_DEP_3)
	v_add_f32_e32 v24, v24, v28
	v_add_f32_e32 v28, -1.0, v29
	s_delay_alu instid0(VALU_DEP_2) | instskip(NEXT) | instid1(VALU_DEP_2)
	v_ldexp_f32 v24, v24, v27
	v_dual_add_f32 v27, -1.0, v26 :: v_dual_sub_f32 v28, v26, v28
	s_delay_alu instid0(VALU_DEP_1) | instskip(NEXT) | instid1(VALU_DEP_2)
	v_add_f32_e32 v30, 1.0, v27
	v_add_f32_e32 v28, v24, v28
	s_delay_alu instid0(VALU_DEP_2) | instskip(NEXT) | instid1(VALU_DEP_2)
	v_sub_f32_e32 v26, v26, v30
	v_add_f32_e32 v30, v29, v28
	s_delay_alu instid0(VALU_DEP_2) | instskip(NEXT) | instid1(VALU_DEP_2)
	v_add_f32_e32 v24, v24, v26
	v_rcp_f32_e32 v26, v30
	v_sub_f32_e32 v29, v29, v30
	s_delay_alu instid0(VALU_DEP_1) | instskip(NEXT) | instid1(VALU_DEP_1)
	v_dual_add_f32 v31, v27, v24 :: v_dual_add_f32 v28, v28, v29
	v_sub_f32_e32 v27, v27, v31
	s_delay_alu instid0(TRANS32_DEP_1) | instskip(NEXT) | instid1(VALU_DEP_1)
	v_mul_f32_e32 v32, v31, v26
	v_dual_add_f32 v24, v24, v27 :: v_dual_mul_f32 v33, v30, v32
	s_delay_alu instid0(VALU_DEP_1) | instskip(NEXT) | instid1(VALU_DEP_1)
	v_fma_f32 v29, v32, v30, -v33
	v_fmac_f32_e32 v29, v32, v28
	s_delay_alu instid0(VALU_DEP_1) | instskip(NEXT) | instid1(VALU_DEP_1)
	v_add_f32_e32 v34, v33, v29
	v_sub_f32_e32 v35, v31, v34
	v_sub_f32_e32 v27, v34, v33
	s_delay_alu instid0(VALU_DEP_2) | instskip(NEXT) | instid1(VALU_DEP_2)
	v_sub_f32_e32 v31, v31, v35
	v_sub_f32_e32 v27, v27, v29
	s_delay_alu instid0(VALU_DEP_2) | instskip(NEXT) | instid1(VALU_DEP_1)
	v_sub_f32_e32 v31, v31, v34
	v_add_f32_e32 v24, v24, v31
	s_delay_alu instid0(VALU_DEP_1) | instskip(NEXT) | instid1(VALU_DEP_1)
	v_add_f32_e32 v24, v27, v24
	v_add_f32_e32 v27, v35, v24
	s_delay_alu instid0(VALU_DEP_1) | instskip(NEXT) | instid1(VALU_DEP_1)
	v_mul_f32_e32 v29, v26, v27
	v_dual_sub_f32 v34, v35, v27 :: v_dual_mul_f32 v31, v30, v29
	s_delay_alu instid0(VALU_DEP_1) | instskip(NEXT) | instid1(VALU_DEP_2)
	v_add_f32_e32 v24, v24, v34
	v_fma_f32 v30, v29, v30, -v31
	s_delay_alu instid0(VALU_DEP_1) | instskip(NEXT) | instid1(VALU_DEP_1)
	v_fmac_f32_e32 v30, v29, v28
	v_add_f32_e32 v28, v31, v30
	s_delay_alu instid0(VALU_DEP_1) | instskip(SKIP_1) | instid1(VALU_DEP_2)
	v_sub_f32_e32 v33, v27, v28
	v_sub_f32_e32 v31, v28, v31
	;; [unrolled: 1-line block ×3, first 2 shown]
	s_delay_alu instid0(VALU_DEP_1) | instskip(NEXT) | instid1(VALU_DEP_3)
	v_sub_f32_e32 v27, v27, v28
	v_sub_f32_e32 v28, v31, v30
	s_delay_alu instid0(VALU_DEP_2) | instskip(SKIP_1) | instid1(VALU_DEP_2)
	v_add_f32_e32 v24, v24, v27
	v_add_f32_e32 v27, v32, v29
	;; [unrolled: 1-line block ×3, first 2 shown]
	s_delay_alu instid0(VALU_DEP_2) | instskip(NEXT) | instid1(VALU_DEP_2)
	v_sub_f32_e32 v28, v27, v32
	v_add_f32_e32 v24, v33, v24
	s_delay_alu instid0(VALU_DEP_2) | instskip(NEXT) | instid1(VALU_DEP_2)
	v_sub_f32_e32 v28, v29, v28
	v_mul_f32_e32 v24, v26, v24
	s_delay_alu instid0(VALU_DEP_1) | instskip(NEXT) | instid1(VALU_DEP_1)
	v_add_f32_e32 v24, v28, v24
	v_add_f32_e32 v26, v27, v24
	s_delay_alu instid0(VALU_DEP_1) | instskip(SKIP_1) | instid1(VALU_DEP_1)
	v_mul_f32_e32 v28, v26, v26
	s_wait_alu 0xfffe
	v_fmaak_f32 v29, s1, v28, 0x3ecc95a3
	v_mul_f32_e32 v30, v26, v28
	v_cmp_neq_f32_e64 s1, 0x7f800000, v25
	s_delay_alu instid0(VALU_DEP_3) | instskip(SKIP_2) | instid1(VALU_DEP_3)
	v_fmaak_f32 v28, v28, v29, 0x3f2aaada
	v_ldexp_f32 v29, v26, 1
	v_sub_f32_e32 v26, v26, v27
	v_mul_f32_e32 v28, v30, v28
	v_mul_f32_e32 v30, 0x3f317218, v23
	s_delay_alu instid0(VALU_DEP_2) | instskip(NEXT) | instid1(VALU_DEP_1)
	v_dual_sub_f32 v24, v24, v26 :: v_dual_add_f32 v27, v29, v28
	v_ldexp_f32 v24, v24, 1
	s_delay_alu instid0(VALU_DEP_2) | instskip(NEXT) | instid1(VALU_DEP_4)
	v_sub_f32_e32 v26, v27, v29
	v_fma_f32 v29, 0x3f317218, v23, -v30
	s_delay_alu instid0(VALU_DEP_1) | instskip(NEXT) | instid1(VALU_DEP_1)
	v_dual_sub_f32 v26, v28, v26 :: v_dual_fmamk_f32 v23, v23, 0xb102e308, v29
	v_add_f32_e32 v24, v24, v26
	s_delay_alu instid0(VALU_DEP_2) | instskip(NEXT) | instid1(VALU_DEP_2)
	v_add_f32_e32 v26, v30, v23
	v_add_f32_e32 v28, v27, v24
	s_delay_alu instid0(VALU_DEP_2) | instskip(NEXT) | instid1(VALU_DEP_2)
	v_sub_f32_e32 v30, v26, v30
	v_add_f32_e32 v29, v26, v28
	v_sub_f32_e32 v27, v28, v27
	s_delay_alu instid0(VALU_DEP_3) | instskip(NEXT) | instid1(VALU_DEP_2)
	v_sub_f32_e32 v23, v23, v30
	v_dual_sub_f32 v31, v29, v26 :: v_dual_sub_f32 v24, v24, v27
	s_delay_alu instid0(VALU_DEP_1) | instskip(NEXT) | instid1(VALU_DEP_2)
	v_sub_f32_e32 v32, v29, v31
	v_dual_sub_f32 v27, v28, v31 :: v_dual_add_f32 v28, v23, v24
	s_delay_alu instid0(VALU_DEP_2) | instskip(NEXT) | instid1(VALU_DEP_1)
	v_sub_f32_e32 v26, v26, v32
	v_dual_add_f32 v26, v27, v26 :: v_dual_sub_f32 v27, v28, v23
	s_delay_alu instid0(VALU_DEP_1) | instskip(NEXT) | instid1(VALU_DEP_2)
	v_add_f32_e32 v26, v28, v26
	v_sub_f32_e32 v28, v28, v27
	v_sub_f32_e32 v24, v24, v27
	s_delay_alu instid0(VALU_DEP_2) | instskip(NEXT) | instid1(VALU_DEP_1)
	v_dual_add_f32 v30, v29, v26 :: v_dual_sub_f32 v23, v23, v28
	v_sub_f32_e32 v27, v30, v29
	s_delay_alu instid0(VALU_DEP_2) | instskip(NEXT) | instid1(VALU_DEP_2)
	v_add_f32_e32 v23, v24, v23
	v_sub_f32_e32 v24, v26, v27
	s_delay_alu instid0(VALU_DEP_1) | instskip(NEXT) | instid1(VALU_DEP_1)
	v_add_f32_e32 v23, v23, v24
	v_add_f32_e32 v23, v30, v23
	s_wait_alu 0xf1ff
	s_delay_alu instid0(VALU_DEP_1) | instskip(SKIP_2) | instid1(VALU_DEP_1)
	v_cndmask_b32_e64 v23, 0x7f800000, v23, s1
	v_cmp_gt_f32_e64 s1, 0x33800000, |v25|
	s_wait_alu 0xf1ff
	v_cndmask_b32_e64 v23, v23, v25, s1
	s_delay_alu instid0(VALU_DEP_1) | instskip(NEXT) | instid1(VALU_DEP_1)
	v_add_f32_e32 v22, v22, v23
	v_cvt_f16_f32_e32 v24, v22
.LBB392_68:
	s_or_b32 exec_lo, exec_lo, s29
	s_delay_alu instid0(VALU_DEP_1)
	v_dual_mov_b32 v22, v24 :: v_dual_and_b32 v23, 0xffff, v24
.LBB392_69:
	s_or_b32 exec_lo, exec_lo, s28
	s_delay_alu instid0(VALU_DEP_1)
	v_mov_b32_dpp v24, v23 row_shr:4 row_mask:0xf bank_mask:0xf
	s_mov_b32 s28, exec_lo
	v_cmpx_lt_u32_e32 3, v21
	s_cbranch_execz .LBB392_73
; %bb.70:
	s_delay_alu instid0(VALU_DEP_2) | instskip(SKIP_2) | instid1(VALU_DEP_2)
	v_cvt_f32_f16_e32 v23, v24
	v_cvt_f32_f16_e32 v25, v22
	v_cmp_u_f16_e64 s1, v24, v24
	v_min_num_f32_e32 v26, v23, v25
	v_max_num_f32_e32 v27, v23, v25
	s_wait_alu 0xf1ff
	s_delay_alu instid0(VALU_DEP_2) | instskip(NEXT) | instid1(VALU_DEP_2)
	v_cndmask_b32_e64 v26, v26, v23, s1
	v_cndmask_b32_e64 v27, v27, v23, s1
	v_cmp_u_f16_e64 s1, v22, v22
	s_wait_alu 0xf1ff
	s_delay_alu instid0(VALU_DEP_1) | instskip(NEXT) | instid1(VALU_DEP_3)
	v_cndmask_b32_e64 v23, v26, v25, s1
	v_cndmask_b32_e64 v22, v27, v25, s1
	s_delay_alu instid0(VALU_DEP_2) | instskip(NEXT) | instid1(VALU_DEP_2)
	v_cmp_class_f32_e64 s29, v23, 0x1f8
	v_cmp_neq_f32_e64 s1, v23, v22
	s_or_b32 s1, s1, s29
	s_wait_alu 0xfffe
	s_and_saveexec_b32 s29, s1
	s_cbranch_execz .LBB392_72
; %bb.71:
	v_sub_f32_e32 v23, v23, v22
	s_delay_alu instid0(VALU_DEP_1) | instskip(NEXT) | instid1(VALU_DEP_1)
	v_mul_f32_e32 v24, 0x3fb8aa3b, v23
	v_fma_f32 v25, 0x3fb8aa3b, v23, -v24
	v_rndne_f32_e32 v26, v24
	s_delay_alu instid0(VALU_DEP_1) | instskip(NEXT) | instid1(VALU_DEP_1)
	v_dual_fmamk_f32 v25, v23, 0x32a5705f, v25 :: v_dual_sub_f32 v24, v24, v26
	v_add_f32_e32 v24, v24, v25
	v_cvt_i32_f32_e32 v25, v26
	v_cmp_ngt_f32_e64 s1, 0xc2ce8ed0, v23
	s_delay_alu instid0(VALU_DEP_3) | instskip(NEXT) | instid1(TRANS32_DEP_1)
	v_exp_f32_e32 v24, v24
	v_ldexp_f32 v24, v24, v25
	s_wait_alu 0xf1ff
	s_delay_alu instid0(VALU_DEP_1) | instskip(SKIP_2) | instid1(VALU_DEP_1)
	v_cndmask_b32_e64 v24, 0, v24, s1
	v_cmp_nlt_f32_e64 s1, 0x42b17218, v23
	s_wait_alu 0xf1ff
	v_cndmask_b32_e64 v25, 0x7f800000, v24, s1
	s_delay_alu instid0(VALU_DEP_1) | instskip(NEXT) | instid1(VALU_DEP_1)
	v_add_f32_e32 v26, 1.0, v25
	v_cvt_f64_f32_e32 v[23:24], v26
	s_delay_alu instid0(VALU_DEP_1) | instskip(SKIP_1) | instid1(VALU_DEP_1)
	v_frexp_exp_i32_f64_e32 v23, v[23:24]
	v_frexp_mant_f32_e32 v24, v26
	v_cmp_gt_f32_e64 s1, 0x3f2aaaab, v24
	v_add_f32_e32 v24, -1.0, v26
	s_delay_alu instid0(VALU_DEP_1) | instskip(SKIP_1) | instid1(VALU_DEP_3)
	v_sub_f32_e32 v28, v24, v26
	s_wait_alu 0xf1ff
	v_subrev_co_ci_u32_e64 v23, null, 0, v23, s1
	s_mov_b32 s1, 0x3e9b6dac
	v_sub_nc_u32_e32 v27, 0, v23
	v_cvt_f32_i32_e32 v23, v23
	s_delay_alu instid0(VALU_DEP_2) | instskip(NEXT) | instid1(VALU_DEP_1)
	v_ldexp_f32 v26, v26, v27
	v_dual_sub_f32 v24, v25, v24 :: v_dual_add_f32 v29, 1.0, v26
	v_add_f32_e32 v28, 1.0, v28
	s_delay_alu instid0(VALU_DEP_1) | instskip(NEXT) | instid1(VALU_DEP_3)
	v_add_f32_e32 v24, v24, v28
	v_add_f32_e32 v28, -1.0, v29
	s_delay_alu instid0(VALU_DEP_2) | instskip(NEXT) | instid1(VALU_DEP_2)
	v_ldexp_f32 v24, v24, v27
	v_dual_add_f32 v27, -1.0, v26 :: v_dual_sub_f32 v28, v26, v28
	s_delay_alu instid0(VALU_DEP_1) | instskip(NEXT) | instid1(VALU_DEP_2)
	v_add_f32_e32 v30, 1.0, v27
	v_add_f32_e32 v28, v24, v28
	s_delay_alu instid0(VALU_DEP_2) | instskip(NEXT) | instid1(VALU_DEP_2)
	v_sub_f32_e32 v26, v26, v30
	v_add_f32_e32 v30, v29, v28
	s_delay_alu instid0(VALU_DEP_2) | instskip(NEXT) | instid1(VALU_DEP_2)
	v_add_f32_e32 v24, v24, v26
	v_rcp_f32_e32 v26, v30
	v_sub_f32_e32 v29, v29, v30
	s_delay_alu instid0(VALU_DEP_1) | instskip(NEXT) | instid1(VALU_DEP_1)
	v_dual_add_f32 v31, v27, v24 :: v_dual_add_f32 v28, v28, v29
	v_sub_f32_e32 v27, v27, v31
	s_delay_alu instid0(TRANS32_DEP_1) | instskip(NEXT) | instid1(VALU_DEP_1)
	v_mul_f32_e32 v32, v31, v26
	v_dual_add_f32 v24, v24, v27 :: v_dual_mul_f32 v33, v30, v32
	s_delay_alu instid0(VALU_DEP_1) | instskip(NEXT) | instid1(VALU_DEP_1)
	v_fma_f32 v29, v32, v30, -v33
	v_fmac_f32_e32 v29, v32, v28
	s_delay_alu instid0(VALU_DEP_1) | instskip(NEXT) | instid1(VALU_DEP_1)
	v_add_f32_e32 v34, v33, v29
	v_sub_f32_e32 v35, v31, v34
	v_sub_f32_e32 v27, v34, v33
	s_delay_alu instid0(VALU_DEP_2) | instskip(NEXT) | instid1(VALU_DEP_2)
	v_sub_f32_e32 v31, v31, v35
	v_sub_f32_e32 v27, v27, v29
	s_delay_alu instid0(VALU_DEP_2) | instskip(NEXT) | instid1(VALU_DEP_1)
	v_sub_f32_e32 v31, v31, v34
	v_add_f32_e32 v24, v24, v31
	s_delay_alu instid0(VALU_DEP_1) | instskip(NEXT) | instid1(VALU_DEP_1)
	v_add_f32_e32 v24, v27, v24
	v_add_f32_e32 v27, v35, v24
	s_delay_alu instid0(VALU_DEP_1) | instskip(NEXT) | instid1(VALU_DEP_1)
	v_mul_f32_e32 v29, v26, v27
	v_dual_sub_f32 v34, v35, v27 :: v_dual_mul_f32 v31, v30, v29
	s_delay_alu instid0(VALU_DEP_1) | instskip(NEXT) | instid1(VALU_DEP_2)
	v_add_f32_e32 v24, v24, v34
	v_fma_f32 v30, v29, v30, -v31
	s_delay_alu instid0(VALU_DEP_1) | instskip(NEXT) | instid1(VALU_DEP_1)
	v_fmac_f32_e32 v30, v29, v28
	v_add_f32_e32 v28, v31, v30
	s_delay_alu instid0(VALU_DEP_1) | instskip(SKIP_1) | instid1(VALU_DEP_2)
	v_sub_f32_e32 v33, v27, v28
	v_sub_f32_e32 v31, v28, v31
	;; [unrolled: 1-line block ×3, first 2 shown]
	s_delay_alu instid0(VALU_DEP_1) | instskip(NEXT) | instid1(VALU_DEP_3)
	v_sub_f32_e32 v27, v27, v28
	v_sub_f32_e32 v28, v31, v30
	s_delay_alu instid0(VALU_DEP_2) | instskip(SKIP_1) | instid1(VALU_DEP_2)
	v_add_f32_e32 v24, v24, v27
	v_add_f32_e32 v27, v32, v29
	;; [unrolled: 1-line block ×3, first 2 shown]
	s_delay_alu instid0(VALU_DEP_2) | instskip(NEXT) | instid1(VALU_DEP_2)
	v_sub_f32_e32 v28, v27, v32
	v_add_f32_e32 v24, v33, v24
	s_delay_alu instid0(VALU_DEP_2) | instskip(NEXT) | instid1(VALU_DEP_2)
	v_sub_f32_e32 v28, v29, v28
	v_mul_f32_e32 v24, v26, v24
	s_delay_alu instid0(VALU_DEP_1) | instskip(NEXT) | instid1(VALU_DEP_1)
	v_add_f32_e32 v24, v28, v24
	v_add_f32_e32 v26, v27, v24
	s_delay_alu instid0(VALU_DEP_1) | instskip(SKIP_1) | instid1(VALU_DEP_1)
	v_mul_f32_e32 v28, v26, v26
	s_wait_alu 0xfffe
	v_fmaak_f32 v29, s1, v28, 0x3ecc95a3
	v_mul_f32_e32 v30, v26, v28
	v_cmp_neq_f32_e64 s1, 0x7f800000, v25
	s_delay_alu instid0(VALU_DEP_3) | instskip(SKIP_2) | instid1(VALU_DEP_3)
	v_fmaak_f32 v28, v28, v29, 0x3f2aaada
	v_ldexp_f32 v29, v26, 1
	v_sub_f32_e32 v26, v26, v27
	v_mul_f32_e32 v28, v30, v28
	v_mul_f32_e32 v30, 0x3f317218, v23
	s_delay_alu instid0(VALU_DEP_2) | instskip(NEXT) | instid1(VALU_DEP_1)
	v_dual_sub_f32 v24, v24, v26 :: v_dual_add_f32 v27, v29, v28
	v_ldexp_f32 v24, v24, 1
	s_delay_alu instid0(VALU_DEP_2) | instskip(NEXT) | instid1(VALU_DEP_4)
	v_sub_f32_e32 v26, v27, v29
	v_fma_f32 v29, 0x3f317218, v23, -v30
	s_delay_alu instid0(VALU_DEP_1) | instskip(NEXT) | instid1(VALU_DEP_1)
	v_dual_sub_f32 v26, v28, v26 :: v_dual_fmamk_f32 v23, v23, 0xb102e308, v29
	v_add_f32_e32 v24, v24, v26
	s_delay_alu instid0(VALU_DEP_2) | instskip(NEXT) | instid1(VALU_DEP_2)
	v_add_f32_e32 v26, v30, v23
	v_add_f32_e32 v28, v27, v24
	s_delay_alu instid0(VALU_DEP_2) | instskip(NEXT) | instid1(VALU_DEP_2)
	v_sub_f32_e32 v30, v26, v30
	v_add_f32_e32 v29, v26, v28
	v_sub_f32_e32 v27, v28, v27
	s_delay_alu instid0(VALU_DEP_3) | instskip(NEXT) | instid1(VALU_DEP_2)
	v_sub_f32_e32 v23, v23, v30
	v_dual_sub_f32 v31, v29, v26 :: v_dual_sub_f32 v24, v24, v27
	s_delay_alu instid0(VALU_DEP_1) | instskip(NEXT) | instid1(VALU_DEP_2)
	v_sub_f32_e32 v32, v29, v31
	v_dual_sub_f32 v27, v28, v31 :: v_dual_add_f32 v28, v23, v24
	s_delay_alu instid0(VALU_DEP_2) | instskip(NEXT) | instid1(VALU_DEP_1)
	v_sub_f32_e32 v26, v26, v32
	v_dual_add_f32 v26, v27, v26 :: v_dual_sub_f32 v27, v28, v23
	s_delay_alu instid0(VALU_DEP_1) | instskip(NEXT) | instid1(VALU_DEP_2)
	v_add_f32_e32 v26, v28, v26
	v_sub_f32_e32 v28, v28, v27
	v_sub_f32_e32 v24, v24, v27
	s_delay_alu instid0(VALU_DEP_2) | instskip(NEXT) | instid1(VALU_DEP_1)
	v_dual_add_f32 v30, v29, v26 :: v_dual_sub_f32 v23, v23, v28
	v_sub_f32_e32 v27, v30, v29
	s_delay_alu instid0(VALU_DEP_2) | instskip(NEXT) | instid1(VALU_DEP_2)
	v_add_f32_e32 v23, v24, v23
	v_sub_f32_e32 v24, v26, v27
	s_delay_alu instid0(VALU_DEP_1) | instskip(NEXT) | instid1(VALU_DEP_1)
	v_add_f32_e32 v23, v23, v24
	v_add_f32_e32 v23, v30, v23
	s_wait_alu 0xf1ff
	s_delay_alu instid0(VALU_DEP_1) | instskip(SKIP_2) | instid1(VALU_DEP_1)
	v_cndmask_b32_e64 v23, 0x7f800000, v23, s1
	v_cmp_gt_f32_e64 s1, 0x33800000, |v25|
	s_wait_alu 0xf1ff
	v_cndmask_b32_e64 v23, v23, v25, s1
	s_delay_alu instid0(VALU_DEP_1) | instskip(NEXT) | instid1(VALU_DEP_1)
	v_add_f32_e32 v22, v22, v23
	v_cvt_f16_f32_e32 v24, v22
.LBB392_72:
	s_or_b32 exec_lo, exec_lo, s29
	s_delay_alu instid0(VALU_DEP_1)
	v_dual_mov_b32 v22, v24 :: v_dual_and_b32 v23, 0xffff, v24
.LBB392_73:
	s_or_b32 exec_lo, exec_lo, s28
	s_delay_alu instid0(VALU_DEP_1)
	v_mov_b32_dpp v24, v23 row_shr:8 row_mask:0xf bank_mask:0xf
	s_mov_b32 s28, exec_lo
	v_cmpx_lt_u32_e32 7, v21
	s_cbranch_execz .LBB392_77
; %bb.74:
	s_delay_alu instid0(VALU_DEP_2) | instskip(SKIP_2) | instid1(VALU_DEP_2)
	v_cvt_f32_f16_e32 v21, v24
	v_cvt_f32_f16_e32 v23, v22
	v_cmp_u_f16_e64 s1, v24, v24
	v_min_num_f32_e32 v25, v21, v23
	v_max_num_f32_e32 v26, v21, v23
	s_wait_alu 0xf1ff
	s_delay_alu instid0(VALU_DEP_2) | instskip(NEXT) | instid1(VALU_DEP_2)
	v_cndmask_b32_e64 v25, v25, v21, s1
	v_cndmask_b32_e64 v21, v26, v21, s1
	v_cmp_u_f16_e64 s1, v22, v22
	s_wait_alu 0xf1ff
	s_delay_alu instid0(VALU_DEP_1) | instskip(NEXT) | instid1(VALU_DEP_3)
	v_cndmask_b32_e64 v22, v25, v23, s1
	v_cndmask_b32_e64 v21, v21, v23, s1
	s_delay_alu instid0(VALU_DEP_2) | instskip(NEXT) | instid1(VALU_DEP_2)
	v_cmp_class_f32_e64 s29, v22, 0x1f8
	v_cmp_neq_f32_e64 s1, v22, v21
	s_or_b32 s1, s1, s29
	s_wait_alu 0xfffe
	s_and_saveexec_b32 s29, s1
	s_cbranch_execz .LBB392_76
; %bb.75:
	v_sub_f32_e32 v22, v22, v21
	s_delay_alu instid0(VALU_DEP_1) | instskip(NEXT) | instid1(VALU_DEP_1)
	v_mul_f32_e32 v23, 0x3fb8aa3b, v22
	v_fma_f32 v24, 0x3fb8aa3b, v22, -v23
	v_rndne_f32_e32 v25, v23
	s_delay_alu instid0(VALU_DEP_1) | instskip(NEXT) | instid1(VALU_DEP_1)
	v_dual_fmamk_f32 v24, v22, 0x32a5705f, v24 :: v_dual_sub_f32 v23, v23, v25
	v_add_f32_e32 v23, v23, v24
	v_cvt_i32_f32_e32 v24, v25
	v_cmp_ngt_f32_e64 s1, 0xc2ce8ed0, v22
	s_delay_alu instid0(VALU_DEP_3) | instskip(NEXT) | instid1(TRANS32_DEP_1)
	v_exp_f32_e32 v23, v23
	v_ldexp_f32 v23, v23, v24
	s_wait_alu 0xf1ff
	s_delay_alu instid0(VALU_DEP_1) | instskip(SKIP_2) | instid1(VALU_DEP_1)
	v_cndmask_b32_e64 v23, 0, v23, s1
	v_cmp_nlt_f32_e64 s1, 0x42b17218, v22
	s_wait_alu 0xf1ff
	v_cndmask_b32_e64 v24, 0x7f800000, v23, s1
	s_delay_alu instid0(VALU_DEP_1) | instskip(NEXT) | instid1(VALU_DEP_1)
	v_add_f32_e32 v25, 1.0, v24
	v_cvt_f64_f32_e32 v[22:23], v25
	s_delay_alu instid0(VALU_DEP_1) | instskip(SKIP_1) | instid1(VALU_DEP_1)
	v_frexp_exp_i32_f64_e32 v22, v[22:23]
	v_frexp_mant_f32_e32 v23, v25
	v_cmp_gt_f32_e64 s1, 0x3f2aaaab, v23
	v_add_f32_e32 v23, -1.0, v25
	s_delay_alu instid0(VALU_DEP_1) | instskip(SKIP_1) | instid1(VALU_DEP_3)
	v_sub_f32_e32 v27, v23, v25
	s_wait_alu 0xf1ff
	v_subrev_co_ci_u32_e64 v22, null, 0, v22, s1
	s_mov_b32 s1, 0x3e9b6dac
	v_sub_nc_u32_e32 v26, 0, v22
	v_cvt_f32_i32_e32 v22, v22
	s_delay_alu instid0(VALU_DEP_2) | instskip(NEXT) | instid1(VALU_DEP_1)
	v_ldexp_f32 v25, v25, v26
	v_dual_sub_f32 v23, v24, v23 :: v_dual_add_f32 v28, 1.0, v25
	v_add_f32_e32 v27, 1.0, v27
	s_delay_alu instid0(VALU_DEP_1) | instskip(NEXT) | instid1(VALU_DEP_3)
	v_add_f32_e32 v23, v23, v27
	v_add_f32_e32 v27, -1.0, v28
	s_delay_alu instid0(VALU_DEP_2) | instskip(NEXT) | instid1(VALU_DEP_2)
	v_ldexp_f32 v23, v23, v26
	v_dual_add_f32 v26, -1.0, v25 :: v_dual_sub_f32 v27, v25, v27
	s_delay_alu instid0(VALU_DEP_1) | instskip(NEXT) | instid1(VALU_DEP_2)
	v_add_f32_e32 v29, 1.0, v26
	v_add_f32_e32 v27, v23, v27
	s_delay_alu instid0(VALU_DEP_2) | instskip(NEXT) | instid1(VALU_DEP_2)
	v_sub_f32_e32 v25, v25, v29
	v_add_f32_e32 v29, v28, v27
	s_delay_alu instid0(VALU_DEP_2) | instskip(NEXT) | instid1(VALU_DEP_2)
	v_add_f32_e32 v23, v23, v25
	v_rcp_f32_e32 v25, v29
	v_sub_f32_e32 v28, v28, v29
	s_delay_alu instid0(VALU_DEP_1) | instskip(NEXT) | instid1(VALU_DEP_1)
	v_dual_add_f32 v30, v26, v23 :: v_dual_add_f32 v27, v27, v28
	v_sub_f32_e32 v26, v26, v30
	s_delay_alu instid0(TRANS32_DEP_1) | instskip(NEXT) | instid1(VALU_DEP_1)
	v_mul_f32_e32 v31, v30, v25
	v_dual_add_f32 v23, v23, v26 :: v_dual_mul_f32 v32, v29, v31
	s_delay_alu instid0(VALU_DEP_1) | instskip(NEXT) | instid1(VALU_DEP_1)
	v_fma_f32 v28, v31, v29, -v32
	v_fmac_f32_e32 v28, v31, v27
	s_delay_alu instid0(VALU_DEP_1) | instskip(NEXT) | instid1(VALU_DEP_1)
	v_add_f32_e32 v33, v32, v28
	v_sub_f32_e32 v34, v30, v33
	v_sub_f32_e32 v26, v33, v32
	s_delay_alu instid0(VALU_DEP_2) | instskip(NEXT) | instid1(VALU_DEP_2)
	v_sub_f32_e32 v30, v30, v34
	v_sub_f32_e32 v26, v26, v28
	s_delay_alu instid0(VALU_DEP_2) | instskip(NEXT) | instid1(VALU_DEP_1)
	v_sub_f32_e32 v30, v30, v33
	v_add_f32_e32 v23, v23, v30
	s_delay_alu instid0(VALU_DEP_1) | instskip(NEXT) | instid1(VALU_DEP_1)
	v_add_f32_e32 v23, v26, v23
	v_add_f32_e32 v26, v34, v23
	s_delay_alu instid0(VALU_DEP_1) | instskip(NEXT) | instid1(VALU_DEP_1)
	v_mul_f32_e32 v28, v25, v26
	v_dual_sub_f32 v33, v34, v26 :: v_dual_mul_f32 v30, v29, v28
	s_delay_alu instid0(VALU_DEP_1) | instskip(NEXT) | instid1(VALU_DEP_2)
	v_add_f32_e32 v23, v23, v33
	v_fma_f32 v29, v28, v29, -v30
	s_delay_alu instid0(VALU_DEP_1) | instskip(NEXT) | instid1(VALU_DEP_1)
	v_fmac_f32_e32 v29, v28, v27
	v_add_f32_e32 v27, v30, v29
	s_delay_alu instid0(VALU_DEP_1) | instskip(SKIP_1) | instid1(VALU_DEP_2)
	v_sub_f32_e32 v32, v26, v27
	v_sub_f32_e32 v30, v27, v30
	;; [unrolled: 1-line block ×3, first 2 shown]
	s_delay_alu instid0(VALU_DEP_1) | instskip(NEXT) | instid1(VALU_DEP_3)
	v_sub_f32_e32 v26, v26, v27
	v_sub_f32_e32 v27, v30, v29
	s_delay_alu instid0(VALU_DEP_2) | instskip(SKIP_1) | instid1(VALU_DEP_2)
	v_add_f32_e32 v23, v23, v26
	v_add_f32_e32 v26, v31, v28
	;; [unrolled: 1-line block ×3, first 2 shown]
	s_delay_alu instid0(VALU_DEP_2) | instskip(NEXT) | instid1(VALU_DEP_2)
	v_sub_f32_e32 v27, v26, v31
	v_add_f32_e32 v23, v32, v23
	s_delay_alu instid0(VALU_DEP_2) | instskip(NEXT) | instid1(VALU_DEP_2)
	v_sub_f32_e32 v27, v28, v27
	v_mul_f32_e32 v23, v25, v23
	s_delay_alu instid0(VALU_DEP_1) | instskip(NEXT) | instid1(VALU_DEP_1)
	v_add_f32_e32 v23, v27, v23
	v_add_f32_e32 v25, v26, v23
	s_delay_alu instid0(VALU_DEP_1) | instskip(SKIP_1) | instid1(VALU_DEP_1)
	v_mul_f32_e32 v27, v25, v25
	s_wait_alu 0xfffe
	v_fmaak_f32 v28, s1, v27, 0x3ecc95a3
	v_mul_f32_e32 v29, v25, v27
	v_cmp_neq_f32_e64 s1, 0x7f800000, v24
	s_delay_alu instid0(VALU_DEP_3) | instskip(SKIP_2) | instid1(VALU_DEP_3)
	v_fmaak_f32 v27, v27, v28, 0x3f2aaada
	v_ldexp_f32 v28, v25, 1
	v_sub_f32_e32 v25, v25, v26
	v_mul_f32_e32 v27, v29, v27
	v_mul_f32_e32 v29, 0x3f317218, v22
	s_delay_alu instid0(VALU_DEP_2) | instskip(NEXT) | instid1(VALU_DEP_1)
	v_dual_sub_f32 v23, v23, v25 :: v_dual_add_f32 v26, v28, v27
	v_ldexp_f32 v23, v23, 1
	s_delay_alu instid0(VALU_DEP_2) | instskip(NEXT) | instid1(VALU_DEP_4)
	v_sub_f32_e32 v25, v26, v28
	v_fma_f32 v28, 0x3f317218, v22, -v29
	s_delay_alu instid0(VALU_DEP_1) | instskip(NEXT) | instid1(VALU_DEP_1)
	v_dual_sub_f32 v25, v27, v25 :: v_dual_fmamk_f32 v22, v22, 0xb102e308, v28
	v_add_f32_e32 v23, v23, v25
	s_delay_alu instid0(VALU_DEP_2) | instskip(NEXT) | instid1(VALU_DEP_2)
	v_add_f32_e32 v25, v29, v22
	v_add_f32_e32 v27, v26, v23
	s_delay_alu instid0(VALU_DEP_2) | instskip(NEXT) | instid1(VALU_DEP_2)
	v_sub_f32_e32 v29, v25, v29
	v_add_f32_e32 v28, v25, v27
	v_sub_f32_e32 v26, v27, v26
	s_delay_alu instid0(VALU_DEP_3) | instskip(NEXT) | instid1(VALU_DEP_2)
	v_sub_f32_e32 v22, v22, v29
	v_dual_sub_f32 v30, v28, v25 :: v_dual_sub_f32 v23, v23, v26
	s_delay_alu instid0(VALU_DEP_1) | instskip(NEXT) | instid1(VALU_DEP_2)
	v_sub_f32_e32 v31, v28, v30
	v_dual_sub_f32 v26, v27, v30 :: v_dual_add_f32 v27, v22, v23
	s_delay_alu instid0(VALU_DEP_2) | instskip(NEXT) | instid1(VALU_DEP_1)
	v_sub_f32_e32 v25, v25, v31
	v_dual_add_f32 v25, v26, v25 :: v_dual_sub_f32 v26, v27, v22
	s_delay_alu instid0(VALU_DEP_1) | instskip(NEXT) | instid1(VALU_DEP_2)
	v_add_f32_e32 v25, v27, v25
	v_sub_f32_e32 v27, v27, v26
	v_sub_f32_e32 v23, v23, v26
	s_delay_alu instid0(VALU_DEP_2) | instskip(NEXT) | instid1(VALU_DEP_1)
	v_dual_add_f32 v29, v28, v25 :: v_dual_sub_f32 v22, v22, v27
	v_sub_f32_e32 v26, v29, v28
	s_delay_alu instid0(VALU_DEP_2) | instskip(NEXT) | instid1(VALU_DEP_2)
	v_add_f32_e32 v22, v23, v22
	v_sub_f32_e32 v23, v25, v26
	s_delay_alu instid0(VALU_DEP_1) | instskip(NEXT) | instid1(VALU_DEP_1)
	v_add_f32_e32 v22, v22, v23
	v_add_f32_e32 v22, v29, v22
	s_wait_alu 0xf1ff
	s_delay_alu instid0(VALU_DEP_1) | instskip(SKIP_2) | instid1(VALU_DEP_1)
	v_cndmask_b32_e64 v22, 0x7f800000, v22, s1
	v_cmp_gt_f32_e64 s1, 0x33800000, |v24|
	s_wait_alu 0xf1ff
	v_cndmask_b32_e64 v22, v22, v24, s1
	s_delay_alu instid0(VALU_DEP_1) | instskip(NEXT) | instid1(VALU_DEP_1)
	v_add_f32_e32 v21, v21, v22
	v_cvt_f16_f32_e32 v24, v21
.LBB392_76:
	s_or_b32 exec_lo, exec_lo, s29
	s_delay_alu instid0(VALU_DEP_1)
	v_dual_mov_b32 v22, v24 :: v_dual_and_b32 v23, 0xffff, v24
.LBB392_77:
	s_or_b32 exec_lo, exec_lo, s28
	ds_swizzle_b32 v23, v23 offset:swizzle(BROADCAST,32,15)
	v_and_b32_e32 v21, 16, v20
	s_mov_b32 s28, exec_lo
	s_delay_alu instid0(VALU_DEP_1)
	v_cmpx_ne_u32_e32 0, v21
	s_cbranch_execz .LBB392_81
; %bb.78:
	s_wait_dscnt 0x0
	v_cvt_f32_f16_e32 v21, v23
	v_cvt_f32_f16_e32 v24, v22
	v_cmp_u_f16_e64 s1, v23, v23
	s_delay_alu instid0(VALU_DEP_2) | instskip(SKIP_2) | instid1(VALU_DEP_2)
	v_min_num_f32_e32 v25, v21, v24
	v_max_num_f32_e32 v26, v21, v24
	s_wait_alu 0xf1ff
	v_cndmask_b32_e64 v25, v25, v21, s1
	s_delay_alu instid0(VALU_DEP_2) | instskip(SKIP_2) | instid1(VALU_DEP_1)
	v_cndmask_b32_e64 v21, v26, v21, s1
	v_cmp_u_f16_e64 s1, v22, v22
	s_wait_alu 0xf1ff
	v_cndmask_b32_e64 v22, v25, v24, s1
	s_delay_alu instid0(VALU_DEP_3) | instskip(NEXT) | instid1(VALU_DEP_2)
	v_cndmask_b32_e64 v21, v21, v24, s1
	v_cmp_class_f32_e64 s29, v22, 0x1f8
	s_delay_alu instid0(VALU_DEP_2)
	v_cmp_neq_f32_e64 s1, v22, v21
	s_or_b32 s1, s1, s29
	s_wait_alu 0xfffe
	s_and_saveexec_b32 s29, s1
	s_cbranch_execz .LBB392_80
; %bb.79:
	v_sub_f32_e32 v22, v22, v21
	s_delay_alu instid0(VALU_DEP_1) | instskip(NEXT) | instid1(VALU_DEP_1)
	v_mul_f32_e32 v23, 0x3fb8aa3b, v22
	v_fma_f32 v24, 0x3fb8aa3b, v22, -v23
	v_rndne_f32_e32 v25, v23
	s_delay_alu instid0(VALU_DEP_1) | instskip(NEXT) | instid1(VALU_DEP_1)
	v_dual_fmamk_f32 v24, v22, 0x32a5705f, v24 :: v_dual_sub_f32 v23, v23, v25
	v_add_f32_e32 v23, v23, v24
	v_cvt_i32_f32_e32 v24, v25
	v_cmp_ngt_f32_e64 s1, 0xc2ce8ed0, v22
	s_delay_alu instid0(VALU_DEP_3) | instskip(NEXT) | instid1(TRANS32_DEP_1)
	v_exp_f32_e32 v23, v23
	v_ldexp_f32 v23, v23, v24
	s_wait_alu 0xf1ff
	s_delay_alu instid0(VALU_DEP_1) | instskip(SKIP_2) | instid1(VALU_DEP_1)
	v_cndmask_b32_e64 v23, 0, v23, s1
	v_cmp_nlt_f32_e64 s1, 0x42b17218, v22
	s_wait_alu 0xf1ff
	v_cndmask_b32_e64 v24, 0x7f800000, v23, s1
	s_delay_alu instid0(VALU_DEP_1) | instskip(NEXT) | instid1(VALU_DEP_1)
	v_add_f32_e32 v25, 1.0, v24
	v_cvt_f64_f32_e32 v[22:23], v25
	s_delay_alu instid0(VALU_DEP_1) | instskip(SKIP_1) | instid1(VALU_DEP_1)
	v_frexp_exp_i32_f64_e32 v22, v[22:23]
	v_frexp_mant_f32_e32 v23, v25
	v_cmp_gt_f32_e64 s1, 0x3f2aaaab, v23
	v_add_f32_e32 v23, -1.0, v25
	s_delay_alu instid0(VALU_DEP_1) | instskip(SKIP_1) | instid1(VALU_DEP_3)
	v_sub_f32_e32 v27, v23, v25
	s_wait_alu 0xf1ff
	v_subrev_co_ci_u32_e64 v22, null, 0, v22, s1
	s_mov_b32 s1, 0x3e9b6dac
	v_sub_nc_u32_e32 v26, 0, v22
	v_cvt_f32_i32_e32 v22, v22
	s_delay_alu instid0(VALU_DEP_2) | instskip(NEXT) | instid1(VALU_DEP_1)
	v_ldexp_f32 v25, v25, v26
	v_dual_sub_f32 v23, v24, v23 :: v_dual_add_f32 v28, 1.0, v25
	v_add_f32_e32 v27, 1.0, v27
	s_delay_alu instid0(VALU_DEP_1) | instskip(NEXT) | instid1(VALU_DEP_3)
	v_add_f32_e32 v23, v23, v27
	v_add_f32_e32 v27, -1.0, v28
	s_delay_alu instid0(VALU_DEP_2) | instskip(NEXT) | instid1(VALU_DEP_2)
	v_ldexp_f32 v23, v23, v26
	v_dual_add_f32 v26, -1.0, v25 :: v_dual_sub_f32 v27, v25, v27
	s_delay_alu instid0(VALU_DEP_1) | instskip(NEXT) | instid1(VALU_DEP_2)
	v_add_f32_e32 v29, 1.0, v26
	v_add_f32_e32 v27, v23, v27
	s_delay_alu instid0(VALU_DEP_2) | instskip(NEXT) | instid1(VALU_DEP_2)
	v_sub_f32_e32 v25, v25, v29
	v_add_f32_e32 v29, v28, v27
	s_delay_alu instid0(VALU_DEP_2) | instskip(NEXT) | instid1(VALU_DEP_2)
	v_add_f32_e32 v23, v23, v25
	v_rcp_f32_e32 v25, v29
	v_sub_f32_e32 v28, v28, v29
	s_delay_alu instid0(VALU_DEP_1) | instskip(NEXT) | instid1(VALU_DEP_1)
	v_dual_add_f32 v30, v26, v23 :: v_dual_add_f32 v27, v27, v28
	v_sub_f32_e32 v26, v26, v30
	s_delay_alu instid0(TRANS32_DEP_1) | instskip(NEXT) | instid1(VALU_DEP_1)
	v_mul_f32_e32 v31, v30, v25
	v_dual_add_f32 v23, v23, v26 :: v_dual_mul_f32 v32, v29, v31
	s_delay_alu instid0(VALU_DEP_1) | instskip(NEXT) | instid1(VALU_DEP_1)
	v_fma_f32 v28, v31, v29, -v32
	v_fmac_f32_e32 v28, v31, v27
	s_delay_alu instid0(VALU_DEP_1) | instskip(NEXT) | instid1(VALU_DEP_1)
	v_add_f32_e32 v33, v32, v28
	v_sub_f32_e32 v34, v30, v33
	v_sub_f32_e32 v26, v33, v32
	s_delay_alu instid0(VALU_DEP_2) | instskip(NEXT) | instid1(VALU_DEP_2)
	v_sub_f32_e32 v30, v30, v34
	v_sub_f32_e32 v26, v26, v28
	s_delay_alu instid0(VALU_DEP_2) | instskip(NEXT) | instid1(VALU_DEP_1)
	v_sub_f32_e32 v30, v30, v33
	v_add_f32_e32 v23, v23, v30
	s_delay_alu instid0(VALU_DEP_1) | instskip(NEXT) | instid1(VALU_DEP_1)
	v_add_f32_e32 v23, v26, v23
	v_add_f32_e32 v26, v34, v23
	s_delay_alu instid0(VALU_DEP_1) | instskip(NEXT) | instid1(VALU_DEP_1)
	v_mul_f32_e32 v28, v25, v26
	v_dual_sub_f32 v33, v34, v26 :: v_dual_mul_f32 v30, v29, v28
	s_delay_alu instid0(VALU_DEP_1) | instskip(NEXT) | instid1(VALU_DEP_2)
	v_add_f32_e32 v23, v23, v33
	v_fma_f32 v29, v28, v29, -v30
	s_delay_alu instid0(VALU_DEP_1) | instskip(NEXT) | instid1(VALU_DEP_1)
	v_fmac_f32_e32 v29, v28, v27
	v_add_f32_e32 v27, v30, v29
	s_delay_alu instid0(VALU_DEP_1) | instskip(SKIP_1) | instid1(VALU_DEP_2)
	v_sub_f32_e32 v32, v26, v27
	v_sub_f32_e32 v30, v27, v30
	;; [unrolled: 1-line block ×3, first 2 shown]
	s_delay_alu instid0(VALU_DEP_1) | instskip(NEXT) | instid1(VALU_DEP_3)
	v_sub_f32_e32 v26, v26, v27
	v_sub_f32_e32 v27, v30, v29
	s_delay_alu instid0(VALU_DEP_2) | instskip(SKIP_1) | instid1(VALU_DEP_2)
	v_add_f32_e32 v23, v23, v26
	v_add_f32_e32 v26, v31, v28
	;; [unrolled: 1-line block ×3, first 2 shown]
	s_delay_alu instid0(VALU_DEP_2) | instskip(NEXT) | instid1(VALU_DEP_2)
	v_sub_f32_e32 v27, v26, v31
	v_add_f32_e32 v23, v32, v23
	s_delay_alu instid0(VALU_DEP_2) | instskip(NEXT) | instid1(VALU_DEP_2)
	v_sub_f32_e32 v27, v28, v27
	v_mul_f32_e32 v23, v25, v23
	s_delay_alu instid0(VALU_DEP_1) | instskip(NEXT) | instid1(VALU_DEP_1)
	v_add_f32_e32 v23, v27, v23
	v_add_f32_e32 v25, v26, v23
	s_delay_alu instid0(VALU_DEP_1) | instskip(SKIP_1) | instid1(VALU_DEP_1)
	v_mul_f32_e32 v27, v25, v25
	s_wait_alu 0xfffe
	v_fmaak_f32 v28, s1, v27, 0x3ecc95a3
	v_mul_f32_e32 v29, v25, v27
	v_cmp_neq_f32_e64 s1, 0x7f800000, v24
	s_delay_alu instid0(VALU_DEP_3) | instskip(SKIP_2) | instid1(VALU_DEP_3)
	v_fmaak_f32 v27, v27, v28, 0x3f2aaada
	v_ldexp_f32 v28, v25, 1
	v_sub_f32_e32 v25, v25, v26
	v_mul_f32_e32 v27, v29, v27
	v_mul_f32_e32 v29, 0x3f317218, v22
	s_delay_alu instid0(VALU_DEP_2) | instskip(NEXT) | instid1(VALU_DEP_1)
	v_dual_sub_f32 v23, v23, v25 :: v_dual_add_f32 v26, v28, v27
	v_ldexp_f32 v23, v23, 1
	s_delay_alu instid0(VALU_DEP_2) | instskip(NEXT) | instid1(VALU_DEP_4)
	v_sub_f32_e32 v25, v26, v28
	v_fma_f32 v28, 0x3f317218, v22, -v29
	s_delay_alu instid0(VALU_DEP_1) | instskip(NEXT) | instid1(VALU_DEP_1)
	v_dual_sub_f32 v25, v27, v25 :: v_dual_fmamk_f32 v22, v22, 0xb102e308, v28
	v_add_f32_e32 v23, v23, v25
	s_delay_alu instid0(VALU_DEP_2) | instskip(NEXT) | instid1(VALU_DEP_2)
	v_add_f32_e32 v25, v29, v22
	v_add_f32_e32 v27, v26, v23
	s_delay_alu instid0(VALU_DEP_2) | instskip(NEXT) | instid1(VALU_DEP_2)
	v_sub_f32_e32 v29, v25, v29
	v_add_f32_e32 v28, v25, v27
	v_sub_f32_e32 v26, v27, v26
	s_delay_alu instid0(VALU_DEP_3) | instskip(NEXT) | instid1(VALU_DEP_2)
	v_sub_f32_e32 v22, v22, v29
	v_dual_sub_f32 v30, v28, v25 :: v_dual_sub_f32 v23, v23, v26
	s_delay_alu instid0(VALU_DEP_1) | instskip(NEXT) | instid1(VALU_DEP_2)
	v_sub_f32_e32 v31, v28, v30
	v_dual_sub_f32 v26, v27, v30 :: v_dual_add_f32 v27, v22, v23
	s_delay_alu instid0(VALU_DEP_2) | instskip(NEXT) | instid1(VALU_DEP_1)
	v_sub_f32_e32 v25, v25, v31
	v_dual_add_f32 v25, v26, v25 :: v_dual_sub_f32 v26, v27, v22
	s_delay_alu instid0(VALU_DEP_1) | instskip(NEXT) | instid1(VALU_DEP_2)
	v_add_f32_e32 v25, v27, v25
	v_sub_f32_e32 v27, v27, v26
	v_sub_f32_e32 v23, v23, v26
	s_delay_alu instid0(VALU_DEP_2) | instskip(NEXT) | instid1(VALU_DEP_1)
	v_dual_add_f32 v29, v28, v25 :: v_dual_sub_f32 v22, v22, v27
	v_sub_f32_e32 v26, v29, v28
	s_delay_alu instid0(VALU_DEP_2) | instskip(NEXT) | instid1(VALU_DEP_2)
	v_add_f32_e32 v22, v23, v22
	v_sub_f32_e32 v23, v25, v26
	s_delay_alu instid0(VALU_DEP_1) | instskip(NEXT) | instid1(VALU_DEP_1)
	v_add_f32_e32 v22, v22, v23
	v_add_f32_e32 v22, v29, v22
	s_wait_alu 0xf1ff
	s_delay_alu instid0(VALU_DEP_1) | instskip(SKIP_2) | instid1(VALU_DEP_1)
	v_cndmask_b32_e64 v22, 0x7f800000, v22, s1
	v_cmp_gt_f32_e64 s1, 0x33800000, |v24|
	s_wait_alu 0xf1ff
	v_cndmask_b32_e64 v22, v22, v24, s1
	s_delay_alu instid0(VALU_DEP_1) | instskip(NEXT) | instid1(VALU_DEP_1)
	v_add_f32_e32 v21, v21, v22
	v_cvt_f16_f32_e32 v23, v21
.LBB392_80:
	s_or_b32 exec_lo, exec_lo, s29
	s_delay_alu instid0(VALU_DEP_1)
	v_mov_b32_e32 v22, v23
.LBB392_81:
	s_or_b32 exec_lo, exec_lo, s28
	v_add_nc_u32_e32 v21, -1, v20
	s_delay_alu instid0(VALU_DEP_1) | instskip(SKIP_1) | instid1(VALU_DEP_1)
	v_cmp_gt_i32_e64 s1, 0, v21
	s_wait_alu 0xf1ff
	v_cndmask_b32_e64 v20, v21, v20, s1
	v_and_b32_e32 v21, 0xffff, v22
	s_delay_alu instid0(VALU_DEP_2)
	v_lshlrev_b32_e32 v20, 2, v20
	ds_bpermute_b32 v20, v20, v21
	v_max_num_f32_e32 v21, v19, v19
	s_wait_dscnt 0x0
	v_cvt_f32_f16_e32 v22, v20
	v_cmp_u_f16_e64 s1, v20, v20
	s_delay_alu instid0(VALU_DEP_2) | instskip(SKIP_2) | instid1(VALU_DEP_2)
	v_min_num_f32_e32 v23, v22, v21
	v_max_num_f32_e32 v21, v22, v21
	s_wait_alu 0xf1ff
	v_cndmask_b32_e64 v23, v23, v22, s1
	s_delay_alu instid0(VALU_DEP_2) | instskip(NEXT) | instid1(VALU_DEP_2)
	v_cndmask_b32_e64 v22, v21, v22, s1
	v_cndmask_b32_e64 v21, v23, v19, s0
	s_delay_alu instid0(VALU_DEP_2) | instskip(NEXT) | instid1(VALU_DEP_2)
	v_cndmask_b32_e64 v19, v22, v19, s0
	v_cmp_class_f32_e64 s1, v21, 0x1f8
	s_delay_alu instid0(VALU_DEP_2)
	v_cmp_neq_f32_e64 s0, v21, v19
	s_or_b32 s0, s0, s1
	s_wait_alu 0xfffe
	s_and_saveexec_b32 s1, s0
	s_cbranch_execz .LBB392_83
; %bb.82:
	v_sub_f32_e32 v20, v21, v19
	s_delay_alu instid0(VALU_DEP_1) | instskip(SKIP_1) | instid1(VALU_DEP_2)
	v_mul_f32_e32 v21, 0x3fb8aa3b, v20
	v_cmp_ngt_f32_e64 s0, 0xc2ce8ed0, v20
	v_fma_f32 v22, 0x3fb8aa3b, v20, -v21
	v_rndne_f32_e32 v23, v21
	s_delay_alu instid0(VALU_DEP_1) | instskip(NEXT) | instid1(VALU_DEP_1)
	v_dual_fmamk_f32 v22, v20, 0x32a5705f, v22 :: v_dual_sub_f32 v21, v21, v23
	v_add_f32_e32 v21, v21, v22
	v_cvt_i32_f32_e32 v22, v23
	s_delay_alu instid0(VALU_DEP_2) | instskip(NEXT) | instid1(TRANS32_DEP_1)
	v_exp_f32_e32 v21, v21
	v_ldexp_f32 v21, v21, v22
	s_wait_alu 0xf1ff
	s_delay_alu instid0(VALU_DEP_1) | instskip(SKIP_2) | instid1(VALU_DEP_1)
	v_cndmask_b32_e64 v21, 0, v21, s0
	v_cmp_nlt_f32_e64 s0, 0x42b17218, v20
	s_wait_alu 0xf1ff
	v_cndmask_b32_e64 v22, 0x7f800000, v21, s0
	s_delay_alu instid0(VALU_DEP_1) | instskip(NEXT) | instid1(VALU_DEP_1)
	v_add_f32_e32 v23, 1.0, v22
	v_cvt_f64_f32_e32 v[20:21], v23
	s_delay_alu instid0(VALU_DEP_1) | instskip(SKIP_1) | instid1(VALU_DEP_1)
	v_frexp_exp_i32_f64_e32 v20, v[20:21]
	v_frexp_mant_f32_e32 v21, v23
	v_cmp_gt_f32_e64 s0, 0x3f2aaaab, v21
	v_add_f32_e32 v21, -1.0, v23
	s_delay_alu instid0(VALU_DEP_1)
	v_sub_f32_e32 v25, v21, v23
	v_sub_f32_e32 v21, v22, v21
	s_wait_alu 0xf1ff
	v_subrev_co_ci_u32_e64 v20, null, 0, v20, s0
	s_mov_b32 s0, 0x3e9b6dac
	v_sub_nc_u32_e32 v24, 0, v20
	v_cvt_f32_i32_e32 v20, v20
	s_delay_alu instid0(VALU_DEP_2) | instskip(NEXT) | instid1(VALU_DEP_1)
	v_ldexp_f32 v23, v23, v24
	v_dual_add_f32 v26, 1.0, v23 :: v_dual_add_f32 v25, 1.0, v25
	s_delay_alu instid0(VALU_DEP_1) | instskip(NEXT) | instid1(VALU_DEP_2)
	v_add_f32_e32 v21, v21, v25
	v_add_f32_e32 v25, -1.0, v26
	s_delay_alu instid0(VALU_DEP_2) | instskip(NEXT) | instid1(VALU_DEP_2)
	v_ldexp_f32 v21, v21, v24
	v_dual_add_f32 v24, -1.0, v23 :: v_dual_sub_f32 v25, v23, v25
	s_delay_alu instid0(VALU_DEP_1) | instskip(NEXT) | instid1(VALU_DEP_2)
	v_add_f32_e32 v27, 1.0, v24
	v_add_f32_e32 v25, v21, v25
	s_delay_alu instid0(VALU_DEP_2) | instskip(NEXT) | instid1(VALU_DEP_2)
	v_sub_f32_e32 v23, v23, v27
	v_add_f32_e32 v27, v26, v25
	s_delay_alu instid0(VALU_DEP_2) | instskip(NEXT) | instid1(VALU_DEP_2)
	v_add_f32_e32 v21, v21, v23
	v_rcp_f32_e32 v23, v27
	v_sub_f32_e32 v26, v26, v27
	s_delay_alu instid0(VALU_DEP_1) | instskip(NEXT) | instid1(VALU_DEP_1)
	v_dual_add_f32 v28, v24, v21 :: v_dual_add_f32 v25, v25, v26
	v_sub_f32_e32 v24, v24, v28
	s_delay_alu instid0(TRANS32_DEP_1) | instskip(NEXT) | instid1(VALU_DEP_1)
	v_mul_f32_e32 v29, v28, v23
	v_dual_add_f32 v21, v21, v24 :: v_dual_mul_f32 v30, v27, v29
	s_delay_alu instid0(VALU_DEP_1) | instskip(NEXT) | instid1(VALU_DEP_1)
	v_fma_f32 v26, v29, v27, -v30
	v_fmac_f32_e32 v26, v29, v25
	s_delay_alu instid0(VALU_DEP_1) | instskip(NEXT) | instid1(VALU_DEP_1)
	v_add_f32_e32 v31, v30, v26
	v_sub_f32_e32 v32, v28, v31
	v_sub_f32_e32 v24, v31, v30
	s_delay_alu instid0(VALU_DEP_2) | instskip(NEXT) | instid1(VALU_DEP_2)
	v_sub_f32_e32 v28, v28, v32
	v_sub_f32_e32 v24, v24, v26
	s_delay_alu instid0(VALU_DEP_2) | instskip(NEXT) | instid1(VALU_DEP_1)
	v_sub_f32_e32 v28, v28, v31
	v_add_f32_e32 v21, v21, v28
	s_delay_alu instid0(VALU_DEP_1) | instskip(NEXT) | instid1(VALU_DEP_1)
	v_add_f32_e32 v21, v24, v21
	v_add_f32_e32 v24, v32, v21
	s_delay_alu instid0(VALU_DEP_1) | instskip(NEXT) | instid1(VALU_DEP_1)
	v_mul_f32_e32 v26, v23, v24
	v_dual_sub_f32 v31, v32, v24 :: v_dual_mul_f32 v28, v27, v26
	s_delay_alu instid0(VALU_DEP_1) | instskip(NEXT) | instid1(VALU_DEP_2)
	v_add_f32_e32 v21, v21, v31
	v_fma_f32 v27, v26, v27, -v28
	s_delay_alu instid0(VALU_DEP_1) | instskip(NEXT) | instid1(VALU_DEP_1)
	v_fmac_f32_e32 v27, v26, v25
	v_add_f32_e32 v25, v28, v27
	s_delay_alu instid0(VALU_DEP_1) | instskip(SKIP_1) | instid1(VALU_DEP_2)
	v_sub_f32_e32 v30, v24, v25
	v_sub_f32_e32 v28, v25, v28
	;; [unrolled: 1-line block ×3, first 2 shown]
	s_delay_alu instid0(VALU_DEP_1) | instskip(NEXT) | instid1(VALU_DEP_3)
	v_sub_f32_e32 v24, v24, v25
	v_sub_f32_e32 v25, v28, v27
	s_delay_alu instid0(VALU_DEP_2) | instskip(SKIP_1) | instid1(VALU_DEP_2)
	v_add_f32_e32 v21, v21, v24
	v_add_f32_e32 v24, v29, v26
	;; [unrolled: 1-line block ×3, first 2 shown]
	s_delay_alu instid0(VALU_DEP_2) | instskip(NEXT) | instid1(VALU_DEP_2)
	v_sub_f32_e32 v25, v24, v29
	v_add_f32_e32 v21, v30, v21
	s_delay_alu instid0(VALU_DEP_2) | instskip(NEXT) | instid1(VALU_DEP_2)
	v_sub_f32_e32 v25, v26, v25
	v_mul_f32_e32 v21, v23, v21
	s_delay_alu instid0(VALU_DEP_1) | instskip(NEXT) | instid1(VALU_DEP_1)
	v_add_f32_e32 v21, v25, v21
	v_add_f32_e32 v23, v24, v21
	s_delay_alu instid0(VALU_DEP_1) | instskip(SKIP_1) | instid1(VALU_DEP_1)
	v_mul_f32_e32 v25, v23, v23
	s_wait_alu 0xfffe
	v_fmaak_f32 v26, s0, v25, 0x3ecc95a3
	v_mul_f32_e32 v27, v23, v25
	v_cmp_neq_f32_e64 s0, 0x7f800000, v22
	s_delay_alu instid0(VALU_DEP_3) | instskip(SKIP_2) | instid1(VALU_DEP_3)
	v_fmaak_f32 v25, v25, v26, 0x3f2aaada
	v_ldexp_f32 v26, v23, 1
	v_sub_f32_e32 v23, v23, v24
	v_mul_f32_e32 v25, v27, v25
	v_mul_f32_e32 v27, 0x3f317218, v20
	s_delay_alu instid0(VALU_DEP_2) | instskip(NEXT) | instid1(VALU_DEP_1)
	v_dual_sub_f32 v21, v21, v23 :: v_dual_add_f32 v24, v26, v25
	v_ldexp_f32 v21, v21, 1
	s_delay_alu instid0(VALU_DEP_2) | instskip(NEXT) | instid1(VALU_DEP_4)
	v_sub_f32_e32 v23, v24, v26
	v_fma_f32 v26, 0x3f317218, v20, -v27
	s_delay_alu instid0(VALU_DEP_1) | instskip(NEXT) | instid1(VALU_DEP_1)
	v_dual_sub_f32 v23, v25, v23 :: v_dual_fmamk_f32 v20, v20, 0xb102e308, v26
	v_add_f32_e32 v21, v21, v23
	s_delay_alu instid0(VALU_DEP_2) | instskip(NEXT) | instid1(VALU_DEP_2)
	v_add_f32_e32 v23, v27, v20
	v_add_f32_e32 v25, v24, v21
	s_delay_alu instid0(VALU_DEP_2) | instskip(NEXT) | instid1(VALU_DEP_2)
	v_sub_f32_e32 v27, v23, v27
	v_add_f32_e32 v26, v23, v25
	v_sub_f32_e32 v24, v25, v24
	s_delay_alu instid0(VALU_DEP_3) | instskip(NEXT) | instid1(VALU_DEP_2)
	v_sub_f32_e32 v20, v20, v27
	v_dual_sub_f32 v28, v26, v23 :: v_dual_sub_f32 v21, v21, v24
	s_delay_alu instid0(VALU_DEP_1) | instskip(NEXT) | instid1(VALU_DEP_2)
	v_sub_f32_e32 v29, v26, v28
	v_dual_sub_f32 v24, v25, v28 :: v_dual_add_f32 v25, v20, v21
	s_delay_alu instid0(VALU_DEP_2) | instskip(NEXT) | instid1(VALU_DEP_1)
	v_sub_f32_e32 v23, v23, v29
	v_dual_add_f32 v23, v24, v23 :: v_dual_sub_f32 v24, v25, v20
	s_delay_alu instid0(VALU_DEP_1) | instskip(NEXT) | instid1(VALU_DEP_2)
	v_add_f32_e32 v23, v25, v23
	v_sub_f32_e32 v25, v25, v24
	v_sub_f32_e32 v21, v21, v24
	s_delay_alu instid0(VALU_DEP_2) | instskip(NEXT) | instid1(VALU_DEP_1)
	v_dual_add_f32 v27, v26, v23 :: v_dual_sub_f32 v20, v20, v25
	v_sub_f32_e32 v24, v27, v26
	s_delay_alu instid0(VALU_DEP_2) | instskip(NEXT) | instid1(VALU_DEP_2)
	v_add_f32_e32 v20, v21, v20
	v_sub_f32_e32 v21, v23, v24
	s_delay_alu instid0(VALU_DEP_1) | instskip(NEXT) | instid1(VALU_DEP_1)
	v_add_f32_e32 v20, v20, v21
	v_add_f32_e32 v20, v27, v20
	s_wait_alu 0xf1ff
	s_delay_alu instid0(VALU_DEP_1) | instskip(SKIP_2) | instid1(VALU_DEP_1)
	v_cndmask_b32_e64 v20, 0x7f800000, v20, s0
	v_cmp_gt_f32_e64 s0, 0x33800000, |v22|
	s_wait_alu 0xf1ff
	v_cndmask_b32_e64 v20, v20, v22, s0
	s_delay_alu instid0(VALU_DEP_1) | instskip(NEXT) | instid1(VALU_DEP_1)
	v_add_f32_e32 v19, v19, v20
	v_cvt_f16_f32_e32 v20, v19
.LBB392_83:
	s_wait_alu 0xfffe
	s_or_b32 exec_lo, exec_lo, s1
	v_cmp_eq_u32_e64 s0, 0, v0
	; wave barrier
	s_wait_alu 0xf1ff
	s_delay_alu instid0(VALU_DEP_1)
	v_cndmask_b32_e64 v18, v20, v18, s0
	ds_store_b16 v17, v18
	; wave barrier
	ds_load_u16 v20, v17 offset:2
	v_cvt_f32_f16_e32 v19, v18
	v_cmp_u_f16_e64 s0, v18, v18
	s_wait_dscnt 0x0
	v_cvt_f32_f16_e32 v22, v20
	s_delay_alu instid0(VALU_DEP_1) | instskip(SKIP_2) | instid1(VALU_DEP_2)
	v_min_num_f32_e32 v21, v19, v22
	v_max_num_f32_e32 v23, v19, v22
	s_wait_alu 0xf1ff
	v_cndmask_b32_e64 v21, v21, v19, s0
	s_delay_alu instid0(VALU_DEP_2) | instskip(SKIP_2) | instid1(VALU_DEP_1)
	v_cndmask_b32_e64 v23, v23, v19, s0
	v_cmp_u_f16_e64 s0, v20, v20
	s_wait_alu 0xf1ff
	v_cndmask_b32_e64 v21, v21, v22, s0
	s_delay_alu instid0(VALU_DEP_3) | instskip(NEXT) | instid1(VALU_DEP_2)
	v_cndmask_b32_e64 v20, v23, v22, s0
	v_cmp_class_f32_e64 s1, v21, 0x1f8
	s_delay_alu instid0(VALU_DEP_2)
	v_cmp_neq_f32_e64 s0, v21, v20
	s_or_b32 s0, s0, s1
	s_wait_alu 0xfffe
	s_and_saveexec_b32 s1, s0
	s_cbranch_execz .LBB392_85
; %bb.84:
	v_sub_f32_e32 v18, v21, v20
	s_delay_alu instid0(VALU_DEP_1) | instskip(NEXT) | instid1(VALU_DEP_1)
	v_mul_f32_e32 v19, 0x3fb8aa3b, v18
	v_fma_f32 v21, 0x3fb8aa3b, v18, -v19
	v_rndne_f32_e32 v22, v19
	s_delay_alu instid0(VALU_DEP_1) | instskip(NEXT) | instid1(VALU_DEP_3)
	v_sub_f32_e32 v19, v19, v22
	v_fmamk_f32 v21, v18, 0x32a5705f, v21
	v_cmp_ngt_f32_e64 s0, 0xc2ce8ed0, v18
	s_delay_alu instid0(VALU_DEP_2) | instskip(SKIP_1) | instid1(VALU_DEP_2)
	v_add_f32_e32 v19, v19, v21
	v_cvt_i32_f32_e32 v21, v22
	v_exp_f32_e32 v19, v19
	s_delay_alu instid0(TRANS32_DEP_1) | instskip(SKIP_1) | instid1(VALU_DEP_1)
	v_ldexp_f32 v19, v19, v21
	s_wait_alu 0xf1ff
	v_cndmask_b32_e64 v19, 0, v19, s0
	v_cmp_nlt_f32_e64 s0, 0x42b17218, v18
	s_wait_alu 0xf1ff
	s_delay_alu instid0(VALU_DEP_1) | instskip(NEXT) | instid1(VALU_DEP_1)
	v_cndmask_b32_e64 v21, 0x7f800000, v19, s0
	v_add_f32_e32 v22, 1.0, v21
	s_delay_alu instid0(VALU_DEP_1) | instskip(NEXT) | instid1(VALU_DEP_1)
	v_cvt_f64_f32_e32 v[18:19], v22
	v_frexp_exp_i32_f64_e32 v18, v[18:19]
	v_frexp_mant_f32_e32 v19, v22
	s_delay_alu instid0(VALU_DEP_1) | instskip(SKIP_1) | instid1(VALU_DEP_1)
	v_cmp_gt_f32_e64 s0, 0x3f2aaaab, v19
	v_add_f32_e32 v19, -1.0, v22
	v_sub_f32_e32 v24, v19, v22
	s_delay_alu instid0(VALU_DEP_1)
	v_add_f32_e32 v24, 1.0, v24
	s_wait_alu 0xf1ff
	v_subrev_co_ci_u32_e64 v18, null, 0, v18, s0
	s_mov_b32 s0, 0x3e9b6dac
	v_sub_nc_u32_e32 v23, 0, v18
	v_cvt_f32_i32_e32 v18, v18
	s_delay_alu instid0(VALU_DEP_2) | instskip(SKIP_1) | instid1(VALU_DEP_1)
	v_ldexp_f32 v22, v22, v23
	v_sub_f32_e32 v19, v21, v19
	v_add_f32_e32 v19, v19, v24
	s_delay_alu instid0(VALU_DEP_1) | instskip(NEXT) | instid1(VALU_DEP_4)
	v_ldexp_f32 v19, v19, v23
	v_add_f32_e32 v23, -1.0, v22
	s_delay_alu instid0(VALU_DEP_1) | instskip(NEXT) | instid1(VALU_DEP_1)
	v_dual_add_f32 v25, 1.0, v22 :: v_dual_add_f32 v26, 1.0, v23
	v_add_f32_e32 v24, -1.0, v25
	s_delay_alu instid0(VALU_DEP_1) | instskip(NEXT) | instid1(VALU_DEP_3)
	v_sub_f32_e32 v24, v22, v24
	v_sub_f32_e32 v22, v22, v26
	s_delay_alu instid0(VALU_DEP_2) | instskip(NEXT) | instid1(VALU_DEP_1)
	v_add_f32_e32 v24, v19, v24
	v_dual_add_f32 v19, v19, v22 :: v_dual_add_f32 v26, v25, v24
	s_delay_alu instid0(VALU_DEP_1) | instskip(SKIP_1) | instid1(VALU_DEP_1)
	v_rcp_f32_e32 v22, v26
	v_sub_f32_e32 v25, v25, v26
	v_dual_add_f32 v27, v23, v19 :: v_dual_add_f32 v24, v24, v25
	s_delay_alu instid0(VALU_DEP_1) | instskip(NEXT) | instid1(TRANS32_DEP_1)
	v_sub_f32_e32 v23, v23, v27
	v_mul_f32_e32 v28, v27, v22
	s_delay_alu instid0(VALU_DEP_2) | instskip(NEXT) | instid1(VALU_DEP_2)
	v_add_f32_e32 v19, v19, v23
	v_mul_f32_e32 v29, v26, v28
	s_delay_alu instid0(VALU_DEP_1) | instskip(NEXT) | instid1(VALU_DEP_1)
	v_fma_f32 v25, v28, v26, -v29
	v_fmac_f32_e32 v25, v28, v24
	s_delay_alu instid0(VALU_DEP_1) | instskip(NEXT) | instid1(VALU_DEP_1)
	v_add_f32_e32 v30, v29, v25
	v_sub_f32_e32 v31, v27, v30
	v_sub_f32_e32 v23, v30, v29
	s_delay_alu instid0(VALU_DEP_2) | instskip(NEXT) | instid1(VALU_DEP_2)
	v_sub_f32_e32 v27, v27, v31
	v_sub_f32_e32 v23, v23, v25
	s_delay_alu instid0(VALU_DEP_2) | instskip(NEXT) | instid1(VALU_DEP_1)
	v_sub_f32_e32 v27, v27, v30
	v_add_f32_e32 v19, v19, v27
	s_delay_alu instid0(VALU_DEP_1) | instskip(NEXT) | instid1(VALU_DEP_1)
	v_add_f32_e32 v19, v23, v19
	v_add_f32_e32 v23, v31, v19
	s_delay_alu instid0(VALU_DEP_1) | instskip(NEXT) | instid1(VALU_DEP_1)
	v_mul_f32_e32 v25, v22, v23
	v_mul_f32_e32 v27, v26, v25
	s_delay_alu instid0(VALU_DEP_1) | instskip(NEXT) | instid1(VALU_DEP_1)
	v_fma_f32 v26, v25, v26, -v27
	v_fmac_f32_e32 v26, v25, v24
	v_sub_f32_e32 v30, v31, v23
	s_delay_alu instid0(VALU_DEP_2) | instskip(NEXT) | instid1(VALU_DEP_2)
	v_add_f32_e32 v24, v27, v26
	v_add_f32_e32 v19, v19, v30
	s_delay_alu instid0(VALU_DEP_2) | instskip(SKIP_1) | instid1(VALU_DEP_2)
	v_sub_f32_e32 v29, v23, v24
	v_sub_f32_e32 v27, v24, v27
	;; [unrolled: 1-line block ×3, first 2 shown]
	s_delay_alu instid0(VALU_DEP_1) | instskip(NEXT) | instid1(VALU_DEP_3)
	v_sub_f32_e32 v23, v23, v24
	v_sub_f32_e32 v24, v27, v26
	s_delay_alu instid0(VALU_DEP_2) | instskip(SKIP_1) | instid1(VALU_DEP_1)
	v_add_f32_e32 v19, v19, v23
	v_add_f32_e32 v23, v28, v25
	v_dual_add_f32 v19, v24, v19 :: v_dual_sub_f32 v24, v23, v28
	s_delay_alu instid0(VALU_DEP_1) | instskip(NEXT) | instid1(VALU_DEP_1)
	v_add_f32_e32 v19, v29, v19
	v_dual_sub_f32 v24, v25, v24 :: v_dual_mul_f32 v19, v22, v19
	s_delay_alu instid0(VALU_DEP_1) | instskip(NEXT) | instid1(VALU_DEP_1)
	v_add_f32_e32 v19, v24, v19
	v_add_f32_e32 v22, v23, v19
	s_delay_alu instid0(VALU_DEP_1) | instskip(SKIP_1) | instid1(VALU_DEP_1)
	v_mul_f32_e32 v24, v22, v22
	s_wait_alu 0xfffe
	v_fmaak_f32 v25, s0, v24, 0x3ecc95a3
	v_mul_f32_e32 v26, v22, v24
	v_cmp_neq_f32_e64 s0, 0x7f800000, v21
	s_delay_alu instid0(VALU_DEP_3) | instskip(SKIP_2) | instid1(VALU_DEP_3)
	v_fmaak_f32 v24, v24, v25, 0x3f2aaada
	v_ldexp_f32 v25, v22, 1
	v_sub_f32_e32 v22, v22, v23
	v_mul_f32_e32 v24, v26, v24
	v_mul_f32_e32 v26, 0x3f317218, v18
	s_delay_alu instid0(VALU_DEP_3) | instskip(NEXT) | instid1(VALU_DEP_3)
	v_sub_f32_e32 v19, v19, v22
	v_add_f32_e32 v23, v25, v24
	s_delay_alu instid0(VALU_DEP_2) | instskip(NEXT) | instid1(VALU_DEP_2)
	v_ldexp_f32 v19, v19, 1
	v_sub_f32_e32 v22, v23, v25
	v_fma_f32 v25, 0x3f317218, v18, -v26
	s_delay_alu instid0(VALU_DEP_2) | instskip(NEXT) | instid1(VALU_DEP_1)
	v_sub_f32_e32 v22, v24, v22
	v_dual_fmamk_f32 v18, v18, 0xb102e308, v25 :: v_dual_add_f32 v19, v19, v22
	s_delay_alu instid0(VALU_DEP_1) | instskip(NEXT) | instid1(VALU_DEP_2)
	v_add_f32_e32 v22, v26, v18
	v_add_f32_e32 v24, v23, v19
	s_delay_alu instid0(VALU_DEP_2) | instskip(NEXT) | instid1(VALU_DEP_2)
	v_sub_f32_e32 v26, v22, v26
	v_add_f32_e32 v25, v22, v24
	s_delay_alu instid0(VALU_DEP_2) | instskip(NEXT) | instid1(VALU_DEP_2)
	v_dual_sub_f32 v23, v24, v23 :: v_dual_sub_f32 v18, v18, v26
	v_sub_f32_e32 v27, v25, v22
	s_delay_alu instid0(VALU_DEP_2) | instskip(NEXT) | instid1(VALU_DEP_2)
	v_sub_f32_e32 v19, v19, v23
	v_sub_f32_e32 v28, v25, v27
	;; [unrolled: 1-line block ×3, first 2 shown]
	s_delay_alu instid0(VALU_DEP_3) | instskip(NEXT) | instid1(VALU_DEP_3)
	v_add_f32_e32 v24, v18, v19
	v_sub_f32_e32 v22, v22, v28
	s_delay_alu instid0(VALU_DEP_1) | instskip(NEXT) | instid1(VALU_DEP_3)
	v_add_f32_e32 v22, v23, v22
	v_sub_f32_e32 v23, v24, v18
	s_delay_alu instid0(VALU_DEP_2) | instskip(NEXT) | instid1(VALU_DEP_2)
	v_add_f32_e32 v22, v24, v22
	v_sub_f32_e32 v24, v24, v23
	s_delay_alu instid0(VALU_DEP_1) | instskip(NEXT) | instid1(VALU_DEP_1)
	v_dual_sub_f32 v19, v19, v23 :: v_dual_sub_f32 v18, v18, v24
	v_add_f32_e32 v18, v19, v18
	s_delay_alu instid0(VALU_DEP_4) | instskip(NEXT) | instid1(VALU_DEP_1)
	v_add_f32_e32 v26, v25, v22
	v_sub_f32_e32 v23, v26, v25
	s_delay_alu instid0(VALU_DEP_1) | instskip(NEXT) | instid1(VALU_DEP_1)
	v_sub_f32_e32 v19, v22, v23
	v_add_f32_e32 v18, v18, v19
	s_delay_alu instid0(VALU_DEP_1) | instskip(SKIP_1) | instid1(VALU_DEP_1)
	v_add_f32_e32 v18, v26, v18
	s_wait_alu 0xf1ff
	v_cndmask_b32_e64 v18, 0x7f800000, v18, s0
	v_cmp_gt_f32_e64 s0, 0x33800000, |v21|
	s_wait_alu 0xf1ff
	s_delay_alu instid0(VALU_DEP_1) | instskip(NEXT) | instid1(VALU_DEP_1)
	v_cndmask_b32_e64 v18, v18, v21, s0
	v_add_f32_e32 v18, v20, v18
	s_delay_alu instid0(VALU_DEP_1) | instskip(NEXT) | instid1(VALU_DEP_1)
	v_cvt_f16_f32_e32 v18, v18
	v_cvt_f32_f16_e32 v19, v18
.LBB392_85:
	s_wait_alu 0xfffe
	s_or_b32 exec_lo, exec_lo, s1
	ds_load_u16 v20, v17 offset:4
	v_max_num_f32_e32 v21, v19, v19
	v_cmp_u_f16_e64 s0, v18, v18
	ds_store_b16 v17, v18 offset:2
	s_wait_dscnt 0x1
	v_cvt_f32_f16_e32 v22, v20
	s_delay_alu instid0(VALU_DEP_1) | instskip(SKIP_2) | instid1(VALU_DEP_2)
	v_min_num_f32_e32 v23, v21, v22
	v_max_num_f32_e32 v21, v21, v22
	s_wait_alu 0xf1ff
	v_cndmask_b32_e64 v23, v23, v19, s0
	s_delay_alu instid0(VALU_DEP_2) | instskip(SKIP_2) | instid1(VALU_DEP_1)
	v_cndmask_b32_e64 v24, v21, v19, s0
	v_cmp_u_f16_e64 s0, v20, v20
	s_wait_alu 0xf1ff
	v_cndmask_b32_e64 v21, v23, v22, s0
	s_delay_alu instid0(VALU_DEP_3) | instskip(NEXT) | instid1(VALU_DEP_2)
	v_cndmask_b32_e64 v20, v24, v22, s0
	v_cmp_class_f32_e64 s1, v21, 0x1f8
	s_delay_alu instid0(VALU_DEP_2)
	v_cmp_neq_f32_e64 s0, v21, v20
	s_or_b32 s0, s0, s1
	s_wait_alu 0xfffe
	s_and_saveexec_b32 s1, s0
	s_cbranch_execz .LBB392_87
; %bb.86:
	v_sub_f32_e32 v18, v21, v20
	s_delay_alu instid0(VALU_DEP_1) | instskip(NEXT) | instid1(VALU_DEP_1)
	v_mul_f32_e32 v19, 0x3fb8aa3b, v18
	v_fma_f32 v21, 0x3fb8aa3b, v18, -v19
	v_rndne_f32_e32 v22, v19
	s_delay_alu instid0(VALU_DEP_1) | instskip(NEXT) | instid1(VALU_DEP_3)
	v_sub_f32_e32 v19, v19, v22
	v_fmamk_f32 v21, v18, 0x32a5705f, v21
	v_cmp_ngt_f32_e64 s0, 0xc2ce8ed0, v18
	s_delay_alu instid0(VALU_DEP_2) | instskip(SKIP_1) | instid1(VALU_DEP_2)
	v_add_f32_e32 v19, v19, v21
	v_cvt_i32_f32_e32 v21, v22
	v_exp_f32_e32 v19, v19
	s_delay_alu instid0(TRANS32_DEP_1) | instskip(SKIP_1) | instid1(VALU_DEP_1)
	v_ldexp_f32 v19, v19, v21
	s_wait_alu 0xf1ff
	v_cndmask_b32_e64 v19, 0, v19, s0
	v_cmp_nlt_f32_e64 s0, 0x42b17218, v18
	s_wait_alu 0xf1ff
	s_delay_alu instid0(VALU_DEP_1) | instskip(NEXT) | instid1(VALU_DEP_1)
	v_cndmask_b32_e64 v21, 0x7f800000, v19, s0
	v_add_f32_e32 v22, 1.0, v21
	s_delay_alu instid0(VALU_DEP_1) | instskip(NEXT) | instid1(VALU_DEP_1)
	v_cvt_f64_f32_e32 v[18:19], v22
	v_frexp_exp_i32_f64_e32 v18, v[18:19]
	v_frexp_mant_f32_e32 v19, v22
	s_delay_alu instid0(VALU_DEP_1) | instskip(SKIP_1) | instid1(VALU_DEP_1)
	v_cmp_gt_f32_e64 s0, 0x3f2aaaab, v19
	v_add_f32_e32 v19, -1.0, v22
	v_sub_f32_e32 v24, v19, v22
	s_delay_alu instid0(VALU_DEP_1)
	v_add_f32_e32 v24, 1.0, v24
	s_wait_alu 0xf1ff
	v_subrev_co_ci_u32_e64 v18, null, 0, v18, s0
	s_mov_b32 s0, 0x3e9b6dac
	v_sub_nc_u32_e32 v23, 0, v18
	v_cvt_f32_i32_e32 v18, v18
	s_delay_alu instid0(VALU_DEP_2) | instskip(SKIP_1) | instid1(VALU_DEP_1)
	v_ldexp_f32 v22, v22, v23
	v_sub_f32_e32 v19, v21, v19
	v_add_f32_e32 v19, v19, v24
	s_delay_alu instid0(VALU_DEP_1) | instskip(NEXT) | instid1(VALU_DEP_4)
	v_ldexp_f32 v19, v19, v23
	v_add_f32_e32 v23, -1.0, v22
	s_delay_alu instid0(VALU_DEP_1) | instskip(NEXT) | instid1(VALU_DEP_1)
	v_dual_add_f32 v25, 1.0, v22 :: v_dual_add_f32 v26, 1.0, v23
	v_add_f32_e32 v24, -1.0, v25
	s_delay_alu instid0(VALU_DEP_1) | instskip(NEXT) | instid1(VALU_DEP_3)
	v_sub_f32_e32 v24, v22, v24
	v_sub_f32_e32 v22, v22, v26
	s_delay_alu instid0(VALU_DEP_2) | instskip(NEXT) | instid1(VALU_DEP_1)
	v_add_f32_e32 v24, v19, v24
	v_dual_add_f32 v19, v19, v22 :: v_dual_add_f32 v26, v25, v24
	s_delay_alu instid0(VALU_DEP_1) | instskip(SKIP_1) | instid1(VALU_DEP_1)
	v_rcp_f32_e32 v22, v26
	v_sub_f32_e32 v25, v25, v26
	v_dual_add_f32 v27, v23, v19 :: v_dual_add_f32 v24, v24, v25
	s_delay_alu instid0(VALU_DEP_1) | instskip(NEXT) | instid1(TRANS32_DEP_1)
	v_sub_f32_e32 v23, v23, v27
	v_mul_f32_e32 v28, v27, v22
	s_delay_alu instid0(VALU_DEP_2) | instskip(NEXT) | instid1(VALU_DEP_2)
	v_add_f32_e32 v19, v19, v23
	v_mul_f32_e32 v29, v26, v28
	s_delay_alu instid0(VALU_DEP_1) | instskip(NEXT) | instid1(VALU_DEP_1)
	v_fma_f32 v25, v28, v26, -v29
	v_fmac_f32_e32 v25, v28, v24
	s_delay_alu instid0(VALU_DEP_1) | instskip(NEXT) | instid1(VALU_DEP_1)
	v_add_f32_e32 v30, v29, v25
	v_sub_f32_e32 v31, v27, v30
	v_sub_f32_e32 v23, v30, v29
	s_delay_alu instid0(VALU_DEP_2) | instskip(NEXT) | instid1(VALU_DEP_2)
	v_sub_f32_e32 v27, v27, v31
	v_sub_f32_e32 v23, v23, v25
	s_delay_alu instid0(VALU_DEP_2) | instskip(NEXT) | instid1(VALU_DEP_1)
	v_sub_f32_e32 v27, v27, v30
	v_add_f32_e32 v19, v19, v27
	s_delay_alu instid0(VALU_DEP_1) | instskip(NEXT) | instid1(VALU_DEP_1)
	v_add_f32_e32 v19, v23, v19
	v_add_f32_e32 v23, v31, v19
	s_delay_alu instid0(VALU_DEP_1) | instskip(NEXT) | instid1(VALU_DEP_1)
	v_mul_f32_e32 v25, v22, v23
	v_mul_f32_e32 v27, v26, v25
	s_delay_alu instid0(VALU_DEP_1) | instskip(NEXT) | instid1(VALU_DEP_1)
	v_fma_f32 v26, v25, v26, -v27
	v_fmac_f32_e32 v26, v25, v24
	v_sub_f32_e32 v30, v31, v23
	s_delay_alu instid0(VALU_DEP_2) | instskip(NEXT) | instid1(VALU_DEP_2)
	v_add_f32_e32 v24, v27, v26
	v_add_f32_e32 v19, v19, v30
	s_delay_alu instid0(VALU_DEP_2) | instskip(SKIP_1) | instid1(VALU_DEP_2)
	v_sub_f32_e32 v29, v23, v24
	v_sub_f32_e32 v27, v24, v27
	;; [unrolled: 1-line block ×3, first 2 shown]
	s_delay_alu instid0(VALU_DEP_1) | instskip(NEXT) | instid1(VALU_DEP_3)
	v_sub_f32_e32 v23, v23, v24
	v_sub_f32_e32 v24, v27, v26
	s_delay_alu instid0(VALU_DEP_2) | instskip(SKIP_1) | instid1(VALU_DEP_1)
	v_add_f32_e32 v19, v19, v23
	v_add_f32_e32 v23, v28, v25
	v_dual_add_f32 v19, v24, v19 :: v_dual_sub_f32 v24, v23, v28
	s_delay_alu instid0(VALU_DEP_1) | instskip(NEXT) | instid1(VALU_DEP_1)
	v_add_f32_e32 v19, v29, v19
	v_dual_sub_f32 v24, v25, v24 :: v_dual_mul_f32 v19, v22, v19
	s_delay_alu instid0(VALU_DEP_1) | instskip(NEXT) | instid1(VALU_DEP_1)
	v_add_f32_e32 v19, v24, v19
	v_add_f32_e32 v22, v23, v19
	s_delay_alu instid0(VALU_DEP_1) | instskip(SKIP_1) | instid1(VALU_DEP_1)
	v_mul_f32_e32 v24, v22, v22
	s_wait_alu 0xfffe
	v_fmaak_f32 v25, s0, v24, 0x3ecc95a3
	v_mul_f32_e32 v26, v22, v24
	v_cmp_neq_f32_e64 s0, 0x7f800000, v21
	s_delay_alu instid0(VALU_DEP_3) | instskip(SKIP_2) | instid1(VALU_DEP_3)
	v_fmaak_f32 v24, v24, v25, 0x3f2aaada
	v_ldexp_f32 v25, v22, 1
	v_sub_f32_e32 v22, v22, v23
	v_mul_f32_e32 v24, v26, v24
	v_mul_f32_e32 v26, 0x3f317218, v18
	s_delay_alu instid0(VALU_DEP_3) | instskip(NEXT) | instid1(VALU_DEP_3)
	v_sub_f32_e32 v19, v19, v22
	v_add_f32_e32 v23, v25, v24
	s_delay_alu instid0(VALU_DEP_2) | instskip(NEXT) | instid1(VALU_DEP_2)
	v_ldexp_f32 v19, v19, 1
	v_sub_f32_e32 v22, v23, v25
	v_fma_f32 v25, 0x3f317218, v18, -v26
	s_delay_alu instid0(VALU_DEP_2) | instskip(NEXT) | instid1(VALU_DEP_1)
	v_sub_f32_e32 v22, v24, v22
	v_dual_fmamk_f32 v18, v18, 0xb102e308, v25 :: v_dual_add_f32 v19, v19, v22
	s_delay_alu instid0(VALU_DEP_1) | instskip(NEXT) | instid1(VALU_DEP_2)
	v_add_f32_e32 v22, v26, v18
	v_add_f32_e32 v24, v23, v19
	s_delay_alu instid0(VALU_DEP_2) | instskip(NEXT) | instid1(VALU_DEP_2)
	v_sub_f32_e32 v26, v22, v26
	v_add_f32_e32 v25, v22, v24
	s_delay_alu instid0(VALU_DEP_2) | instskip(NEXT) | instid1(VALU_DEP_2)
	v_dual_sub_f32 v23, v24, v23 :: v_dual_sub_f32 v18, v18, v26
	v_sub_f32_e32 v27, v25, v22
	s_delay_alu instid0(VALU_DEP_2) | instskip(NEXT) | instid1(VALU_DEP_2)
	v_sub_f32_e32 v19, v19, v23
	v_sub_f32_e32 v28, v25, v27
	;; [unrolled: 1-line block ×3, first 2 shown]
	s_delay_alu instid0(VALU_DEP_3) | instskip(NEXT) | instid1(VALU_DEP_3)
	v_add_f32_e32 v24, v18, v19
	v_sub_f32_e32 v22, v22, v28
	s_delay_alu instid0(VALU_DEP_1) | instskip(NEXT) | instid1(VALU_DEP_3)
	v_add_f32_e32 v22, v23, v22
	v_sub_f32_e32 v23, v24, v18
	s_delay_alu instid0(VALU_DEP_2) | instskip(NEXT) | instid1(VALU_DEP_2)
	v_add_f32_e32 v22, v24, v22
	v_sub_f32_e32 v24, v24, v23
	s_delay_alu instid0(VALU_DEP_1) | instskip(NEXT) | instid1(VALU_DEP_1)
	v_dual_sub_f32 v19, v19, v23 :: v_dual_sub_f32 v18, v18, v24
	v_add_f32_e32 v18, v19, v18
	s_delay_alu instid0(VALU_DEP_4) | instskip(NEXT) | instid1(VALU_DEP_1)
	v_add_f32_e32 v26, v25, v22
	v_sub_f32_e32 v23, v26, v25
	s_delay_alu instid0(VALU_DEP_1) | instskip(NEXT) | instid1(VALU_DEP_1)
	v_sub_f32_e32 v19, v22, v23
	v_add_f32_e32 v18, v18, v19
	s_delay_alu instid0(VALU_DEP_1) | instskip(SKIP_1) | instid1(VALU_DEP_1)
	v_add_f32_e32 v18, v26, v18
	s_wait_alu 0xf1ff
	v_cndmask_b32_e64 v18, 0x7f800000, v18, s0
	v_cmp_gt_f32_e64 s0, 0x33800000, |v21|
	s_wait_alu 0xf1ff
	s_delay_alu instid0(VALU_DEP_1) | instskip(NEXT) | instid1(VALU_DEP_1)
	v_cndmask_b32_e64 v18, v18, v21, s0
	v_add_f32_e32 v18, v20, v18
	s_delay_alu instid0(VALU_DEP_1) | instskip(NEXT) | instid1(VALU_DEP_1)
	v_cvt_f16_f32_e32 v18, v18
	v_cvt_f32_f16_e32 v19, v18
.LBB392_87:
	s_wait_alu 0xfffe
	s_or_b32 exec_lo, exec_lo, s1
	ds_load_u16 v20, v17 offset:6
	v_max_num_f32_e32 v21, v19, v19
	v_cmp_u_f16_e64 s0, v18, v18
	ds_store_b16 v17, v18 offset:4
	s_wait_dscnt 0x1
	v_cvt_f32_f16_e32 v22, v20
	s_delay_alu instid0(VALU_DEP_1) | instskip(SKIP_2) | instid1(VALU_DEP_2)
	v_min_num_f32_e32 v23, v21, v22
	v_max_num_f32_e32 v21, v21, v22
	s_wait_alu 0xf1ff
	v_cndmask_b32_e64 v23, v23, v19, s0
	s_delay_alu instid0(VALU_DEP_2) | instskip(SKIP_2) | instid1(VALU_DEP_1)
	v_cndmask_b32_e64 v24, v21, v19, s0
	v_cmp_u_f16_e64 s0, v20, v20
	s_wait_alu 0xf1ff
	v_cndmask_b32_e64 v21, v23, v22, s0
	s_delay_alu instid0(VALU_DEP_3) | instskip(NEXT) | instid1(VALU_DEP_2)
	v_cndmask_b32_e64 v20, v24, v22, s0
	v_cmp_class_f32_e64 s1, v21, 0x1f8
	s_delay_alu instid0(VALU_DEP_2)
	v_cmp_neq_f32_e64 s0, v21, v20
	s_or_b32 s0, s0, s1
	s_wait_alu 0xfffe
	s_and_saveexec_b32 s1, s0
	s_cbranch_execz .LBB392_89
; %bb.88:
	v_sub_f32_e32 v18, v21, v20
	s_delay_alu instid0(VALU_DEP_1) | instskip(NEXT) | instid1(VALU_DEP_1)
	v_mul_f32_e32 v19, 0x3fb8aa3b, v18
	v_fma_f32 v21, 0x3fb8aa3b, v18, -v19
	v_rndne_f32_e32 v22, v19
	s_delay_alu instid0(VALU_DEP_1) | instskip(NEXT) | instid1(VALU_DEP_3)
	v_sub_f32_e32 v19, v19, v22
	v_fmamk_f32 v21, v18, 0x32a5705f, v21
	v_cmp_ngt_f32_e64 s0, 0xc2ce8ed0, v18
	s_delay_alu instid0(VALU_DEP_2) | instskip(SKIP_1) | instid1(VALU_DEP_2)
	v_add_f32_e32 v19, v19, v21
	v_cvt_i32_f32_e32 v21, v22
	v_exp_f32_e32 v19, v19
	s_delay_alu instid0(TRANS32_DEP_1) | instskip(SKIP_1) | instid1(VALU_DEP_1)
	v_ldexp_f32 v19, v19, v21
	s_wait_alu 0xf1ff
	v_cndmask_b32_e64 v19, 0, v19, s0
	v_cmp_nlt_f32_e64 s0, 0x42b17218, v18
	s_wait_alu 0xf1ff
	s_delay_alu instid0(VALU_DEP_1) | instskip(NEXT) | instid1(VALU_DEP_1)
	v_cndmask_b32_e64 v21, 0x7f800000, v19, s0
	v_add_f32_e32 v22, 1.0, v21
	s_delay_alu instid0(VALU_DEP_1) | instskip(NEXT) | instid1(VALU_DEP_1)
	v_cvt_f64_f32_e32 v[18:19], v22
	v_frexp_exp_i32_f64_e32 v18, v[18:19]
	v_frexp_mant_f32_e32 v19, v22
	s_delay_alu instid0(VALU_DEP_1) | instskip(SKIP_1) | instid1(VALU_DEP_1)
	v_cmp_gt_f32_e64 s0, 0x3f2aaaab, v19
	v_add_f32_e32 v19, -1.0, v22
	v_sub_f32_e32 v24, v19, v22
	s_delay_alu instid0(VALU_DEP_1)
	v_add_f32_e32 v24, 1.0, v24
	s_wait_alu 0xf1ff
	v_subrev_co_ci_u32_e64 v18, null, 0, v18, s0
	s_mov_b32 s0, 0x3e9b6dac
	v_sub_nc_u32_e32 v23, 0, v18
	v_cvt_f32_i32_e32 v18, v18
	s_delay_alu instid0(VALU_DEP_2) | instskip(SKIP_1) | instid1(VALU_DEP_1)
	v_ldexp_f32 v22, v22, v23
	v_sub_f32_e32 v19, v21, v19
	v_add_f32_e32 v19, v19, v24
	s_delay_alu instid0(VALU_DEP_1) | instskip(NEXT) | instid1(VALU_DEP_4)
	v_ldexp_f32 v19, v19, v23
	v_add_f32_e32 v23, -1.0, v22
	s_delay_alu instid0(VALU_DEP_1) | instskip(NEXT) | instid1(VALU_DEP_1)
	v_dual_add_f32 v25, 1.0, v22 :: v_dual_add_f32 v26, 1.0, v23
	v_add_f32_e32 v24, -1.0, v25
	s_delay_alu instid0(VALU_DEP_1) | instskip(NEXT) | instid1(VALU_DEP_3)
	v_sub_f32_e32 v24, v22, v24
	v_sub_f32_e32 v22, v22, v26
	s_delay_alu instid0(VALU_DEP_2) | instskip(NEXT) | instid1(VALU_DEP_1)
	v_add_f32_e32 v24, v19, v24
	v_dual_add_f32 v19, v19, v22 :: v_dual_add_f32 v26, v25, v24
	s_delay_alu instid0(VALU_DEP_1) | instskip(SKIP_1) | instid1(VALU_DEP_1)
	v_rcp_f32_e32 v22, v26
	v_sub_f32_e32 v25, v25, v26
	v_dual_add_f32 v27, v23, v19 :: v_dual_add_f32 v24, v24, v25
	s_delay_alu instid0(VALU_DEP_1) | instskip(NEXT) | instid1(TRANS32_DEP_1)
	v_sub_f32_e32 v23, v23, v27
	v_mul_f32_e32 v28, v27, v22
	s_delay_alu instid0(VALU_DEP_2) | instskip(NEXT) | instid1(VALU_DEP_2)
	v_add_f32_e32 v19, v19, v23
	v_mul_f32_e32 v29, v26, v28
	s_delay_alu instid0(VALU_DEP_1) | instskip(NEXT) | instid1(VALU_DEP_1)
	v_fma_f32 v25, v28, v26, -v29
	v_fmac_f32_e32 v25, v28, v24
	s_delay_alu instid0(VALU_DEP_1) | instskip(NEXT) | instid1(VALU_DEP_1)
	v_add_f32_e32 v30, v29, v25
	v_sub_f32_e32 v31, v27, v30
	v_sub_f32_e32 v23, v30, v29
	s_delay_alu instid0(VALU_DEP_2) | instskip(NEXT) | instid1(VALU_DEP_2)
	v_sub_f32_e32 v27, v27, v31
	v_sub_f32_e32 v23, v23, v25
	s_delay_alu instid0(VALU_DEP_2) | instskip(NEXT) | instid1(VALU_DEP_1)
	v_sub_f32_e32 v27, v27, v30
	v_add_f32_e32 v19, v19, v27
	s_delay_alu instid0(VALU_DEP_1) | instskip(NEXT) | instid1(VALU_DEP_1)
	v_add_f32_e32 v19, v23, v19
	v_add_f32_e32 v23, v31, v19
	s_delay_alu instid0(VALU_DEP_1) | instskip(NEXT) | instid1(VALU_DEP_1)
	v_mul_f32_e32 v25, v22, v23
	v_mul_f32_e32 v27, v26, v25
	s_delay_alu instid0(VALU_DEP_1) | instskip(NEXT) | instid1(VALU_DEP_1)
	v_fma_f32 v26, v25, v26, -v27
	v_fmac_f32_e32 v26, v25, v24
	v_sub_f32_e32 v30, v31, v23
	s_delay_alu instid0(VALU_DEP_2) | instskip(NEXT) | instid1(VALU_DEP_2)
	v_add_f32_e32 v24, v27, v26
	v_add_f32_e32 v19, v19, v30
	s_delay_alu instid0(VALU_DEP_2) | instskip(SKIP_1) | instid1(VALU_DEP_2)
	v_sub_f32_e32 v29, v23, v24
	v_sub_f32_e32 v27, v24, v27
	;; [unrolled: 1-line block ×3, first 2 shown]
	s_delay_alu instid0(VALU_DEP_1) | instskip(NEXT) | instid1(VALU_DEP_3)
	v_sub_f32_e32 v23, v23, v24
	v_sub_f32_e32 v24, v27, v26
	s_delay_alu instid0(VALU_DEP_2) | instskip(SKIP_1) | instid1(VALU_DEP_1)
	v_add_f32_e32 v19, v19, v23
	v_add_f32_e32 v23, v28, v25
	v_dual_add_f32 v19, v24, v19 :: v_dual_sub_f32 v24, v23, v28
	s_delay_alu instid0(VALU_DEP_1) | instskip(NEXT) | instid1(VALU_DEP_1)
	v_add_f32_e32 v19, v29, v19
	v_dual_sub_f32 v24, v25, v24 :: v_dual_mul_f32 v19, v22, v19
	s_delay_alu instid0(VALU_DEP_1) | instskip(NEXT) | instid1(VALU_DEP_1)
	v_add_f32_e32 v19, v24, v19
	v_add_f32_e32 v22, v23, v19
	s_delay_alu instid0(VALU_DEP_1) | instskip(SKIP_1) | instid1(VALU_DEP_1)
	v_mul_f32_e32 v24, v22, v22
	s_wait_alu 0xfffe
	v_fmaak_f32 v25, s0, v24, 0x3ecc95a3
	v_mul_f32_e32 v26, v22, v24
	v_cmp_neq_f32_e64 s0, 0x7f800000, v21
	s_delay_alu instid0(VALU_DEP_3) | instskip(SKIP_2) | instid1(VALU_DEP_3)
	v_fmaak_f32 v24, v24, v25, 0x3f2aaada
	v_ldexp_f32 v25, v22, 1
	v_sub_f32_e32 v22, v22, v23
	v_mul_f32_e32 v24, v26, v24
	v_mul_f32_e32 v26, 0x3f317218, v18
	s_delay_alu instid0(VALU_DEP_3) | instskip(NEXT) | instid1(VALU_DEP_3)
	v_sub_f32_e32 v19, v19, v22
	v_add_f32_e32 v23, v25, v24
	s_delay_alu instid0(VALU_DEP_2) | instskip(NEXT) | instid1(VALU_DEP_2)
	v_ldexp_f32 v19, v19, 1
	v_sub_f32_e32 v22, v23, v25
	v_fma_f32 v25, 0x3f317218, v18, -v26
	s_delay_alu instid0(VALU_DEP_2) | instskip(NEXT) | instid1(VALU_DEP_1)
	v_sub_f32_e32 v22, v24, v22
	v_dual_fmamk_f32 v18, v18, 0xb102e308, v25 :: v_dual_add_f32 v19, v19, v22
	s_delay_alu instid0(VALU_DEP_1) | instskip(NEXT) | instid1(VALU_DEP_2)
	v_add_f32_e32 v22, v26, v18
	v_add_f32_e32 v24, v23, v19
	s_delay_alu instid0(VALU_DEP_2) | instskip(NEXT) | instid1(VALU_DEP_2)
	v_sub_f32_e32 v26, v22, v26
	v_add_f32_e32 v25, v22, v24
	s_delay_alu instid0(VALU_DEP_2) | instskip(NEXT) | instid1(VALU_DEP_2)
	v_dual_sub_f32 v23, v24, v23 :: v_dual_sub_f32 v18, v18, v26
	v_sub_f32_e32 v27, v25, v22
	s_delay_alu instid0(VALU_DEP_2) | instskip(NEXT) | instid1(VALU_DEP_2)
	v_sub_f32_e32 v19, v19, v23
	v_sub_f32_e32 v28, v25, v27
	;; [unrolled: 1-line block ×3, first 2 shown]
	s_delay_alu instid0(VALU_DEP_3) | instskip(NEXT) | instid1(VALU_DEP_3)
	v_add_f32_e32 v24, v18, v19
	v_sub_f32_e32 v22, v22, v28
	s_delay_alu instid0(VALU_DEP_1) | instskip(NEXT) | instid1(VALU_DEP_3)
	v_add_f32_e32 v22, v23, v22
	v_sub_f32_e32 v23, v24, v18
	s_delay_alu instid0(VALU_DEP_2) | instskip(NEXT) | instid1(VALU_DEP_2)
	v_add_f32_e32 v22, v24, v22
	v_sub_f32_e32 v24, v24, v23
	s_delay_alu instid0(VALU_DEP_1) | instskip(NEXT) | instid1(VALU_DEP_1)
	v_dual_sub_f32 v19, v19, v23 :: v_dual_sub_f32 v18, v18, v24
	v_add_f32_e32 v18, v19, v18
	s_delay_alu instid0(VALU_DEP_4) | instskip(NEXT) | instid1(VALU_DEP_1)
	v_add_f32_e32 v26, v25, v22
	v_sub_f32_e32 v23, v26, v25
	s_delay_alu instid0(VALU_DEP_1) | instskip(NEXT) | instid1(VALU_DEP_1)
	v_sub_f32_e32 v19, v22, v23
	v_add_f32_e32 v18, v18, v19
	s_delay_alu instid0(VALU_DEP_1) | instskip(SKIP_1) | instid1(VALU_DEP_1)
	v_add_f32_e32 v18, v26, v18
	s_wait_alu 0xf1ff
	v_cndmask_b32_e64 v18, 0x7f800000, v18, s0
	v_cmp_gt_f32_e64 s0, 0x33800000, |v21|
	s_wait_alu 0xf1ff
	s_delay_alu instid0(VALU_DEP_1) | instskip(NEXT) | instid1(VALU_DEP_1)
	v_cndmask_b32_e64 v18, v18, v21, s0
	v_add_f32_e32 v18, v20, v18
	s_delay_alu instid0(VALU_DEP_1) | instskip(NEXT) | instid1(VALU_DEP_1)
	v_cvt_f16_f32_e32 v18, v18
	v_cvt_f32_f16_e32 v19, v18
.LBB392_89:
	s_wait_alu 0xfffe
	s_or_b32 exec_lo, exec_lo, s1
	ds_load_u16 v20, v17 offset:8
	v_max_num_f32_e32 v21, v19, v19
	v_cmp_u_f16_e64 s0, v18, v18
	ds_store_b16 v17, v18 offset:6
	s_wait_dscnt 0x1
	v_cvt_f32_f16_e32 v22, v20
	s_delay_alu instid0(VALU_DEP_1) | instskip(SKIP_2) | instid1(VALU_DEP_2)
	v_min_num_f32_e32 v23, v21, v22
	v_max_num_f32_e32 v21, v21, v22
	s_wait_alu 0xf1ff
	v_cndmask_b32_e64 v23, v23, v19, s0
	s_delay_alu instid0(VALU_DEP_2) | instskip(SKIP_2) | instid1(VALU_DEP_1)
	v_cndmask_b32_e64 v24, v21, v19, s0
	v_cmp_u_f16_e64 s0, v20, v20
	s_wait_alu 0xf1ff
	v_cndmask_b32_e64 v21, v23, v22, s0
	s_delay_alu instid0(VALU_DEP_3) | instskip(NEXT) | instid1(VALU_DEP_2)
	v_cndmask_b32_e64 v20, v24, v22, s0
	v_cmp_class_f32_e64 s1, v21, 0x1f8
	s_delay_alu instid0(VALU_DEP_2)
	v_cmp_neq_f32_e64 s0, v21, v20
	s_or_b32 s0, s0, s1
	s_wait_alu 0xfffe
	s_and_saveexec_b32 s1, s0
	s_cbranch_execz .LBB392_91
; %bb.90:
	v_sub_f32_e32 v18, v21, v20
	s_delay_alu instid0(VALU_DEP_1) | instskip(NEXT) | instid1(VALU_DEP_1)
	v_mul_f32_e32 v19, 0x3fb8aa3b, v18
	v_fma_f32 v21, 0x3fb8aa3b, v18, -v19
	v_rndne_f32_e32 v22, v19
	s_delay_alu instid0(VALU_DEP_1) | instskip(NEXT) | instid1(VALU_DEP_3)
	v_sub_f32_e32 v19, v19, v22
	v_fmamk_f32 v21, v18, 0x32a5705f, v21
	v_cmp_ngt_f32_e64 s0, 0xc2ce8ed0, v18
	s_delay_alu instid0(VALU_DEP_2) | instskip(SKIP_1) | instid1(VALU_DEP_2)
	v_add_f32_e32 v19, v19, v21
	v_cvt_i32_f32_e32 v21, v22
	v_exp_f32_e32 v19, v19
	s_delay_alu instid0(TRANS32_DEP_1) | instskip(SKIP_1) | instid1(VALU_DEP_1)
	v_ldexp_f32 v19, v19, v21
	s_wait_alu 0xf1ff
	v_cndmask_b32_e64 v19, 0, v19, s0
	v_cmp_nlt_f32_e64 s0, 0x42b17218, v18
	s_wait_alu 0xf1ff
	s_delay_alu instid0(VALU_DEP_1) | instskip(NEXT) | instid1(VALU_DEP_1)
	v_cndmask_b32_e64 v21, 0x7f800000, v19, s0
	v_add_f32_e32 v22, 1.0, v21
	s_delay_alu instid0(VALU_DEP_1) | instskip(NEXT) | instid1(VALU_DEP_1)
	v_cvt_f64_f32_e32 v[18:19], v22
	v_frexp_exp_i32_f64_e32 v18, v[18:19]
	v_frexp_mant_f32_e32 v19, v22
	s_delay_alu instid0(VALU_DEP_1) | instskip(SKIP_1) | instid1(VALU_DEP_1)
	v_cmp_gt_f32_e64 s0, 0x3f2aaaab, v19
	v_add_f32_e32 v19, -1.0, v22
	v_sub_f32_e32 v24, v19, v22
	s_delay_alu instid0(VALU_DEP_1)
	v_add_f32_e32 v24, 1.0, v24
	s_wait_alu 0xf1ff
	v_subrev_co_ci_u32_e64 v18, null, 0, v18, s0
	s_mov_b32 s0, 0x3e9b6dac
	v_sub_nc_u32_e32 v23, 0, v18
	v_cvt_f32_i32_e32 v18, v18
	s_delay_alu instid0(VALU_DEP_2) | instskip(SKIP_1) | instid1(VALU_DEP_1)
	v_ldexp_f32 v22, v22, v23
	v_sub_f32_e32 v19, v21, v19
	v_add_f32_e32 v19, v19, v24
	s_delay_alu instid0(VALU_DEP_1) | instskip(NEXT) | instid1(VALU_DEP_4)
	v_ldexp_f32 v19, v19, v23
	v_add_f32_e32 v23, -1.0, v22
	s_delay_alu instid0(VALU_DEP_1) | instskip(NEXT) | instid1(VALU_DEP_1)
	v_dual_add_f32 v25, 1.0, v22 :: v_dual_add_f32 v26, 1.0, v23
	v_add_f32_e32 v24, -1.0, v25
	s_delay_alu instid0(VALU_DEP_1) | instskip(NEXT) | instid1(VALU_DEP_3)
	v_sub_f32_e32 v24, v22, v24
	v_sub_f32_e32 v22, v22, v26
	s_delay_alu instid0(VALU_DEP_2) | instskip(NEXT) | instid1(VALU_DEP_1)
	v_add_f32_e32 v24, v19, v24
	v_dual_add_f32 v19, v19, v22 :: v_dual_add_f32 v26, v25, v24
	s_delay_alu instid0(VALU_DEP_1) | instskip(SKIP_1) | instid1(VALU_DEP_1)
	v_rcp_f32_e32 v22, v26
	v_sub_f32_e32 v25, v25, v26
	v_dual_add_f32 v27, v23, v19 :: v_dual_add_f32 v24, v24, v25
	s_delay_alu instid0(VALU_DEP_1) | instskip(NEXT) | instid1(TRANS32_DEP_1)
	v_sub_f32_e32 v23, v23, v27
	v_mul_f32_e32 v28, v27, v22
	s_delay_alu instid0(VALU_DEP_2) | instskip(NEXT) | instid1(VALU_DEP_2)
	v_add_f32_e32 v19, v19, v23
	v_mul_f32_e32 v29, v26, v28
	s_delay_alu instid0(VALU_DEP_1) | instskip(NEXT) | instid1(VALU_DEP_1)
	v_fma_f32 v25, v28, v26, -v29
	v_fmac_f32_e32 v25, v28, v24
	s_delay_alu instid0(VALU_DEP_1) | instskip(NEXT) | instid1(VALU_DEP_1)
	v_add_f32_e32 v30, v29, v25
	v_sub_f32_e32 v31, v27, v30
	v_sub_f32_e32 v23, v30, v29
	s_delay_alu instid0(VALU_DEP_2) | instskip(NEXT) | instid1(VALU_DEP_2)
	v_sub_f32_e32 v27, v27, v31
	v_sub_f32_e32 v23, v23, v25
	s_delay_alu instid0(VALU_DEP_2) | instskip(NEXT) | instid1(VALU_DEP_1)
	v_sub_f32_e32 v27, v27, v30
	v_add_f32_e32 v19, v19, v27
	s_delay_alu instid0(VALU_DEP_1) | instskip(NEXT) | instid1(VALU_DEP_1)
	v_add_f32_e32 v19, v23, v19
	v_add_f32_e32 v23, v31, v19
	s_delay_alu instid0(VALU_DEP_1) | instskip(NEXT) | instid1(VALU_DEP_1)
	v_mul_f32_e32 v25, v22, v23
	v_mul_f32_e32 v27, v26, v25
	s_delay_alu instid0(VALU_DEP_1) | instskip(NEXT) | instid1(VALU_DEP_1)
	v_fma_f32 v26, v25, v26, -v27
	v_fmac_f32_e32 v26, v25, v24
	v_sub_f32_e32 v30, v31, v23
	s_delay_alu instid0(VALU_DEP_2) | instskip(NEXT) | instid1(VALU_DEP_2)
	v_add_f32_e32 v24, v27, v26
	v_add_f32_e32 v19, v19, v30
	s_delay_alu instid0(VALU_DEP_2) | instskip(SKIP_1) | instid1(VALU_DEP_2)
	v_sub_f32_e32 v29, v23, v24
	v_sub_f32_e32 v27, v24, v27
	;; [unrolled: 1-line block ×3, first 2 shown]
	s_delay_alu instid0(VALU_DEP_1) | instskip(NEXT) | instid1(VALU_DEP_3)
	v_sub_f32_e32 v23, v23, v24
	v_sub_f32_e32 v24, v27, v26
	s_delay_alu instid0(VALU_DEP_2) | instskip(SKIP_1) | instid1(VALU_DEP_1)
	v_add_f32_e32 v19, v19, v23
	v_add_f32_e32 v23, v28, v25
	v_dual_add_f32 v19, v24, v19 :: v_dual_sub_f32 v24, v23, v28
	s_delay_alu instid0(VALU_DEP_1) | instskip(NEXT) | instid1(VALU_DEP_1)
	v_add_f32_e32 v19, v29, v19
	v_dual_sub_f32 v24, v25, v24 :: v_dual_mul_f32 v19, v22, v19
	s_delay_alu instid0(VALU_DEP_1) | instskip(NEXT) | instid1(VALU_DEP_1)
	v_add_f32_e32 v19, v24, v19
	v_add_f32_e32 v22, v23, v19
	s_delay_alu instid0(VALU_DEP_1) | instskip(SKIP_1) | instid1(VALU_DEP_1)
	v_mul_f32_e32 v24, v22, v22
	s_wait_alu 0xfffe
	v_fmaak_f32 v25, s0, v24, 0x3ecc95a3
	v_mul_f32_e32 v26, v22, v24
	v_cmp_neq_f32_e64 s0, 0x7f800000, v21
	s_delay_alu instid0(VALU_DEP_3) | instskip(SKIP_2) | instid1(VALU_DEP_3)
	v_fmaak_f32 v24, v24, v25, 0x3f2aaada
	v_ldexp_f32 v25, v22, 1
	v_sub_f32_e32 v22, v22, v23
	v_mul_f32_e32 v24, v26, v24
	v_mul_f32_e32 v26, 0x3f317218, v18
	s_delay_alu instid0(VALU_DEP_3) | instskip(NEXT) | instid1(VALU_DEP_3)
	v_sub_f32_e32 v19, v19, v22
	v_add_f32_e32 v23, v25, v24
	s_delay_alu instid0(VALU_DEP_2) | instskip(NEXT) | instid1(VALU_DEP_2)
	v_ldexp_f32 v19, v19, 1
	v_sub_f32_e32 v22, v23, v25
	v_fma_f32 v25, 0x3f317218, v18, -v26
	s_delay_alu instid0(VALU_DEP_2) | instskip(NEXT) | instid1(VALU_DEP_1)
	v_sub_f32_e32 v22, v24, v22
	v_dual_fmamk_f32 v18, v18, 0xb102e308, v25 :: v_dual_add_f32 v19, v19, v22
	s_delay_alu instid0(VALU_DEP_1) | instskip(NEXT) | instid1(VALU_DEP_2)
	v_add_f32_e32 v22, v26, v18
	v_add_f32_e32 v24, v23, v19
	s_delay_alu instid0(VALU_DEP_2) | instskip(NEXT) | instid1(VALU_DEP_2)
	v_sub_f32_e32 v26, v22, v26
	v_add_f32_e32 v25, v22, v24
	s_delay_alu instid0(VALU_DEP_2) | instskip(NEXT) | instid1(VALU_DEP_2)
	v_dual_sub_f32 v23, v24, v23 :: v_dual_sub_f32 v18, v18, v26
	v_sub_f32_e32 v27, v25, v22
	s_delay_alu instid0(VALU_DEP_2) | instskip(NEXT) | instid1(VALU_DEP_2)
	v_sub_f32_e32 v19, v19, v23
	v_sub_f32_e32 v28, v25, v27
	;; [unrolled: 1-line block ×3, first 2 shown]
	s_delay_alu instid0(VALU_DEP_3) | instskip(NEXT) | instid1(VALU_DEP_3)
	v_add_f32_e32 v24, v18, v19
	v_sub_f32_e32 v22, v22, v28
	s_delay_alu instid0(VALU_DEP_1) | instskip(NEXT) | instid1(VALU_DEP_3)
	v_add_f32_e32 v22, v23, v22
	v_sub_f32_e32 v23, v24, v18
	s_delay_alu instid0(VALU_DEP_2) | instskip(NEXT) | instid1(VALU_DEP_2)
	v_add_f32_e32 v22, v24, v22
	v_sub_f32_e32 v24, v24, v23
	s_delay_alu instid0(VALU_DEP_1) | instskip(NEXT) | instid1(VALU_DEP_1)
	v_dual_sub_f32 v19, v19, v23 :: v_dual_sub_f32 v18, v18, v24
	v_add_f32_e32 v18, v19, v18
	s_delay_alu instid0(VALU_DEP_4) | instskip(NEXT) | instid1(VALU_DEP_1)
	v_add_f32_e32 v26, v25, v22
	v_sub_f32_e32 v23, v26, v25
	s_delay_alu instid0(VALU_DEP_1) | instskip(NEXT) | instid1(VALU_DEP_1)
	v_sub_f32_e32 v19, v22, v23
	v_add_f32_e32 v18, v18, v19
	s_delay_alu instid0(VALU_DEP_1) | instskip(SKIP_1) | instid1(VALU_DEP_1)
	v_add_f32_e32 v18, v26, v18
	s_wait_alu 0xf1ff
	v_cndmask_b32_e64 v18, 0x7f800000, v18, s0
	v_cmp_gt_f32_e64 s0, 0x33800000, |v21|
	s_wait_alu 0xf1ff
	s_delay_alu instid0(VALU_DEP_1) | instskip(NEXT) | instid1(VALU_DEP_1)
	v_cndmask_b32_e64 v18, v18, v21, s0
	v_add_f32_e32 v18, v20, v18
	s_delay_alu instid0(VALU_DEP_1) | instskip(NEXT) | instid1(VALU_DEP_1)
	v_cvt_f16_f32_e32 v18, v18
	v_cvt_f32_f16_e32 v19, v18
.LBB392_91:
	s_wait_alu 0xfffe
	s_or_b32 exec_lo, exec_lo, s1
	ds_load_u16 v20, v17 offset:10
	v_max_num_f32_e32 v21, v19, v19
	v_cmp_u_f16_e64 s0, v18, v18
	ds_store_b16 v17, v18 offset:8
	s_wait_dscnt 0x1
	v_cvt_f32_f16_e32 v22, v20
	s_delay_alu instid0(VALU_DEP_1) | instskip(SKIP_2) | instid1(VALU_DEP_2)
	v_min_num_f32_e32 v23, v21, v22
	v_max_num_f32_e32 v21, v21, v22
	s_wait_alu 0xf1ff
	v_cndmask_b32_e64 v23, v23, v19, s0
	s_delay_alu instid0(VALU_DEP_2) | instskip(SKIP_2) | instid1(VALU_DEP_1)
	v_cndmask_b32_e64 v24, v21, v19, s0
	v_cmp_u_f16_e64 s0, v20, v20
	s_wait_alu 0xf1ff
	v_cndmask_b32_e64 v21, v23, v22, s0
	s_delay_alu instid0(VALU_DEP_3) | instskip(NEXT) | instid1(VALU_DEP_2)
	v_cndmask_b32_e64 v20, v24, v22, s0
	v_cmp_class_f32_e64 s1, v21, 0x1f8
	s_delay_alu instid0(VALU_DEP_2)
	v_cmp_neq_f32_e64 s0, v21, v20
	s_or_b32 s0, s0, s1
	s_wait_alu 0xfffe
	s_and_saveexec_b32 s1, s0
	s_cbranch_execz .LBB392_93
; %bb.92:
	v_sub_f32_e32 v18, v21, v20
	s_delay_alu instid0(VALU_DEP_1) | instskip(NEXT) | instid1(VALU_DEP_1)
	v_mul_f32_e32 v19, 0x3fb8aa3b, v18
	v_fma_f32 v21, 0x3fb8aa3b, v18, -v19
	v_rndne_f32_e32 v22, v19
	s_delay_alu instid0(VALU_DEP_1) | instskip(NEXT) | instid1(VALU_DEP_3)
	v_sub_f32_e32 v19, v19, v22
	v_fmamk_f32 v21, v18, 0x32a5705f, v21
	v_cmp_ngt_f32_e64 s0, 0xc2ce8ed0, v18
	s_delay_alu instid0(VALU_DEP_2) | instskip(SKIP_1) | instid1(VALU_DEP_2)
	v_add_f32_e32 v19, v19, v21
	v_cvt_i32_f32_e32 v21, v22
	v_exp_f32_e32 v19, v19
	s_delay_alu instid0(TRANS32_DEP_1) | instskip(SKIP_1) | instid1(VALU_DEP_1)
	v_ldexp_f32 v19, v19, v21
	s_wait_alu 0xf1ff
	v_cndmask_b32_e64 v19, 0, v19, s0
	v_cmp_nlt_f32_e64 s0, 0x42b17218, v18
	s_wait_alu 0xf1ff
	s_delay_alu instid0(VALU_DEP_1) | instskip(NEXT) | instid1(VALU_DEP_1)
	v_cndmask_b32_e64 v21, 0x7f800000, v19, s0
	v_add_f32_e32 v22, 1.0, v21
	s_delay_alu instid0(VALU_DEP_1) | instskip(NEXT) | instid1(VALU_DEP_1)
	v_cvt_f64_f32_e32 v[18:19], v22
	v_frexp_exp_i32_f64_e32 v18, v[18:19]
	v_frexp_mant_f32_e32 v19, v22
	s_delay_alu instid0(VALU_DEP_1) | instskip(SKIP_1) | instid1(VALU_DEP_1)
	v_cmp_gt_f32_e64 s0, 0x3f2aaaab, v19
	v_add_f32_e32 v19, -1.0, v22
	v_sub_f32_e32 v24, v19, v22
	s_delay_alu instid0(VALU_DEP_1)
	v_add_f32_e32 v24, 1.0, v24
	s_wait_alu 0xf1ff
	v_subrev_co_ci_u32_e64 v18, null, 0, v18, s0
	s_mov_b32 s0, 0x3e9b6dac
	v_sub_nc_u32_e32 v23, 0, v18
	v_cvt_f32_i32_e32 v18, v18
	s_delay_alu instid0(VALU_DEP_2) | instskip(SKIP_1) | instid1(VALU_DEP_1)
	v_ldexp_f32 v22, v22, v23
	v_sub_f32_e32 v19, v21, v19
	v_add_f32_e32 v19, v19, v24
	s_delay_alu instid0(VALU_DEP_1) | instskip(NEXT) | instid1(VALU_DEP_4)
	v_ldexp_f32 v19, v19, v23
	v_add_f32_e32 v23, -1.0, v22
	s_delay_alu instid0(VALU_DEP_1) | instskip(NEXT) | instid1(VALU_DEP_1)
	v_dual_add_f32 v25, 1.0, v22 :: v_dual_add_f32 v26, 1.0, v23
	v_add_f32_e32 v24, -1.0, v25
	s_delay_alu instid0(VALU_DEP_1) | instskip(NEXT) | instid1(VALU_DEP_3)
	v_sub_f32_e32 v24, v22, v24
	v_sub_f32_e32 v22, v22, v26
	s_delay_alu instid0(VALU_DEP_2) | instskip(NEXT) | instid1(VALU_DEP_1)
	v_add_f32_e32 v24, v19, v24
	v_dual_add_f32 v19, v19, v22 :: v_dual_add_f32 v26, v25, v24
	s_delay_alu instid0(VALU_DEP_1) | instskip(SKIP_1) | instid1(VALU_DEP_1)
	v_rcp_f32_e32 v22, v26
	v_sub_f32_e32 v25, v25, v26
	v_dual_add_f32 v27, v23, v19 :: v_dual_add_f32 v24, v24, v25
	s_delay_alu instid0(VALU_DEP_1) | instskip(NEXT) | instid1(TRANS32_DEP_1)
	v_sub_f32_e32 v23, v23, v27
	v_mul_f32_e32 v28, v27, v22
	s_delay_alu instid0(VALU_DEP_2) | instskip(NEXT) | instid1(VALU_DEP_2)
	v_add_f32_e32 v19, v19, v23
	v_mul_f32_e32 v29, v26, v28
	s_delay_alu instid0(VALU_DEP_1) | instskip(NEXT) | instid1(VALU_DEP_1)
	v_fma_f32 v25, v28, v26, -v29
	v_fmac_f32_e32 v25, v28, v24
	s_delay_alu instid0(VALU_DEP_1) | instskip(NEXT) | instid1(VALU_DEP_1)
	v_add_f32_e32 v30, v29, v25
	v_sub_f32_e32 v31, v27, v30
	v_sub_f32_e32 v23, v30, v29
	s_delay_alu instid0(VALU_DEP_2) | instskip(NEXT) | instid1(VALU_DEP_2)
	v_sub_f32_e32 v27, v27, v31
	v_sub_f32_e32 v23, v23, v25
	s_delay_alu instid0(VALU_DEP_2) | instskip(NEXT) | instid1(VALU_DEP_1)
	v_sub_f32_e32 v27, v27, v30
	v_add_f32_e32 v19, v19, v27
	s_delay_alu instid0(VALU_DEP_1) | instskip(NEXT) | instid1(VALU_DEP_1)
	v_add_f32_e32 v19, v23, v19
	v_add_f32_e32 v23, v31, v19
	s_delay_alu instid0(VALU_DEP_1) | instskip(NEXT) | instid1(VALU_DEP_1)
	v_mul_f32_e32 v25, v22, v23
	v_mul_f32_e32 v27, v26, v25
	s_delay_alu instid0(VALU_DEP_1) | instskip(NEXT) | instid1(VALU_DEP_1)
	v_fma_f32 v26, v25, v26, -v27
	v_fmac_f32_e32 v26, v25, v24
	v_sub_f32_e32 v30, v31, v23
	s_delay_alu instid0(VALU_DEP_2) | instskip(NEXT) | instid1(VALU_DEP_2)
	v_add_f32_e32 v24, v27, v26
	v_add_f32_e32 v19, v19, v30
	s_delay_alu instid0(VALU_DEP_2) | instskip(SKIP_1) | instid1(VALU_DEP_2)
	v_sub_f32_e32 v29, v23, v24
	v_sub_f32_e32 v27, v24, v27
	;; [unrolled: 1-line block ×3, first 2 shown]
	s_delay_alu instid0(VALU_DEP_1) | instskip(NEXT) | instid1(VALU_DEP_3)
	v_sub_f32_e32 v23, v23, v24
	v_sub_f32_e32 v24, v27, v26
	s_delay_alu instid0(VALU_DEP_2) | instskip(SKIP_1) | instid1(VALU_DEP_1)
	v_add_f32_e32 v19, v19, v23
	v_add_f32_e32 v23, v28, v25
	v_dual_add_f32 v19, v24, v19 :: v_dual_sub_f32 v24, v23, v28
	s_delay_alu instid0(VALU_DEP_1) | instskip(NEXT) | instid1(VALU_DEP_1)
	v_add_f32_e32 v19, v29, v19
	v_dual_sub_f32 v24, v25, v24 :: v_dual_mul_f32 v19, v22, v19
	s_delay_alu instid0(VALU_DEP_1) | instskip(NEXT) | instid1(VALU_DEP_1)
	v_add_f32_e32 v19, v24, v19
	v_add_f32_e32 v22, v23, v19
	s_delay_alu instid0(VALU_DEP_1) | instskip(SKIP_1) | instid1(VALU_DEP_1)
	v_mul_f32_e32 v24, v22, v22
	s_wait_alu 0xfffe
	v_fmaak_f32 v25, s0, v24, 0x3ecc95a3
	v_mul_f32_e32 v26, v22, v24
	v_cmp_neq_f32_e64 s0, 0x7f800000, v21
	s_delay_alu instid0(VALU_DEP_3) | instskip(SKIP_2) | instid1(VALU_DEP_3)
	v_fmaak_f32 v24, v24, v25, 0x3f2aaada
	v_ldexp_f32 v25, v22, 1
	v_sub_f32_e32 v22, v22, v23
	v_mul_f32_e32 v24, v26, v24
	v_mul_f32_e32 v26, 0x3f317218, v18
	s_delay_alu instid0(VALU_DEP_3) | instskip(NEXT) | instid1(VALU_DEP_3)
	v_sub_f32_e32 v19, v19, v22
	v_add_f32_e32 v23, v25, v24
	s_delay_alu instid0(VALU_DEP_2) | instskip(NEXT) | instid1(VALU_DEP_2)
	v_ldexp_f32 v19, v19, 1
	v_sub_f32_e32 v22, v23, v25
	v_fma_f32 v25, 0x3f317218, v18, -v26
	s_delay_alu instid0(VALU_DEP_2) | instskip(NEXT) | instid1(VALU_DEP_1)
	v_sub_f32_e32 v22, v24, v22
	v_dual_fmamk_f32 v18, v18, 0xb102e308, v25 :: v_dual_add_f32 v19, v19, v22
	s_delay_alu instid0(VALU_DEP_1) | instskip(NEXT) | instid1(VALU_DEP_2)
	v_add_f32_e32 v22, v26, v18
	v_add_f32_e32 v24, v23, v19
	s_delay_alu instid0(VALU_DEP_2) | instskip(NEXT) | instid1(VALU_DEP_2)
	v_sub_f32_e32 v26, v22, v26
	v_add_f32_e32 v25, v22, v24
	s_delay_alu instid0(VALU_DEP_2) | instskip(NEXT) | instid1(VALU_DEP_2)
	v_dual_sub_f32 v23, v24, v23 :: v_dual_sub_f32 v18, v18, v26
	v_sub_f32_e32 v27, v25, v22
	s_delay_alu instid0(VALU_DEP_2) | instskip(NEXT) | instid1(VALU_DEP_2)
	v_sub_f32_e32 v19, v19, v23
	v_sub_f32_e32 v28, v25, v27
	;; [unrolled: 1-line block ×3, first 2 shown]
	s_delay_alu instid0(VALU_DEP_3) | instskip(NEXT) | instid1(VALU_DEP_3)
	v_add_f32_e32 v24, v18, v19
	v_sub_f32_e32 v22, v22, v28
	s_delay_alu instid0(VALU_DEP_1) | instskip(NEXT) | instid1(VALU_DEP_3)
	v_add_f32_e32 v22, v23, v22
	v_sub_f32_e32 v23, v24, v18
	s_delay_alu instid0(VALU_DEP_2) | instskip(NEXT) | instid1(VALU_DEP_2)
	v_add_f32_e32 v22, v24, v22
	v_sub_f32_e32 v24, v24, v23
	s_delay_alu instid0(VALU_DEP_1) | instskip(NEXT) | instid1(VALU_DEP_1)
	v_dual_sub_f32 v19, v19, v23 :: v_dual_sub_f32 v18, v18, v24
	v_add_f32_e32 v18, v19, v18
	s_delay_alu instid0(VALU_DEP_4) | instskip(NEXT) | instid1(VALU_DEP_1)
	v_add_f32_e32 v26, v25, v22
	v_sub_f32_e32 v23, v26, v25
	s_delay_alu instid0(VALU_DEP_1) | instskip(NEXT) | instid1(VALU_DEP_1)
	v_sub_f32_e32 v19, v22, v23
	v_add_f32_e32 v18, v18, v19
	s_delay_alu instid0(VALU_DEP_1) | instskip(SKIP_1) | instid1(VALU_DEP_1)
	v_add_f32_e32 v18, v26, v18
	s_wait_alu 0xf1ff
	v_cndmask_b32_e64 v18, 0x7f800000, v18, s0
	v_cmp_gt_f32_e64 s0, 0x33800000, |v21|
	s_wait_alu 0xf1ff
	s_delay_alu instid0(VALU_DEP_1) | instskip(NEXT) | instid1(VALU_DEP_1)
	v_cndmask_b32_e64 v18, v18, v21, s0
	v_add_f32_e32 v18, v20, v18
	s_delay_alu instid0(VALU_DEP_1) | instskip(NEXT) | instid1(VALU_DEP_1)
	v_cvt_f16_f32_e32 v18, v18
	v_cvt_f32_f16_e32 v19, v18
.LBB392_93:
	s_wait_alu 0xfffe
	s_or_b32 exec_lo, exec_lo, s1
	ds_load_u16 v20, v17 offset:12
	v_max_num_f32_e32 v21, v19, v19
	v_cmp_u_f16_e64 s0, v18, v18
	ds_store_b16 v17, v18 offset:10
	s_wait_dscnt 0x1
	v_cvt_f32_f16_e32 v22, v20
	s_delay_alu instid0(VALU_DEP_1) | instskip(SKIP_2) | instid1(VALU_DEP_2)
	v_min_num_f32_e32 v23, v21, v22
	v_max_num_f32_e32 v21, v21, v22
	s_wait_alu 0xf1ff
	v_cndmask_b32_e64 v23, v23, v19, s0
	s_delay_alu instid0(VALU_DEP_2) | instskip(SKIP_2) | instid1(VALU_DEP_1)
	v_cndmask_b32_e64 v24, v21, v19, s0
	v_cmp_u_f16_e64 s0, v20, v20
	s_wait_alu 0xf1ff
	v_cndmask_b32_e64 v21, v23, v22, s0
	s_delay_alu instid0(VALU_DEP_3) | instskip(NEXT) | instid1(VALU_DEP_2)
	v_cndmask_b32_e64 v20, v24, v22, s0
	v_cmp_class_f32_e64 s1, v21, 0x1f8
	s_delay_alu instid0(VALU_DEP_2)
	v_cmp_neq_f32_e64 s0, v21, v20
	s_or_b32 s0, s0, s1
	s_wait_alu 0xfffe
	s_and_saveexec_b32 s1, s0
	s_cbranch_execz .LBB392_95
; %bb.94:
	v_sub_f32_e32 v18, v21, v20
	s_delay_alu instid0(VALU_DEP_1) | instskip(NEXT) | instid1(VALU_DEP_1)
	v_mul_f32_e32 v19, 0x3fb8aa3b, v18
	v_fma_f32 v21, 0x3fb8aa3b, v18, -v19
	v_rndne_f32_e32 v22, v19
	s_delay_alu instid0(VALU_DEP_1) | instskip(NEXT) | instid1(VALU_DEP_3)
	v_sub_f32_e32 v19, v19, v22
	v_fmamk_f32 v21, v18, 0x32a5705f, v21
	v_cmp_ngt_f32_e64 s0, 0xc2ce8ed0, v18
	s_delay_alu instid0(VALU_DEP_2) | instskip(SKIP_1) | instid1(VALU_DEP_2)
	v_add_f32_e32 v19, v19, v21
	v_cvt_i32_f32_e32 v21, v22
	v_exp_f32_e32 v19, v19
	s_delay_alu instid0(TRANS32_DEP_1) | instskip(SKIP_1) | instid1(VALU_DEP_1)
	v_ldexp_f32 v19, v19, v21
	s_wait_alu 0xf1ff
	v_cndmask_b32_e64 v19, 0, v19, s0
	v_cmp_nlt_f32_e64 s0, 0x42b17218, v18
	s_wait_alu 0xf1ff
	s_delay_alu instid0(VALU_DEP_1) | instskip(NEXT) | instid1(VALU_DEP_1)
	v_cndmask_b32_e64 v21, 0x7f800000, v19, s0
	v_add_f32_e32 v22, 1.0, v21
	s_delay_alu instid0(VALU_DEP_1) | instskip(NEXT) | instid1(VALU_DEP_1)
	v_cvt_f64_f32_e32 v[18:19], v22
	v_frexp_exp_i32_f64_e32 v18, v[18:19]
	v_frexp_mant_f32_e32 v19, v22
	s_delay_alu instid0(VALU_DEP_1) | instskip(SKIP_1) | instid1(VALU_DEP_1)
	v_cmp_gt_f32_e64 s0, 0x3f2aaaab, v19
	v_add_f32_e32 v19, -1.0, v22
	v_sub_f32_e32 v24, v19, v22
	s_delay_alu instid0(VALU_DEP_1)
	v_add_f32_e32 v24, 1.0, v24
	s_wait_alu 0xf1ff
	v_subrev_co_ci_u32_e64 v18, null, 0, v18, s0
	s_mov_b32 s0, 0x3e9b6dac
	v_sub_nc_u32_e32 v23, 0, v18
	v_cvt_f32_i32_e32 v18, v18
	s_delay_alu instid0(VALU_DEP_2) | instskip(SKIP_1) | instid1(VALU_DEP_1)
	v_ldexp_f32 v22, v22, v23
	v_sub_f32_e32 v19, v21, v19
	v_add_f32_e32 v19, v19, v24
	s_delay_alu instid0(VALU_DEP_1) | instskip(NEXT) | instid1(VALU_DEP_4)
	v_ldexp_f32 v19, v19, v23
	v_add_f32_e32 v23, -1.0, v22
	s_delay_alu instid0(VALU_DEP_1) | instskip(NEXT) | instid1(VALU_DEP_1)
	v_dual_add_f32 v25, 1.0, v22 :: v_dual_add_f32 v26, 1.0, v23
	v_add_f32_e32 v24, -1.0, v25
	s_delay_alu instid0(VALU_DEP_1) | instskip(NEXT) | instid1(VALU_DEP_3)
	v_sub_f32_e32 v24, v22, v24
	v_sub_f32_e32 v22, v22, v26
	s_delay_alu instid0(VALU_DEP_2) | instskip(NEXT) | instid1(VALU_DEP_1)
	v_add_f32_e32 v24, v19, v24
	v_dual_add_f32 v19, v19, v22 :: v_dual_add_f32 v26, v25, v24
	s_delay_alu instid0(VALU_DEP_1) | instskip(SKIP_1) | instid1(VALU_DEP_1)
	v_rcp_f32_e32 v22, v26
	v_sub_f32_e32 v25, v25, v26
	v_dual_add_f32 v27, v23, v19 :: v_dual_add_f32 v24, v24, v25
	s_delay_alu instid0(VALU_DEP_1) | instskip(NEXT) | instid1(TRANS32_DEP_1)
	v_sub_f32_e32 v23, v23, v27
	v_mul_f32_e32 v28, v27, v22
	s_delay_alu instid0(VALU_DEP_2) | instskip(NEXT) | instid1(VALU_DEP_2)
	v_add_f32_e32 v19, v19, v23
	v_mul_f32_e32 v29, v26, v28
	s_delay_alu instid0(VALU_DEP_1) | instskip(NEXT) | instid1(VALU_DEP_1)
	v_fma_f32 v25, v28, v26, -v29
	v_fmac_f32_e32 v25, v28, v24
	s_delay_alu instid0(VALU_DEP_1) | instskip(NEXT) | instid1(VALU_DEP_1)
	v_add_f32_e32 v30, v29, v25
	v_sub_f32_e32 v31, v27, v30
	v_sub_f32_e32 v23, v30, v29
	s_delay_alu instid0(VALU_DEP_2) | instskip(NEXT) | instid1(VALU_DEP_2)
	v_sub_f32_e32 v27, v27, v31
	v_sub_f32_e32 v23, v23, v25
	s_delay_alu instid0(VALU_DEP_2) | instskip(NEXT) | instid1(VALU_DEP_1)
	v_sub_f32_e32 v27, v27, v30
	v_add_f32_e32 v19, v19, v27
	s_delay_alu instid0(VALU_DEP_1) | instskip(NEXT) | instid1(VALU_DEP_1)
	v_add_f32_e32 v19, v23, v19
	v_add_f32_e32 v23, v31, v19
	s_delay_alu instid0(VALU_DEP_1) | instskip(NEXT) | instid1(VALU_DEP_1)
	v_mul_f32_e32 v25, v22, v23
	v_mul_f32_e32 v27, v26, v25
	s_delay_alu instid0(VALU_DEP_1) | instskip(NEXT) | instid1(VALU_DEP_1)
	v_fma_f32 v26, v25, v26, -v27
	v_fmac_f32_e32 v26, v25, v24
	v_sub_f32_e32 v30, v31, v23
	s_delay_alu instid0(VALU_DEP_2) | instskip(NEXT) | instid1(VALU_DEP_2)
	v_add_f32_e32 v24, v27, v26
	v_add_f32_e32 v19, v19, v30
	s_delay_alu instid0(VALU_DEP_2) | instskip(SKIP_1) | instid1(VALU_DEP_2)
	v_sub_f32_e32 v29, v23, v24
	v_sub_f32_e32 v27, v24, v27
	;; [unrolled: 1-line block ×3, first 2 shown]
	s_delay_alu instid0(VALU_DEP_1) | instskip(NEXT) | instid1(VALU_DEP_3)
	v_sub_f32_e32 v23, v23, v24
	v_sub_f32_e32 v24, v27, v26
	s_delay_alu instid0(VALU_DEP_2) | instskip(SKIP_1) | instid1(VALU_DEP_1)
	v_add_f32_e32 v19, v19, v23
	v_add_f32_e32 v23, v28, v25
	v_dual_add_f32 v19, v24, v19 :: v_dual_sub_f32 v24, v23, v28
	s_delay_alu instid0(VALU_DEP_1) | instskip(NEXT) | instid1(VALU_DEP_1)
	v_add_f32_e32 v19, v29, v19
	v_dual_sub_f32 v24, v25, v24 :: v_dual_mul_f32 v19, v22, v19
	s_delay_alu instid0(VALU_DEP_1) | instskip(NEXT) | instid1(VALU_DEP_1)
	v_add_f32_e32 v19, v24, v19
	v_add_f32_e32 v22, v23, v19
	s_delay_alu instid0(VALU_DEP_1) | instskip(SKIP_1) | instid1(VALU_DEP_1)
	v_mul_f32_e32 v24, v22, v22
	s_wait_alu 0xfffe
	v_fmaak_f32 v25, s0, v24, 0x3ecc95a3
	v_mul_f32_e32 v26, v22, v24
	v_cmp_neq_f32_e64 s0, 0x7f800000, v21
	s_delay_alu instid0(VALU_DEP_3) | instskip(SKIP_2) | instid1(VALU_DEP_3)
	v_fmaak_f32 v24, v24, v25, 0x3f2aaada
	v_ldexp_f32 v25, v22, 1
	v_sub_f32_e32 v22, v22, v23
	v_mul_f32_e32 v24, v26, v24
	v_mul_f32_e32 v26, 0x3f317218, v18
	s_delay_alu instid0(VALU_DEP_3) | instskip(NEXT) | instid1(VALU_DEP_3)
	v_sub_f32_e32 v19, v19, v22
	v_add_f32_e32 v23, v25, v24
	s_delay_alu instid0(VALU_DEP_2) | instskip(NEXT) | instid1(VALU_DEP_2)
	v_ldexp_f32 v19, v19, 1
	v_sub_f32_e32 v22, v23, v25
	v_fma_f32 v25, 0x3f317218, v18, -v26
	s_delay_alu instid0(VALU_DEP_2) | instskip(NEXT) | instid1(VALU_DEP_1)
	v_sub_f32_e32 v22, v24, v22
	v_dual_fmamk_f32 v18, v18, 0xb102e308, v25 :: v_dual_add_f32 v19, v19, v22
	s_delay_alu instid0(VALU_DEP_1) | instskip(NEXT) | instid1(VALU_DEP_2)
	v_add_f32_e32 v22, v26, v18
	v_add_f32_e32 v24, v23, v19
	s_delay_alu instid0(VALU_DEP_2) | instskip(NEXT) | instid1(VALU_DEP_2)
	v_sub_f32_e32 v26, v22, v26
	v_add_f32_e32 v25, v22, v24
	s_delay_alu instid0(VALU_DEP_2) | instskip(NEXT) | instid1(VALU_DEP_2)
	v_dual_sub_f32 v23, v24, v23 :: v_dual_sub_f32 v18, v18, v26
	v_sub_f32_e32 v27, v25, v22
	s_delay_alu instid0(VALU_DEP_2) | instskip(NEXT) | instid1(VALU_DEP_2)
	v_sub_f32_e32 v19, v19, v23
	v_sub_f32_e32 v28, v25, v27
	;; [unrolled: 1-line block ×3, first 2 shown]
	s_delay_alu instid0(VALU_DEP_3) | instskip(NEXT) | instid1(VALU_DEP_3)
	v_add_f32_e32 v24, v18, v19
	v_sub_f32_e32 v22, v22, v28
	s_delay_alu instid0(VALU_DEP_1) | instskip(NEXT) | instid1(VALU_DEP_3)
	v_add_f32_e32 v22, v23, v22
	v_sub_f32_e32 v23, v24, v18
	s_delay_alu instid0(VALU_DEP_2) | instskip(NEXT) | instid1(VALU_DEP_2)
	v_add_f32_e32 v22, v24, v22
	v_sub_f32_e32 v24, v24, v23
	s_delay_alu instid0(VALU_DEP_1) | instskip(NEXT) | instid1(VALU_DEP_1)
	v_dual_sub_f32 v19, v19, v23 :: v_dual_sub_f32 v18, v18, v24
	v_add_f32_e32 v18, v19, v18
	s_delay_alu instid0(VALU_DEP_4) | instskip(NEXT) | instid1(VALU_DEP_1)
	v_add_f32_e32 v26, v25, v22
	v_sub_f32_e32 v23, v26, v25
	s_delay_alu instid0(VALU_DEP_1) | instskip(NEXT) | instid1(VALU_DEP_1)
	v_sub_f32_e32 v19, v22, v23
	v_add_f32_e32 v18, v18, v19
	s_delay_alu instid0(VALU_DEP_1) | instskip(SKIP_1) | instid1(VALU_DEP_1)
	v_add_f32_e32 v18, v26, v18
	s_wait_alu 0xf1ff
	v_cndmask_b32_e64 v18, 0x7f800000, v18, s0
	v_cmp_gt_f32_e64 s0, 0x33800000, |v21|
	s_wait_alu 0xf1ff
	s_delay_alu instid0(VALU_DEP_1) | instskip(NEXT) | instid1(VALU_DEP_1)
	v_cndmask_b32_e64 v18, v18, v21, s0
	v_add_f32_e32 v18, v20, v18
	s_delay_alu instid0(VALU_DEP_1) | instskip(NEXT) | instid1(VALU_DEP_1)
	v_cvt_f16_f32_e32 v18, v18
	v_cvt_f32_f16_e32 v19, v18
.LBB392_95:
	s_wait_alu 0xfffe
	s_or_b32 exec_lo, exec_lo, s1
	ds_load_u16 v20, v17 offset:14
	v_max_num_f32_e32 v21, v19, v19
	v_cmp_u_f16_e64 s0, v18, v18
	ds_store_b16 v17, v18 offset:12
	s_wait_dscnt 0x1
	v_cvt_f32_f16_e32 v22, v20
	s_delay_alu instid0(VALU_DEP_1) | instskip(SKIP_2) | instid1(VALU_DEP_2)
	v_min_num_f32_e32 v23, v21, v22
	v_max_num_f32_e32 v21, v21, v22
	s_wait_alu 0xf1ff
	v_cndmask_b32_e64 v23, v23, v19, s0
	s_delay_alu instid0(VALU_DEP_2) | instskip(SKIP_2) | instid1(VALU_DEP_1)
	v_cndmask_b32_e64 v19, v21, v19, s0
	v_cmp_u_f16_e64 s0, v20, v20
	s_wait_alu 0xf1ff
	v_cndmask_b32_e64 v20, v23, v22, s0
	s_delay_alu instid0(VALU_DEP_3) | instskip(NEXT) | instid1(VALU_DEP_2)
	v_cndmask_b32_e64 v19, v19, v22, s0
	v_cmp_class_f32_e64 s1, v20, 0x1f8
	s_delay_alu instid0(VALU_DEP_2)
	v_cmp_neq_f32_e64 s0, v20, v19
	s_or_b32 s0, s0, s1
	s_wait_alu 0xfffe
	s_and_saveexec_b32 s1, s0
	s_cbranch_execz .LBB392_97
; %bb.96:
	v_sub_f32_e32 v18, v20, v19
	s_delay_alu instid0(VALU_DEP_1) | instskip(SKIP_1) | instid1(VALU_DEP_2)
	v_mul_f32_e32 v20, 0x3fb8aa3b, v18
	v_cmp_ngt_f32_e64 s0, 0xc2ce8ed0, v18
	v_fma_f32 v21, 0x3fb8aa3b, v18, -v20
	v_rndne_f32_e32 v22, v20
	s_delay_alu instid0(VALU_DEP_1) | instskip(NEXT) | instid1(VALU_DEP_1)
	v_dual_fmamk_f32 v21, v18, 0x32a5705f, v21 :: v_dual_sub_f32 v20, v20, v22
	v_add_f32_e32 v20, v20, v21
	v_cvt_i32_f32_e32 v21, v22
	s_delay_alu instid0(VALU_DEP_2) | instskip(NEXT) | instid1(TRANS32_DEP_1)
	v_exp_f32_e32 v20, v20
	v_ldexp_f32 v20, v20, v21
	s_wait_alu 0xf1ff
	s_delay_alu instid0(VALU_DEP_1) | instskip(SKIP_2) | instid1(VALU_DEP_1)
	v_cndmask_b32_e64 v20, 0, v20, s0
	v_cmp_nlt_f32_e64 s0, 0x42b17218, v18
	s_wait_alu 0xf1ff
	v_cndmask_b32_e64 v18, 0x7f800000, v20, s0
	s_delay_alu instid0(VALU_DEP_1) | instskip(NEXT) | instid1(VALU_DEP_1)
	v_add_f32_e32 v22, 1.0, v18
	v_cvt_f64_f32_e32 v[20:21], v22
	s_delay_alu instid0(VALU_DEP_1) | instskip(SKIP_1) | instid1(VALU_DEP_1)
	v_frexp_exp_i32_f64_e32 v20, v[20:21]
	v_frexp_mant_f32_e32 v21, v22
	v_cmp_gt_f32_e64 s0, 0x3f2aaaab, v21
	v_add_f32_e32 v21, -1.0, v22
	s_delay_alu instid0(VALU_DEP_1) | instskip(NEXT) | instid1(VALU_DEP_1)
	v_dual_sub_f32 v24, v21, v22 :: v_dual_sub_f32 v21, v18, v21
	v_add_f32_e32 v24, 1.0, v24
	s_delay_alu instid0(VALU_DEP_1)
	v_add_f32_e32 v21, v21, v24
	s_wait_alu 0xf1ff
	v_subrev_co_ci_u32_e64 v20, null, 0, v20, s0
	s_mov_b32 s0, 0x3e9b6dac
	v_sub_nc_u32_e32 v23, 0, v20
	v_cvt_f32_i32_e32 v20, v20
	s_delay_alu instid0(VALU_DEP_2) | instskip(SKIP_1) | instid1(VALU_DEP_2)
	v_ldexp_f32 v22, v22, v23
	v_ldexp_f32 v21, v21, v23
	v_add_f32_e32 v25, 1.0, v22
	s_delay_alu instid0(VALU_DEP_1) | instskip(NEXT) | instid1(VALU_DEP_1)
	v_dual_add_f32 v23, -1.0, v22 :: v_dual_add_f32 v24, -1.0, v25
	v_add_f32_e32 v26, 1.0, v23
	s_delay_alu instid0(VALU_DEP_2) | instskip(NEXT) | instid1(VALU_DEP_2)
	v_sub_f32_e32 v24, v22, v24
	v_sub_f32_e32 v22, v22, v26
	s_delay_alu instid0(VALU_DEP_2) | instskip(NEXT) | instid1(VALU_DEP_2)
	v_add_f32_e32 v24, v21, v24
	v_add_f32_e32 v21, v21, v22
	s_delay_alu instid0(VALU_DEP_1) | instskip(NEXT) | instid1(VALU_DEP_1)
	v_dual_add_f32 v27, v23, v21 :: v_dual_add_f32 v26, v25, v24
	v_sub_f32_e32 v23, v23, v27
	s_delay_alu instid0(VALU_DEP_2) | instskip(SKIP_1) | instid1(VALU_DEP_1)
	v_rcp_f32_e32 v22, v26
	v_sub_f32_e32 v25, v25, v26
	v_dual_add_f32 v21, v21, v23 :: v_dual_add_f32 v24, v24, v25
	s_delay_alu instid0(TRANS32_DEP_1) | instskip(NEXT) | instid1(VALU_DEP_1)
	v_mul_f32_e32 v28, v27, v22
	v_mul_f32_e32 v29, v26, v28
	s_delay_alu instid0(VALU_DEP_1) | instskip(NEXT) | instid1(VALU_DEP_1)
	v_fma_f32 v25, v28, v26, -v29
	v_fmac_f32_e32 v25, v28, v24
	s_delay_alu instid0(VALU_DEP_1) | instskip(NEXT) | instid1(VALU_DEP_1)
	v_add_f32_e32 v30, v29, v25
	v_sub_f32_e32 v31, v27, v30
	v_sub_f32_e32 v23, v30, v29
	s_delay_alu instid0(VALU_DEP_2) | instskip(NEXT) | instid1(VALU_DEP_2)
	v_sub_f32_e32 v27, v27, v31
	v_sub_f32_e32 v23, v23, v25
	s_delay_alu instid0(VALU_DEP_2) | instskip(NEXT) | instid1(VALU_DEP_1)
	v_sub_f32_e32 v27, v27, v30
	v_add_f32_e32 v21, v21, v27
	s_delay_alu instid0(VALU_DEP_1) | instskip(NEXT) | instid1(VALU_DEP_1)
	v_add_f32_e32 v21, v23, v21
	v_add_f32_e32 v23, v31, v21
	s_delay_alu instid0(VALU_DEP_1) | instskip(NEXT) | instid1(VALU_DEP_1)
	v_mul_f32_e32 v25, v22, v23
	v_dual_sub_f32 v30, v31, v23 :: v_dual_mul_f32 v27, v26, v25
	s_delay_alu instid0(VALU_DEP_1) | instskip(NEXT) | instid1(VALU_DEP_2)
	v_add_f32_e32 v21, v21, v30
	v_fma_f32 v26, v25, v26, -v27
	s_delay_alu instid0(VALU_DEP_1) | instskip(NEXT) | instid1(VALU_DEP_1)
	v_fmac_f32_e32 v26, v25, v24
	v_add_f32_e32 v24, v27, v26
	s_delay_alu instid0(VALU_DEP_1) | instskip(NEXT) | instid1(VALU_DEP_1)
	v_sub_f32_e32 v29, v23, v24
	v_sub_f32_e32 v23, v23, v29
	s_delay_alu instid0(VALU_DEP_1) | instskip(NEXT) | instid1(VALU_DEP_1)
	v_sub_f32_e32 v23, v23, v24
	v_add_f32_e32 v21, v21, v23
	v_add_f32_e32 v23, v28, v25
	v_sub_f32_e32 v27, v24, v27
	s_delay_alu instid0(VALU_DEP_1) | instskip(NEXT) | instid1(VALU_DEP_1)
	v_sub_f32_e32 v24, v27, v26
	v_dual_add_f32 v21, v24, v21 :: v_dual_sub_f32 v24, v23, v28
	s_delay_alu instid0(VALU_DEP_1) | instskip(NEXT) | instid1(VALU_DEP_1)
	v_add_f32_e32 v21, v29, v21
	v_dual_sub_f32 v24, v25, v24 :: v_dual_mul_f32 v21, v22, v21
	s_delay_alu instid0(VALU_DEP_1) | instskip(NEXT) | instid1(VALU_DEP_1)
	v_add_f32_e32 v21, v24, v21
	v_add_f32_e32 v22, v23, v21
	s_delay_alu instid0(VALU_DEP_1) | instskip(SKIP_1) | instid1(VALU_DEP_1)
	v_mul_f32_e32 v24, v22, v22
	s_wait_alu 0xfffe
	v_fmaak_f32 v25, s0, v24, 0x3ecc95a3
	v_mul_f32_e32 v26, v22, v24
	v_cmp_neq_f32_e64 s0, 0x7f800000, v18
	s_delay_alu instid0(VALU_DEP_3) | instskip(SKIP_2) | instid1(VALU_DEP_3)
	v_fmaak_f32 v24, v24, v25, 0x3f2aaada
	v_ldexp_f32 v25, v22, 1
	v_sub_f32_e32 v22, v22, v23
	v_mul_f32_e32 v24, v26, v24
	s_delay_alu instid0(VALU_DEP_2) | instskip(NEXT) | instid1(VALU_DEP_2)
	v_dual_mul_f32 v26, 0x3f317218, v20 :: v_dual_sub_f32 v21, v21, v22
	v_add_f32_e32 v23, v25, v24
	s_delay_alu instid0(VALU_DEP_2) | instskip(NEXT) | instid1(VALU_DEP_2)
	v_ldexp_f32 v21, v21, 1
	v_sub_f32_e32 v22, v23, v25
	s_delay_alu instid0(VALU_DEP_4) | instskip(NEXT) | instid1(VALU_DEP_2)
	v_fma_f32 v25, 0x3f317218, v20, -v26
	v_sub_f32_e32 v22, v24, v22
	s_delay_alu instid0(VALU_DEP_1) | instskip(NEXT) | instid1(VALU_DEP_1)
	v_dual_fmamk_f32 v20, v20, 0xb102e308, v25 :: v_dual_add_f32 v21, v21, v22
	v_add_f32_e32 v22, v26, v20
	s_delay_alu instid0(VALU_DEP_1) | instskip(NEXT) | instid1(VALU_DEP_1)
	v_sub_f32_e32 v26, v22, v26
	v_sub_f32_e32 v20, v20, v26
	s_delay_alu instid0(VALU_DEP_4) | instskip(NEXT) | instid1(VALU_DEP_1)
	v_add_f32_e32 v24, v23, v21
	v_sub_f32_e32 v23, v24, v23
	s_delay_alu instid0(VALU_DEP_1) | instskip(SKIP_1) | instid1(VALU_DEP_1)
	v_sub_f32_e32 v21, v21, v23
	v_add_f32_e32 v25, v22, v24
	v_sub_f32_e32 v27, v25, v22
	s_delay_alu instid0(VALU_DEP_1) | instskip(NEXT) | instid1(VALU_DEP_4)
	v_sub_f32_e32 v23, v24, v27
	v_add_f32_e32 v24, v20, v21
	v_sub_f32_e32 v28, v25, v27
	s_delay_alu instid0(VALU_DEP_1) | instskip(NEXT) | instid1(VALU_DEP_1)
	v_sub_f32_e32 v22, v22, v28
	v_dual_add_f32 v22, v23, v22 :: v_dual_sub_f32 v23, v24, v20
	s_delay_alu instid0(VALU_DEP_1) | instskip(SKIP_1) | instid1(VALU_DEP_2)
	v_dual_add_f32 v22, v24, v22 :: v_dual_sub_f32 v21, v21, v23
	v_sub_f32_e32 v24, v24, v23
	v_add_f32_e32 v26, v25, v22
	s_delay_alu instid0(VALU_DEP_1) | instskip(NEXT) | instid1(VALU_DEP_1)
	v_dual_sub_f32 v20, v20, v24 :: v_dual_sub_f32 v23, v26, v25
	v_dual_add_f32 v20, v21, v20 :: v_dual_sub_f32 v21, v22, v23
	s_delay_alu instid0(VALU_DEP_1) | instskip(NEXT) | instid1(VALU_DEP_1)
	v_add_f32_e32 v20, v20, v21
	v_add_f32_e32 v20, v26, v20
	s_wait_alu 0xf1ff
	s_delay_alu instid0(VALU_DEP_1) | instskip(SKIP_2) | instid1(VALU_DEP_1)
	v_cndmask_b32_e64 v20, 0x7f800000, v20, s0
	v_cmp_gt_f32_e64 s0, 0x33800000, |v18|
	s_wait_alu 0xf1ff
	v_cndmask_b32_e64 v18, v20, v18, s0
	s_delay_alu instid0(VALU_DEP_1) | instskip(NEXT) | instid1(VALU_DEP_1)
	v_add_f32_e32 v18, v19, v18
	v_cvt_f16_f32_e32 v18, v18
.LBB392_97:
	s_wait_alu 0xfffe
	s_or_b32 exec_lo, exec_lo, s1
	ds_store_b16 v17, v18 offset:14
.LBB392_98:
	s_wait_alu 0xfffe
	s_or_b32 exec_lo, exec_lo, s25
	v_mul_u32_u24_e32 v17, 22, v0
	v_mov_b32_e32 v18, v1
	s_mov_b32 s1, exec_lo
	s_wait_loadcnt_dscnt 0x0
	s_barrier_signal -1
	s_barrier_wait -1
	global_inv scope:SCOPE_SE
	v_cmpx_ne_u32_e32 0, v0
	s_cbranch_execz .LBB392_102
; %bb.99:
	v_add_nc_u32_e32 v1, -1, v0
	s_delay_alu instid0(VALU_DEP_1) | instskip(NEXT) | instid1(VALU_DEP_1)
	v_lshrrev_b32_e32 v15, 4, v1
	v_and_b32_e32 v15, 0xffffffe, v15
	s_delay_alu instid0(VALU_DEP_1)
	v_lshl_add_u32 v1, v1, 1, v15
	v_max_num_f32_e32 v15, v8, v8
	ds_load_u16 v1, v1
	s_wait_dscnt 0x0
	v_cvt_f32_f16_e32 v19, v1
	v_cmp_u_f16_e64 s0, v1, v1
	s_delay_alu instid0(VALU_DEP_2) | instskip(SKIP_2) | instid1(VALU_DEP_2)
	v_min_num_f32_e32 v16, v19, v15
	v_max_num_f32_e32 v15, v19, v15
	s_wait_alu 0xf1ff
	v_cndmask_b32_e64 v16, v16, v19, s0
	s_delay_alu instid0(VALU_DEP_2) | instskip(NEXT) | instid1(VALU_DEP_2)
	v_cndmask_b32_e64 v18, v15, v19, s0
	v_cndmask_b32_e64 v15, v16, v8, s24
	s_delay_alu instid0(VALU_DEP_2) | instskip(NEXT) | instid1(VALU_DEP_2)
	v_cndmask_b32_e64 v8, v18, v8, s24
	v_cmp_class_f32_e64 s24, v15, 0x1f8
	s_delay_alu instid0(VALU_DEP_2)
	v_cmp_neq_f32_e64 s0, v15, v8
	s_or_b32 s0, s0, s24
	s_wait_alu 0xfffe
	s_and_saveexec_b32 s24, s0
	s_cbranch_execz .LBB392_101
; %bb.100:
	v_sub_f32_e32 v1, v15, v8
	s_delay_alu instid0(VALU_DEP_1) | instskip(SKIP_1) | instid1(VALU_DEP_2)
	v_mul_f32_e32 v15, 0x3fb8aa3b, v1
	v_cmp_ngt_f32_e64 s0, 0xc2ce8ed0, v1
	v_fma_f32 v16, 0x3fb8aa3b, v1, -v15
	v_rndne_f32_e32 v18, v15
	s_delay_alu instid0(VALU_DEP_1) | instskip(NEXT) | instid1(VALU_DEP_1)
	v_dual_fmamk_f32 v16, v1, 0x32a5705f, v16 :: v_dual_sub_f32 v15, v15, v18
	v_add_f32_e32 v15, v15, v16
	v_cvt_i32_f32_e32 v16, v18
	s_delay_alu instid0(VALU_DEP_2) | instskip(NEXT) | instid1(TRANS32_DEP_1)
	v_exp_f32_e32 v15, v15
	v_ldexp_f32 v15, v15, v16
	s_wait_alu 0xf1ff
	s_delay_alu instid0(VALU_DEP_1) | instskip(SKIP_2) | instid1(VALU_DEP_1)
	v_cndmask_b32_e64 v15, 0, v15, s0
	v_cmp_nlt_f32_e64 s0, 0x42b17218, v1
	s_wait_alu 0xf1ff
	v_cndmask_b32_e64 v1, 0x7f800000, v15, s0
	s_delay_alu instid0(VALU_DEP_1) | instskip(NEXT) | instid1(VALU_DEP_1)
	v_add_f32_e32 v18, 1.0, v1
	v_cvt_f64_f32_e32 v[15:16], v18
	s_delay_alu instid0(VALU_DEP_1) | instskip(SKIP_1) | instid1(VALU_DEP_1)
	v_frexp_exp_i32_f64_e32 v15, v[15:16]
	v_frexp_mant_f32_e32 v16, v18
	v_cmp_gt_f32_e64 s0, 0x3f2aaaab, v16
	v_add_f32_e32 v16, -1.0, v18
	s_delay_alu instid0(VALU_DEP_1) | instskip(SKIP_1) | instid1(VALU_DEP_3)
	v_sub_f32_e32 v20, v16, v18
	s_wait_alu 0xf1ff
	v_subrev_co_ci_u32_e64 v15, null, 0, v15, s0
	s_mov_b32 s0, 0x3e9b6dac
	v_sub_nc_u32_e32 v19, 0, v15
	v_cvt_f32_i32_e32 v15, v15
	s_delay_alu instid0(VALU_DEP_2) | instskip(SKIP_1) | instid1(VALU_DEP_2)
	v_ldexp_f32 v18, v18, v19
	v_sub_f32_e32 v16, v1, v16
	v_dual_add_f32 v20, 1.0, v20 :: v_dual_add_f32 v21, 1.0, v18
	s_delay_alu instid0(VALU_DEP_1) | instskip(NEXT) | instid1(VALU_DEP_1)
	v_add_f32_e32 v16, v16, v20
	v_ldexp_f32 v16, v16, v19
	s_delay_alu instid0(VALU_DEP_3) | instskip(NEXT) | instid1(VALU_DEP_1)
	v_dual_add_f32 v19, -1.0, v18 :: v_dual_add_f32 v20, -1.0, v21
	v_add_f32_e32 v22, 1.0, v19
	s_delay_alu instid0(VALU_DEP_2) | instskip(NEXT) | instid1(VALU_DEP_2)
	v_sub_f32_e32 v20, v18, v20
	v_sub_f32_e32 v18, v18, v22
	s_delay_alu instid0(VALU_DEP_2) | instskip(NEXT) | instid1(VALU_DEP_2)
	v_add_f32_e32 v20, v16, v20
	v_add_f32_e32 v16, v16, v18
	s_delay_alu instid0(VALU_DEP_1) | instskip(NEXT) | instid1(VALU_DEP_1)
	v_add_f32_e32 v23, v19, v16
	v_dual_sub_f32 v19, v19, v23 :: v_dual_add_f32 v22, v21, v20
	s_delay_alu instid0(VALU_DEP_1) | instskip(SKIP_1) | instid1(VALU_DEP_1)
	v_rcp_f32_e32 v18, v22
	v_sub_f32_e32 v21, v21, v22
	v_add_f32_e32 v20, v20, v21
	s_delay_alu instid0(TRANS32_DEP_1) | instskip(NEXT) | instid1(VALU_DEP_1)
	v_mul_f32_e32 v24, v23, v18
	v_mul_f32_e32 v25, v22, v24
	s_delay_alu instid0(VALU_DEP_1) | instskip(NEXT) | instid1(VALU_DEP_1)
	v_fma_f32 v21, v24, v22, -v25
	v_fmac_f32_e32 v21, v24, v20
	v_add_f32_e32 v16, v16, v19
	s_delay_alu instid0(VALU_DEP_2) | instskip(NEXT) | instid1(VALU_DEP_1)
	v_add_f32_e32 v26, v25, v21
	v_sub_f32_e32 v27, v23, v26
	v_sub_f32_e32 v19, v26, v25
	s_delay_alu instid0(VALU_DEP_2) | instskip(NEXT) | instid1(VALU_DEP_2)
	v_sub_f32_e32 v23, v23, v27
	v_sub_f32_e32 v19, v19, v21
	s_delay_alu instid0(VALU_DEP_2) | instskip(NEXT) | instid1(VALU_DEP_1)
	v_sub_f32_e32 v23, v23, v26
	v_add_f32_e32 v16, v16, v23
	s_delay_alu instid0(VALU_DEP_1) | instskip(NEXT) | instid1(VALU_DEP_1)
	v_add_f32_e32 v16, v19, v16
	v_add_f32_e32 v19, v27, v16
	s_delay_alu instid0(VALU_DEP_1) | instskip(NEXT) | instid1(VALU_DEP_1)
	v_mul_f32_e32 v21, v18, v19
	v_dual_sub_f32 v26, v27, v19 :: v_dual_mul_f32 v23, v22, v21
	s_delay_alu instid0(VALU_DEP_1) | instskip(NEXT) | instid1(VALU_DEP_1)
	v_fma_f32 v22, v21, v22, -v23
	v_fmac_f32_e32 v22, v21, v20
	s_delay_alu instid0(VALU_DEP_1) | instskip(NEXT) | instid1(VALU_DEP_1)
	v_add_f32_e32 v20, v23, v22
	v_sub_f32_e32 v23, v20, v23
	v_dual_sub_f32 v25, v19, v20 :: v_dual_add_f32 v16, v16, v26
	s_delay_alu instid0(VALU_DEP_1) | instskip(NEXT) | instid1(VALU_DEP_1)
	v_sub_f32_e32 v19, v19, v25
	v_sub_f32_e32 v19, v19, v20
	s_delay_alu instid0(VALU_DEP_4) | instskip(NEXT) | instid1(VALU_DEP_2)
	v_sub_f32_e32 v20, v23, v22
	v_add_f32_e32 v16, v16, v19
	v_add_f32_e32 v19, v24, v21
	s_delay_alu instid0(VALU_DEP_2) | instskip(NEXT) | instid1(VALU_DEP_2)
	v_add_f32_e32 v16, v20, v16
	v_sub_f32_e32 v20, v19, v24
	s_delay_alu instid0(VALU_DEP_2) | instskip(NEXT) | instid1(VALU_DEP_2)
	v_add_f32_e32 v16, v25, v16
	v_sub_f32_e32 v20, v21, v20
	s_delay_alu instid0(VALU_DEP_2) | instskip(NEXT) | instid1(VALU_DEP_1)
	v_mul_f32_e32 v16, v18, v16
	v_add_f32_e32 v16, v20, v16
	s_delay_alu instid0(VALU_DEP_1) | instskip(NEXT) | instid1(VALU_DEP_1)
	v_add_f32_e32 v18, v19, v16
	v_mul_f32_e32 v20, v18, v18
	s_wait_alu 0xfffe
	s_delay_alu instid0(VALU_DEP_1) | instskip(SKIP_2) | instid1(VALU_DEP_3)
	v_fmaak_f32 v21, s0, v20, 0x3ecc95a3
	v_mul_f32_e32 v22, v18, v20
	v_cmp_neq_f32_e64 s0, 0x7f800000, v1
	v_fmaak_f32 v20, v20, v21, 0x3f2aaada
	v_ldexp_f32 v21, v18, 1
	v_sub_f32_e32 v18, v18, v19
	s_delay_alu instid0(VALU_DEP_3) | instskip(NEXT) | instid1(VALU_DEP_1)
	v_mul_f32_e32 v20, v22, v20
	v_dual_sub_f32 v16, v16, v18 :: v_dual_add_f32 v19, v21, v20
	s_delay_alu instid0(VALU_DEP_1) | instskip(NEXT) | instid1(VALU_DEP_2)
	v_ldexp_f32 v16, v16, 1
	v_sub_f32_e32 v18, v19, v21
	s_delay_alu instid0(VALU_DEP_1) | instskip(NEXT) | instid1(VALU_DEP_1)
	v_sub_f32_e32 v18, v20, v18
	v_add_f32_e32 v16, v16, v18
	s_delay_alu instid0(VALU_DEP_1) | instskip(SKIP_1) | instid1(VALU_DEP_2)
	v_add_f32_e32 v20, v19, v16
	v_mul_f32_e32 v22, 0x3f317218, v15
	v_sub_f32_e32 v19, v20, v19
	s_delay_alu instid0(VALU_DEP_2) | instskip(NEXT) | instid1(VALU_DEP_1)
	v_fma_f32 v21, 0x3f317218, v15, -v22
	v_dual_sub_f32 v16, v16, v19 :: v_dual_fmamk_f32 v15, v15, 0xb102e308, v21
	s_delay_alu instid0(VALU_DEP_1) | instskip(NEXT) | instid1(VALU_DEP_1)
	v_add_f32_e32 v18, v22, v15
	v_add_f32_e32 v21, v18, v20
	v_sub_f32_e32 v22, v18, v22
	s_delay_alu instid0(VALU_DEP_2) | instskip(NEXT) | instid1(VALU_DEP_1)
	v_sub_f32_e32 v23, v21, v18
	v_dual_sub_f32 v15, v15, v22 :: v_dual_sub_f32 v24, v21, v23
	s_delay_alu instid0(VALU_DEP_1) | instskip(NEXT) | instid1(VALU_DEP_2)
	v_dual_sub_f32 v19, v20, v23 :: v_dual_add_f32 v20, v15, v16
	v_sub_f32_e32 v18, v18, v24
	s_delay_alu instid0(VALU_DEP_1) | instskip(NEXT) | instid1(VALU_DEP_1)
	v_dual_add_f32 v18, v19, v18 :: v_dual_sub_f32 v19, v20, v15
	v_add_f32_e32 v18, v20, v18
	s_delay_alu instid0(VALU_DEP_2) | instskip(SKIP_1) | instid1(VALU_DEP_2)
	v_sub_f32_e32 v20, v20, v19
	v_sub_f32_e32 v16, v16, v19
	v_dual_add_f32 v22, v21, v18 :: v_dual_sub_f32 v15, v15, v20
	s_delay_alu instid0(VALU_DEP_1) | instskip(NEXT) | instid1(VALU_DEP_2)
	v_sub_f32_e32 v19, v22, v21
	v_add_f32_e32 v15, v16, v15
	s_delay_alu instid0(VALU_DEP_2) | instskip(NEXT) | instid1(VALU_DEP_1)
	v_sub_f32_e32 v16, v18, v19
	v_add_f32_e32 v15, v15, v16
	s_delay_alu instid0(VALU_DEP_1) | instskip(SKIP_1) | instid1(VALU_DEP_1)
	v_add_f32_e32 v15, v22, v15
	s_wait_alu 0xf1ff
	v_cndmask_b32_e64 v15, 0x7f800000, v15, s0
	v_cmp_gt_f32_e64 s0, 0x33800000, |v1|
	s_wait_alu 0xf1ff
	s_delay_alu instid0(VALU_DEP_1) | instskip(NEXT) | instid1(VALU_DEP_1)
	v_cndmask_b32_e64 v1, v15, v1, s0
	v_add_f32_e32 v1, v8, v1
	s_delay_alu instid0(VALU_DEP_1) | instskip(NEXT) | instid1(VALU_DEP_1)
	v_cvt_f16_f32_e32 v1, v1
	v_cvt_f32_f16_e32 v19, v1
.LBB392_101:
	s_wait_alu 0xfffe
	s_or_b32 exec_lo, exec_lo, s24
	v_max_num_f32_e32 v8, v9, v9
	s_delay_alu instid0(VALU_DEP_2) | instskip(SKIP_2) | instid1(VALU_DEP_2)
	v_max_num_f32_e32 v16, v19, v19
	v_mov_b32_e32 v18, v1
	;;#ASMSTART
	;;#ASMEND
	v_min_num_f32_e32 v15, v16, v8
	v_max_num_f32_e32 v16, v16, v8
	v_mov_b32_e32 v8, v19
.LBB392_102:
	s_wait_alu 0xfffe
	s_or_b32 exec_lo, exec_lo, s1
	v_cmp_u_f16_e64 s0, v18, v18
	s_wait_alu 0xf1ff
	s_delay_alu instid0(VALU_DEP_1) | instskip(SKIP_1) | instid1(VALU_DEP_2)
	v_cndmask_b32_e64 v15, v15, v8, s0
	v_cndmask_b32_e64 v19, v16, v8, s0
	;; [unrolled: 1-line block ×3, first 2 shown]
	s_delay_alu instid0(VALU_DEP_2) | instskip(SKIP_1) | instid1(VALU_DEP_3)
	v_cndmask_b32_e64 v15, v19, v9, s13
	v_mov_b32_e32 v9, v1
	v_cmp_class_f32_e64 s1, v16, 0x1f8
	s_delay_alu instid0(VALU_DEP_3)
	v_cmp_neq_f32_e64 s0, v16, v15
	s_or_b32 s0, s0, s1
	s_wait_alu 0xfffe
	s_and_saveexec_b32 s1, s0
	s_cbranch_execz .LBB392_104
; %bb.103:
	v_sub_f32_e32 v8, v16, v15
	s_delay_alu instid0(VALU_DEP_1) | instskip(NEXT) | instid1(VALU_DEP_1)
	v_mul_f32_e32 v9, 0x3fb8aa3b, v8
	v_fma_f32 v16, 0x3fb8aa3b, v8, -v9
	v_rndne_f32_e32 v18, v9
	s_delay_alu instid0(VALU_DEP_1) | instskip(SKIP_1) | instid1(VALU_DEP_2)
	v_dual_sub_f32 v9, v9, v18 :: v_dual_fmamk_f32 v16, v8, 0x32a5705f, v16
	v_cmp_ngt_f32_e64 s0, 0xc2ce8ed0, v8
	v_add_f32_e32 v9, v9, v16
	v_cvt_i32_f32_e32 v16, v18
	s_delay_alu instid0(VALU_DEP_2) | instskip(NEXT) | instid1(TRANS32_DEP_1)
	v_exp_f32_e32 v9, v9
	v_ldexp_f32 v9, v9, v16
	s_wait_alu 0xf1ff
	s_delay_alu instid0(VALU_DEP_1) | instskip(SKIP_2) | instid1(VALU_DEP_1)
	v_cndmask_b32_e64 v9, 0, v9, s0
	v_cmp_nlt_f32_e64 s0, 0x42b17218, v8
	s_wait_alu 0xf1ff
	v_cndmask_b32_e64 v16, 0x7f800000, v9, s0
	s_delay_alu instid0(VALU_DEP_1) | instskip(NEXT) | instid1(VALU_DEP_1)
	v_add_f32_e32 v18, 1.0, v16
	v_cvt_f64_f32_e32 v[8:9], v18
	s_delay_alu instid0(VALU_DEP_1) | instskip(SKIP_1) | instid1(VALU_DEP_1)
	v_frexp_exp_i32_f64_e32 v8, v[8:9]
	v_frexp_mant_f32_e32 v9, v18
	v_cmp_gt_f32_e64 s0, 0x3f2aaaab, v9
	v_add_f32_e32 v9, -1.0, v18
	s_delay_alu instid0(VALU_DEP_1) | instskip(SKIP_1) | instid1(VALU_DEP_3)
	v_dual_sub_f32 v20, v9, v18 :: v_dual_sub_f32 v9, v16, v9
	s_wait_alu 0xf1ff
	v_subrev_co_ci_u32_e64 v8, null, 0, v8, s0
	s_mov_b32 s0, 0x3e9b6dac
	v_sub_nc_u32_e32 v19, 0, v8
	v_cvt_f32_i32_e32 v8, v8
	s_delay_alu instid0(VALU_DEP_2) | instskip(NEXT) | instid1(VALU_DEP_1)
	v_ldexp_f32 v18, v18, v19
	v_dual_add_f32 v20, 1.0, v20 :: v_dual_add_f32 v21, 1.0, v18
	s_delay_alu instid0(VALU_DEP_1) | instskip(NEXT) | instid1(VALU_DEP_1)
	v_dual_add_f32 v9, v9, v20 :: v_dual_add_f32 v20, -1.0, v21
	v_ldexp_f32 v9, v9, v19
	s_delay_alu instid0(VALU_DEP_2) | instskip(NEXT) | instid1(VALU_DEP_1)
	v_dual_add_f32 v19, -1.0, v18 :: v_dual_sub_f32 v20, v18, v20
	v_add_f32_e32 v22, 1.0, v19
	s_delay_alu instid0(VALU_DEP_2) | instskip(NEXT) | instid1(VALU_DEP_2)
	v_add_f32_e32 v20, v9, v20
	v_sub_f32_e32 v18, v18, v22
	s_delay_alu instid0(VALU_DEP_1) | instskip(NEXT) | instid1(VALU_DEP_1)
	v_add_f32_e32 v9, v9, v18
	v_dual_add_f32 v23, v19, v9 :: v_dual_add_f32 v22, v21, v20
	s_delay_alu instid0(VALU_DEP_1) | instskip(NEXT) | instid1(VALU_DEP_2)
	v_sub_f32_e32 v19, v19, v23
	v_rcp_f32_e32 v18, v22
	v_sub_f32_e32 v21, v21, v22
	s_delay_alu instid0(VALU_DEP_1) | instskip(NEXT) | instid1(TRANS32_DEP_1)
	v_dual_add_f32 v20, v20, v21 :: v_dual_add_f32 v9, v9, v19
	v_mul_f32_e32 v24, v23, v18
	s_delay_alu instid0(VALU_DEP_1) | instskip(NEXT) | instid1(VALU_DEP_1)
	v_mul_f32_e32 v25, v22, v24
	v_fma_f32 v21, v24, v22, -v25
	s_delay_alu instid0(VALU_DEP_1) | instskip(NEXT) | instid1(VALU_DEP_1)
	v_fmac_f32_e32 v21, v24, v20
	v_add_f32_e32 v26, v25, v21
	s_delay_alu instid0(VALU_DEP_1) | instskip(NEXT) | instid1(VALU_DEP_1)
	v_sub_f32_e32 v27, v23, v26
	v_sub_f32_e32 v23, v23, v27
	;; [unrolled: 1-line block ×3, first 2 shown]
	s_delay_alu instid0(VALU_DEP_2) | instskip(NEXT) | instid1(VALU_DEP_2)
	v_sub_f32_e32 v23, v23, v26
	v_sub_f32_e32 v19, v19, v21
	s_delay_alu instid0(VALU_DEP_2) | instskip(NEXT) | instid1(VALU_DEP_1)
	v_add_f32_e32 v9, v9, v23
	v_add_f32_e32 v9, v19, v9
	s_delay_alu instid0(VALU_DEP_1) | instskip(NEXT) | instid1(VALU_DEP_1)
	v_add_f32_e32 v19, v27, v9
	v_mul_f32_e32 v21, v18, v19
	s_delay_alu instid0(VALU_DEP_1) | instskip(NEXT) | instid1(VALU_DEP_1)
	v_dual_sub_f32 v26, v27, v19 :: v_dual_mul_f32 v23, v22, v21
	v_add_f32_e32 v9, v9, v26
	s_delay_alu instid0(VALU_DEP_2) | instskip(NEXT) | instid1(VALU_DEP_1)
	v_fma_f32 v22, v21, v22, -v23
	v_fmac_f32_e32 v22, v21, v20
	s_delay_alu instid0(VALU_DEP_1) | instskip(NEXT) | instid1(VALU_DEP_1)
	v_add_f32_e32 v20, v23, v22
	v_sub_f32_e32 v25, v19, v20
	v_sub_f32_e32 v23, v20, v23
	s_delay_alu instid0(VALU_DEP_2) | instskip(NEXT) | instid1(VALU_DEP_1)
	v_sub_f32_e32 v19, v19, v25
	v_sub_f32_e32 v19, v19, v20
	s_delay_alu instid0(VALU_DEP_1) | instskip(SKIP_1) | instid1(VALU_DEP_1)
	v_dual_sub_f32 v20, v23, v22 :: v_dual_add_f32 v9, v9, v19
	v_add_f32_e32 v19, v24, v21
	v_dual_add_f32 v9, v20, v9 :: v_dual_sub_f32 v20, v19, v24
	s_delay_alu instid0(VALU_DEP_1) | instskip(NEXT) | instid1(VALU_DEP_1)
	v_add_f32_e32 v9, v25, v9
	v_dual_sub_f32 v20, v21, v20 :: v_dual_mul_f32 v9, v18, v9
	s_delay_alu instid0(VALU_DEP_1) | instskip(NEXT) | instid1(VALU_DEP_1)
	v_add_f32_e32 v9, v20, v9
	v_add_f32_e32 v18, v19, v9
	s_delay_alu instid0(VALU_DEP_1) | instskip(SKIP_1) | instid1(VALU_DEP_1)
	v_mul_f32_e32 v20, v18, v18
	s_wait_alu 0xfffe
	v_fmaak_f32 v21, s0, v20, 0x3ecc95a3
	v_mul_f32_e32 v22, v18, v20
	v_cmp_neq_f32_e64 s0, 0x7f800000, v16
	s_delay_alu instid0(VALU_DEP_3) | instskip(SKIP_2) | instid1(VALU_DEP_3)
	v_fmaak_f32 v20, v20, v21, 0x3f2aaada
	v_ldexp_f32 v21, v18, 1
	v_sub_f32_e32 v18, v18, v19
	v_mul_f32_e32 v20, v22, v20
	s_delay_alu instid0(VALU_DEP_2) | instskip(NEXT) | instid1(VALU_DEP_2)
	v_dual_mul_f32 v22, 0x3f317218, v8 :: v_dual_sub_f32 v9, v9, v18
	v_add_f32_e32 v19, v21, v20
	s_delay_alu instid0(VALU_DEP_2) | instskip(NEXT) | instid1(VALU_DEP_2)
	v_ldexp_f32 v9, v9, 1
	v_sub_f32_e32 v18, v19, v21
	s_delay_alu instid0(VALU_DEP_4) | instskip(NEXT) | instid1(VALU_DEP_2)
	v_fma_f32 v21, 0x3f317218, v8, -v22
	v_sub_f32_e32 v18, v20, v18
	s_delay_alu instid0(VALU_DEP_1) | instskip(NEXT) | instid1(VALU_DEP_1)
	v_dual_fmamk_f32 v8, v8, 0xb102e308, v21 :: v_dual_add_f32 v9, v9, v18
	v_add_f32_e32 v18, v22, v8
	s_delay_alu instid0(VALU_DEP_2) | instskip(NEXT) | instid1(VALU_DEP_2)
	v_add_f32_e32 v20, v19, v9
	v_sub_f32_e32 v22, v18, v22
	s_delay_alu instid0(VALU_DEP_2) | instskip(SKIP_1) | instid1(VALU_DEP_3)
	v_add_f32_e32 v21, v18, v20
	v_sub_f32_e32 v19, v20, v19
	v_sub_f32_e32 v8, v8, v22
	s_delay_alu instid0(VALU_DEP_3) | instskip(NEXT) | instid1(VALU_DEP_3)
	v_sub_f32_e32 v23, v21, v18
	v_sub_f32_e32 v9, v9, v19
	s_delay_alu instid0(VALU_DEP_2) | instskip(SKIP_1) | instid1(VALU_DEP_3)
	v_sub_f32_e32 v24, v21, v23
	v_sub_f32_e32 v19, v20, v23
	v_add_f32_e32 v20, v8, v9
	s_delay_alu instid0(VALU_DEP_3) | instskip(NEXT) | instid1(VALU_DEP_1)
	v_sub_f32_e32 v18, v18, v24
	v_dual_add_f32 v18, v19, v18 :: v_dual_sub_f32 v19, v20, v8
	s_delay_alu instid0(VALU_DEP_1) | instskip(NEXT) | instid1(VALU_DEP_2)
	v_add_f32_e32 v18, v20, v18
	v_sub_f32_e32 v20, v20, v19
	v_sub_f32_e32 v9, v9, v19
	s_delay_alu instid0(VALU_DEP_3) | instskip(NEXT) | instid1(VALU_DEP_1)
	v_add_f32_e32 v22, v21, v18
	v_dual_sub_f32 v8, v8, v20 :: v_dual_sub_f32 v19, v22, v21
	s_delay_alu instid0(VALU_DEP_1) | instskip(NEXT) | instid1(VALU_DEP_1)
	v_dual_add_f32 v8, v9, v8 :: v_dual_sub_f32 v9, v18, v19
	v_add_f32_e32 v8, v8, v9
	s_delay_alu instid0(VALU_DEP_1) | instskip(SKIP_1) | instid1(VALU_DEP_1)
	v_add_f32_e32 v8, v22, v8
	s_wait_alu 0xf1ff
	v_cndmask_b32_e64 v8, 0x7f800000, v8, s0
	v_cmp_gt_f32_e64 s0, 0x33800000, |v16|
	s_wait_alu 0xf1ff
	s_delay_alu instid0(VALU_DEP_1) | instskip(NEXT) | instid1(VALU_DEP_1)
	v_cndmask_b32_e64 v8, v8, v16, s0
	v_add_f32_e32 v8, v15, v8
	s_delay_alu instid0(VALU_DEP_1) | instskip(NEXT) | instid1(VALU_DEP_1)
	v_cvt_f16_f32_e32 v18, v8
	v_cvt_f32_f16_e32 v8, v18
	v_mov_b32_e32 v9, v18
.LBB392_104:
	s_wait_alu 0xfffe
	s_or_b32 exec_lo, exec_lo, s1
	s_delay_alu instid0(VALU_DEP_2) | instskip(SKIP_1) | instid1(VALU_DEP_2)
	v_dual_max_num_f32 v15, v10, v10 :: v_dual_max_num_f32 v16, v8, v8
	v_cmp_u_f16_e64 s0, v18, v18
	v_min_num_f32_e32 v19, v16, v15
	v_max_num_f32_e32 v15, v16, v15
	s_wait_alu 0xf1ff
	s_delay_alu instid0(VALU_DEP_2) | instskip(NEXT) | instid1(VALU_DEP_2)
	v_cndmask_b32_e64 v16, v19, v8, s0
	v_cndmask_b32_e64 v15, v15, v8, s0
	s_delay_alu instid0(VALU_DEP_2) | instskip(NEXT) | instid1(VALU_DEP_2)
	v_cndmask_b32_e64 v16, v16, v10, s14
	v_cndmask_b32_e64 v15, v15, v10, s14
	v_mov_b32_e32 v10, v9
	s_delay_alu instid0(VALU_DEP_3) | instskip(NEXT) | instid1(VALU_DEP_3)
	v_cmp_class_f32_e64 s1, v16, 0x1f8
	v_cmp_neq_f32_e64 s0, v16, v15
	s_or_b32 s0, s0, s1
	s_wait_alu 0xfffe
	s_and_saveexec_b32 s1, s0
	s_cbranch_execz .LBB392_106
; %bb.105:
	v_sub_f32_e32 v8, v16, v15
	s_delay_alu instid0(VALU_DEP_1) | instskip(SKIP_1) | instid1(VALU_DEP_2)
	v_mul_f32_e32 v10, 0x3fb8aa3b, v8
	v_cmp_ngt_f32_e64 s0, 0xc2ce8ed0, v8
	v_fma_f32 v16, 0x3fb8aa3b, v8, -v10
	v_rndne_f32_e32 v18, v10
	s_delay_alu instid0(VALU_DEP_2) | instskip(NEXT) | instid1(VALU_DEP_2)
	v_fmamk_f32 v16, v8, 0x32a5705f, v16
	v_sub_f32_e32 v10, v10, v18
	s_delay_alu instid0(VALU_DEP_1) | instskip(SKIP_1) | instid1(VALU_DEP_2)
	v_add_f32_e32 v10, v10, v16
	v_cvt_i32_f32_e32 v16, v18
	v_exp_f32_e32 v10, v10
	s_delay_alu instid0(TRANS32_DEP_1) | instskip(SKIP_1) | instid1(VALU_DEP_1)
	v_ldexp_f32 v10, v10, v16
	s_wait_alu 0xf1ff
	v_cndmask_b32_e64 v10, 0, v10, s0
	v_cmp_nlt_f32_e64 s0, 0x42b17218, v8
	s_wait_alu 0xf1ff
	s_delay_alu instid0(VALU_DEP_1) | instskip(NEXT) | instid1(VALU_DEP_1)
	v_cndmask_b32_e64 v8, 0x7f800000, v10, s0
	v_add_f32_e32 v10, 1.0, v8
	s_delay_alu instid0(VALU_DEP_1) | instskip(NEXT) | instid1(VALU_DEP_1)
	v_cvt_f64_f32_e32 v[18:19], v10
	v_frexp_exp_i32_f64_e32 v16, v[18:19]
	v_frexp_mant_f32_e32 v18, v10
	s_delay_alu instid0(VALU_DEP_1) | instskip(SKIP_1) | instid1(VALU_DEP_1)
	v_cmp_gt_f32_e64 s0, 0x3f2aaaab, v18
	v_add_f32_e32 v18, -1.0, v10
	v_sub_f32_e32 v20, v18, v10
	v_sub_f32_e32 v18, v8, v18
	s_delay_alu instid0(VALU_DEP_2) | instskip(NEXT) | instid1(VALU_DEP_1)
	v_add_f32_e32 v20, 1.0, v20
	v_add_f32_e32 v18, v18, v20
	s_wait_alu 0xf1ff
	v_subrev_co_ci_u32_e64 v16, null, 0, v16, s0
	s_mov_b32 s0, 0x3e9b6dac
	v_sub_nc_u32_e32 v19, 0, v16
	v_cvt_f32_i32_e32 v16, v16
	s_delay_alu instid0(VALU_DEP_2) | instskip(SKIP_1) | instid1(VALU_DEP_2)
	v_ldexp_f32 v10, v10, v19
	v_ldexp_f32 v18, v18, v19
	v_add_f32_e32 v21, 1.0, v10
	s_delay_alu instid0(VALU_DEP_1) | instskip(NEXT) | instid1(VALU_DEP_1)
	v_dual_add_f32 v19, -1.0, v10 :: v_dual_add_f32 v20, -1.0, v21
	v_add_f32_e32 v22, 1.0, v19
	s_delay_alu instid0(VALU_DEP_2) | instskip(NEXT) | instid1(VALU_DEP_2)
	v_sub_f32_e32 v20, v10, v20
	v_sub_f32_e32 v10, v10, v22
	s_delay_alu instid0(VALU_DEP_2) | instskip(NEXT) | instid1(VALU_DEP_2)
	v_add_f32_e32 v20, v18, v20
	v_add_f32_e32 v10, v18, v10
	s_delay_alu instid0(VALU_DEP_1) | instskip(NEXT) | instid1(VALU_DEP_1)
	v_dual_add_f32 v22, v21, v20 :: v_dual_add_f32 v23, v19, v10
	v_rcp_f32_e32 v18, v22
	v_sub_f32_e32 v21, v21, v22
	s_delay_alu instid0(VALU_DEP_1) | instskip(NEXT) | instid1(TRANS32_DEP_1)
	v_dual_sub_f32 v19, v19, v23 :: v_dual_add_f32 v20, v20, v21
	v_mul_f32_e32 v24, v23, v18
	s_delay_alu instid0(VALU_DEP_2) | instskip(NEXT) | instid1(VALU_DEP_2)
	v_add_f32_e32 v10, v10, v19
	v_mul_f32_e32 v25, v22, v24
	s_delay_alu instid0(VALU_DEP_1) | instskip(NEXT) | instid1(VALU_DEP_1)
	v_fma_f32 v21, v24, v22, -v25
	v_fmac_f32_e32 v21, v24, v20
	s_delay_alu instid0(VALU_DEP_1) | instskip(NEXT) | instid1(VALU_DEP_1)
	v_add_f32_e32 v26, v25, v21
	v_sub_f32_e32 v27, v23, v26
	v_sub_f32_e32 v19, v26, v25
	s_delay_alu instid0(VALU_DEP_2) | instskip(NEXT) | instid1(VALU_DEP_2)
	v_sub_f32_e32 v23, v23, v27
	v_sub_f32_e32 v19, v19, v21
	s_delay_alu instid0(VALU_DEP_2) | instskip(NEXT) | instid1(VALU_DEP_1)
	v_sub_f32_e32 v23, v23, v26
	v_add_f32_e32 v10, v10, v23
	s_delay_alu instid0(VALU_DEP_1) | instskip(NEXT) | instid1(VALU_DEP_1)
	v_add_f32_e32 v10, v19, v10
	v_add_f32_e32 v19, v27, v10
	s_delay_alu instid0(VALU_DEP_1) | instskip(NEXT) | instid1(VALU_DEP_1)
	v_mul_f32_e32 v21, v18, v19
	v_dual_sub_f32 v26, v27, v19 :: v_dual_mul_f32 v23, v22, v21
	s_delay_alu instid0(VALU_DEP_1) | instskip(NEXT) | instid1(VALU_DEP_2)
	v_add_f32_e32 v10, v10, v26
	v_fma_f32 v22, v21, v22, -v23
	s_delay_alu instid0(VALU_DEP_1) | instskip(NEXT) | instid1(VALU_DEP_1)
	v_fmac_f32_e32 v22, v21, v20
	v_add_f32_e32 v20, v23, v22
	s_delay_alu instid0(VALU_DEP_1) | instskip(SKIP_1) | instid1(VALU_DEP_2)
	v_sub_f32_e32 v25, v19, v20
	v_sub_f32_e32 v23, v20, v23
	;; [unrolled: 1-line block ×3, first 2 shown]
	s_delay_alu instid0(VALU_DEP_1) | instskip(NEXT) | instid1(VALU_DEP_3)
	v_sub_f32_e32 v19, v19, v20
	v_sub_f32_e32 v20, v23, v22
	s_delay_alu instid0(VALU_DEP_2) | instskip(NEXT) | instid1(VALU_DEP_1)
	v_dual_add_f32 v10, v10, v19 :: v_dual_add_f32 v19, v24, v21
	v_add_f32_e32 v10, v20, v10
	s_delay_alu instid0(VALU_DEP_2) | instskip(NEXT) | instid1(VALU_DEP_2)
	v_sub_f32_e32 v20, v19, v24
	v_add_f32_e32 v10, v25, v10
	s_delay_alu instid0(VALU_DEP_2) | instskip(NEXT) | instid1(VALU_DEP_2)
	v_sub_f32_e32 v20, v21, v20
	v_mul_f32_e32 v10, v18, v10
	s_delay_alu instid0(VALU_DEP_1) | instskip(NEXT) | instid1(VALU_DEP_1)
	v_add_f32_e32 v10, v20, v10
	v_add_f32_e32 v18, v19, v10
	s_delay_alu instid0(VALU_DEP_1) | instskip(SKIP_1) | instid1(VALU_DEP_1)
	v_mul_f32_e32 v20, v18, v18
	s_wait_alu 0xfffe
	v_fmaak_f32 v21, s0, v20, 0x3ecc95a3
	v_mul_f32_e32 v22, v18, v20
	v_cmp_neq_f32_e64 s0, 0x7f800000, v8
	s_delay_alu instid0(VALU_DEP_3) | instskip(SKIP_2) | instid1(VALU_DEP_3)
	v_fmaak_f32 v20, v20, v21, 0x3f2aaada
	v_ldexp_f32 v21, v18, 1
	v_sub_f32_e32 v18, v18, v19
	v_mul_f32_e32 v20, v22, v20
	v_mul_f32_e32 v22, 0x3f317218, v16
	s_delay_alu instid0(VALU_DEP_2) | instskip(NEXT) | instid1(VALU_DEP_1)
	v_dual_sub_f32 v10, v10, v18 :: v_dual_add_f32 v19, v21, v20
	v_ldexp_f32 v10, v10, 1
	s_delay_alu instid0(VALU_DEP_2) | instskip(NEXT) | instid1(VALU_DEP_4)
	v_sub_f32_e32 v18, v19, v21
	v_fma_f32 v21, 0x3f317218, v16, -v22
	s_delay_alu instid0(VALU_DEP_2) | instskip(NEXT) | instid1(VALU_DEP_2)
	v_sub_f32_e32 v18, v20, v18
	v_fmamk_f32 v16, v16, 0xb102e308, v21
	s_delay_alu instid0(VALU_DEP_2) | instskip(NEXT) | instid1(VALU_DEP_2)
	v_add_f32_e32 v10, v10, v18
	v_add_f32_e32 v18, v22, v16
	s_delay_alu instid0(VALU_DEP_2) | instskip(NEXT) | instid1(VALU_DEP_2)
	v_add_f32_e32 v20, v19, v10
	v_sub_f32_e32 v22, v18, v22
	s_delay_alu instid0(VALU_DEP_2) | instskip(SKIP_1) | instid1(VALU_DEP_3)
	v_add_f32_e32 v21, v18, v20
	v_sub_f32_e32 v19, v20, v19
	v_sub_f32_e32 v16, v16, v22
	s_delay_alu instid0(VALU_DEP_2) | instskip(NEXT) | instid1(VALU_DEP_1)
	v_dual_sub_f32 v23, v21, v18 :: v_dual_sub_f32 v10, v10, v19
	v_sub_f32_e32 v24, v21, v23
	v_sub_f32_e32 v19, v20, v23
	s_delay_alu instid0(VALU_DEP_3) | instskip(NEXT) | instid1(VALU_DEP_3)
	v_add_f32_e32 v20, v16, v10
	v_sub_f32_e32 v18, v18, v24
	s_delay_alu instid0(VALU_DEP_1) | instskip(NEXT) | instid1(VALU_DEP_1)
	v_dual_add_f32 v18, v19, v18 :: v_dual_sub_f32 v19, v20, v16
	v_add_f32_e32 v18, v20, v18
	s_delay_alu instid0(VALU_DEP_2) | instskip(SKIP_1) | instid1(VALU_DEP_3)
	v_sub_f32_e32 v20, v20, v19
	v_sub_f32_e32 v10, v10, v19
	v_add_f32_e32 v22, v21, v18
	s_delay_alu instid0(VALU_DEP_1) | instskip(NEXT) | instid1(VALU_DEP_1)
	v_dual_sub_f32 v16, v16, v20 :: v_dual_sub_f32 v19, v22, v21
	v_add_f32_e32 v10, v10, v16
	s_delay_alu instid0(VALU_DEP_2) | instskip(NEXT) | instid1(VALU_DEP_1)
	v_sub_f32_e32 v16, v18, v19
	v_add_f32_e32 v10, v10, v16
	s_delay_alu instid0(VALU_DEP_1) | instskip(SKIP_1) | instid1(VALU_DEP_1)
	v_add_f32_e32 v10, v22, v10
	s_wait_alu 0xf1ff
	v_cndmask_b32_e64 v10, 0x7f800000, v10, s0
	v_cmp_gt_f32_e64 s0, 0x33800000, |v8|
	s_wait_alu 0xf1ff
	s_delay_alu instid0(VALU_DEP_1) | instskip(NEXT) | instid1(VALU_DEP_1)
	v_cndmask_b32_e64 v8, v10, v8, s0
	v_add_f32_e32 v8, v15, v8
	s_delay_alu instid0(VALU_DEP_1) | instskip(NEXT) | instid1(VALU_DEP_1)
	v_cvt_f16_f32_e32 v18, v8
	v_cvt_f32_f16_e32 v8, v18
	v_mov_b32_e32 v10, v18
.LBB392_106:
	s_wait_alu 0xfffe
	s_or_b32 exec_lo, exec_lo, s1
	s_delay_alu instid0(VALU_DEP_2) | instskip(SKIP_1) | instid1(VALU_DEP_2)
	v_dual_max_num_f32 v15, v11, v11 :: v_dual_max_num_f32 v16, v8, v8
	v_cmp_u_f16_e64 s0, v18, v18
	v_min_num_f32_e32 v19, v16, v15
	v_max_num_f32_e32 v15, v16, v15
	s_wait_alu 0xf1ff
	s_delay_alu instid0(VALU_DEP_2) | instskip(NEXT) | instid1(VALU_DEP_2)
	v_cndmask_b32_e64 v16, v19, v8, s0
	v_cndmask_b32_e64 v15, v15, v8, s0
	s_delay_alu instid0(VALU_DEP_2) | instskip(NEXT) | instid1(VALU_DEP_2)
	v_cndmask_b32_e64 v16, v16, v11, s15
	v_cndmask_b32_e64 v15, v15, v11, s15
	v_mov_b32_e32 v11, v10
	s_delay_alu instid0(VALU_DEP_3) | instskip(NEXT) | instid1(VALU_DEP_3)
	v_cmp_class_f32_e64 s1, v16, 0x1f8
	v_cmp_neq_f32_e64 s0, v16, v15
	s_or_b32 s0, s0, s1
	s_wait_alu 0xfffe
	s_and_saveexec_b32 s1, s0
	s_cbranch_execz .LBB392_108
; %bb.107:
	v_sub_f32_e32 v8, v16, v15
	s_delay_alu instid0(VALU_DEP_1) | instskip(NEXT) | instid1(VALU_DEP_1)
	v_mul_f32_e32 v11, 0x3fb8aa3b, v8
	v_fma_f32 v16, 0x3fb8aa3b, v8, -v11
	v_rndne_f32_e32 v18, v11
	s_delay_alu instid0(VALU_DEP_1) | instskip(SKIP_1) | instid1(VALU_DEP_2)
	v_dual_sub_f32 v11, v11, v18 :: v_dual_fmamk_f32 v16, v8, 0x32a5705f, v16
	v_cmp_ngt_f32_e64 s0, 0xc2ce8ed0, v8
	v_add_f32_e32 v11, v11, v16
	v_cvt_i32_f32_e32 v16, v18
	s_delay_alu instid0(VALU_DEP_2) | instskip(NEXT) | instid1(TRANS32_DEP_1)
	v_exp_f32_e32 v11, v11
	v_ldexp_f32 v11, v11, v16
	s_wait_alu 0xf1ff
	s_delay_alu instid0(VALU_DEP_1) | instskip(SKIP_2) | instid1(VALU_DEP_1)
	v_cndmask_b32_e64 v11, 0, v11, s0
	v_cmp_nlt_f32_e64 s0, 0x42b17218, v8
	s_wait_alu 0xf1ff
	v_cndmask_b32_e64 v8, 0x7f800000, v11, s0
	s_delay_alu instid0(VALU_DEP_1) | instskip(NEXT) | instid1(VALU_DEP_1)
	v_add_f32_e32 v11, 1.0, v8
	v_cvt_f64_f32_e32 v[18:19], v11
	s_delay_alu instid0(VALU_DEP_1) | instskip(SKIP_1) | instid1(VALU_DEP_1)
	v_frexp_exp_i32_f64_e32 v16, v[18:19]
	v_frexp_mant_f32_e32 v18, v11
	v_cmp_gt_f32_e64 s0, 0x3f2aaaab, v18
	v_add_f32_e32 v18, -1.0, v11
	s_delay_alu instid0(VALU_DEP_1)
	v_sub_f32_e32 v20, v18, v11
	v_sub_f32_e32 v18, v8, v18
	s_wait_alu 0xf1ff
	v_subrev_co_ci_u32_e64 v16, null, 0, v16, s0
	s_mov_b32 s0, 0x3e9b6dac
	v_sub_nc_u32_e32 v19, 0, v16
	v_cvt_f32_i32_e32 v16, v16
	s_delay_alu instid0(VALU_DEP_2) | instskip(NEXT) | instid1(VALU_DEP_1)
	v_ldexp_f32 v11, v11, v19
	v_dual_add_f32 v20, 1.0, v20 :: v_dual_add_f32 v21, 1.0, v11
	s_delay_alu instid0(VALU_DEP_1) | instskip(NEXT) | instid1(VALU_DEP_2)
	v_add_f32_e32 v18, v18, v20
	v_add_f32_e32 v20, -1.0, v21
	s_delay_alu instid0(VALU_DEP_2) | instskip(NEXT) | instid1(VALU_DEP_2)
	v_ldexp_f32 v18, v18, v19
	v_dual_add_f32 v19, -1.0, v11 :: v_dual_sub_f32 v20, v11, v20
	s_delay_alu instid0(VALU_DEP_1) | instskip(NEXT) | instid1(VALU_DEP_1)
	v_add_f32_e32 v22, 1.0, v19
	v_sub_f32_e32 v11, v11, v22
	s_delay_alu instid0(VALU_DEP_1) | instskip(NEXT) | instid1(VALU_DEP_1)
	v_add_f32_e32 v11, v18, v11
	v_dual_add_f32 v20, v18, v20 :: v_dual_add_f32 v23, v19, v11
	s_delay_alu instid0(VALU_DEP_1) | instskip(NEXT) | instid1(VALU_DEP_1)
	v_dual_add_f32 v22, v21, v20 :: v_dual_sub_f32 v19, v19, v23
	v_rcp_f32_e32 v18, v22
	v_sub_f32_e32 v21, v21, v22
	s_delay_alu instid0(VALU_DEP_1) | instskip(NEXT) | instid1(TRANS32_DEP_1)
	v_dual_add_f32 v11, v11, v19 :: v_dual_add_f32 v20, v20, v21
	v_mul_f32_e32 v24, v23, v18
	s_delay_alu instid0(VALU_DEP_1) | instskip(NEXT) | instid1(VALU_DEP_1)
	v_mul_f32_e32 v25, v22, v24
	v_fma_f32 v21, v24, v22, -v25
	s_delay_alu instid0(VALU_DEP_1) | instskip(NEXT) | instid1(VALU_DEP_1)
	v_fmac_f32_e32 v21, v24, v20
	v_add_f32_e32 v26, v25, v21
	s_delay_alu instid0(VALU_DEP_1) | instskip(SKIP_1) | instid1(VALU_DEP_2)
	v_sub_f32_e32 v27, v23, v26
	v_sub_f32_e32 v19, v26, v25
	v_sub_f32_e32 v23, v23, v27
	s_delay_alu instid0(VALU_DEP_2) | instskip(NEXT) | instid1(VALU_DEP_2)
	v_sub_f32_e32 v19, v19, v21
	v_sub_f32_e32 v23, v23, v26
	s_delay_alu instid0(VALU_DEP_1) | instskip(NEXT) | instid1(VALU_DEP_1)
	v_add_f32_e32 v11, v11, v23
	v_add_f32_e32 v11, v19, v11
	s_delay_alu instid0(VALU_DEP_1) | instskip(NEXT) | instid1(VALU_DEP_1)
	v_add_f32_e32 v19, v27, v11
	v_mul_f32_e32 v21, v18, v19
	s_delay_alu instid0(VALU_DEP_1) | instskip(NEXT) | instid1(VALU_DEP_1)
	v_dual_sub_f32 v26, v27, v19 :: v_dual_mul_f32 v23, v22, v21
	v_add_f32_e32 v11, v11, v26
	s_delay_alu instid0(VALU_DEP_2) | instskip(NEXT) | instid1(VALU_DEP_1)
	v_fma_f32 v22, v21, v22, -v23
	v_fmac_f32_e32 v22, v21, v20
	s_delay_alu instid0(VALU_DEP_1) | instskip(NEXT) | instid1(VALU_DEP_1)
	v_add_f32_e32 v20, v23, v22
	v_sub_f32_e32 v25, v19, v20
	s_delay_alu instid0(VALU_DEP_1) | instskip(NEXT) | instid1(VALU_DEP_1)
	v_sub_f32_e32 v19, v19, v25
	v_sub_f32_e32 v19, v19, v20
	s_delay_alu instid0(VALU_DEP_1) | instskip(SKIP_2) | instid1(VALU_DEP_1)
	v_add_f32_e32 v11, v11, v19
	v_add_f32_e32 v19, v24, v21
	v_sub_f32_e32 v23, v20, v23
	v_sub_f32_e32 v20, v23, v22
	s_delay_alu instid0(VALU_DEP_1) | instskip(NEXT) | instid1(VALU_DEP_1)
	v_dual_add_f32 v11, v20, v11 :: v_dual_sub_f32 v20, v19, v24
	v_add_f32_e32 v11, v25, v11
	s_delay_alu instid0(VALU_DEP_1) | instskip(NEXT) | instid1(VALU_DEP_1)
	v_dual_sub_f32 v20, v21, v20 :: v_dual_mul_f32 v11, v18, v11
	v_add_f32_e32 v11, v20, v11
	s_delay_alu instid0(VALU_DEP_1) | instskip(NEXT) | instid1(VALU_DEP_1)
	v_add_f32_e32 v18, v19, v11
	v_mul_f32_e32 v20, v18, v18
	s_wait_alu 0xfffe
	s_delay_alu instid0(VALU_DEP_1) | instskip(SKIP_2) | instid1(VALU_DEP_3)
	v_fmaak_f32 v21, s0, v20, 0x3ecc95a3
	v_mul_f32_e32 v22, v18, v20
	v_cmp_neq_f32_e64 s0, 0x7f800000, v8
	v_fmaak_f32 v20, v20, v21, 0x3f2aaada
	v_ldexp_f32 v21, v18, 1
	v_sub_f32_e32 v18, v18, v19
	s_delay_alu instid0(VALU_DEP_3) | instskip(NEXT) | instid1(VALU_DEP_2)
	v_mul_f32_e32 v20, v22, v20
	v_dual_mul_f32 v22, 0x3f317218, v16 :: v_dual_sub_f32 v11, v11, v18
	s_delay_alu instid0(VALU_DEP_2) | instskip(NEXT) | instid1(VALU_DEP_2)
	v_add_f32_e32 v19, v21, v20
	v_ldexp_f32 v11, v11, 1
	s_delay_alu instid0(VALU_DEP_2) | instskip(NEXT) | instid1(VALU_DEP_4)
	v_sub_f32_e32 v18, v19, v21
	v_fma_f32 v21, 0x3f317218, v16, -v22
	s_delay_alu instid0(VALU_DEP_2) | instskip(NEXT) | instid1(VALU_DEP_1)
	v_sub_f32_e32 v18, v20, v18
	v_dual_fmamk_f32 v16, v16, 0xb102e308, v21 :: v_dual_add_f32 v11, v11, v18
	s_delay_alu instid0(VALU_DEP_1) | instskip(NEXT) | instid1(VALU_DEP_2)
	v_add_f32_e32 v18, v22, v16
	v_add_f32_e32 v20, v19, v11
	s_delay_alu instid0(VALU_DEP_2) | instskip(NEXT) | instid1(VALU_DEP_1)
	v_sub_f32_e32 v22, v18, v22
	v_dual_add_f32 v21, v18, v20 :: v_dual_sub_f32 v16, v16, v22
	s_delay_alu instid0(VALU_DEP_1) | instskip(SKIP_1) | instid1(VALU_DEP_2)
	v_sub_f32_e32 v23, v21, v18
	v_sub_f32_e32 v19, v20, v19
	;; [unrolled: 1-line block ×3, first 2 shown]
	s_delay_alu instid0(VALU_DEP_2) | instskip(NEXT) | instid1(VALU_DEP_2)
	v_sub_f32_e32 v11, v11, v19
	v_dual_sub_f32 v19, v20, v23 :: v_dual_sub_f32 v18, v18, v24
	s_delay_alu instid0(VALU_DEP_2) | instskip(NEXT) | instid1(VALU_DEP_1)
	v_add_f32_e32 v20, v16, v11
	v_dual_add_f32 v18, v19, v18 :: v_dual_sub_f32 v19, v20, v16
	s_delay_alu instid0(VALU_DEP_1) | instskip(NEXT) | instid1(VALU_DEP_2)
	v_add_f32_e32 v18, v20, v18
	v_sub_f32_e32 v20, v20, v19
	s_delay_alu instid0(VALU_DEP_2) | instskip(NEXT) | instid1(VALU_DEP_1)
	v_dual_sub_f32 v11, v11, v19 :: v_dual_add_f32 v22, v21, v18
	v_dual_sub_f32 v16, v16, v20 :: v_dual_sub_f32 v19, v22, v21
	s_delay_alu instid0(VALU_DEP_1) | instskip(NEXT) | instid1(VALU_DEP_1)
	v_dual_add_f32 v11, v11, v16 :: v_dual_sub_f32 v16, v18, v19
	v_add_f32_e32 v11, v11, v16
	s_delay_alu instid0(VALU_DEP_1) | instskip(SKIP_1) | instid1(VALU_DEP_1)
	v_add_f32_e32 v11, v22, v11
	s_wait_alu 0xf1ff
	v_cndmask_b32_e64 v11, 0x7f800000, v11, s0
	v_cmp_gt_f32_e64 s0, 0x33800000, |v8|
	s_wait_alu 0xf1ff
	s_delay_alu instid0(VALU_DEP_1) | instskip(NEXT) | instid1(VALU_DEP_1)
	v_cndmask_b32_e64 v8, v11, v8, s0
	v_add_f32_e32 v8, v15, v8
	s_delay_alu instid0(VALU_DEP_1) | instskip(NEXT) | instid1(VALU_DEP_1)
	v_cvt_f16_f32_e32 v18, v8
	v_cvt_f32_f16_e32 v8, v18
	v_mov_b32_e32 v11, v18
.LBB392_108:
	s_wait_alu 0xfffe
	s_or_b32 exec_lo, exec_lo, s1
	s_delay_alu instid0(VALU_DEP_2) | instskip(SKIP_1) | instid1(VALU_DEP_2)
	v_dual_max_num_f32 v15, v2, v2 :: v_dual_max_num_f32 v16, v8, v8
	v_cmp_u_f16_e64 s0, v18, v18
	v_min_num_f32_e32 v19, v16, v15
	v_max_num_f32_e32 v15, v16, v15
	s_wait_alu 0xf1ff
	s_delay_alu instid0(VALU_DEP_2) | instskip(NEXT) | instid1(VALU_DEP_2)
	v_cndmask_b32_e64 v16, v19, v8, s0
	v_cndmask_b32_e64 v15, v15, v8, s0
	s_delay_alu instid0(VALU_DEP_2) | instskip(NEXT) | instid1(VALU_DEP_2)
	v_cndmask_b32_e64 v16, v16, v2, s16
	v_cndmask_b32_e64 v15, v15, v2, s16
	v_mov_b32_e32 v2, v11
	s_delay_alu instid0(VALU_DEP_3) | instskip(NEXT) | instid1(VALU_DEP_3)
	v_cmp_class_f32_e64 s1, v16, 0x1f8
	v_cmp_neq_f32_e64 s0, v16, v15
	s_or_b32 s0, s0, s1
	s_wait_alu 0xfffe
	s_and_saveexec_b32 s1, s0
	s_cbranch_execz .LBB392_110
; %bb.109:
	v_sub_f32_e32 v2, v16, v15
	s_delay_alu instid0(VALU_DEP_1) | instskip(SKIP_1) | instid1(VALU_DEP_2)
	v_mul_f32_e32 v8, 0x3fb8aa3b, v2
	v_cmp_ngt_f32_e64 s0, 0xc2ce8ed0, v2
	v_fma_f32 v16, 0x3fb8aa3b, v2, -v8
	v_rndne_f32_e32 v18, v8
	s_delay_alu instid0(VALU_DEP_2) | instskip(NEXT) | instid1(VALU_DEP_2)
	v_fmamk_f32 v16, v2, 0x32a5705f, v16
	v_sub_f32_e32 v8, v8, v18
	s_delay_alu instid0(VALU_DEP_1) | instskip(SKIP_1) | instid1(VALU_DEP_2)
	v_add_f32_e32 v8, v8, v16
	v_cvt_i32_f32_e32 v16, v18
	v_exp_f32_e32 v8, v8
	s_delay_alu instid0(TRANS32_DEP_1) | instskip(SKIP_1) | instid1(VALU_DEP_1)
	v_ldexp_f32 v8, v8, v16
	s_wait_alu 0xf1ff
	v_cndmask_b32_e64 v8, 0, v8, s0
	v_cmp_nlt_f32_e64 s0, 0x42b17218, v2
	s_wait_alu 0xf1ff
	s_delay_alu instid0(VALU_DEP_1) | instskip(NEXT) | instid1(VALU_DEP_1)
	v_cndmask_b32_e64 v2, 0x7f800000, v8, s0
	v_add_f32_e32 v8, 1.0, v2
	s_delay_alu instid0(VALU_DEP_1) | instskip(NEXT) | instid1(VALU_DEP_1)
	v_cvt_f64_f32_e32 v[18:19], v8
	v_frexp_exp_i32_f64_e32 v16, v[18:19]
	v_frexp_mant_f32_e32 v18, v8
	s_delay_alu instid0(VALU_DEP_1) | instskip(SKIP_1) | instid1(VALU_DEP_1)
	v_cmp_gt_f32_e64 s0, 0x3f2aaaab, v18
	v_add_f32_e32 v18, -1.0, v8
	v_sub_f32_e32 v20, v18, v8
	v_sub_f32_e32 v18, v2, v18
	s_delay_alu instid0(VALU_DEP_2) | instskip(NEXT) | instid1(VALU_DEP_1)
	v_add_f32_e32 v20, 1.0, v20
	v_add_f32_e32 v18, v18, v20
	s_wait_alu 0xf1ff
	v_subrev_co_ci_u32_e64 v16, null, 0, v16, s0
	s_mov_b32 s0, 0x3e9b6dac
	v_sub_nc_u32_e32 v19, 0, v16
	v_cvt_f32_i32_e32 v16, v16
	s_delay_alu instid0(VALU_DEP_2) | instskip(SKIP_1) | instid1(VALU_DEP_2)
	v_ldexp_f32 v8, v8, v19
	v_ldexp_f32 v18, v18, v19
	v_add_f32_e32 v21, 1.0, v8
	s_delay_alu instid0(VALU_DEP_1) | instskip(NEXT) | instid1(VALU_DEP_1)
	v_dual_add_f32 v19, -1.0, v8 :: v_dual_add_f32 v20, -1.0, v21
	v_add_f32_e32 v22, 1.0, v19
	s_delay_alu instid0(VALU_DEP_2) | instskip(NEXT) | instid1(VALU_DEP_2)
	v_sub_f32_e32 v20, v8, v20
	v_sub_f32_e32 v8, v8, v22
	s_delay_alu instid0(VALU_DEP_2) | instskip(NEXT) | instid1(VALU_DEP_2)
	v_add_f32_e32 v20, v18, v20
	v_add_f32_e32 v8, v18, v8
	s_delay_alu instid0(VALU_DEP_2) | instskip(NEXT) | instid1(VALU_DEP_2)
	v_add_f32_e32 v22, v21, v20
	v_add_f32_e32 v23, v19, v8
	s_delay_alu instid0(VALU_DEP_2) | instskip(SKIP_1) | instid1(VALU_DEP_1)
	v_rcp_f32_e32 v18, v22
	v_sub_f32_e32 v21, v21, v22
	v_dual_sub_f32 v19, v19, v23 :: v_dual_add_f32 v20, v20, v21
	s_delay_alu instid0(VALU_DEP_1) | instskip(NEXT) | instid1(TRANS32_DEP_1)
	v_add_f32_e32 v8, v8, v19
	v_mul_f32_e32 v24, v23, v18
	s_delay_alu instid0(VALU_DEP_1) | instskip(NEXT) | instid1(VALU_DEP_1)
	v_mul_f32_e32 v25, v22, v24
	v_fma_f32 v21, v24, v22, -v25
	s_delay_alu instid0(VALU_DEP_1) | instskip(NEXT) | instid1(VALU_DEP_1)
	v_fmac_f32_e32 v21, v24, v20
	v_add_f32_e32 v26, v25, v21
	s_delay_alu instid0(VALU_DEP_1) | instskip(SKIP_1) | instid1(VALU_DEP_2)
	v_sub_f32_e32 v27, v23, v26
	v_sub_f32_e32 v19, v26, v25
	;; [unrolled: 1-line block ×3, first 2 shown]
	s_delay_alu instid0(VALU_DEP_2) | instskip(NEXT) | instid1(VALU_DEP_2)
	v_sub_f32_e32 v19, v19, v21
	v_sub_f32_e32 v23, v23, v26
	s_delay_alu instid0(VALU_DEP_1) | instskip(NEXT) | instid1(VALU_DEP_1)
	v_add_f32_e32 v8, v8, v23
	v_add_f32_e32 v8, v19, v8
	s_delay_alu instid0(VALU_DEP_1) | instskip(NEXT) | instid1(VALU_DEP_1)
	v_add_f32_e32 v19, v27, v8
	v_mul_f32_e32 v21, v18, v19
	s_delay_alu instid0(VALU_DEP_1) | instskip(NEXT) | instid1(VALU_DEP_1)
	v_dual_sub_f32 v26, v27, v19 :: v_dual_mul_f32 v23, v22, v21
	v_add_f32_e32 v8, v8, v26
	s_delay_alu instid0(VALU_DEP_2) | instskip(NEXT) | instid1(VALU_DEP_1)
	v_fma_f32 v22, v21, v22, -v23
	v_fmac_f32_e32 v22, v21, v20
	s_delay_alu instid0(VALU_DEP_1) | instskip(NEXT) | instid1(VALU_DEP_1)
	v_add_f32_e32 v20, v23, v22
	v_sub_f32_e32 v25, v19, v20
	v_sub_f32_e32 v23, v20, v23
	s_delay_alu instid0(VALU_DEP_2) | instskip(NEXT) | instid1(VALU_DEP_1)
	v_sub_f32_e32 v19, v19, v25
	v_sub_f32_e32 v19, v19, v20
	s_delay_alu instid0(VALU_DEP_3) | instskip(NEXT) | instid1(VALU_DEP_2)
	v_sub_f32_e32 v20, v23, v22
	v_add_f32_e32 v8, v8, v19
	v_add_f32_e32 v19, v24, v21
	s_delay_alu instid0(VALU_DEP_2) | instskip(NEXT) | instid1(VALU_DEP_2)
	v_add_f32_e32 v8, v20, v8
	v_sub_f32_e32 v20, v19, v24
	s_delay_alu instid0(VALU_DEP_2) | instskip(NEXT) | instid1(VALU_DEP_2)
	v_add_f32_e32 v8, v25, v8
	v_sub_f32_e32 v20, v21, v20
	s_delay_alu instid0(VALU_DEP_2) | instskip(NEXT) | instid1(VALU_DEP_1)
	v_mul_f32_e32 v8, v18, v8
	v_add_f32_e32 v8, v20, v8
	s_delay_alu instid0(VALU_DEP_1) | instskip(NEXT) | instid1(VALU_DEP_1)
	v_add_f32_e32 v18, v19, v8
	v_mul_f32_e32 v20, v18, v18
	s_wait_alu 0xfffe
	s_delay_alu instid0(VALU_DEP_1) | instskip(SKIP_2) | instid1(VALU_DEP_3)
	v_fmaak_f32 v21, s0, v20, 0x3ecc95a3
	v_mul_f32_e32 v22, v18, v20
	v_cmp_neq_f32_e64 s0, 0x7f800000, v2
	v_fmaak_f32 v20, v20, v21, 0x3f2aaada
	v_ldexp_f32 v21, v18, 1
	v_sub_f32_e32 v18, v18, v19
	s_delay_alu instid0(VALU_DEP_3) | instskip(SKIP_1) | instid1(VALU_DEP_2)
	v_mul_f32_e32 v20, v22, v20
	v_mul_f32_e32 v22, 0x3f317218, v16
	v_dual_sub_f32 v8, v8, v18 :: v_dual_add_f32 v19, v21, v20
	s_delay_alu instid0(VALU_DEP_1) | instskip(NEXT) | instid1(VALU_DEP_2)
	v_ldexp_f32 v8, v8, 1
	v_sub_f32_e32 v18, v19, v21
	s_delay_alu instid0(VALU_DEP_4) | instskip(NEXT) | instid1(VALU_DEP_2)
	v_fma_f32 v21, 0x3f317218, v16, -v22
	v_sub_f32_e32 v18, v20, v18
	s_delay_alu instid0(VALU_DEP_2) | instskip(NEXT) | instid1(VALU_DEP_2)
	v_fmamk_f32 v16, v16, 0xb102e308, v21
	v_add_f32_e32 v8, v8, v18
	s_delay_alu instid0(VALU_DEP_2) | instskip(NEXT) | instid1(VALU_DEP_2)
	v_add_f32_e32 v18, v22, v16
	v_add_f32_e32 v20, v19, v8
	s_delay_alu instid0(VALU_DEP_2) | instskip(NEXT) | instid1(VALU_DEP_2)
	v_sub_f32_e32 v22, v18, v22
	v_add_f32_e32 v21, v18, v20
	v_sub_f32_e32 v19, v20, v19
	s_delay_alu instid0(VALU_DEP_3) | instskip(NEXT) | instid1(VALU_DEP_2)
	v_sub_f32_e32 v16, v16, v22
	v_dual_sub_f32 v23, v21, v18 :: v_dual_sub_f32 v8, v8, v19
	s_delay_alu instid0(VALU_DEP_1) | instskip(SKIP_1) | instid1(VALU_DEP_3)
	v_sub_f32_e32 v24, v21, v23
	v_sub_f32_e32 v19, v20, v23
	v_add_f32_e32 v20, v16, v8
	s_delay_alu instid0(VALU_DEP_3) | instskip(NEXT) | instid1(VALU_DEP_1)
	v_sub_f32_e32 v18, v18, v24
	v_dual_add_f32 v18, v19, v18 :: v_dual_sub_f32 v19, v20, v16
	s_delay_alu instid0(VALU_DEP_1) | instskip(NEXT) | instid1(VALU_DEP_2)
	v_add_f32_e32 v18, v20, v18
	v_sub_f32_e32 v20, v20, v19
	v_sub_f32_e32 v8, v8, v19
	s_delay_alu instid0(VALU_DEP_3) | instskip(NEXT) | instid1(VALU_DEP_1)
	v_add_f32_e32 v22, v21, v18
	v_dual_sub_f32 v16, v16, v20 :: v_dual_sub_f32 v19, v22, v21
	s_delay_alu instid0(VALU_DEP_1) | instskip(NEXT) | instid1(VALU_DEP_2)
	v_add_f32_e32 v8, v8, v16
	v_sub_f32_e32 v16, v18, v19
	s_delay_alu instid0(VALU_DEP_1) | instskip(NEXT) | instid1(VALU_DEP_1)
	v_add_f32_e32 v8, v8, v16
	v_add_f32_e32 v8, v22, v8
	s_wait_alu 0xf1ff
	s_delay_alu instid0(VALU_DEP_1) | instskip(SKIP_2) | instid1(VALU_DEP_1)
	v_cndmask_b32_e64 v8, 0x7f800000, v8, s0
	v_cmp_gt_f32_e64 s0, 0x33800000, |v2|
	s_wait_alu 0xf1ff
	v_cndmask_b32_e64 v2, v8, v2, s0
	s_delay_alu instid0(VALU_DEP_1) | instskip(NEXT) | instid1(VALU_DEP_1)
	v_add_f32_e32 v2, v15, v2
	v_cvt_f16_f32_e32 v18, v2
	s_delay_alu instid0(VALU_DEP_1)
	v_cvt_f32_f16_e32 v8, v18
	v_mov_b32_e32 v2, v18
.LBB392_110:
	s_wait_alu 0xfffe
	s_or_b32 exec_lo, exec_lo, s1
	v_max_num_f32_e32 v15, v12, v12
	v_max_num_f32_e32 v16, v8, v8
	v_cmp_u_f16_e64 s0, v18, v18
	s_delay_alu instid0(VALU_DEP_2) | instskip(SKIP_2) | instid1(VALU_DEP_2)
	v_min_num_f32_e32 v19, v16, v15
	v_max_num_f32_e32 v15, v16, v15
	s_wait_alu 0xf1ff
	v_cndmask_b32_e64 v16, v19, v8, s0
	s_delay_alu instid0(VALU_DEP_2) | instskip(NEXT) | instid1(VALU_DEP_2)
	v_cndmask_b32_e64 v15, v15, v8, s0
	v_cndmask_b32_e64 v16, v16, v12, s17
	s_delay_alu instid0(VALU_DEP_2) | instskip(SKIP_1) | instid1(VALU_DEP_3)
	v_cndmask_b32_e64 v15, v15, v12, s17
	v_mov_b32_e32 v12, v2
	v_cmp_class_f32_e64 s1, v16, 0x1f8
	s_delay_alu instid0(VALU_DEP_3)
	v_cmp_neq_f32_e64 s0, v16, v15
	s_or_b32 s0, s0, s1
	s_wait_alu 0xfffe
	s_and_saveexec_b32 s1, s0
	s_cbranch_execz .LBB392_112
; %bb.111:
	v_sub_f32_e32 v8, v16, v15
	s_delay_alu instid0(VALU_DEP_1) | instskip(SKIP_1) | instid1(VALU_DEP_2)
	v_mul_f32_e32 v12, 0x3fb8aa3b, v8
	v_cmp_ngt_f32_e64 s0, 0xc2ce8ed0, v8
	v_fma_f32 v16, 0x3fb8aa3b, v8, -v12
	v_rndne_f32_e32 v18, v12
	s_delay_alu instid0(VALU_DEP_2) | instskip(NEXT) | instid1(VALU_DEP_2)
	v_fmamk_f32 v16, v8, 0x32a5705f, v16
	v_sub_f32_e32 v12, v12, v18
	s_delay_alu instid0(VALU_DEP_1) | instskip(SKIP_1) | instid1(VALU_DEP_2)
	v_add_f32_e32 v12, v12, v16
	v_cvt_i32_f32_e32 v16, v18
	v_exp_f32_e32 v12, v12
	s_delay_alu instid0(TRANS32_DEP_1) | instskip(SKIP_1) | instid1(VALU_DEP_1)
	v_ldexp_f32 v12, v12, v16
	s_wait_alu 0xf1ff
	v_cndmask_b32_e64 v12, 0, v12, s0
	v_cmp_nlt_f32_e64 s0, 0x42b17218, v8
	s_wait_alu 0xf1ff
	s_delay_alu instid0(VALU_DEP_1) | instskip(NEXT) | instid1(VALU_DEP_1)
	v_cndmask_b32_e64 v8, 0x7f800000, v12, s0
	v_add_f32_e32 v12, 1.0, v8
	s_delay_alu instid0(VALU_DEP_1) | instskip(NEXT) | instid1(VALU_DEP_1)
	v_cvt_f64_f32_e32 v[18:19], v12
	v_frexp_exp_i32_f64_e32 v16, v[18:19]
	v_frexp_mant_f32_e32 v18, v12
	s_delay_alu instid0(VALU_DEP_1) | instskip(SKIP_1) | instid1(VALU_DEP_1)
	v_cmp_gt_f32_e64 s0, 0x3f2aaaab, v18
	v_add_f32_e32 v18, -1.0, v12
	v_sub_f32_e32 v20, v18, v12
	v_sub_f32_e32 v18, v8, v18
	s_delay_alu instid0(VALU_DEP_2) | instskip(NEXT) | instid1(VALU_DEP_1)
	v_add_f32_e32 v20, 1.0, v20
	v_add_f32_e32 v18, v18, v20
	s_wait_alu 0xf1ff
	v_subrev_co_ci_u32_e64 v16, null, 0, v16, s0
	s_mov_b32 s0, 0x3e9b6dac
	v_sub_nc_u32_e32 v19, 0, v16
	v_cvt_f32_i32_e32 v16, v16
	s_delay_alu instid0(VALU_DEP_2) | instskip(SKIP_1) | instid1(VALU_DEP_2)
	v_ldexp_f32 v12, v12, v19
	v_ldexp_f32 v18, v18, v19
	v_add_f32_e32 v21, 1.0, v12
	s_delay_alu instid0(VALU_DEP_1) | instskip(NEXT) | instid1(VALU_DEP_1)
	v_dual_add_f32 v19, -1.0, v12 :: v_dual_add_f32 v20, -1.0, v21
	v_add_f32_e32 v22, 1.0, v19
	s_delay_alu instid0(VALU_DEP_2) | instskip(NEXT) | instid1(VALU_DEP_2)
	v_sub_f32_e32 v20, v12, v20
	v_sub_f32_e32 v12, v12, v22
	s_delay_alu instid0(VALU_DEP_2) | instskip(NEXT) | instid1(VALU_DEP_2)
	v_add_f32_e32 v20, v18, v20
	v_add_f32_e32 v12, v18, v12
	s_delay_alu instid0(VALU_DEP_2) | instskip(NEXT) | instid1(VALU_DEP_2)
	v_add_f32_e32 v22, v21, v20
	v_add_f32_e32 v23, v19, v12
	s_delay_alu instid0(VALU_DEP_2) | instskip(SKIP_1) | instid1(VALU_DEP_1)
	v_rcp_f32_e32 v18, v22
	v_sub_f32_e32 v21, v21, v22
	v_dual_sub_f32 v19, v19, v23 :: v_dual_add_f32 v20, v20, v21
	s_delay_alu instid0(VALU_DEP_1) | instskip(NEXT) | instid1(TRANS32_DEP_1)
	v_add_f32_e32 v12, v12, v19
	v_mul_f32_e32 v24, v23, v18
	s_delay_alu instid0(VALU_DEP_1) | instskip(NEXT) | instid1(VALU_DEP_1)
	v_mul_f32_e32 v25, v22, v24
	v_fma_f32 v21, v24, v22, -v25
	s_delay_alu instid0(VALU_DEP_1) | instskip(NEXT) | instid1(VALU_DEP_1)
	v_fmac_f32_e32 v21, v24, v20
	v_add_f32_e32 v26, v25, v21
	s_delay_alu instid0(VALU_DEP_1) | instskip(SKIP_1) | instid1(VALU_DEP_2)
	v_sub_f32_e32 v27, v23, v26
	v_sub_f32_e32 v19, v26, v25
	;; [unrolled: 1-line block ×3, first 2 shown]
	s_delay_alu instid0(VALU_DEP_2) | instskip(NEXT) | instid1(VALU_DEP_2)
	v_sub_f32_e32 v19, v19, v21
	v_sub_f32_e32 v23, v23, v26
	s_delay_alu instid0(VALU_DEP_1) | instskip(NEXT) | instid1(VALU_DEP_1)
	v_add_f32_e32 v12, v12, v23
	v_add_f32_e32 v12, v19, v12
	s_delay_alu instid0(VALU_DEP_1) | instskip(NEXT) | instid1(VALU_DEP_1)
	v_add_f32_e32 v19, v27, v12
	v_mul_f32_e32 v21, v18, v19
	s_delay_alu instid0(VALU_DEP_1) | instskip(NEXT) | instid1(VALU_DEP_1)
	v_dual_sub_f32 v26, v27, v19 :: v_dual_mul_f32 v23, v22, v21
	v_add_f32_e32 v12, v12, v26
	s_delay_alu instid0(VALU_DEP_2) | instskip(NEXT) | instid1(VALU_DEP_1)
	v_fma_f32 v22, v21, v22, -v23
	v_fmac_f32_e32 v22, v21, v20
	s_delay_alu instid0(VALU_DEP_1) | instskip(NEXT) | instid1(VALU_DEP_1)
	v_add_f32_e32 v20, v23, v22
	v_sub_f32_e32 v25, v19, v20
	v_sub_f32_e32 v23, v20, v23
	s_delay_alu instid0(VALU_DEP_2) | instskip(NEXT) | instid1(VALU_DEP_1)
	v_sub_f32_e32 v19, v19, v25
	v_sub_f32_e32 v19, v19, v20
	s_delay_alu instid0(VALU_DEP_3) | instskip(NEXT) | instid1(VALU_DEP_2)
	v_sub_f32_e32 v20, v23, v22
	v_add_f32_e32 v12, v12, v19
	v_add_f32_e32 v19, v24, v21
	s_delay_alu instid0(VALU_DEP_2) | instskip(NEXT) | instid1(VALU_DEP_2)
	v_add_f32_e32 v12, v20, v12
	v_sub_f32_e32 v20, v19, v24
	s_delay_alu instid0(VALU_DEP_2) | instskip(NEXT) | instid1(VALU_DEP_2)
	v_add_f32_e32 v12, v25, v12
	v_sub_f32_e32 v20, v21, v20
	s_delay_alu instid0(VALU_DEP_2) | instskip(NEXT) | instid1(VALU_DEP_1)
	v_mul_f32_e32 v12, v18, v12
	v_add_f32_e32 v12, v20, v12
	s_delay_alu instid0(VALU_DEP_1) | instskip(NEXT) | instid1(VALU_DEP_1)
	v_add_f32_e32 v18, v19, v12
	v_mul_f32_e32 v20, v18, v18
	s_wait_alu 0xfffe
	s_delay_alu instid0(VALU_DEP_1) | instskip(SKIP_2) | instid1(VALU_DEP_3)
	v_fmaak_f32 v21, s0, v20, 0x3ecc95a3
	v_mul_f32_e32 v22, v18, v20
	v_cmp_neq_f32_e64 s0, 0x7f800000, v8
	v_fmaak_f32 v20, v20, v21, 0x3f2aaada
	v_ldexp_f32 v21, v18, 1
	v_sub_f32_e32 v18, v18, v19
	s_delay_alu instid0(VALU_DEP_3) | instskip(SKIP_1) | instid1(VALU_DEP_2)
	v_mul_f32_e32 v20, v22, v20
	v_mul_f32_e32 v22, 0x3f317218, v16
	v_dual_sub_f32 v12, v12, v18 :: v_dual_add_f32 v19, v21, v20
	s_delay_alu instid0(VALU_DEP_1) | instskip(NEXT) | instid1(VALU_DEP_2)
	v_ldexp_f32 v12, v12, 1
	v_sub_f32_e32 v18, v19, v21
	s_delay_alu instid0(VALU_DEP_4) | instskip(NEXT) | instid1(VALU_DEP_2)
	v_fma_f32 v21, 0x3f317218, v16, -v22
	v_sub_f32_e32 v18, v20, v18
	s_delay_alu instid0(VALU_DEP_2) | instskip(NEXT) | instid1(VALU_DEP_2)
	v_fmamk_f32 v16, v16, 0xb102e308, v21
	v_add_f32_e32 v12, v12, v18
	s_delay_alu instid0(VALU_DEP_2) | instskip(NEXT) | instid1(VALU_DEP_2)
	v_add_f32_e32 v18, v22, v16
	v_add_f32_e32 v20, v19, v12
	s_delay_alu instid0(VALU_DEP_2) | instskip(NEXT) | instid1(VALU_DEP_2)
	v_sub_f32_e32 v22, v18, v22
	v_add_f32_e32 v21, v18, v20
	v_sub_f32_e32 v19, v20, v19
	s_delay_alu instid0(VALU_DEP_3) | instskip(NEXT) | instid1(VALU_DEP_2)
	v_sub_f32_e32 v16, v16, v22
	v_dual_sub_f32 v23, v21, v18 :: v_dual_sub_f32 v12, v12, v19
	s_delay_alu instid0(VALU_DEP_1) | instskip(SKIP_1) | instid1(VALU_DEP_3)
	v_sub_f32_e32 v24, v21, v23
	v_sub_f32_e32 v19, v20, v23
	v_add_f32_e32 v20, v16, v12
	s_delay_alu instid0(VALU_DEP_3) | instskip(NEXT) | instid1(VALU_DEP_1)
	v_sub_f32_e32 v18, v18, v24
	v_dual_add_f32 v18, v19, v18 :: v_dual_sub_f32 v19, v20, v16
	s_delay_alu instid0(VALU_DEP_1) | instskip(NEXT) | instid1(VALU_DEP_2)
	v_add_f32_e32 v18, v20, v18
	v_sub_f32_e32 v20, v20, v19
	v_sub_f32_e32 v12, v12, v19
	s_delay_alu instid0(VALU_DEP_3) | instskip(NEXT) | instid1(VALU_DEP_1)
	v_add_f32_e32 v22, v21, v18
	v_dual_sub_f32 v16, v16, v20 :: v_dual_sub_f32 v19, v22, v21
	s_delay_alu instid0(VALU_DEP_1) | instskip(NEXT) | instid1(VALU_DEP_2)
	v_add_f32_e32 v12, v12, v16
	v_sub_f32_e32 v16, v18, v19
	s_delay_alu instid0(VALU_DEP_1) | instskip(NEXT) | instid1(VALU_DEP_1)
	v_add_f32_e32 v12, v12, v16
	v_add_f32_e32 v12, v22, v12
	s_wait_alu 0xf1ff
	s_delay_alu instid0(VALU_DEP_1) | instskip(SKIP_2) | instid1(VALU_DEP_1)
	v_cndmask_b32_e64 v12, 0x7f800000, v12, s0
	v_cmp_gt_f32_e64 s0, 0x33800000, |v8|
	s_wait_alu 0xf1ff
	v_cndmask_b32_e64 v8, v12, v8, s0
	s_delay_alu instid0(VALU_DEP_1) | instskip(NEXT) | instid1(VALU_DEP_1)
	v_add_f32_e32 v8, v15, v8
	v_cvt_f16_f32_e32 v18, v8
	s_delay_alu instid0(VALU_DEP_1)
	v_cvt_f32_f16_e32 v8, v18
	v_mov_b32_e32 v12, v18
.LBB392_112:
	s_wait_alu 0xfffe
	s_or_b32 exec_lo, exec_lo, s1
	s_delay_alu instid0(VALU_DEP_2) | instskip(SKIP_1) | instid1(VALU_DEP_2)
	v_dual_max_num_f32 v15, v3, v3 :: v_dual_max_num_f32 v16, v8, v8
	v_cmp_u_f16_e64 s0, v18, v18
	v_min_num_f32_e32 v19, v16, v15
	v_max_num_f32_e32 v15, v16, v15
	s_wait_alu 0xf1ff
	s_delay_alu instid0(VALU_DEP_2) | instskip(NEXT) | instid1(VALU_DEP_2)
	v_cndmask_b32_e64 v16, v19, v8, s0
	v_cndmask_b32_e64 v15, v15, v8, s0
	s_delay_alu instid0(VALU_DEP_2) | instskip(NEXT) | instid1(VALU_DEP_2)
	v_cndmask_b32_e64 v16, v16, v3, s18
	v_cndmask_b32_e64 v15, v15, v3, s18
	v_mov_b32_e32 v3, v12
	s_delay_alu instid0(VALU_DEP_3) | instskip(NEXT) | instid1(VALU_DEP_3)
	v_cmp_class_f32_e64 s1, v16, 0x1f8
	v_cmp_neq_f32_e64 s0, v16, v15
	s_or_b32 s0, s0, s1
	s_wait_alu 0xfffe
	s_and_saveexec_b32 s1, s0
	s_cbranch_execz .LBB392_114
; %bb.113:
	v_sub_f32_e32 v3, v16, v15
	s_delay_alu instid0(VALU_DEP_1) | instskip(SKIP_1) | instid1(VALU_DEP_2)
	v_mul_f32_e32 v8, 0x3fb8aa3b, v3
	v_cmp_ngt_f32_e64 s0, 0xc2ce8ed0, v3
	v_fma_f32 v16, 0x3fb8aa3b, v3, -v8
	v_rndne_f32_e32 v18, v8
	s_delay_alu instid0(VALU_DEP_2) | instskip(NEXT) | instid1(VALU_DEP_2)
	v_fmamk_f32 v16, v3, 0x32a5705f, v16
	v_sub_f32_e32 v8, v8, v18
	s_delay_alu instid0(VALU_DEP_1) | instskip(SKIP_1) | instid1(VALU_DEP_2)
	v_add_f32_e32 v8, v8, v16
	v_cvt_i32_f32_e32 v16, v18
	v_exp_f32_e32 v8, v8
	s_delay_alu instid0(TRANS32_DEP_1) | instskip(SKIP_1) | instid1(VALU_DEP_1)
	v_ldexp_f32 v8, v8, v16
	s_wait_alu 0xf1ff
	v_cndmask_b32_e64 v8, 0, v8, s0
	v_cmp_nlt_f32_e64 s0, 0x42b17218, v3
	s_wait_alu 0xf1ff
	s_delay_alu instid0(VALU_DEP_1) | instskip(NEXT) | instid1(VALU_DEP_1)
	v_cndmask_b32_e64 v3, 0x7f800000, v8, s0
	v_add_f32_e32 v8, 1.0, v3
	s_delay_alu instid0(VALU_DEP_1) | instskip(NEXT) | instid1(VALU_DEP_1)
	v_cvt_f64_f32_e32 v[18:19], v8
	v_frexp_exp_i32_f64_e32 v16, v[18:19]
	v_frexp_mant_f32_e32 v18, v8
	s_delay_alu instid0(VALU_DEP_1) | instskip(SKIP_1) | instid1(VALU_DEP_1)
	v_cmp_gt_f32_e64 s0, 0x3f2aaaab, v18
	v_add_f32_e32 v18, -1.0, v8
	v_sub_f32_e32 v20, v18, v8
	s_delay_alu instid0(VALU_DEP_1)
	v_add_f32_e32 v20, 1.0, v20
	s_wait_alu 0xf1ff
	v_subrev_co_ci_u32_e64 v16, null, 0, v16, s0
	s_mov_b32 s0, 0x3e9b6dac
	v_sub_nc_u32_e32 v19, 0, v16
	v_cvt_f32_i32_e32 v16, v16
	s_delay_alu instid0(VALU_DEP_2) | instskip(NEXT) | instid1(VALU_DEP_1)
	v_ldexp_f32 v8, v8, v19
	v_dual_sub_f32 v18, v3, v18 :: v_dual_add_f32 v21, 1.0, v8
	s_delay_alu instid0(VALU_DEP_1) | instskip(NEXT) | instid1(VALU_DEP_1)
	v_add_f32_e32 v18, v18, v20
	v_ldexp_f32 v18, v18, v19
	s_delay_alu instid0(VALU_DEP_3) | instskip(NEXT) | instid1(VALU_DEP_1)
	v_dual_add_f32 v19, -1.0, v8 :: v_dual_add_f32 v20, -1.0, v21
	v_add_f32_e32 v22, 1.0, v19
	s_delay_alu instid0(VALU_DEP_2) | instskip(NEXT) | instid1(VALU_DEP_2)
	v_sub_f32_e32 v20, v8, v20
	v_sub_f32_e32 v8, v8, v22
	s_delay_alu instid0(VALU_DEP_2) | instskip(NEXT) | instid1(VALU_DEP_2)
	v_add_f32_e32 v20, v18, v20
	v_add_f32_e32 v8, v18, v8
	s_delay_alu instid0(VALU_DEP_2) | instskip(NEXT) | instid1(VALU_DEP_2)
	v_add_f32_e32 v22, v21, v20
	v_add_f32_e32 v23, v19, v8
	s_delay_alu instid0(VALU_DEP_2) | instskip(SKIP_1) | instid1(VALU_DEP_1)
	v_rcp_f32_e32 v18, v22
	v_sub_f32_e32 v21, v21, v22
	v_dual_sub_f32 v19, v19, v23 :: v_dual_add_f32 v20, v20, v21
	s_delay_alu instid0(VALU_DEP_1) | instskip(NEXT) | instid1(TRANS32_DEP_1)
	v_add_f32_e32 v8, v8, v19
	v_mul_f32_e32 v24, v23, v18
	s_delay_alu instid0(VALU_DEP_1) | instskip(NEXT) | instid1(VALU_DEP_1)
	v_mul_f32_e32 v25, v22, v24
	v_fma_f32 v21, v24, v22, -v25
	s_delay_alu instid0(VALU_DEP_1) | instskip(NEXT) | instid1(VALU_DEP_1)
	v_fmac_f32_e32 v21, v24, v20
	v_add_f32_e32 v26, v25, v21
	s_delay_alu instid0(VALU_DEP_1) | instskip(SKIP_1) | instid1(VALU_DEP_2)
	v_sub_f32_e32 v27, v23, v26
	v_sub_f32_e32 v19, v26, v25
	v_sub_f32_e32 v23, v23, v27
	s_delay_alu instid0(VALU_DEP_2) | instskip(NEXT) | instid1(VALU_DEP_2)
	v_sub_f32_e32 v19, v19, v21
	v_sub_f32_e32 v23, v23, v26
	s_delay_alu instid0(VALU_DEP_1) | instskip(NEXT) | instid1(VALU_DEP_1)
	v_add_f32_e32 v8, v8, v23
	v_add_f32_e32 v8, v19, v8
	s_delay_alu instid0(VALU_DEP_1) | instskip(NEXT) | instid1(VALU_DEP_1)
	v_add_f32_e32 v19, v27, v8
	v_mul_f32_e32 v21, v18, v19
	s_delay_alu instid0(VALU_DEP_1) | instskip(NEXT) | instid1(VALU_DEP_1)
	v_dual_sub_f32 v26, v27, v19 :: v_dual_mul_f32 v23, v22, v21
	v_add_f32_e32 v8, v8, v26
	s_delay_alu instid0(VALU_DEP_2) | instskip(NEXT) | instid1(VALU_DEP_1)
	v_fma_f32 v22, v21, v22, -v23
	v_fmac_f32_e32 v22, v21, v20
	s_delay_alu instid0(VALU_DEP_1) | instskip(NEXT) | instid1(VALU_DEP_1)
	v_add_f32_e32 v20, v23, v22
	v_sub_f32_e32 v25, v19, v20
	v_sub_f32_e32 v23, v20, v23
	s_delay_alu instid0(VALU_DEP_2) | instskip(NEXT) | instid1(VALU_DEP_1)
	v_sub_f32_e32 v19, v19, v25
	v_sub_f32_e32 v19, v19, v20
	s_delay_alu instid0(VALU_DEP_3) | instskip(NEXT) | instid1(VALU_DEP_2)
	v_sub_f32_e32 v20, v23, v22
	v_add_f32_e32 v8, v8, v19
	v_add_f32_e32 v19, v24, v21
	s_delay_alu instid0(VALU_DEP_2) | instskip(NEXT) | instid1(VALU_DEP_2)
	v_add_f32_e32 v8, v20, v8
	v_sub_f32_e32 v20, v19, v24
	s_delay_alu instid0(VALU_DEP_2) | instskip(NEXT) | instid1(VALU_DEP_2)
	v_add_f32_e32 v8, v25, v8
	v_sub_f32_e32 v20, v21, v20
	s_delay_alu instid0(VALU_DEP_2) | instskip(NEXT) | instid1(VALU_DEP_1)
	v_mul_f32_e32 v8, v18, v8
	v_add_f32_e32 v8, v20, v8
	s_delay_alu instid0(VALU_DEP_1) | instskip(NEXT) | instid1(VALU_DEP_1)
	v_add_f32_e32 v18, v19, v8
	v_mul_f32_e32 v20, v18, v18
	s_wait_alu 0xfffe
	s_delay_alu instid0(VALU_DEP_1) | instskip(SKIP_2) | instid1(VALU_DEP_3)
	v_fmaak_f32 v21, s0, v20, 0x3ecc95a3
	v_mul_f32_e32 v22, v18, v20
	v_cmp_neq_f32_e64 s0, 0x7f800000, v3
	v_fmaak_f32 v20, v20, v21, 0x3f2aaada
	v_ldexp_f32 v21, v18, 1
	v_sub_f32_e32 v18, v18, v19
	s_delay_alu instid0(VALU_DEP_3) | instskip(SKIP_1) | instid1(VALU_DEP_2)
	v_mul_f32_e32 v20, v22, v20
	v_mul_f32_e32 v22, 0x3f317218, v16
	v_dual_sub_f32 v8, v8, v18 :: v_dual_add_f32 v19, v21, v20
	s_delay_alu instid0(VALU_DEP_1) | instskip(NEXT) | instid1(VALU_DEP_2)
	v_ldexp_f32 v8, v8, 1
	v_sub_f32_e32 v18, v19, v21
	s_delay_alu instid0(VALU_DEP_4) | instskip(NEXT) | instid1(VALU_DEP_2)
	v_fma_f32 v21, 0x3f317218, v16, -v22
	v_sub_f32_e32 v18, v20, v18
	s_delay_alu instid0(VALU_DEP_2) | instskip(NEXT) | instid1(VALU_DEP_2)
	v_fmamk_f32 v16, v16, 0xb102e308, v21
	v_add_f32_e32 v8, v8, v18
	s_delay_alu instid0(VALU_DEP_2) | instskip(NEXT) | instid1(VALU_DEP_2)
	v_add_f32_e32 v18, v22, v16
	v_add_f32_e32 v20, v19, v8
	s_delay_alu instid0(VALU_DEP_2) | instskip(NEXT) | instid1(VALU_DEP_2)
	v_sub_f32_e32 v22, v18, v22
	v_add_f32_e32 v21, v18, v20
	v_sub_f32_e32 v19, v20, v19
	s_delay_alu instid0(VALU_DEP_3) | instskip(NEXT) | instid1(VALU_DEP_2)
	v_sub_f32_e32 v16, v16, v22
	v_dual_sub_f32 v23, v21, v18 :: v_dual_sub_f32 v8, v8, v19
	s_delay_alu instid0(VALU_DEP_1) | instskip(SKIP_1) | instid1(VALU_DEP_3)
	v_sub_f32_e32 v24, v21, v23
	v_sub_f32_e32 v19, v20, v23
	v_add_f32_e32 v20, v16, v8
	s_delay_alu instid0(VALU_DEP_3) | instskip(NEXT) | instid1(VALU_DEP_1)
	v_sub_f32_e32 v18, v18, v24
	v_dual_add_f32 v18, v19, v18 :: v_dual_sub_f32 v19, v20, v16
	s_delay_alu instid0(VALU_DEP_1) | instskip(NEXT) | instid1(VALU_DEP_2)
	v_add_f32_e32 v18, v20, v18
	v_sub_f32_e32 v20, v20, v19
	v_sub_f32_e32 v8, v8, v19
	s_delay_alu instid0(VALU_DEP_3) | instskip(NEXT) | instid1(VALU_DEP_1)
	v_add_f32_e32 v22, v21, v18
	v_dual_sub_f32 v16, v16, v20 :: v_dual_sub_f32 v19, v22, v21
	s_delay_alu instid0(VALU_DEP_1) | instskip(NEXT) | instid1(VALU_DEP_2)
	v_add_f32_e32 v8, v8, v16
	v_sub_f32_e32 v16, v18, v19
	s_delay_alu instid0(VALU_DEP_1) | instskip(NEXT) | instid1(VALU_DEP_1)
	v_add_f32_e32 v8, v8, v16
	v_add_f32_e32 v8, v22, v8
	s_wait_alu 0xf1ff
	s_delay_alu instid0(VALU_DEP_1) | instskip(SKIP_2) | instid1(VALU_DEP_1)
	v_cndmask_b32_e64 v8, 0x7f800000, v8, s0
	v_cmp_gt_f32_e64 s0, 0x33800000, |v3|
	s_wait_alu 0xf1ff
	v_cndmask_b32_e64 v3, v8, v3, s0
	s_delay_alu instid0(VALU_DEP_1) | instskip(NEXT) | instid1(VALU_DEP_1)
	v_add_f32_e32 v3, v15, v3
	v_cvt_f16_f32_e32 v18, v3
	s_delay_alu instid0(VALU_DEP_1)
	v_cvt_f32_f16_e32 v8, v18
	v_mov_b32_e32 v3, v18
.LBB392_114:
	s_wait_alu 0xfffe
	s_or_b32 exec_lo, exec_lo, s1
	s_delay_alu instid0(VALU_DEP_2) | instskip(SKIP_1) | instid1(VALU_DEP_2)
	v_dual_max_num_f32 v15, v13, v13 :: v_dual_max_num_f32 v16, v8, v8
	v_cmp_u_f16_e64 s0, v18, v18
	v_min_num_f32_e32 v19, v16, v15
	v_max_num_f32_e32 v15, v16, v15
	s_wait_alu 0xf1ff
	s_delay_alu instid0(VALU_DEP_2) | instskip(NEXT) | instid1(VALU_DEP_2)
	v_cndmask_b32_e64 v16, v19, v8, s0
	v_cndmask_b32_e64 v15, v15, v8, s0
	s_delay_alu instid0(VALU_DEP_2) | instskip(NEXT) | instid1(VALU_DEP_2)
	v_cndmask_b32_e64 v16, v16, v13, s19
	v_cndmask_b32_e64 v15, v15, v13, s19
	v_mov_b32_e32 v13, v3
	s_delay_alu instid0(VALU_DEP_3) | instskip(NEXT) | instid1(VALU_DEP_3)
	v_cmp_class_f32_e64 s1, v16, 0x1f8
	v_cmp_neq_f32_e64 s0, v16, v15
	s_or_b32 s0, s0, s1
	s_wait_alu 0xfffe
	s_and_saveexec_b32 s1, s0
	s_cbranch_execz .LBB392_116
; %bb.115:
	v_sub_f32_e32 v8, v16, v15
	s_delay_alu instid0(VALU_DEP_1) | instskip(NEXT) | instid1(VALU_DEP_1)
	v_mul_f32_e32 v13, 0x3fb8aa3b, v8
	v_fma_f32 v16, 0x3fb8aa3b, v8, -v13
	v_rndne_f32_e32 v18, v13
	s_delay_alu instid0(VALU_DEP_1) | instskip(SKIP_1) | instid1(VALU_DEP_2)
	v_dual_sub_f32 v13, v13, v18 :: v_dual_fmamk_f32 v16, v8, 0x32a5705f, v16
	v_cmp_ngt_f32_e64 s0, 0xc2ce8ed0, v8
	v_add_f32_e32 v13, v13, v16
	v_cvt_i32_f32_e32 v16, v18
	s_delay_alu instid0(VALU_DEP_2) | instskip(NEXT) | instid1(TRANS32_DEP_1)
	v_exp_f32_e32 v13, v13
	v_ldexp_f32 v13, v13, v16
	s_wait_alu 0xf1ff
	s_delay_alu instid0(VALU_DEP_1) | instskip(SKIP_2) | instid1(VALU_DEP_1)
	v_cndmask_b32_e64 v13, 0, v13, s0
	v_cmp_nlt_f32_e64 s0, 0x42b17218, v8
	s_wait_alu 0xf1ff
	v_cndmask_b32_e64 v8, 0x7f800000, v13, s0
	s_delay_alu instid0(VALU_DEP_1) | instskip(NEXT) | instid1(VALU_DEP_1)
	v_add_f32_e32 v13, 1.0, v8
	v_cvt_f64_f32_e32 v[18:19], v13
	s_delay_alu instid0(VALU_DEP_1) | instskip(SKIP_1) | instid1(VALU_DEP_1)
	v_frexp_exp_i32_f64_e32 v16, v[18:19]
	v_frexp_mant_f32_e32 v18, v13
	v_cmp_gt_f32_e64 s0, 0x3f2aaaab, v18
	v_add_f32_e32 v18, -1.0, v13
	s_delay_alu instid0(VALU_DEP_1)
	v_sub_f32_e32 v20, v18, v13
	v_sub_f32_e32 v18, v8, v18
	s_wait_alu 0xf1ff
	v_subrev_co_ci_u32_e64 v16, null, 0, v16, s0
	s_mov_b32 s0, 0x3e9b6dac
	v_sub_nc_u32_e32 v19, 0, v16
	v_cvt_f32_i32_e32 v16, v16
	s_delay_alu instid0(VALU_DEP_2) | instskip(NEXT) | instid1(VALU_DEP_1)
	v_ldexp_f32 v13, v13, v19
	v_dual_add_f32 v20, 1.0, v20 :: v_dual_add_f32 v21, 1.0, v13
	s_delay_alu instid0(VALU_DEP_1) | instskip(NEXT) | instid1(VALU_DEP_2)
	v_add_f32_e32 v18, v18, v20
	v_add_f32_e32 v20, -1.0, v21
	s_delay_alu instid0(VALU_DEP_2) | instskip(NEXT) | instid1(VALU_DEP_2)
	v_ldexp_f32 v18, v18, v19
	v_dual_add_f32 v19, -1.0, v13 :: v_dual_sub_f32 v20, v13, v20
	s_delay_alu instid0(VALU_DEP_1) | instskip(NEXT) | instid1(VALU_DEP_1)
	v_add_f32_e32 v22, 1.0, v19
	v_sub_f32_e32 v13, v13, v22
	s_delay_alu instid0(VALU_DEP_1) | instskip(NEXT) | instid1(VALU_DEP_1)
	v_add_f32_e32 v13, v18, v13
	v_dual_add_f32 v23, v19, v13 :: v_dual_add_f32 v20, v18, v20
	s_delay_alu instid0(VALU_DEP_1) | instskip(NEXT) | instid1(VALU_DEP_1)
	v_dual_sub_f32 v19, v19, v23 :: v_dual_add_f32 v22, v21, v20
	v_add_f32_e32 v13, v13, v19
	s_delay_alu instid0(VALU_DEP_2) | instskip(SKIP_1) | instid1(VALU_DEP_1)
	v_rcp_f32_e32 v18, v22
	v_sub_f32_e32 v21, v21, v22
	v_add_f32_e32 v20, v20, v21
	s_delay_alu instid0(TRANS32_DEP_1) | instskip(NEXT) | instid1(VALU_DEP_1)
	v_mul_f32_e32 v24, v23, v18
	v_mul_f32_e32 v25, v22, v24
	s_delay_alu instid0(VALU_DEP_1) | instskip(NEXT) | instid1(VALU_DEP_1)
	v_fma_f32 v21, v24, v22, -v25
	v_fmac_f32_e32 v21, v24, v20
	s_delay_alu instid0(VALU_DEP_1) | instskip(NEXT) | instid1(VALU_DEP_1)
	v_add_f32_e32 v26, v25, v21
	v_sub_f32_e32 v27, v23, v26
	s_delay_alu instid0(VALU_DEP_1) | instskip(SKIP_1) | instid1(VALU_DEP_2)
	v_sub_f32_e32 v23, v23, v27
	v_sub_f32_e32 v19, v26, v25
	;; [unrolled: 1-line block ×3, first 2 shown]
	s_delay_alu instid0(VALU_DEP_2) | instskip(NEXT) | instid1(VALU_DEP_2)
	v_sub_f32_e32 v19, v19, v21
	v_add_f32_e32 v13, v13, v23
	s_delay_alu instid0(VALU_DEP_1) | instskip(NEXT) | instid1(VALU_DEP_1)
	v_add_f32_e32 v13, v19, v13
	v_add_f32_e32 v19, v27, v13
	s_delay_alu instid0(VALU_DEP_1) | instskip(NEXT) | instid1(VALU_DEP_1)
	v_mul_f32_e32 v21, v18, v19
	v_dual_sub_f32 v26, v27, v19 :: v_dual_mul_f32 v23, v22, v21
	s_delay_alu instid0(VALU_DEP_1) | instskip(NEXT) | instid1(VALU_DEP_2)
	v_add_f32_e32 v13, v13, v26
	v_fma_f32 v22, v21, v22, -v23
	s_delay_alu instid0(VALU_DEP_1) | instskip(NEXT) | instid1(VALU_DEP_1)
	v_fmac_f32_e32 v22, v21, v20
	v_add_f32_e32 v20, v23, v22
	s_delay_alu instid0(VALU_DEP_1) | instskip(NEXT) | instid1(VALU_DEP_1)
	v_sub_f32_e32 v25, v19, v20
	v_sub_f32_e32 v19, v19, v25
	s_delay_alu instid0(VALU_DEP_1) | instskip(NEXT) | instid1(VALU_DEP_1)
	v_sub_f32_e32 v19, v19, v20
	v_add_f32_e32 v13, v13, v19
	v_add_f32_e32 v19, v24, v21
	v_sub_f32_e32 v23, v20, v23
	s_delay_alu instid0(VALU_DEP_1) | instskip(NEXT) | instid1(VALU_DEP_1)
	v_sub_f32_e32 v20, v23, v22
	v_dual_add_f32 v13, v20, v13 :: v_dual_sub_f32 v20, v19, v24
	s_delay_alu instid0(VALU_DEP_1) | instskip(NEXT) | instid1(VALU_DEP_1)
	v_add_f32_e32 v13, v25, v13
	v_dual_sub_f32 v20, v21, v20 :: v_dual_mul_f32 v13, v18, v13
	s_delay_alu instid0(VALU_DEP_1) | instskip(NEXT) | instid1(VALU_DEP_1)
	v_add_f32_e32 v13, v20, v13
	v_add_f32_e32 v18, v19, v13
	s_delay_alu instid0(VALU_DEP_1) | instskip(SKIP_1) | instid1(VALU_DEP_1)
	v_mul_f32_e32 v20, v18, v18
	s_wait_alu 0xfffe
	v_fmaak_f32 v21, s0, v20, 0x3ecc95a3
	v_mul_f32_e32 v22, v18, v20
	v_cmp_neq_f32_e64 s0, 0x7f800000, v8
	s_delay_alu instid0(VALU_DEP_3) | instskip(SKIP_2) | instid1(VALU_DEP_3)
	v_fmaak_f32 v20, v20, v21, 0x3f2aaada
	v_ldexp_f32 v21, v18, 1
	v_sub_f32_e32 v18, v18, v19
	v_mul_f32_e32 v20, v22, v20
	s_delay_alu instid0(VALU_DEP_2) | instskip(NEXT) | instid1(VALU_DEP_2)
	v_dual_mul_f32 v22, 0x3f317218, v16 :: v_dual_sub_f32 v13, v13, v18
	v_add_f32_e32 v19, v21, v20
	s_delay_alu instid0(VALU_DEP_2) | instskip(NEXT) | instid1(VALU_DEP_2)
	v_ldexp_f32 v13, v13, 1
	v_sub_f32_e32 v18, v19, v21
	s_delay_alu instid0(VALU_DEP_4) | instskip(NEXT) | instid1(VALU_DEP_2)
	v_fma_f32 v21, 0x3f317218, v16, -v22
	v_sub_f32_e32 v18, v20, v18
	s_delay_alu instid0(VALU_DEP_1) | instskip(NEXT) | instid1(VALU_DEP_1)
	v_dual_fmamk_f32 v16, v16, 0xb102e308, v21 :: v_dual_add_f32 v13, v13, v18
	v_add_f32_e32 v18, v22, v16
	s_delay_alu instid0(VALU_DEP_1) | instskip(NEXT) | instid1(VALU_DEP_1)
	v_sub_f32_e32 v22, v18, v22
	v_sub_f32_e32 v16, v16, v22
	s_delay_alu instid0(VALU_DEP_4) | instskip(NEXT) | instid1(VALU_DEP_1)
	v_add_f32_e32 v20, v19, v13
	v_sub_f32_e32 v19, v20, v19
	s_delay_alu instid0(VALU_DEP_1) | instskip(SKIP_1) | instid1(VALU_DEP_1)
	v_sub_f32_e32 v13, v13, v19
	v_add_f32_e32 v21, v18, v20
	v_sub_f32_e32 v23, v21, v18
	s_delay_alu instid0(VALU_DEP_1) | instskip(NEXT) | instid1(VALU_DEP_4)
	v_sub_f32_e32 v19, v20, v23
	v_add_f32_e32 v20, v16, v13
	v_sub_f32_e32 v24, v21, v23
	s_delay_alu instid0(VALU_DEP_1) | instskip(NEXT) | instid1(VALU_DEP_1)
	v_sub_f32_e32 v18, v18, v24
	v_dual_add_f32 v18, v19, v18 :: v_dual_sub_f32 v19, v20, v16
	s_delay_alu instid0(VALU_DEP_1) | instskip(SKIP_1) | instid1(VALU_DEP_2)
	v_dual_add_f32 v18, v20, v18 :: v_dual_sub_f32 v13, v13, v19
	v_sub_f32_e32 v20, v20, v19
	v_add_f32_e32 v22, v21, v18
	s_delay_alu instid0(VALU_DEP_1) | instskip(NEXT) | instid1(VALU_DEP_1)
	v_dual_sub_f32 v16, v16, v20 :: v_dual_sub_f32 v19, v22, v21
	v_dual_add_f32 v13, v13, v16 :: v_dual_sub_f32 v16, v18, v19
	s_delay_alu instid0(VALU_DEP_1) | instskip(NEXT) | instid1(VALU_DEP_1)
	v_add_f32_e32 v13, v13, v16
	v_add_f32_e32 v13, v22, v13
	s_wait_alu 0xf1ff
	s_delay_alu instid0(VALU_DEP_1) | instskip(SKIP_2) | instid1(VALU_DEP_1)
	v_cndmask_b32_e64 v13, 0x7f800000, v13, s0
	v_cmp_gt_f32_e64 s0, 0x33800000, |v8|
	s_wait_alu 0xf1ff
	v_cndmask_b32_e64 v8, v13, v8, s0
	s_delay_alu instid0(VALU_DEP_1) | instskip(NEXT) | instid1(VALU_DEP_1)
	v_add_f32_e32 v8, v15, v8
	v_cvt_f16_f32_e32 v18, v8
	s_delay_alu instid0(VALU_DEP_1)
	v_cvt_f32_f16_e32 v8, v18
	v_mov_b32_e32 v13, v18
.LBB392_116:
	s_wait_alu 0xfffe
	s_or_b32 exec_lo, exec_lo, s1
	v_max_num_f32_e32 v15, v4, v4
	v_max_num_f32_e32 v16, v8, v8
	v_cmp_u_f16_e64 s0, v18, v18
	s_delay_alu instid0(VALU_DEP_2) | instskip(SKIP_2) | instid1(VALU_DEP_2)
	v_min_num_f32_e32 v19, v16, v15
	v_max_num_f32_e32 v15, v16, v15
	s_wait_alu 0xf1ff
	v_cndmask_b32_e64 v16, v19, v8, s0
	s_delay_alu instid0(VALU_DEP_2) | instskip(NEXT) | instid1(VALU_DEP_2)
	v_cndmask_b32_e64 v15, v15, v8, s0
	v_cndmask_b32_e64 v16, v16, v4, s20
	s_delay_alu instid0(VALU_DEP_2) | instskip(SKIP_1) | instid1(VALU_DEP_3)
	v_cndmask_b32_e64 v15, v15, v4, s20
	v_mov_b32_e32 v4, v13
	v_cmp_class_f32_e64 s1, v16, 0x1f8
	s_delay_alu instid0(VALU_DEP_3)
	v_cmp_neq_f32_e64 s0, v16, v15
	s_or_b32 s0, s0, s1
	s_wait_alu 0xfffe
	s_and_saveexec_b32 s1, s0
	s_cbranch_execz .LBB392_118
; %bb.117:
	v_sub_f32_e32 v4, v16, v15
	s_delay_alu instid0(VALU_DEP_1) | instskip(SKIP_1) | instid1(VALU_DEP_2)
	v_mul_f32_e32 v8, 0x3fb8aa3b, v4
	v_cmp_ngt_f32_e64 s0, 0xc2ce8ed0, v4
	v_fma_f32 v16, 0x3fb8aa3b, v4, -v8
	v_rndne_f32_e32 v18, v8
	s_delay_alu instid0(VALU_DEP_2) | instskip(NEXT) | instid1(VALU_DEP_2)
	v_fmamk_f32 v16, v4, 0x32a5705f, v16
	v_sub_f32_e32 v8, v8, v18
	s_delay_alu instid0(VALU_DEP_1) | instskip(SKIP_1) | instid1(VALU_DEP_2)
	v_add_f32_e32 v8, v8, v16
	v_cvt_i32_f32_e32 v16, v18
	v_exp_f32_e32 v8, v8
	s_delay_alu instid0(TRANS32_DEP_1) | instskip(SKIP_1) | instid1(VALU_DEP_1)
	v_ldexp_f32 v8, v8, v16
	s_wait_alu 0xf1ff
	v_cndmask_b32_e64 v8, 0, v8, s0
	v_cmp_nlt_f32_e64 s0, 0x42b17218, v4
	s_wait_alu 0xf1ff
	s_delay_alu instid0(VALU_DEP_1) | instskip(NEXT) | instid1(VALU_DEP_1)
	v_cndmask_b32_e64 v4, 0x7f800000, v8, s0
	v_add_f32_e32 v8, 1.0, v4
	s_delay_alu instid0(VALU_DEP_1) | instskip(NEXT) | instid1(VALU_DEP_1)
	v_cvt_f64_f32_e32 v[18:19], v8
	v_frexp_exp_i32_f64_e32 v16, v[18:19]
	v_frexp_mant_f32_e32 v18, v8
	s_delay_alu instid0(VALU_DEP_1) | instskip(SKIP_1) | instid1(VALU_DEP_1)
	v_cmp_gt_f32_e64 s0, 0x3f2aaaab, v18
	v_add_f32_e32 v18, -1.0, v8
	v_sub_f32_e32 v20, v18, v8
	v_sub_f32_e32 v18, v4, v18
	s_delay_alu instid0(VALU_DEP_2) | instskip(NEXT) | instid1(VALU_DEP_1)
	v_add_f32_e32 v20, 1.0, v20
	v_add_f32_e32 v18, v18, v20
	s_wait_alu 0xf1ff
	v_subrev_co_ci_u32_e64 v16, null, 0, v16, s0
	s_mov_b32 s0, 0x3e9b6dac
	v_sub_nc_u32_e32 v19, 0, v16
	v_cvt_f32_i32_e32 v16, v16
	s_delay_alu instid0(VALU_DEP_2) | instskip(SKIP_1) | instid1(VALU_DEP_2)
	v_ldexp_f32 v8, v8, v19
	v_ldexp_f32 v18, v18, v19
	v_add_f32_e32 v21, 1.0, v8
	s_delay_alu instid0(VALU_DEP_1) | instskip(NEXT) | instid1(VALU_DEP_1)
	v_dual_add_f32 v19, -1.0, v8 :: v_dual_add_f32 v20, -1.0, v21
	v_add_f32_e32 v22, 1.0, v19
	s_delay_alu instid0(VALU_DEP_2) | instskip(NEXT) | instid1(VALU_DEP_2)
	v_sub_f32_e32 v20, v8, v20
	v_sub_f32_e32 v8, v8, v22
	s_delay_alu instid0(VALU_DEP_2) | instskip(NEXT) | instid1(VALU_DEP_2)
	v_add_f32_e32 v20, v18, v20
	v_add_f32_e32 v8, v18, v8
	s_delay_alu instid0(VALU_DEP_2) | instskip(NEXT) | instid1(VALU_DEP_2)
	v_add_f32_e32 v22, v21, v20
	v_add_f32_e32 v23, v19, v8
	s_delay_alu instid0(VALU_DEP_2) | instskip(SKIP_1) | instid1(VALU_DEP_1)
	v_rcp_f32_e32 v18, v22
	v_sub_f32_e32 v21, v21, v22
	v_dual_sub_f32 v19, v19, v23 :: v_dual_add_f32 v20, v20, v21
	s_delay_alu instid0(VALU_DEP_1) | instskip(NEXT) | instid1(TRANS32_DEP_1)
	v_add_f32_e32 v8, v8, v19
	v_mul_f32_e32 v24, v23, v18
	s_delay_alu instid0(VALU_DEP_1) | instskip(NEXT) | instid1(VALU_DEP_1)
	v_mul_f32_e32 v25, v22, v24
	v_fma_f32 v21, v24, v22, -v25
	s_delay_alu instid0(VALU_DEP_1) | instskip(NEXT) | instid1(VALU_DEP_1)
	v_fmac_f32_e32 v21, v24, v20
	v_add_f32_e32 v26, v25, v21
	s_delay_alu instid0(VALU_DEP_1) | instskip(SKIP_1) | instid1(VALU_DEP_2)
	v_sub_f32_e32 v27, v23, v26
	v_sub_f32_e32 v19, v26, v25
	;; [unrolled: 1-line block ×3, first 2 shown]
	s_delay_alu instid0(VALU_DEP_2) | instskip(NEXT) | instid1(VALU_DEP_2)
	v_sub_f32_e32 v19, v19, v21
	v_sub_f32_e32 v23, v23, v26
	s_delay_alu instid0(VALU_DEP_1) | instskip(NEXT) | instid1(VALU_DEP_1)
	v_add_f32_e32 v8, v8, v23
	v_add_f32_e32 v8, v19, v8
	s_delay_alu instid0(VALU_DEP_1) | instskip(NEXT) | instid1(VALU_DEP_1)
	v_add_f32_e32 v19, v27, v8
	v_mul_f32_e32 v21, v18, v19
	s_delay_alu instid0(VALU_DEP_1) | instskip(NEXT) | instid1(VALU_DEP_1)
	v_dual_sub_f32 v26, v27, v19 :: v_dual_mul_f32 v23, v22, v21
	v_add_f32_e32 v8, v8, v26
	s_delay_alu instid0(VALU_DEP_2) | instskip(NEXT) | instid1(VALU_DEP_1)
	v_fma_f32 v22, v21, v22, -v23
	v_fmac_f32_e32 v22, v21, v20
	s_delay_alu instid0(VALU_DEP_1) | instskip(NEXT) | instid1(VALU_DEP_1)
	v_add_f32_e32 v20, v23, v22
	v_sub_f32_e32 v25, v19, v20
	v_sub_f32_e32 v23, v20, v23
	s_delay_alu instid0(VALU_DEP_2) | instskip(NEXT) | instid1(VALU_DEP_1)
	v_sub_f32_e32 v19, v19, v25
	v_sub_f32_e32 v19, v19, v20
	s_delay_alu instid0(VALU_DEP_3) | instskip(NEXT) | instid1(VALU_DEP_2)
	v_sub_f32_e32 v20, v23, v22
	v_add_f32_e32 v8, v8, v19
	v_add_f32_e32 v19, v24, v21
	s_delay_alu instid0(VALU_DEP_2) | instskip(NEXT) | instid1(VALU_DEP_2)
	v_add_f32_e32 v8, v20, v8
	v_sub_f32_e32 v20, v19, v24
	s_delay_alu instid0(VALU_DEP_2) | instskip(NEXT) | instid1(VALU_DEP_2)
	v_add_f32_e32 v8, v25, v8
	v_sub_f32_e32 v20, v21, v20
	s_delay_alu instid0(VALU_DEP_2) | instskip(NEXT) | instid1(VALU_DEP_1)
	v_mul_f32_e32 v8, v18, v8
	v_add_f32_e32 v8, v20, v8
	s_delay_alu instid0(VALU_DEP_1) | instskip(NEXT) | instid1(VALU_DEP_1)
	v_add_f32_e32 v18, v19, v8
	v_mul_f32_e32 v20, v18, v18
	s_wait_alu 0xfffe
	s_delay_alu instid0(VALU_DEP_1) | instskip(SKIP_2) | instid1(VALU_DEP_3)
	v_fmaak_f32 v21, s0, v20, 0x3ecc95a3
	v_mul_f32_e32 v22, v18, v20
	v_cmp_neq_f32_e64 s0, 0x7f800000, v4
	v_fmaak_f32 v20, v20, v21, 0x3f2aaada
	v_ldexp_f32 v21, v18, 1
	v_sub_f32_e32 v18, v18, v19
	s_delay_alu instid0(VALU_DEP_3) | instskip(SKIP_1) | instid1(VALU_DEP_2)
	v_mul_f32_e32 v20, v22, v20
	v_mul_f32_e32 v22, 0x3f317218, v16
	v_dual_sub_f32 v8, v8, v18 :: v_dual_add_f32 v19, v21, v20
	s_delay_alu instid0(VALU_DEP_1) | instskip(NEXT) | instid1(VALU_DEP_2)
	v_ldexp_f32 v8, v8, 1
	v_sub_f32_e32 v18, v19, v21
	s_delay_alu instid0(VALU_DEP_4) | instskip(NEXT) | instid1(VALU_DEP_2)
	v_fma_f32 v21, 0x3f317218, v16, -v22
	v_sub_f32_e32 v18, v20, v18
	s_delay_alu instid0(VALU_DEP_2) | instskip(NEXT) | instid1(VALU_DEP_2)
	v_fmamk_f32 v16, v16, 0xb102e308, v21
	v_add_f32_e32 v8, v8, v18
	s_delay_alu instid0(VALU_DEP_2) | instskip(NEXT) | instid1(VALU_DEP_2)
	v_add_f32_e32 v18, v22, v16
	v_add_f32_e32 v20, v19, v8
	s_delay_alu instid0(VALU_DEP_2) | instskip(NEXT) | instid1(VALU_DEP_2)
	v_sub_f32_e32 v22, v18, v22
	v_add_f32_e32 v21, v18, v20
	v_sub_f32_e32 v19, v20, v19
	s_delay_alu instid0(VALU_DEP_3) | instskip(NEXT) | instid1(VALU_DEP_2)
	v_sub_f32_e32 v16, v16, v22
	v_dual_sub_f32 v23, v21, v18 :: v_dual_sub_f32 v8, v8, v19
	s_delay_alu instid0(VALU_DEP_1) | instskip(SKIP_1) | instid1(VALU_DEP_3)
	v_sub_f32_e32 v24, v21, v23
	v_sub_f32_e32 v19, v20, v23
	v_add_f32_e32 v20, v16, v8
	s_delay_alu instid0(VALU_DEP_3) | instskip(NEXT) | instid1(VALU_DEP_1)
	v_sub_f32_e32 v18, v18, v24
	v_dual_add_f32 v18, v19, v18 :: v_dual_sub_f32 v19, v20, v16
	s_delay_alu instid0(VALU_DEP_1) | instskip(NEXT) | instid1(VALU_DEP_2)
	v_add_f32_e32 v18, v20, v18
	v_sub_f32_e32 v20, v20, v19
	v_sub_f32_e32 v8, v8, v19
	s_delay_alu instid0(VALU_DEP_3) | instskip(NEXT) | instid1(VALU_DEP_1)
	v_add_f32_e32 v22, v21, v18
	v_dual_sub_f32 v16, v16, v20 :: v_dual_sub_f32 v19, v22, v21
	s_delay_alu instid0(VALU_DEP_1) | instskip(NEXT) | instid1(VALU_DEP_2)
	v_add_f32_e32 v8, v8, v16
	v_sub_f32_e32 v16, v18, v19
	s_delay_alu instid0(VALU_DEP_1) | instskip(NEXT) | instid1(VALU_DEP_1)
	v_add_f32_e32 v8, v8, v16
	v_add_f32_e32 v8, v22, v8
	s_wait_alu 0xf1ff
	s_delay_alu instid0(VALU_DEP_1) | instskip(SKIP_2) | instid1(VALU_DEP_1)
	v_cndmask_b32_e64 v8, 0x7f800000, v8, s0
	v_cmp_gt_f32_e64 s0, 0x33800000, |v4|
	s_wait_alu 0xf1ff
	v_cndmask_b32_e64 v4, v8, v4, s0
	s_delay_alu instid0(VALU_DEP_1) | instskip(NEXT) | instid1(VALU_DEP_1)
	v_add_f32_e32 v4, v15, v4
	v_cvt_f16_f32_e32 v18, v4
	s_delay_alu instid0(VALU_DEP_1)
	v_cvt_f32_f16_e32 v8, v18
	v_mov_b32_e32 v4, v18
.LBB392_118:
	s_wait_alu 0xfffe
	s_or_b32 exec_lo, exec_lo, s1
	s_delay_alu instid0(VALU_DEP_2) | instskip(SKIP_1) | instid1(VALU_DEP_2)
	v_dual_max_num_f32 v15, v14, v14 :: v_dual_max_num_f32 v16, v8, v8
	v_cmp_u_f16_e64 s0, v18, v18
	v_min_num_f32_e32 v19, v16, v15
	v_max_num_f32_e32 v15, v16, v15
	s_wait_alu 0xf1ff
	s_delay_alu instid0(VALU_DEP_2) | instskip(NEXT) | instid1(VALU_DEP_2)
	v_cndmask_b32_e64 v16, v19, v8, s0
	v_cndmask_b32_e64 v15, v15, v8, s0
	s_delay_alu instid0(VALU_DEP_2) | instskip(NEXT) | instid1(VALU_DEP_2)
	v_cndmask_b32_e64 v16, v16, v14, s21
	v_cndmask_b32_e64 v15, v15, v14, s21
	v_mov_b32_e32 v14, v4
	s_delay_alu instid0(VALU_DEP_3) | instskip(NEXT) | instid1(VALU_DEP_3)
	v_cmp_class_f32_e64 s1, v16, 0x1f8
	v_cmp_neq_f32_e64 s0, v16, v15
	s_or_b32 s0, s0, s1
	s_wait_alu 0xfffe
	s_and_saveexec_b32 s1, s0
	s_cbranch_execz .LBB392_120
; %bb.119:
	v_sub_f32_e32 v8, v16, v15
	s_delay_alu instid0(VALU_DEP_1) | instskip(SKIP_1) | instid1(VALU_DEP_2)
	v_mul_f32_e32 v14, 0x3fb8aa3b, v8
	v_cmp_ngt_f32_e64 s0, 0xc2ce8ed0, v8
	v_fma_f32 v16, 0x3fb8aa3b, v8, -v14
	v_rndne_f32_e32 v18, v14
	s_delay_alu instid0(VALU_DEP_2) | instskip(NEXT) | instid1(VALU_DEP_2)
	v_fmamk_f32 v16, v8, 0x32a5705f, v16
	v_sub_f32_e32 v14, v14, v18
	s_delay_alu instid0(VALU_DEP_1) | instskip(SKIP_1) | instid1(VALU_DEP_2)
	v_add_f32_e32 v14, v14, v16
	v_cvt_i32_f32_e32 v16, v18
	v_exp_f32_e32 v14, v14
	s_delay_alu instid0(TRANS32_DEP_1) | instskip(SKIP_1) | instid1(VALU_DEP_1)
	v_ldexp_f32 v14, v14, v16
	s_wait_alu 0xf1ff
	v_cndmask_b32_e64 v14, 0, v14, s0
	v_cmp_nlt_f32_e64 s0, 0x42b17218, v8
	s_wait_alu 0xf1ff
	s_delay_alu instid0(VALU_DEP_1) | instskip(NEXT) | instid1(VALU_DEP_1)
	v_cndmask_b32_e64 v8, 0x7f800000, v14, s0
	v_add_f32_e32 v14, 1.0, v8
	s_delay_alu instid0(VALU_DEP_1) | instskip(NEXT) | instid1(VALU_DEP_1)
	v_cvt_f64_f32_e32 v[18:19], v14
	v_frexp_exp_i32_f64_e32 v16, v[18:19]
	v_frexp_mant_f32_e32 v18, v14
	s_delay_alu instid0(VALU_DEP_1) | instskip(SKIP_1) | instid1(VALU_DEP_1)
	v_cmp_gt_f32_e64 s0, 0x3f2aaaab, v18
	v_add_f32_e32 v18, -1.0, v14
	v_sub_f32_e32 v20, v18, v14
	v_sub_f32_e32 v18, v8, v18
	s_delay_alu instid0(VALU_DEP_2) | instskip(NEXT) | instid1(VALU_DEP_1)
	v_add_f32_e32 v20, 1.0, v20
	v_add_f32_e32 v18, v18, v20
	s_wait_alu 0xf1ff
	v_subrev_co_ci_u32_e64 v16, null, 0, v16, s0
	s_mov_b32 s0, 0x3e9b6dac
	v_sub_nc_u32_e32 v19, 0, v16
	v_cvt_f32_i32_e32 v16, v16
	s_delay_alu instid0(VALU_DEP_2) | instskip(SKIP_1) | instid1(VALU_DEP_2)
	v_ldexp_f32 v14, v14, v19
	v_ldexp_f32 v18, v18, v19
	v_add_f32_e32 v21, 1.0, v14
	s_delay_alu instid0(VALU_DEP_1) | instskip(NEXT) | instid1(VALU_DEP_1)
	v_dual_add_f32 v19, -1.0, v14 :: v_dual_add_f32 v20, -1.0, v21
	v_add_f32_e32 v22, 1.0, v19
	s_delay_alu instid0(VALU_DEP_2) | instskip(NEXT) | instid1(VALU_DEP_2)
	v_sub_f32_e32 v20, v14, v20
	v_sub_f32_e32 v14, v14, v22
	s_delay_alu instid0(VALU_DEP_2) | instskip(NEXT) | instid1(VALU_DEP_2)
	v_add_f32_e32 v20, v18, v20
	v_add_f32_e32 v14, v18, v14
	s_delay_alu instid0(VALU_DEP_1) | instskip(NEXT) | instid1(VALU_DEP_1)
	v_dual_add_f32 v22, v21, v20 :: v_dual_add_f32 v23, v19, v14
	v_rcp_f32_e32 v18, v22
	v_sub_f32_e32 v21, v21, v22
	s_delay_alu instid0(VALU_DEP_1) | instskip(NEXT) | instid1(TRANS32_DEP_1)
	v_dual_sub_f32 v19, v19, v23 :: v_dual_add_f32 v20, v20, v21
	v_mul_f32_e32 v24, v23, v18
	s_delay_alu instid0(VALU_DEP_2) | instskip(NEXT) | instid1(VALU_DEP_2)
	v_add_f32_e32 v14, v14, v19
	v_mul_f32_e32 v25, v22, v24
	s_delay_alu instid0(VALU_DEP_1) | instskip(NEXT) | instid1(VALU_DEP_1)
	v_fma_f32 v21, v24, v22, -v25
	v_fmac_f32_e32 v21, v24, v20
	s_delay_alu instid0(VALU_DEP_1) | instskip(NEXT) | instid1(VALU_DEP_1)
	v_add_f32_e32 v26, v25, v21
	v_sub_f32_e32 v27, v23, v26
	v_sub_f32_e32 v19, v26, v25
	s_delay_alu instid0(VALU_DEP_2) | instskip(NEXT) | instid1(VALU_DEP_2)
	v_sub_f32_e32 v23, v23, v27
	v_sub_f32_e32 v19, v19, v21
	s_delay_alu instid0(VALU_DEP_2) | instskip(NEXT) | instid1(VALU_DEP_1)
	v_sub_f32_e32 v23, v23, v26
	v_add_f32_e32 v14, v14, v23
	s_delay_alu instid0(VALU_DEP_1) | instskip(NEXT) | instid1(VALU_DEP_1)
	v_add_f32_e32 v14, v19, v14
	v_add_f32_e32 v19, v27, v14
	s_delay_alu instid0(VALU_DEP_1) | instskip(NEXT) | instid1(VALU_DEP_1)
	v_mul_f32_e32 v21, v18, v19
	v_dual_sub_f32 v26, v27, v19 :: v_dual_mul_f32 v23, v22, v21
	s_delay_alu instid0(VALU_DEP_1) | instskip(NEXT) | instid1(VALU_DEP_2)
	v_add_f32_e32 v14, v14, v26
	v_fma_f32 v22, v21, v22, -v23
	s_delay_alu instid0(VALU_DEP_1) | instskip(NEXT) | instid1(VALU_DEP_1)
	v_fmac_f32_e32 v22, v21, v20
	v_add_f32_e32 v20, v23, v22
	s_delay_alu instid0(VALU_DEP_1) | instskip(SKIP_1) | instid1(VALU_DEP_2)
	v_sub_f32_e32 v25, v19, v20
	v_sub_f32_e32 v23, v20, v23
	;; [unrolled: 1-line block ×3, first 2 shown]
	s_delay_alu instid0(VALU_DEP_1) | instskip(NEXT) | instid1(VALU_DEP_3)
	v_sub_f32_e32 v19, v19, v20
	v_sub_f32_e32 v20, v23, v22
	s_delay_alu instid0(VALU_DEP_2) | instskip(NEXT) | instid1(VALU_DEP_1)
	v_dual_add_f32 v14, v14, v19 :: v_dual_add_f32 v19, v24, v21
	v_add_f32_e32 v14, v20, v14
	s_delay_alu instid0(VALU_DEP_2) | instskip(NEXT) | instid1(VALU_DEP_2)
	v_sub_f32_e32 v20, v19, v24
	v_add_f32_e32 v14, v25, v14
	s_delay_alu instid0(VALU_DEP_2) | instskip(NEXT) | instid1(VALU_DEP_2)
	v_sub_f32_e32 v20, v21, v20
	v_mul_f32_e32 v14, v18, v14
	s_delay_alu instid0(VALU_DEP_1) | instskip(NEXT) | instid1(VALU_DEP_1)
	v_add_f32_e32 v14, v20, v14
	v_add_f32_e32 v18, v19, v14
	s_delay_alu instid0(VALU_DEP_1) | instskip(SKIP_1) | instid1(VALU_DEP_1)
	v_mul_f32_e32 v20, v18, v18
	s_wait_alu 0xfffe
	v_fmaak_f32 v21, s0, v20, 0x3ecc95a3
	v_mul_f32_e32 v22, v18, v20
	v_cmp_neq_f32_e64 s0, 0x7f800000, v8
	s_delay_alu instid0(VALU_DEP_3) | instskip(SKIP_2) | instid1(VALU_DEP_3)
	v_fmaak_f32 v20, v20, v21, 0x3f2aaada
	v_ldexp_f32 v21, v18, 1
	v_sub_f32_e32 v18, v18, v19
	v_mul_f32_e32 v20, v22, v20
	v_mul_f32_e32 v22, 0x3f317218, v16
	s_delay_alu instid0(VALU_DEP_2) | instskip(NEXT) | instid1(VALU_DEP_1)
	v_dual_sub_f32 v14, v14, v18 :: v_dual_add_f32 v19, v21, v20
	v_ldexp_f32 v14, v14, 1
	s_delay_alu instid0(VALU_DEP_2) | instskip(NEXT) | instid1(VALU_DEP_4)
	v_sub_f32_e32 v18, v19, v21
	v_fma_f32 v21, 0x3f317218, v16, -v22
	s_delay_alu instid0(VALU_DEP_2) | instskip(NEXT) | instid1(VALU_DEP_2)
	v_sub_f32_e32 v18, v20, v18
	v_fmamk_f32 v16, v16, 0xb102e308, v21
	s_delay_alu instid0(VALU_DEP_2) | instskip(NEXT) | instid1(VALU_DEP_2)
	v_add_f32_e32 v14, v14, v18
	v_add_f32_e32 v18, v22, v16
	s_delay_alu instid0(VALU_DEP_2) | instskip(NEXT) | instid1(VALU_DEP_2)
	v_add_f32_e32 v20, v19, v14
	v_sub_f32_e32 v22, v18, v22
	s_delay_alu instid0(VALU_DEP_2) | instskip(SKIP_1) | instid1(VALU_DEP_3)
	v_add_f32_e32 v21, v18, v20
	v_sub_f32_e32 v19, v20, v19
	v_sub_f32_e32 v16, v16, v22
	s_delay_alu instid0(VALU_DEP_2) | instskip(NEXT) | instid1(VALU_DEP_1)
	v_dual_sub_f32 v23, v21, v18 :: v_dual_sub_f32 v14, v14, v19
	v_sub_f32_e32 v24, v21, v23
	v_sub_f32_e32 v19, v20, v23
	s_delay_alu instid0(VALU_DEP_3) | instskip(NEXT) | instid1(VALU_DEP_3)
	v_add_f32_e32 v20, v16, v14
	v_sub_f32_e32 v18, v18, v24
	s_delay_alu instid0(VALU_DEP_1) | instskip(NEXT) | instid1(VALU_DEP_1)
	v_dual_add_f32 v18, v19, v18 :: v_dual_sub_f32 v19, v20, v16
	v_add_f32_e32 v18, v20, v18
	s_delay_alu instid0(VALU_DEP_2) | instskip(SKIP_1) | instid1(VALU_DEP_3)
	v_sub_f32_e32 v20, v20, v19
	v_sub_f32_e32 v14, v14, v19
	v_add_f32_e32 v22, v21, v18
	s_delay_alu instid0(VALU_DEP_1) | instskip(NEXT) | instid1(VALU_DEP_1)
	v_dual_sub_f32 v16, v16, v20 :: v_dual_sub_f32 v19, v22, v21
	v_add_f32_e32 v14, v14, v16
	s_delay_alu instid0(VALU_DEP_2) | instskip(NEXT) | instid1(VALU_DEP_1)
	v_sub_f32_e32 v16, v18, v19
	v_add_f32_e32 v14, v14, v16
	s_delay_alu instid0(VALU_DEP_1) | instskip(SKIP_1) | instid1(VALU_DEP_1)
	v_add_f32_e32 v14, v22, v14
	s_wait_alu 0xf1ff
	v_cndmask_b32_e64 v14, 0x7f800000, v14, s0
	v_cmp_gt_f32_e64 s0, 0x33800000, |v8|
	s_wait_alu 0xf1ff
	s_delay_alu instid0(VALU_DEP_1) | instskip(NEXT) | instid1(VALU_DEP_1)
	v_cndmask_b32_e64 v8, v14, v8, s0
	v_add_f32_e32 v8, v15, v8
	s_delay_alu instid0(VALU_DEP_1) | instskip(NEXT) | instid1(VALU_DEP_1)
	v_cvt_f16_f32_e32 v18, v8
	v_cvt_f32_f16_e32 v8, v18
	v_mov_b32_e32 v14, v18
.LBB392_120:
	s_wait_alu 0xfffe
	s_or_b32 exec_lo, exec_lo, s1
	s_delay_alu instid0(VALU_DEP_2) | instskip(SKIP_1) | instid1(VALU_DEP_2)
	v_dual_max_num_f32 v15, v5, v5 :: v_dual_max_num_f32 v16, v8, v8
	v_cmp_u_f16_e64 s0, v18, v18
	v_min_num_f32_e32 v19, v16, v15
	v_max_num_f32_e32 v15, v16, v15
	s_wait_alu 0xf1ff
	s_delay_alu instid0(VALU_DEP_2) | instskip(NEXT) | instid1(VALU_DEP_2)
	v_cndmask_b32_e64 v16, v19, v8, s0
	v_cndmask_b32_e64 v15, v15, v8, s0
	s_delay_alu instid0(VALU_DEP_2) | instskip(NEXT) | instid1(VALU_DEP_2)
	v_cndmask_b32_e64 v16, v16, v5, s22
	v_cndmask_b32_e64 v15, v15, v5, s22
	v_mov_b32_e32 v5, v14
	s_delay_alu instid0(VALU_DEP_3) | instskip(NEXT) | instid1(VALU_DEP_3)
	v_cmp_class_f32_e64 s1, v16, 0x1f8
	v_cmp_neq_f32_e64 s0, v16, v15
	s_or_b32 s0, s0, s1
	s_wait_alu 0xfffe
	s_and_saveexec_b32 s1, s0
	s_cbranch_execz .LBB392_122
; %bb.121:
	v_sub_f32_e32 v5, v16, v15
	s_delay_alu instid0(VALU_DEP_1) | instskip(SKIP_1) | instid1(VALU_DEP_2)
	v_mul_f32_e32 v8, 0x3fb8aa3b, v5
	v_cmp_ngt_f32_e64 s0, 0xc2ce8ed0, v5
	v_fma_f32 v16, 0x3fb8aa3b, v5, -v8
	v_rndne_f32_e32 v18, v8
	s_delay_alu instid0(VALU_DEP_2) | instskip(NEXT) | instid1(VALU_DEP_2)
	v_fmamk_f32 v16, v5, 0x32a5705f, v16
	v_sub_f32_e32 v8, v8, v18
	s_delay_alu instid0(VALU_DEP_1) | instskip(SKIP_1) | instid1(VALU_DEP_2)
	v_add_f32_e32 v8, v8, v16
	v_cvt_i32_f32_e32 v16, v18
	v_exp_f32_e32 v8, v8
	s_delay_alu instid0(TRANS32_DEP_1) | instskip(SKIP_1) | instid1(VALU_DEP_1)
	v_ldexp_f32 v8, v8, v16
	s_wait_alu 0xf1ff
	v_cndmask_b32_e64 v8, 0, v8, s0
	v_cmp_nlt_f32_e64 s0, 0x42b17218, v5
	s_wait_alu 0xf1ff
	s_delay_alu instid0(VALU_DEP_1) | instskip(NEXT) | instid1(VALU_DEP_1)
	v_cndmask_b32_e64 v5, 0x7f800000, v8, s0
	v_add_f32_e32 v8, 1.0, v5
	s_delay_alu instid0(VALU_DEP_1) | instskip(NEXT) | instid1(VALU_DEP_1)
	v_cvt_f64_f32_e32 v[18:19], v8
	v_frexp_exp_i32_f64_e32 v16, v[18:19]
	v_frexp_mant_f32_e32 v18, v8
	s_delay_alu instid0(VALU_DEP_1) | instskip(SKIP_1) | instid1(VALU_DEP_1)
	v_cmp_gt_f32_e64 s0, 0x3f2aaaab, v18
	v_add_f32_e32 v18, -1.0, v8
	v_sub_f32_e32 v20, v18, v8
	s_delay_alu instid0(VALU_DEP_1)
	v_add_f32_e32 v20, 1.0, v20
	s_wait_alu 0xf1ff
	v_subrev_co_ci_u32_e64 v16, null, 0, v16, s0
	s_mov_b32 s0, 0x3e9b6dac
	v_sub_nc_u32_e32 v19, 0, v16
	v_cvt_f32_i32_e32 v16, v16
	s_delay_alu instid0(VALU_DEP_2) | instskip(NEXT) | instid1(VALU_DEP_1)
	v_ldexp_f32 v8, v8, v19
	v_dual_sub_f32 v18, v5, v18 :: v_dual_add_f32 v21, 1.0, v8
	s_delay_alu instid0(VALU_DEP_1) | instskip(NEXT) | instid1(VALU_DEP_1)
	v_add_f32_e32 v18, v18, v20
	v_ldexp_f32 v18, v18, v19
	s_delay_alu instid0(VALU_DEP_3) | instskip(NEXT) | instid1(VALU_DEP_1)
	v_dual_add_f32 v19, -1.0, v8 :: v_dual_add_f32 v20, -1.0, v21
	v_add_f32_e32 v22, 1.0, v19
	s_delay_alu instid0(VALU_DEP_2) | instskip(NEXT) | instid1(VALU_DEP_2)
	v_sub_f32_e32 v20, v8, v20
	v_sub_f32_e32 v8, v8, v22
	s_delay_alu instid0(VALU_DEP_2) | instskip(NEXT) | instid1(VALU_DEP_2)
	v_add_f32_e32 v20, v18, v20
	v_add_f32_e32 v8, v18, v8
	s_delay_alu instid0(VALU_DEP_2) | instskip(NEXT) | instid1(VALU_DEP_2)
	v_add_f32_e32 v22, v21, v20
	v_add_f32_e32 v23, v19, v8
	s_delay_alu instid0(VALU_DEP_2) | instskip(SKIP_1) | instid1(VALU_DEP_1)
	v_rcp_f32_e32 v18, v22
	v_sub_f32_e32 v21, v21, v22
	v_dual_sub_f32 v19, v19, v23 :: v_dual_add_f32 v20, v20, v21
	s_delay_alu instid0(VALU_DEP_1) | instskip(NEXT) | instid1(TRANS32_DEP_1)
	v_add_f32_e32 v8, v8, v19
	v_mul_f32_e32 v24, v23, v18
	s_delay_alu instid0(VALU_DEP_1) | instskip(NEXT) | instid1(VALU_DEP_1)
	v_mul_f32_e32 v25, v22, v24
	v_fma_f32 v21, v24, v22, -v25
	s_delay_alu instid0(VALU_DEP_1) | instskip(NEXT) | instid1(VALU_DEP_1)
	v_fmac_f32_e32 v21, v24, v20
	v_add_f32_e32 v26, v25, v21
	s_delay_alu instid0(VALU_DEP_1) | instskip(SKIP_1) | instid1(VALU_DEP_2)
	v_sub_f32_e32 v27, v23, v26
	v_sub_f32_e32 v19, v26, v25
	;; [unrolled: 1-line block ×3, first 2 shown]
	s_delay_alu instid0(VALU_DEP_2) | instskip(NEXT) | instid1(VALU_DEP_2)
	v_sub_f32_e32 v19, v19, v21
	v_sub_f32_e32 v23, v23, v26
	s_delay_alu instid0(VALU_DEP_1) | instskip(NEXT) | instid1(VALU_DEP_1)
	v_add_f32_e32 v8, v8, v23
	v_add_f32_e32 v8, v19, v8
	s_delay_alu instid0(VALU_DEP_1) | instskip(NEXT) | instid1(VALU_DEP_1)
	v_add_f32_e32 v19, v27, v8
	v_mul_f32_e32 v21, v18, v19
	s_delay_alu instid0(VALU_DEP_1) | instskip(NEXT) | instid1(VALU_DEP_1)
	v_dual_sub_f32 v26, v27, v19 :: v_dual_mul_f32 v23, v22, v21
	v_add_f32_e32 v8, v8, v26
	s_delay_alu instid0(VALU_DEP_2) | instskip(NEXT) | instid1(VALU_DEP_1)
	v_fma_f32 v22, v21, v22, -v23
	v_fmac_f32_e32 v22, v21, v20
	s_delay_alu instid0(VALU_DEP_1) | instskip(NEXT) | instid1(VALU_DEP_1)
	v_add_f32_e32 v20, v23, v22
	v_sub_f32_e32 v25, v19, v20
	v_sub_f32_e32 v23, v20, v23
	s_delay_alu instid0(VALU_DEP_2) | instskip(NEXT) | instid1(VALU_DEP_1)
	v_sub_f32_e32 v19, v19, v25
	v_sub_f32_e32 v19, v19, v20
	s_delay_alu instid0(VALU_DEP_3) | instskip(NEXT) | instid1(VALU_DEP_2)
	v_sub_f32_e32 v20, v23, v22
	v_add_f32_e32 v8, v8, v19
	v_add_f32_e32 v19, v24, v21
	s_delay_alu instid0(VALU_DEP_2) | instskip(NEXT) | instid1(VALU_DEP_2)
	v_add_f32_e32 v8, v20, v8
	v_sub_f32_e32 v20, v19, v24
	s_delay_alu instid0(VALU_DEP_2) | instskip(NEXT) | instid1(VALU_DEP_2)
	v_add_f32_e32 v8, v25, v8
	v_sub_f32_e32 v20, v21, v20
	s_delay_alu instid0(VALU_DEP_2) | instskip(NEXT) | instid1(VALU_DEP_1)
	v_mul_f32_e32 v8, v18, v8
	v_add_f32_e32 v8, v20, v8
	s_delay_alu instid0(VALU_DEP_1) | instskip(NEXT) | instid1(VALU_DEP_1)
	v_add_f32_e32 v18, v19, v8
	v_mul_f32_e32 v20, v18, v18
	s_wait_alu 0xfffe
	s_delay_alu instid0(VALU_DEP_1) | instskip(SKIP_2) | instid1(VALU_DEP_3)
	v_fmaak_f32 v21, s0, v20, 0x3ecc95a3
	v_mul_f32_e32 v22, v18, v20
	v_cmp_neq_f32_e64 s0, 0x7f800000, v5
	v_fmaak_f32 v20, v20, v21, 0x3f2aaada
	v_ldexp_f32 v21, v18, 1
	v_sub_f32_e32 v18, v18, v19
	s_delay_alu instid0(VALU_DEP_3) | instskip(SKIP_1) | instid1(VALU_DEP_2)
	v_mul_f32_e32 v20, v22, v20
	v_mul_f32_e32 v22, 0x3f317218, v16
	v_dual_sub_f32 v8, v8, v18 :: v_dual_add_f32 v19, v21, v20
	s_delay_alu instid0(VALU_DEP_1) | instskip(NEXT) | instid1(VALU_DEP_2)
	v_ldexp_f32 v8, v8, 1
	v_sub_f32_e32 v18, v19, v21
	s_delay_alu instid0(VALU_DEP_4) | instskip(NEXT) | instid1(VALU_DEP_2)
	v_fma_f32 v21, 0x3f317218, v16, -v22
	v_sub_f32_e32 v18, v20, v18
	s_delay_alu instid0(VALU_DEP_2) | instskip(NEXT) | instid1(VALU_DEP_2)
	v_fmamk_f32 v16, v16, 0xb102e308, v21
	v_add_f32_e32 v8, v8, v18
	s_delay_alu instid0(VALU_DEP_2) | instskip(NEXT) | instid1(VALU_DEP_2)
	v_add_f32_e32 v18, v22, v16
	v_add_f32_e32 v20, v19, v8
	s_delay_alu instid0(VALU_DEP_2) | instskip(NEXT) | instid1(VALU_DEP_2)
	v_sub_f32_e32 v22, v18, v22
	v_add_f32_e32 v21, v18, v20
	v_sub_f32_e32 v19, v20, v19
	s_delay_alu instid0(VALU_DEP_3) | instskip(NEXT) | instid1(VALU_DEP_2)
	v_sub_f32_e32 v16, v16, v22
	v_dual_sub_f32 v23, v21, v18 :: v_dual_sub_f32 v8, v8, v19
	s_delay_alu instid0(VALU_DEP_1) | instskip(SKIP_1) | instid1(VALU_DEP_3)
	v_sub_f32_e32 v24, v21, v23
	v_sub_f32_e32 v19, v20, v23
	v_add_f32_e32 v20, v16, v8
	s_delay_alu instid0(VALU_DEP_3) | instskip(NEXT) | instid1(VALU_DEP_1)
	v_sub_f32_e32 v18, v18, v24
	v_dual_add_f32 v18, v19, v18 :: v_dual_sub_f32 v19, v20, v16
	s_delay_alu instid0(VALU_DEP_1) | instskip(NEXT) | instid1(VALU_DEP_2)
	v_add_f32_e32 v18, v20, v18
	v_sub_f32_e32 v20, v20, v19
	v_sub_f32_e32 v8, v8, v19
	s_delay_alu instid0(VALU_DEP_3) | instskip(NEXT) | instid1(VALU_DEP_1)
	v_add_f32_e32 v22, v21, v18
	v_dual_sub_f32 v16, v16, v20 :: v_dual_sub_f32 v19, v22, v21
	s_delay_alu instid0(VALU_DEP_1) | instskip(NEXT) | instid1(VALU_DEP_2)
	v_add_f32_e32 v8, v8, v16
	v_sub_f32_e32 v16, v18, v19
	s_delay_alu instid0(VALU_DEP_1) | instskip(NEXT) | instid1(VALU_DEP_1)
	v_add_f32_e32 v8, v8, v16
	v_add_f32_e32 v8, v22, v8
	s_wait_alu 0xf1ff
	s_delay_alu instid0(VALU_DEP_1) | instskip(SKIP_2) | instid1(VALU_DEP_1)
	v_cndmask_b32_e64 v8, 0x7f800000, v8, s0
	v_cmp_gt_f32_e64 s0, 0x33800000, |v5|
	s_wait_alu 0xf1ff
	v_cndmask_b32_e64 v5, v8, v5, s0
	s_delay_alu instid0(VALU_DEP_1) | instskip(NEXT) | instid1(VALU_DEP_1)
	v_add_f32_e32 v5, v15, v5
	v_cvt_f16_f32_e32 v18, v5
	s_delay_alu instid0(VALU_DEP_1)
	v_cvt_f32_f16_e32 v8, v18
	v_mov_b32_e32 v5, v18
.LBB392_122:
	s_wait_alu 0xfffe
	s_or_b32 exec_lo, exec_lo, s1
	s_delay_alu instid0(VALU_DEP_2) | instskip(SKIP_1) | instid1(VALU_DEP_2)
	v_dual_max_num_f32 v15, v6, v6 :: v_dual_max_num_f32 v16, v8, v8
	v_cmp_u_f16_e64 s0, v18, v18
	v_min_num_f32_e32 v19, v16, v15
	v_max_num_f32_e32 v15, v16, v15
	s_wait_alu 0xf1ff
	s_delay_alu instid0(VALU_DEP_2) | instskip(NEXT) | instid1(VALU_DEP_2)
	v_cndmask_b32_e64 v16, v19, v8, s0
	v_cndmask_b32_e64 v8, v15, v8, s0
	s_delay_alu instid0(VALU_DEP_2) | instskip(NEXT) | instid1(VALU_DEP_2)
	v_cndmask_b32_e64 v15, v16, v6, s23
	v_cndmask_b32_e64 v6, v8, v6, s23
	v_mov_b32_e32 v8, v5
	s_delay_alu instid0(VALU_DEP_3) | instskip(NEXT) | instid1(VALU_DEP_3)
	v_cmp_class_f32_e64 s1, v15, 0x1f8
	v_cmp_neq_f32_e64 s0, v15, v6
	s_or_b32 s0, s0, s1
	s_wait_alu 0xfffe
	s_and_saveexec_b32 s1, s0
	s_cbranch_execz .LBB392_124
; %bb.123:
	v_sub_f32_e32 v8, v15, v6
	s_delay_alu instid0(VALU_DEP_1) | instskip(SKIP_1) | instid1(VALU_DEP_2)
	v_mul_f32_e32 v15, 0x3fb8aa3b, v8
	v_cmp_ngt_f32_e64 s0, 0xc2ce8ed0, v8
	v_fma_f32 v16, 0x3fb8aa3b, v8, -v15
	v_rndne_f32_e32 v18, v15
	s_delay_alu instid0(VALU_DEP_1) | instskip(NEXT) | instid1(VALU_DEP_1)
	v_dual_fmamk_f32 v16, v8, 0x32a5705f, v16 :: v_dual_sub_f32 v15, v15, v18
	v_add_f32_e32 v15, v15, v16
	v_cvt_i32_f32_e32 v16, v18
	s_delay_alu instid0(VALU_DEP_2) | instskip(NEXT) | instid1(TRANS32_DEP_1)
	v_exp_f32_e32 v15, v15
	v_ldexp_f32 v15, v15, v16
	s_wait_alu 0xf1ff
	s_delay_alu instid0(VALU_DEP_1) | instskip(SKIP_2) | instid1(VALU_DEP_1)
	v_cndmask_b32_e64 v15, 0, v15, s0
	v_cmp_nlt_f32_e64 s0, 0x42b17218, v8
	s_wait_alu 0xf1ff
	v_cndmask_b32_e64 v8, 0x7f800000, v15, s0
	s_delay_alu instid0(VALU_DEP_1) | instskip(NEXT) | instid1(VALU_DEP_1)
	v_add_f32_e32 v18, 1.0, v8
	v_cvt_f64_f32_e32 v[15:16], v18
	s_delay_alu instid0(VALU_DEP_1) | instskip(SKIP_1) | instid1(VALU_DEP_1)
	v_frexp_exp_i32_f64_e32 v15, v[15:16]
	v_frexp_mant_f32_e32 v16, v18
	v_cmp_gt_f32_e64 s0, 0x3f2aaaab, v16
	v_add_f32_e32 v16, -1.0, v18
	s_delay_alu instid0(VALU_DEP_1) | instskip(SKIP_1) | instid1(VALU_DEP_3)
	v_sub_f32_e32 v20, v16, v18
	s_wait_alu 0xf1ff
	v_subrev_co_ci_u32_e64 v15, null, 0, v15, s0
	s_mov_b32 s0, 0x3e9b6dac
	v_sub_nc_u32_e32 v19, 0, v15
	v_cvt_f32_i32_e32 v15, v15
	s_delay_alu instid0(VALU_DEP_2) | instskip(SKIP_1) | instid1(VALU_DEP_2)
	v_ldexp_f32 v18, v18, v19
	v_sub_f32_e32 v16, v8, v16
	v_dual_add_f32 v20, 1.0, v20 :: v_dual_add_f32 v21, 1.0, v18
	s_delay_alu instid0(VALU_DEP_1) | instskip(NEXT) | instid1(VALU_DEP_1)
	v_add_f32_e32 v16, v16, v20
	v_ldexp_f32 v16, v16, v19
	s_delay_alu instid0(VALU_DEP_3) | instskip(NEXT) | instid1(VALU_DEP_1)
	v_dual_add_f32 v19, -1.0, v18 :: v_dual_add_f32 v20, -1.0, v21
	v_add_f32_e32 v22, 1.0, v19
	s_delay_alu instid0(VALU_DEP_2) | instskip(NEXT) | instid1(VALU_DEP_2)
	v_sub_f32_e32 v20, v18, v20
	v_sub_f32_e32 v18, v18, v22
	s_delay_alu instid0(VALU_DEP_2) | instskip(NEXT) | instid1(VALU_DEP_2)
	v_add_f32_e32 v20, v16, v20
	v_add_f32_e32 v16, v16, v18
	s_delay_alu instid0(VALU_DEP_2) | instskip(NEXT) | instid1(VALU_DEP_2)
	v_add_f32_e32 v22, v21, v20
	v_add_f32_e32 v23, v19, v16
	s_delay_alu instid0(VALU_DEP_2) | instskip(SKIP_1) | instid1(VALU_DEP_1)
	v_rcp_f32_e32 v18, v22
	v_sub_f32_e32 v21, v21, v22
	v_dual_sub_f32 v19, v19, v23 :: v_dual_add_f32 v20, v20, v21
	s_delay_alu instid0(VALU_DEP_1) | instskip(NEXT) | instid1(TRANS32_DEP_1)
	v_add_f32_e32 v16, v16, v19
	v_mul_f32_e32 v24, v23, v18
	s_delay_alu instid0(VALU_DEP_1) | instskip(NEXT) | instid1(VALU_DEP_1)
	v_mul_f32_e32 v25, v22, v24
	v_fma_f32 v21, v24, v22, -v25
	s_delay_alu instid0(VALU_DEP_1) | instskip(NEXT) | instid1(VALU_DEP_1)
	v_fmac_f32_e32 v21, v24, v20
	v_add_f32_e32 v26, v25, v21
	s_delay_alu instid0(VALU_DEP_1) | instskip(SKIP_1) | instid1(VALU_DEP_2)
	v_sub_f32_e32 v27, v23, v26
	v_sub_f32_e32 v19, v26, v25
	;; [unrolled: 1-line block ×3, first 2 shown]
	s_delay_alu instid0(VALU_DEP_2) | instskip(NEXT) | instid1(VALU_DEP_2)
	v_sub_f32_e32 v19, v19, v21
	v_sub_f32_e32 v23, v23, v26
	s_delay_alu instid0(VALU_DEP_1) | instskip(NEXT) | instid1(VALU_DEP_1)
	v_add_f32_e32 v16, v16, v23
	v_add_f32_e32 v16, v19, v16
	s_delay_alu instid0(VALU_DEP_1) | instskip(NEXT) | instid1(VALU_DEP_1)
	v_add_f32_e32 v19, v27, v16
	v_mul_f32_e32 v21, v18, v19
	s_delay_alu instid0(VALU_DEP_1) | instskip(NEXT) | instid1(VALU_DEP_1)
	v_dual_sub_f32 v26, v27, v19 :: v_dual_mul_f32 v23, v22, v21
	v_fma_f32 v22, v21, v22, -v23
	s_delay_alu instid0(VALU_DEP_1) | instskip(NEXT) | instid1(VALU_DEP_1)
	v_fmac_f32_e32 v22, v21, v20
	v_add_f32_e32 v20, v23, v22
	s_delay_alu instid0(VALU_DEP_1) | instskip(SKIP_1) | instid1(VALU_DEP_2)
	v_sub_f32_e32 v25, v19, v20
	v_sub_f32_e32 v23, v20, v23
	v_dual_sub_f32 v19, v19, v25 :: v_dual_add_f32 v16, v16, v26
	s_delay_alu instid0(VALU_DEP_1) | instskip(NEXT) | instid1(VALU_DEP_1)
	v_sub_f32_e32 v19, v19, v20
	v_add_f32_e32 v16, v16, v19
	s_delay_alu instid0(VALU_DEP_4) | instskip(NEXT) | instid1(VALU_DEP_1)
	v_dual_add_f32 v19, v24, v21 :: v_dual_sub_f32 v20, v23, v22
	v_add_f32_e32 v16, v20, v16
	s_delay_alu instid0(VALU_DEP_2) | instskip(NEXT) | instid1(VALU_DEP_2)
	v_sub_f32_e32 v20, v19, v24
	v_add_f32_e32 v16, v25, v16
	s_delay_alu instid0(VALU_DEP_2) | instskip(NEXT) | instid1(VALU_DEP_2)
	v_sub_f32_e32 v20, v21, v20
	v_mul_f32_e32 v16, v18, v16
	s_delay_alu instid0(VALU_DEP_1) | instskip(NEXT) | instid1(VALU_DEP_1)
	v_add_f32_e32 v16, v20, v16
	v_add_f32_e32 v18, v19, v16
	s_delay_alu instid0(VALU_DEP_1) | instskip(SKIP_1) | instid1(VALU_DEP_1)
	v_mul_f32_e32 v20, v18, v18
	s_wait_alu 0xfffe
	v_fmaak_f32 v21, s0, v20, 0x3ecc95a3
	v_mul_f32_e32 v22, v18, v20
	v_cmp_neq_f32_e64 s0, 0x7f800000, v8
	s_delay_alu instid0(VALU_DEP_3) | instskip(SKIP_2) | instid1(VALU_DEP_3)
	v_fmaak_f32 v20, v20, v21, 0x3f2aaada
	v_ldexp_f32 v21, v18, 1
	v_sub_f32_e32 v18, v18, v19
	v_mul_f32_e32 v20, v22, v20
	s_delay_alu instid0(VALU_DEP_1) | instskip(NEXT) | instid1(VALU_DEP_1)
	v_dual_sub_f32 v16, v16, v18 :: v_dual_add_f32 v19, v21, v20
	v_ldexp_f32 v16, v16, 1
	s_delay_alu instid0(VALU_DEP_2) | instskip(NEXT) | instid1(VALU_DEP_1)
	v_sub_f32_e32 v18, v19, v21
	v_sub_f32_e32 v18, v20, v18
	s_delay_alu instid0(VALU_DEP_1) | instskip(NEXT) | instid1(VALU_DEP_1)
	v_add_f32_e32 v16, v16, v18
	v_add_f32_e32 v20, v19, v16
	v_mul_f32_e32 v22, 0x3f317218, v15
	s_delay_alu instid0(VALU_DEP_2) | instskip(NEXT) | instid1(VALU_DEP_2)
	v_sub_f32_e32 v19, v20, v19
	v_fma_f32 v21, 0x3f317218, v15, -v22
	s_delay_alu instid0(VALU_DEP_1) | instskip(NEXT) | instid1(VALU_DEP_1)
	v_dual_sub_f32 v16, v16, v19 :: v_dual_fmamk_f32 v15, v15, 0xb102e308, v21
	v_add_f32_e32 v18, v22, v15
	s_delay_alu instid0(VALU_DEP_1) | instskip(SKIP_1) | instid1(VALU_DEP_2)
	v_add_f32_e32 v21, v18, v20
	v_sub_f32_e32 v22, v18, v22
	v_sub_f32_e32 v23, v21, v18
	s_delay_alu instid0(VALU_DEP_1) | instskip(NEXT) | instid1(VALU_DEP_1)
	v_dual_sub_f32 v15, v15, v22 :: v_dual_sub_f32 v24, v21, v23
	v_dual_sub_f32 v19, v20, v23 :: v_dual_add_f32 v20, v15, v16
	s_delay_alu instid0(VALU_DEP_2) | instskip(NEXT) | instid1(VALU_DEP_1)
	v_sub_f32_e32 v18, v18, v24
	v_dual_add_f32 v18, v19, v18 :: v_dual_sub_f32 v19, v20, v15
	s_delay_alu instid0(VALU_DEP_1) | instskip(NEXT) | instid1(VALU_DEP_2)
	v_add_f32_e32 v18, v20, v18
	v_sub_f32_e32 v20, v20, v19
	v_sub_f32_e32 v16, v16, v19
	s_delay_alu instid0(VALU_DEP_2) | instskip(NEXT) | instid1(VALU_DEP_1)
	v_dual_add_f32 v22, v21, v18 :: v_dual_sub_f32 v15, v15, v20
	v_sub_f32_e32 v19, v22, v21
	s_delay_alu instid0(VALU_DEP_2) | instskip(NEXT) | instid1(VALU_DEP_2)
	v_add_f32_e32 v15, v16, v15
	v_sub_f32_e32 v16, v18, v19
	s_delay_alu instid0(VALU_DEP_1) | instskip(NEXT) | instid1(VALU_DEP_1)
	v_add_f32_e32 v15, v15, v16
	v_add_f32_e32 v15, v22, v15
	s_wait_alu 0xf1ff
	s_delay_alu instid0(VALU_DEP_1) | instskip(SKIP_2) | instid1(VALU_DEP_1)
	v_cndmask_b32_e64 v15, 0x7f800000, v15, s0
	v_cmp_gt_f32_e64 s0, 0x33800000, |v8|
	s_wait_alu 0xf1ff
	v_cndmask_b32_e64 v8, v15, v8, s0
	s_delay_alu instid0(VALU_DEP_1) | instskip(NEXT) | instid1(VALU_DEP_1)
	v_add_f32_e32 v6, v6, v8
	v_cvt_f16_f32_e32 v8, v6
.LBB392_124:
	s_wait_alu 0xfffe
	s_or_b32 exec_lo, exec_lo, s1
	v_add_nc_u32_e32 v6, v7, v17
	v_perm_b32 v3, v13, v3, 0x5040100
	v_perm_b32 v2, v12, v2, 0x5040100
	;; [unrolled: 1-line block ×6, first 2 shown]
	s_wait_loadcnt 0x0
	s_barrier_signal -1
	s_barrier_wait -1
	global_inv scope:SCOPE_SE
	ds_store_2addr_b64 v6, v[9:10], v[2:3] offset1:1
	ds_store_b64 v6, v[4:5] offset:16
	s_wait_loadcnt_dscnt 0x0
	s_barrier_signal -1
	s_barrier_wait -1
	global_inv scope:SCOPE_SE
	ds_load_u16 v13, v7 offset:512
	ds_load_u16 v12, v7 offset:1024
	;; [unrolled: 1-line block ×11, first 2 shown]
	v_lshlrev_b32_e32 v0, 1, v0
	s_wait_kmcnt 0x0
	s_delay_alu instid0(VALU_DEP_1)
	v_add_co_u32 v0, s0, s26, v0
	s_wait_alu 0xf1ff
	v_add_co_ci_u32_e64 v1, null, s27, 0, s0
	s_and_saveexec_b32 s0, vcc_lo
	s_cbranch_execnz .LBB392_137
; %bb.125:
	s_wait_alu 0xfffe
	s_or_b32 exec_lo, exec_lo, s0
	s_and_saveexec_b32 s0, s2
	s_cbranch_execnz .LBB392_138
.LBB392_126:
	s_wait_alu 0xfffe
	s_or_b32 exec_lo, exec_lo, s0
	s_and_saveexec_b32 s0, s3
	s_cbranch_execnz .LBB392_139
.LBB392_127:
	s_wait_alu 0xfffe
	s_or_b32 exec_lo, exec_lo, s0
	s_and_saveexec_b32 s0, s4
	s_cbranch_execnz .LBB392_140
.LBB392_128:
	s_wait_alu 0xfffe
	s_or_b32 exec_lo, exec_lo, s0
	s_and_saveexec_b32 s0, s5
	s_cbranch_execnz .LBB392_141
.LBB392_129:
	s_wait_alu 0xfffe
	s_or_b32 exec_lo, exec_lo, s0
	s_and_saveexec_b32 s0, s6
	s_cbranch_execnz .LBB392_142
.LBB392_130:
	s_wait_alu 0xfffe
	s_or_b32 exec_lo, exec_lo, s0
	s_and_saveexec_b32 s0, s7
	s_cbranch_execnz .LBB392_143
.LBB392_131:
	s_wait_alu 0xfffe
	s_or_b32 exec_lo, exec_lo, s0
	s_and_saveexec_b32 s0, s8
	s_cbranch_execnz .LBB392_144
.LBB392_132:
	s_wait_alu 0xfffe
	s_or_b32 exec_lo, exec_lo, s0
	s_and_saveexec_b32 s0, s9
	s_cbranch_execnz .LBB392_145
.LBB392_133:
	s_wait_alu 0xfffe
	s_or_b32 exec_lo, exec_lo, s0
	s_and_saveexec_b32 s0, s10
	s_cbranch_execnz .LBB392_146
.LBB392_134:
	s_wait_alu 0xfffe
	s_or_b32 exec_lo, exec_lo, s0
	s_and_saveexec_b32 s0, s11
	s_cbranch_execnz .LBB392_147
.LBB392_135:
	s_wait_alu 0xfffe
	s_or_b32 exec_lo, exec_lo, s0
	s_and_saveexec_b32 s0, s12
	s_cbranch_execnz .LBB392_148
.LBB392_136:
	s_endpgm
.LBB392_137:
	ds_load_u16 v7, v7
	s_wait_dscnt 0x0
	global_store_b16 v[0:1], v7, off
	s_wait_alu 0xfffe
	s_or_b32 exec_lo, exec_lo, s0
	s_and_saveexec_b32 s0, s2
	s_cbranch_execz .LBB392_126
.LBB392_138:
	s_wait_dscnt 0xa
	global_store_b16 v[0:1], v13, off offset:512
	s_wait_alu 0xfffe
	s_or_b32 exec_lo, exec_lo, s0
	s_and_saveexec_b32 s0, s3
	s_cbranch_execz .LBB392_127
.LBB392_139:
	s_wait_dscnt 0x9
	global_store_b16 v[0:1], v12, off offset:1024
	s_wait_alu 0xfffe
	s_or_b32 exec_lo, exec_lo, s0
	s_and_saveexec_b32 s0, s4
	s_cbranch_execz .LBB392_128
.LBB392_140:
	s_wait_dscnt 0x8
	global_store_b16 v[0:1], v11, off offset:1536
	s_wait_alu 0xfffe
	s_or_b32 exec_lo, exec_lo, s0
	s_and_saveexec_b32 s0, s5
	s_cbranch_execz .LBB392_129
.LBB392_141:
	s_wait_dscnt 0x7
	global_store_b16 v[0:1], v10, off offset:2048
	s_wait_alu 0xfffe
	s_or_b32 exec_lo, exec_lo, s0
	s_and_saveexec_b32 s0, s6
	s_cbranch_execz .LBB392_130
.LBB392_142:
	s_wait_dscnt 0x6
	global_store_b16 v[0:1], v9, off offset:2560
	s_wait_alu 0xfffe
	s_or_b32 exec_lo, exec_lo, s0
	s_and_saveexec_b32 s0, s7
	s_cbranch_execz .LBB392_131
.LBB392_143:
	s_wait_dscnt 0x5
	global_store_b16 v[0:1], v8, off offset:3072
	s_wait_alu 0xfffe
	s_or_b32 exec_lo, exec_lo, s0
	s_and_saveexec_b32 s0, s8
	s_cbranch_execz .LBB392_132
.LBB392_144:
	s_wait_dscnt 0x4
	global_store_b16 v[0:1], v6, off offset:3584
	s_wait_alu 0xfffe
	s_or_b32 exec_lo, exec_lo, s0
	s_and_saveexec_b32 s0, s9
	s_cbranch_execz .LBB392_133
.LBB392_145:
	s_wait_dscnt 0x3
	global_store_b16 v[0:1], v5, off offset:4096
	s_wait_alu 0xfffe
	s_or_b32 exec_lo, exec_lo, s0
	s_and_saveexec_b32 s0, s10
	s_cbranch_execz .LBB392_134
.LBB392_146:
	s_wait_dscnt 0x2
	global_store_b16 v[0:1], v4, off offset:4608
	s_wait_alu 0xfffe
	s_or_b32 exec_lo, exec_lo, s0
	s_and_saveexec_b32 s0, s11
	s_cbranch_execz .LBB392_135
.LBB392_147:
	s_wait_dscnt 0x1
	global_store_b16 v[0:1], v3, off offset:5120
	s_wait_alu 0xfffe
	s_or_b32 exec_lo, exec_lo, s0
	s_and_saveexec_b32 s0, s12
	s_cbranch_execz .LBB392_136
.LBB392_148:
	s_wait_dscnt 0x0
	global_store_b16 v[0:1], v2, off offset:5632
	s_endpgm
	.section	.rodata,"a",@progbits
	.p2align	6, 0x0
	.amdhsa_kernel _ZN7rocprim17ROCPRIM_400000_NS6detail17trampoline_kernelINS0_14default_configENS1_20scan_config_selectorIN3c104HalfEEEZZNS1_9scan_implILNS1_25lookback_scan_determinismE0ELb0ELb0ES3_PKS6_PS6_S6_ZZZN2at6native31launch_logcumsumexp_cuda_kernelERKNSD_10TensorBaseESH_lENKUlvE_clEvENKUlvE3_clEvEUlS6_S6_E_S6_EEDaPvRmT3_T4_T5_mT6_P12ihipStream_tbENKUlT_T0_E_clISt17integral_constantIbLb1EESY_EEDaST_SU_EUlST_E0_NS1_11comp_targetILNS1_3genE10ELNS1_11target_archE1201ELNS1_3gpuE5ELNS1_3repE0EEENS1_30default_config_static_selectorELNS0_4arch9wavefront6targetE0EEEvT1_
		.amdhsa_group_segment_fixed_size 6144
		.amdhsa_private_segment_fixed_size 0
		.amdhsa_kernarg_size 32
		.amdhsa_user_sgpr_count 2
		.amdhsa_user_sgpr_dispatch_ptr 0
		.amdhsa_user_sgpr_queue_ptr 0
		.amdhsa_user_sgpr_kernarg_segment_ptr 1
		.amdhsa_user_sgpr_dispatch_id 0
		.amdhsa_user_sgpr_private_segment_size 0
		.amdhsa_wavefront_size32 1
		.amdhsa_uses_dynamic_stack 0
		.amdhsa_enable_private_segment 0
		.amdhsa_system_sgpr_workgroup_id_x 1
		.amdhsa_system_sgpr_workgroup_id_y 0
		.amdhsa_system_sgpr_workgroup_id_z 0
		.amdhsa_system_sgpr_workgroup_info 0
		.amdhsa_system_vgpr_workitem_id 0
		.amdhsa_next_free_vgpr 36
		.amdhsa_next_free_sgpr 30
		.amdhsa_reserve_vcc 1
		.amdhsa_float_round_mode_32 0
		.amdhsa_float_round_mode_16_64 0
		.amdhsa_float_denorm_mode_32 3
		.amdhsa_float_denorm_mode_16_64 3
		.amdhsa_fp16_overflow 0
		.amdhsa_workgroup_processor_mode 1
		.amdhsa_memory_ordered 1
		.amdhsa_forward_progress 1
		.amdhsa_inst_pref_size 255
		.amdhsa_round_robin_scheduling 0
		.amdhsa_exception_fp_ieee_invalid_op 0
		.amdhsa_exception_fp_denorm_src 0
		.amdhsa_exception_fp_ieee_div_zero 0
		.amdhsa_exception_fp_ieee_overflow 0
		.amdhsa_exception_fp_ieee_underflow 0
		.amdhsa_exception_fp_ieee_inexact 0
		.amdhsa_exception_int_div_zero 0
	.end_amdhsa_kernel
	.section	.text._ZN7rocprim17ROCPRIM_400000_NS6detail17trampoline_kernelINS0_14default_configENS1_20scan_config_selectorIN3c104HalfEEEZZNS1_9scan_implILNS1_25lookback_scan_determinismE0ELb0ELb0ES3_PKS6_PS6_S6_ZZZN2at6native31launch_logcumsumexp_cuda_kernelERKNSD_10TensorBaseESH_lENKUlvE_clEvENKUlvE3_clEvEUlS6_S6_E_S6_EEDaPvRmT3_T4_T5_mT6_P12ihipStream_tbENKUlT_T0_E_clISt17integral_constantIbLb1EESY_EEDaST_SU_EUlST_E0_NS1_11comp_targetILNS1_3genE10ELNS1_11target_archE1201ELNS1_3gpuE5ELNS1_3repE0EEENS1_30default_config_static_selectorELNS0_4arch9wavefront6targetE0EEEvT1_,"axG",@progbits,_ZN7rocprim17ROCPRIM_400000_NS6detail17trampoline_kernelINS0_14default_configENS1_20scan_config_selectorIN3c104HalfEEEZZNS1_9scan_implILNS1_25lookback_scan_determinismE0ELb0ELb0ES3_PKS6_PS6_S6_ZZZN2at6native31launch_logcumsumexp_cuda_kernelERKNSD_10TensorBaseESH_lENKUlvE_clEvENKUlvE3_clEvEUlS6_S6_E_S6_EEDaPvRmT3_T4_T5_mT6_P12ihipStream_tbENKUlT_T0_E_clISt17integral_constantIbLb1EESY_EEDaST_SU_EUlST_E0_NS1_11comp_targetILNS1_3genE10ELNS1_11target_archE1201ELNS1_3gpuE5ELNS1_3repE0EEENS1_30default_config_static_selectorELNS0_4arch9wavefront6targetE0EEEvT1_,comdat
.Lfunc_end392:
	.size	_ZN7rocprim17ROCPRIM_400000_NS6detail17trampoline_kernelINS0_14default_configENS1_20scan_config_selectorIN3c104HalfEEEZZNS1_9scan_implILNS1_25lookback_scan_determinismE0ELb0ELb0ES3_PKS6_PS6_S6_ZZZN2at6native31launch_logcumsumexp_cuda_kernelERKNSD_10TensorBaseESH_lENKUlvE_clEvENKUlvE3_clEvEUlS6_S6_E_S6_EEDaPvRmT3_T4_T5_mT6_P12ihipStream_tbENKUlT_T0_E_clISt17integral_constantIbLb1EESY_EEDaST_SU_EUlST_E0_NS1_11comp_targetILNS1_3genE10ELNS1_11target_archE1201ELNS1_3gpuE5ELNS1_3repE0EEENS1_30default_config_static_selectorELNS0_4arch9wavefront6targetE0EEEvT1_, .Lfunc_end392-_ZN7rocprim17ROCPRIM_400000_NS6detail17trampoline_kernelINS0_14default_configENS1_20scan_config_selectorIN3c104HalfEEEZZNS1_9scan_implILNS1_25lookback_scan_determinismE0ELb0ELb0ES3_PKS6_PS6_S6_ZZZN2at6native31launch_logcumsumexp_cuda_kernelERKNSD_10TensorBaseESH_lENKUlvE_clEvENKUlvE3_clEvEUlS6_S6_E_S6_EEDaPvRmT3_T4_T5_mT6_P12ihipStream_tbENKUlT_T0_E_clISt17integral_constantIbLb1EESY_EEDaST_SU_EUlST_E0_NS1_11comp_targetILNS1_3genE10ELNS1_11target_archE1201ELNS1_3gpuE5ELNS1_3repE0EEENS1_30default_config_static_selectorELNS0_4arch9wavefront6targetE0EEEvT1_
                                        ; -- End function
	.set _ZN7rocprim17ROCPRIM_400000_NS6detail17trampoline_kernelINS0_14default_configENS1_20scan_config_selectorIN3c104HalfEEEZZNS1_9scan_implILNS1_25lookback_scan_determinismE0ELb0ELb0ES3_PKS6_PS6_S6_ZZZN2at6native31launch_logcumsumexp_cuda_kernelERKNSD_10TensorBaseESH_lENKUlvE_clEvENKUlvE3_clEvEUlS6_S6_E_S6_EEDaPvRmT3_T4_T5_mT6_P12ihipStream_tbENKUlT_T0_E_clISt17integral_constantIbLb1EESY_EEDaST_SU_EUlST_E0_NS1_11comp_targetILNS1_3genE10ELNS1_11target_archE1201ELNS1_3gpuE5ELNS1_3repE0EEENS1_30default_config_static_selectorELNS0_4arch9wavefront6targetE0EEEvT1_.num_vgpr, 36
	.set _ZN7rocprim17ROCPRIM_400000_NS6detail17trampoline_kernelINS0_14default_configENS1_20scan_config_selectorIN3c104HalfEEEZZNS1_9scan_implILNS1_25lookback_scan_determinismE0ELb0ELb0ES3_PKS6_PS6_S6_ZZZN2at6native31launch_logcumsumexp_cuda_kernelERKNSD_10TensorBaseESH_lENKUlvE_clEvENKUlvE3_clEvEUlS6_S6_E_S6_EEDaPvRmT3_T4_T5_mT6_P12ihipStream_tbENKUlT_T0_E_clISt17integral_constantIbLb1EESY_EEDaST_SU_EUlST_E0_NS1_11comp_targetILNS1_3genE10ELNS1_11target_archE1201ELNS1_3gpuE5ELNS1_3repE0EEENS1_30default_config_static_selectorELNS0_4arch9wavefront6targetE0EEEvT1_.num_agpr, 0
	.set _ZN7rocprim17ROCPRIM_400000_NS6detail17trampoline_kernelINS0_14default_configENS1_20scan_config_selectorIN3c104HalfEEEZZNS1_9scan_implILNS1_25lookback_scan_determinismE0ELb0ELb0ES3_PKS6_PS6_S6_ZZZN2at6native31launch_logcumsumexp_cuda_kernelERKNSD_10TensorBaseESH_lENKUlvE_clEvENKUlvE3_clEvEUlS6_S6_E_S6_EEDaPvRmT3_T4_T5_mT6_P12ihipStream_tbENKUlT_T0_E_clISt17integral_constantIbLb1EESY_EEDaST_SU_EUlST_E0_NS1_11comp_targetILNS1_3genE10ELNS1_11target_archE1201ELNS1_3gpuE5ELNS1_3repE0EEENS1_30default_config_static_selectorELNS0_4arch9wavefront6targetE0EEEvT1_.numbered_sgpr, 30
	.set _ZN7rocprim17ROCPRIM_400000_NS6detail17trampoline_kernelINS0_14default_configENS1_20scan_config_selectorIN3c104HalfEEEZZNS1_9scan_implILNS1_25lookback_scan_determinismE0ELb0ELb0ES3_PKS6_PS6_S6_ZZZN2at6native31launch_logcumsumexp_cuda_kernelERKNSD_10TensorBaseESH_lENKUlvE_clEvENKUlvE3_clEvEUlS6_S6_E_S6_EEDaPvRmT3_T4_T5_mT6_P12ihipStream_tbENKUlT_T0_E_clISt17integral_constantIbLb1EESY_EEDaST_SU_EUlST_E0_NS1_11comp_targetILNS1_3genE10ELNS1_11target_archE1201ELNS1_3gpuE5ELNS1_3repE0EEENS1_30default_config_static_selectorELNS0_4arch9wavefront6targetE0EEEvT1_.num_named_barrier, 0
	.set _ZN7rocprim17ROCPRIM_400000_NS6detail17trampoline_kernelINS0_14default_configENS1_20scan_config_selectorIN3c104HalfEEEZZNS1_9scan_implILNS1_25lookback_scan_determinismE0ELb0ELb0ES3_PKS6_PS6_S6_ZZZN2at6native31launch_logcumsumexp_cuda_kernelERKNSD_10TensorBaseESH_lENKUlvE_clEvENKUlvE3_clEvEUlS6_S6_E_S6_EEDaPvRmT3_T4_T5_mT6_P12ihipStream_tbENKUlT_T0_E_clISt17integral_constantIbLb1EESY_EEDaST_SU_EUlST_E0_NS1_11comp_targetILNS1_3genE10ELNS1_11target_archE1201ELNS1_3gpuE5ELNS1_3repE0EEENS1_30default_config_static_selectorELNS0_4arch9wavefront6targetE0EEEvT1_.private_seg_size, 0
	.set _ZN7rocprim17ROCPRIM_400000_NS6detail17trampoline_kernelINS0_14default_configENS1_20scan_config_selectorIN3c104HalfEEEZZNS1_9scan_implILNS1_25lookback_scan_determinismE0ELb0ELb0ES3_PKS6_PS6_S6_ZZZN2at6native31launch_logcumsumexp_cuda_kernelERKNSD_10TensorBaseESH_lENKUlvE_clEvENKUlvE3_clEvEUlS6_S6_E_S6_EEDaPvRmT3_T4_T5_mT6_P12ihipStream_tbENKUlT_T0_E_clISt17integral_constantIbLb1EESY_EEDaST_SU_EUlST_E0_NS1_11comp_targetILNS1_3genE10ELNS1_11target_archE1201ELNS1_3gpuE5ELNS1_3repE0EEENS1_30default_config_static_selectorELNS0_4arch9wavefront6targetE0EEEvT1_.uses_vcc, 1
	.set _ZN7rocprim17ROCPRIM_400000_NS6detail17trampoline_kernelINS0_14default_configENS1_20scan_config_selectorIN3c104HalfEEEZZNS1_9scan_implILNS1_25lookback_scan_determinismE0ELb0ELb0ES3_PKS6_PS6_S6_ZZZN2at6native31launch_logcumsumexp_cuda_kernelERKNSD_10TensorBaseESH_lENKUlvE_clEvENKUlvE3_clEvEUlS6_S6_E_S6_EEDaPvRmT3_T4_T5_mT6_P12ihipStream_tbENKUlT_T0_E_clISt17integral_constantIbLb1EESY_EEDaST_SU_EUlST_E0_NS1_11comp_targetILNS1_3genE10ELNS1_11target_archE1201ELNS1_3gpuE5ELNS1_3repE0EEENS1_30default_config_static_selectorELNS0_4arch9wavefront6targetE0EEEvT1_.uses_flat_scratch, 0
	.set _ZN7rocprim17ROCPRIM_400000_NS6detail17trampoline_kernelINS0_14default_configENS1_20scan_config_selectorIN3c104HalfEEEZZNS1_9scan_implILNS1_25lookback_scan_determinismE0ELb0ELb0ES3_PKS6_PS6_S6_ZZZN2at6native31launch_logcumsumexp_cuda_kernelERKNSD_10TensorBaseESH_lENKUlvE_clEvENKUlvE3_clEvEUlS6_S6_E_S6_EEDaPvRmT3_T4_T5_mT6_P12ihipStream_tbENKUlT_T0_E_clISt17integral_constantIbLb1EESY_EEDaST_SU_EUlST_E0_NS1_11comp_targetILNS1_3genE10ELNS1_11target_archE1201ELNS1_3gpuE5ELNS1_3repE0EEENS1_30default_config_static_selectorELNS0_4arch9wavefront6targetE0EEEvT1_.has_dyn_sized_stack, 0
	.set _ZN7rocprim17ROCPRIM_400000_NS6detail17trampoline_kernelINS0_14default_configENS1_20scan_config_selectorIN3c104HalfEEEZZNS1_9scan_implILNS1_25lookback_scan_determinismE0ELb0ELb0ES3_PKS6_PS6_S6_ZZZN2at6native31launch_logcumsumexp_cuda_kernelERKNSD_10TensorBaseESH_lENKUlvE_clEvENKUlvE3_clEvEUlS6_S6_E_S6_EEDaPvRmT3_T4_T5_mT6_P12ihipStream_tbENKUlT_T0_E_clISt17integral_constantIbLb1EESY_EEDaST_SU_EUlST_E0_NS1_11comp_targetILNS1_3genE10ELNS1_11target_archE1201ELNS1_3gpuE5ELNS1_3repE0EEENS1_30default_config_static_selectorELNS0_4arch9wavefront6targetE0EEEvT1_.has_recursion, 0
	.set _ZN7rocprim17ROCPRIM_400000_NS6detail17trampoline_kernelINS0_14default_configENS1_20scan_config_selectorIN3c104HalfEEEZZNS1_9scan_implILNS1_25lookback_scan_determinismE0ELb0ELb0ES3_PKS6_PS6_S6_ZZZN2at6native31launch_logcumsumexp_cuda_kernelERKNSD_10TensorBaseESH_lENKUlvE_clEvENKUlvE3_clEvEUlS6_S6_E_S6_EEDaPvRmT3_T4_T5_mT6_P12ihipStream_tbENKUlT_T0_E_clISt17integral_constantIbLb1EESY_EEDaST_SU_EUlST_E0_NS1_11comp_targetILNS1_3genE10ELNS1_11target_archE1201ELNS1_3gpuE5ELNS1_3repE0EEENS1_30default_config_static_selectorELNS0_4arch9wavefront6targetE0EEEvT1_.has_indirect_call, 0
	.section	.AMDGPU.csdata,"",@progbits
; Kernel info:
; codeLenInByte = 44520
; TotalNumSgprs: 32
; NumVgprs: 36
; ScratchSize: 0
; MemoryBound: 0
; FloatMode: 240
; IeeeMode: 1
; LDSByteSize: 6144 bytes/workgroup (compile time only)
; SGPRBlocks: 0
; VGPRBlocks: 4
; NumSGPRsForWavesPerEU: 32
; NumVGPRsForWavesPerEU: 36
; Occupancy: 16
; WaveLimiterHint : 0
; COMPUTE_PGM_RSRC2:SCRATCH_EN: 0
; COMPUTE_PGM_RSRC2:USER_SGPR: 2
; COMPUTE_PGM_RSRC2:TRAP_HANDLER: 0
; COMPUTE_PGM_RSRC2:TGID_X_EN: 1
; COMPUTE_PGM_RSRC2:TGID_Y_EN: 0
; COMPUTE_PGM_RSRC2:TGID_Z_EN: 0
; COMPUTE_PGM_RSRC2:TIDIG_COMP_CNT: 0
	.section	.text._ZN7rocprim17ROCPRIM_400000_NS6detail17trampoline_kernelINS0_14default_configENS1_20scan_config_selectorIN3c104HalfEEEZZNS1_9scan_implILNS1_25lookback_scan_determinismE0ELb0ELb0ES3_PKS6_PS6_S6_ZZZN2at6native31launch_logcumsumexp_cuda_kernelERKNSD_10TensorBaseESH_lENKUlvE_clEvENKUlvE3_clEvEUlS6_S6_E_S6_EEDaPvRmT3_T4_T5_mT6_P12ihipStream_tbENKUlT_T0_E_clISt17integral_constantIbLb1EESY_EEDaST_SU_EUlST_E0_NS1_11comp_targetILNS1_3genE10ELNS1_11target_archE1200ELNS1_3gpuE4ELNS1_3repE0EEENS1_30default_config_static_selectorELNS0_4arch9wavefront6targetE0EEEvT1_,"axG",@progbits,_ZN7rocprim17ROCPRIM_400000_NS6detail17trampoline_kernelINS0_14default_configENS1_20scan_config_selectorIN3c104HalfEEEZZNS1_9scan_implILNS1_25lookback_scan_determinismE0ELb0ELb0ES3_PKS6_PS6_S6_ZZZN2at6native31launch_logcumsumexp_cuda_kernelERKNSD_10TensorBaseESH_lENKUlvE_clEvENKUlvE3_clEvEUlS6_S6_E_S6_EEDaPvRmT3_T4_T5_mT6_P12ihipStream_tbENKUlT_T0_E_clISt17integral_constantIbLb1EESY_EEDaST_SU_EUlST_E0_NS1_11comp_targetILNS1_3genE10ELNS1_11target_archE1200ELNS1_3gpuE4ELNS1_3repE0EEENS1_30default_config_static_selectorELNS0_4arch9wavefront6targetE0EEEvT1_,comdat
	.globl	_ZN7rocprim17ROCPRIM_400000_NS6detail17trampoline_kernelINS0_14default_configENS1_20scan_config_selectorIN3c104HalfEEEZZNS1_9scan_implILNS1_25lookback_scan_determinismE0ELb0ELb0ES3_PKS6_PS6_S6_ZZZN2at6native31launch_logcumsumexp_cuda_kernelERKNSD_10TensorBaseESH_lENKUlvE_clEvENKUlvE3_clEvEUlS6_S6_E_S6_EEDaPvRmT3_T4_T5_mT6_P12ihipStream_tbENKUlT_T0_E_clISt17integral_constantIbLb1EESY_EEDaST_SU_EUlST_E0_NS1_11comp_targetILNS1_3genE10ELNS1_11target_archE1200ELNS1_3gpuE4ELNS1_3repE0EEENS1_30default_config_static_selectorELNS0_4arch9wavefront6targetE0EEEvT1_ ; -- Begin function _ZN7rocprim17ROCPRIM_400000_NS6detail17trampoline_kernelINS0_14default_configENS1_20scan_config_selectorIN3c104HalfEEEZZNS1_9scan_implILNS1_25lookback_scan_determinismE0ELb0ELb0ES3_PKS6_PS6_S6_ZZZN2at6native31launch_logcumsumexp_cuda_kernelERKNSD_10TensorBaseESH_lENKUlvE_clEvENKUlvE3_clEvEUlS6_S6_E_S6_EEDaPvRmT3_T4_T5_mT6_P12ihipStream_tbENKUlT_T0_E_clISt17integral_constantIbLb1EESY_EEDaST_SU_EUlST_E0_NS1_11comp_targetILNS1_3genE10ELNS1_11target_archE1200ELNS1_3gpuE4ELNS1_3repE0EEENS1_30default_config_static_selectorELNS0_4arch9wavefront6targetE0EEEvT1_
	.p2align	8
	.type	_ZN7rocprim17ROCPRIM_400000_NS6detail17trampoline_kernelINS0_14default_configENS1_20scan_config_selectorIN3c104HalfEEEZZNS1_9scan_implILNS1_25lookback_scan_determinismE0ELb0ELb0ES3_PKS6_PS6_S6_ZZZN2at6native31launch_logcumsumexp_cuda_kernelERKNSD_10TensorBaseESH_lENKUlvE_clEvENKUlvE3_clEvEUlS6_S6_E_S6_EEDaPvRmT3_T4_T5_mT6_P12ihipStream_tbENKUlT_T0_E_clISt17integral_constantIbLb1EESY_EEDaST_SU_EUlST_E0_NS1_11comp_targetILNS1_3genE10ELNS1_11target_archE1200ELNS1_3gpuE4ELNS1_3repE0EEENS1_30default_config_static_selectorELNS0_4arch9wavefront6targetE0EEEvT1_,@function
_ZN7rocprim17ROCPRIM_400000_NS6detail17trampoline_kernelINS0_14default_configENS1_20scan_config_selectorIN3c104HalfEEEZZNS1_9scan_implILNS1_25lookback_scan_determinismE0ELb0ELb0ES3_PKS6_PS6_S6_ZZZN2at6native31launch_logcumsumexp_cuda_kernelERKNSD_10TensorBaseESH_lENKUlvE_clEvENKUlvE3_clEvEUlS6_S6_E_S6_EEDaPvRmT3_T4_T5_mT6_P12ihipStream_tbENKUlT_T0_E_clISt17integral_constantIbLb1EESY_EEDaST_SU_EUlST_E0_NS1_11comp_targetILNS1_3genE10ELNS1_11target_archE1200ELNS1_3gpuE4ELNS1_3repE0EEENS1_30default_config_static_selectorELNS0_4arch9wavefront6targetE0EEEvT1_: ; @_ZN7rocprim17ROCPRIM_400000_NS6detail17trampoline_kernelINS0_14default_configENS1_20scan_config_selectorIN3c104HalfEEEZZNS1_9scan_implILNS1_25lookback_scan_determinismE0ELb0ELb0ES3_PKS6_PS6_S6_ZZZN2at6native31launch_logcumsumexp_cuda_kernelERKNSD_10TensorBaseESH_lENKUlvE_clEvENKUlvE3_clEvEUlS6_S6_E_S6_EEDaPvRmT3_T4_T5_mT6_P12ihipStream_tbENKUlT_T0_E_clISt17integral_constantIbLb1EESY_EEDaST_SU_EUlST_E0_NS1_11comp_targetILNS1_3genE10ELNS1_11target_archE1200ELNS1_3gpuE4ELNS1_3repE0EEENS1_30default_config_static_selectorELNS0_4arch9wavefront6targetE0EEEvT1_
; %bb.0:
	.section	.rodata,"a",@progbits
	.p2align	6, 0x0
	.amdhsa_kernel _ZN7rocprim17ROCPRIM_400000_NS6detail17trampoline_kernelINS0_14default_configENS1_20scan_config_selectorIN3c104HalfEEEZZNS1_9scan_implILNS1_25lookback_scan_determinismE0ELb0ELb0ES3_PKS6_PS6_S6_ZZZN2at6native31launch_logcumsumexp_cuda_kernelERKNSD_10TensorBaseESH_lENKUlvE_clEvENKUlvE3_clEvEUlS6_S6_E_S6_EEDaPvRmT3_T4_T5_mT6_P12ihipStream_tbENKUlT_T0_E_clISt17integral_constantIbLb1EESY_EEDaST_SU_EUlST_E0_NS1_11comp_targetILNS1_3genE10ELNS1_11target_archE1200ELNS1_3gpuE4ELNS1_3repE0EEENS1_30default_config_static_selectorELNS0_4arch9wavefront6targetE0EEEvT1_
		.amdhsa_group_segment_fixed_size 0
		.amdhsa_private_segment_fixed_size 0
		.amdhsa_kernarg_size 32
		.amdhsa_user_sgpr_count 2
		.amdhsa_user_sgpr_dispatch_ptr 0
		.amdhsa_user_sgpr_queue_ptr 0
		.amdhsa_user_sgpr_kernarg_segment_ptr 1
		.amdhsa_user_sgpr_dispatch_id 0
		.amdhsa_user_sgpr_private_segment_size 0
		.amdhsa_wavefront_size32 1
		.amdhsa_uses_dynamic_stack 0
		.amdhsa_enable_private_segment 0
		.amdhsa_system_sgpr_workgroup_id_x 1
		.amdhsa_system_sgpr_workgroup_id_y 0
		.amdhsa_system_sgpr_workgroup_id_z 0
		.amdhsa_system_sgpr_workgroup_info 0
		.amdhsa_system_vgpr_workitem_id 0
		.amdhsa_next_free_vgpr 1
		.amdhsa_next_free_sgpr 1
		.amdhsa_reserve_vcc 0
		.amdhsa_float_round_mode_32 0
		.amdhsa_float_round_mode_16_64 0
		.amdhsa_float_denorm_mode_32 3
		.amdhsa_float_denorm_mode_16_64 3
		.amdhsa_fp16_overflow 0
		.amdhsa_workgroup_processor_mode 1
		.amdhsa_memory_ordered 1
		.amdhsa_forward_progress 1
		.amdhsa_inst_pref_size 0
		.amdhsa_round_robin_scheduling 0
		.amdhsa_exception_fp_ieee_invalid_op 0
		.amdhsa_exception_fp_denorm_src 0
		.amdhsa_exception_fp_ieee_div_zero 0
		.amdhsa_exception_fp_ieee_overflow 0
		.amdhsa_exception_fp_ieee_underflow 0
		.amdhsa_exception_fp_ieee_inexact 0
		.amdhsa_exception_int_div_zero 0
	.end_amdhsa_kernel
	.section	.text._ZN7rocprim17ROCPRIM_400000_NS6detail17trampoline_kernelINS0_14default_configENS1_20scan_config_selectorIN3c104HalfEEEZZNS1_9scan_implILNS1_25lookback_scan_determinismE0ELb0ELb0ES3_PKS6_PS6_S6_ZZZN2at6native31launch_logcumsumexp_cuda_kernelERKNSD_10TensorBaseESH_lENKUlvE_clEvENKUlvE3_clEvEUlS6_S6_E_S6_EEDaPvRmT3_T4_T5_mT6_P12ihipStream_tbENKUlT_T0_E_clISt17integral_constantIbLb1EESY_EEDaST_SU_EUlST_E0_NS1_11comp_targetILNS1_3genE10ELNS1_11target_archE1200ELNS1_3gpuE4ELNS1_3repE0EEENS1_30default_config_static_selectorELNS0_4arch9wavefront6targetE0EEEvT1_,"axG",@progbits,_ZN7rocprim17ROCPRIM_400000_NS6detail17trampoline_kernelINS0_14default_configENS1_20scan_config_selectorIN3c104HalfEEEZZNS1_9scan_implILNS1_25lookback_scan_determinismE0ELb0ELb0ES3_PKS6_PS6_S6_ZZZN2at6native31launch_logcumsumexp_cuda_kernelERKNSD_10TensorBaseESH_lENKUlvE_clEvENKUlvE3_clEvEUlS6_S6_E_S6_EEDaPvRmT3_T4_T5_mT6_P12ihipStream_tbENKUlT_T0_E_clISt17integral_constantIbLb1EESY_EEDaST_SU_EUlST_E0_NS1_11comp_targetILNS1_3genE10ELNS1_11target_archE1200ELNS1_3gpuE4ELNS1_3repE0EEENS1_30default_config_static_selectorELNS0_4arch9wavefront6targetE0EEEvT1_,comdat
.Lfunc_end393:
	.size	_ZN7rocprim17ROCPRIM_400000_NS6detail17trampoline_kernelINS0_14default_configENS1_20scan_config_selectorIN3c104HalfEEEZZNS1_9scan_implILNS1_25lookback_scan_determinismE0ELb0ELb0ES3_PKS6_PS6_S6_ZZZN2at6native31launch_logcumsumexp_cuda_kernelERKNSD_10TensorBaseESH_lENKUlvE_clEvENKUlvE3_clEvEUlS6_S6_E_S6_EEDaPvRmT3_T4_T5_mT6_P12ihipStream_tbENKUlT_T0_E_clISt17integral_constantIbLb1EESY_EEDaST_SU_EUlST_E0_NS1_11comp_targetILNS1_3genE10ELNS1_11target_archE1200ELNS1_3gpuE4ELNS1_3repE0EEENS1_30default_config_static_selectorELNS0_4arch9wavefront6targetE0EEEvT1_, .Lfunc_end393-_ZN7rocprim17ROCPRIM_400000_NS6detail17trampoline_kernelINS0_14default_configENS1_20scan_config_selectorIN3c104HalfEEEZZNS1_9scan_implILNS1_25lookback_scan_determinismE0ELb0ELb0ES3_PKS6_PS6_S6_ZZZN2at6native31launch_logcumsumexp_cuda_kernelERKNSD_10TensorBaseESH_lENKUlvE_clEvENKUlvE3_clEvEUlS6_S6_E_S6_EEDaPvRmT3_T4_T5_mT6_P12ihipStream_tbENKUlT_T0_E_clISt17integral_constantIbLb1EESY_EEDaST_SU_EUlST_E0_NS1_11comp_targetILNS1_3genE10ELNS1_11target_archE1200ELNS1_3gpuE4ELNS1_3repE0EEENS1_30default_config_static_selectorELNS0_4arch9wavefront6targetE0EEEvT1_
                                        ; -- End function
	.set _ZN7rocprim17ROCPRIM_400000_NS6detail17trampoline_kernelINS0_14default_configENS1_20scan_config_selectorIN3c104HalfEEEZZNS1_9scan_implILNS1_25lookback_scan_determinismE0ELb0ELb0ES3_PKS6_PS6_S6_ZZZN2at6native31launch_logcumsumexp_cuda_kernelERKNSD_10TensorBaseESH_lENKUlvE_clEvENKUlvE3_clEvEUlS6_S6_E_S6_EEDaPvRmT3_T4_T5_mT6_P12ihipStream_tbENKUlT_T0_E_clISt17integral_constantIbLb1EESY_EEDaST_SU_EUlST_E0_NS1_11comp_targetILNS1_3genE10ELNS1_11target_archE1200ELNS1_3gpuE4ELNS1_3repE0EEENS1_30default_config_static_selectorELNS0_4arch9wavefront6targetE0EEEvT1_.num_vgpr, 0
	.set _ZN7rocprim17ROCPRIM_400000_NS6detail17trampoline_kernelINS0_14default_configENS1_20scan_config_selectorIN3c104HalfEEEZZNS1_9scan_implILNS1_25lookback_scan_determinismE0ELb0ELb0ES3_PKS6_PS6_S6_ZZZN2at6native31launch_logcumsumexp_cuda_kernelERKNSD_10TensorBaseESH_lENKUlvE_clEvENKUlvE3_clEvEUlS6_S6_E_S6_EEDaPvRmT3_T4_T5_mT6_P12ihipStream_tbENKUlT_T0_E_clISt17integral_constantIbLb1EESY_EEDaST_SU_EUlST_E0_NS1_11comp_targetILNS1_3genE10ELNS1_11target_archE1200ELNS1_3gpuE4ELNS1_3repE0EEENS1_30default_config_static_selectorELNS0_4arch9wavefront6targetE0EEEvT1_.num_agpr, 0
	.set _ZN7rocprim17ROCPRIM_400000_NS6detail17trampoline_kernelINS0_14default_configENS1_20scan_config_selectorIN3c104HalfEEEZZNS1_9scan_implILNS1_25lookback_scan_determinismE0ELb0ELb0ES3_PKS6_PS6_S6_ZZZN2at6native31launch_logcumsumexp_cuda_kernelERKNSD_10TensorBaseESH_lENKUlvE_clEvENKUlvE3_clEvEUlS6_S6_E_S6_EEDaPvRmT3_T4_T5_mT6_P12ihipStream_tbENKUlT_T0_E_clISt17integral_constantIbLb1EESY_EEDaST_SU_EUlST_E0_NS1_11comp_targetILNS1_3genE10ELNS1_11target_archE1200ELNS1_3gpuE4ELNS1_3repE0EEENS1_30default_config_static_selectorELNS0_4arch9wavefront6targetE0EEEvT1_.numbered_sgpr, 0
	.set _ZN7rocprim17ROCPRIM_400000_NS6detail17trampoline_kernelINS0_14default_configENS1_20scan_config_selectorIN3c104HalfEEEZZNS1_9scan_implILNS1_25lookback_scan_determinismE0ELb0ELb0ES3_PKS6_PS6_S6_ZZZN2at6native31launch_logcumsumexp_cuda_kernelERKNSD_10TensorBaseESH_lENKUlvE_clEvENKUlvE3_clEvEUlS6_S6_E_S6_EEDaPvRmT3_T4_T5_mT6_P12ihipStream_tbENKUlT_T0_E_clISt17integral_constantIbLb1EESY_EEDaST_SU_EUlST_E0_NS1_11comp_targetILNS1_3genE10ELNS1_11target_archE1200ELNS1_3gpuE4ELNS1_3repE0EEENS1_30default_config_static_selectorELNS0_4arch9wavefront6targetE0EEEvT1_.num_named_barrier, 0
	.set _ZN7rocprim17ROCPRIM_400000_NS6detail17trampoline_kernelINS0_14default_configENS1_20scan_config_selectorIN3c104HalfEEEZZNS1_9scan_implILNS1_25lookback_scan_determinismE0ELb0ELb0ES3_PKS6_PS6_S6_ZZZN2at6native31launch_logcumsumexp_cuda_kernelERKNSD_10TensorBaseESH_lENKUlvE_clEvENKUlvE3_clEvEUlS6_S6_E_S6_EEDaPvRmT3_T4_T5_mT6_P12ihipStream_tbENKUlT_T0_E_clISt17integral_constantIbLb1EESY_EEDaST_SU_EUlST_E0_NS1_11comp_targetILNS1_3genE10ELNS1_11target_archE1200ELNS1_3gpuE4ELNS1_3repE0EEENS1_30default_config_static_selectorELNS0_4arch9wavefront6targetE0EEEvT1_.private_seg_size, 0
	.set _ZN7rocprim17ROCPRIM_400000_NS6detail17trampoline_kernelINS0_14default_configENS1_20scan_config_selectorIN3c104HalfEEEZZNS1_9scan_implILNS1_25lookback_scan_determinismE0ELb0ELb0ES3_PKS6_PS6_S6_ZZZN2at6native31launch_logcumsumexp_cuda_kernelERKNSD_10TensorBaseESH_lENKUlvE_clEvENKUlvE3_clEvEUlS6_S6_E_S6_EEDaPvRmT3_T4_T5_mT6_P12ihipStream_tbENKUlT_T0_E_clISt17integral_constantIbLb1EESY_EEDaST_SU_EUlST_E0_NS1_11comp_targetILNS1_3genE10ELNS1_11target_archE1200ELNS1_3gpuE4ELNS1_3repE0EEENS1_30default_config_static_selectorELNS0_4arch9wavefront6targetE0EEEvT1_.uses_vcc, 0
	.set _ZN7rocprim17ROCPRIM_400000_NS6detail17trampoline_kernelINS0_14default_configENS1_20scan_config_selectorIN3c104HalfEEEZZNS1_9scan_implILNS1_25lookback_scan_determinismE0ELb0ELb0ES3_PKS6_PS6_S6_ZZZN2at6native31launch_logcumsumexp_cuda_kernelERKNSD_10TensorBaseESH_lENKUlvE_clEvENKUlvE3_clEvEUlS6_S6_E_S6_EEDaPvRmT3_T4_T5_mT6_P12ihipStream_tbENKUlT_T0_E_clISt17integral_constantIbLb1EESY_EEDaST_SU_EUlST_E0_NS1_11comp_targetILNS1_3genE10ELNS1_11target_archE1200ELNS1_3gpuE4ELNS1_3repE0EEENS1_30default_config_static_selectorELNS0_4arch9wavefront6targetE0EEEvT1_.uses_flat_scratch, 0
	.set _ZN7rocprim17ROCPRIM_400000_NS6detail17trampoline_kernelINS0_14default_configENS1_20scan_config_selectorIN3c104HalfEEEZZNS1_9scan_implILNS1_25lookback_scan_determinismE0ELb0ELb0ES3_PKS6_PS6_S6_ZZZN2at6native31launch_logcumsumexp_cuda_kernelERKNSD_10TensorBaseESH_lENKUlvE_clEvENKUlvE3_clEvEUlS6_S6_E_S6_EEDaPvRmT3_T4_T5_mT6_P12ihipStream_tbENKUlT_T0_E_clISt17integral_constantIbLb1EESY_EEDaST_SU_EUlST_E0_NS1_11comp_targetILNS1_3genE10ELNS1_11target_archE1200ELNS1_3gpuE4ELNS1_3repE0EEENS1_30default_config_static_selectorELNS0_4arch9wavefront6targetE0EEEvT1_.has_dyn_sized_stack, 0
	.set _ZN7rocprim17ROCPRIM_400000_NS6detail17trampoline_kernelINS0_14default_configENS1_20scan_config_selectorIN3c104HalfEEEZZNS1_9scan_implILNS1_25lookback_scan_determinismE0ELb0ELb0ES3_PKS6_PS6_S6_ZZZN2at6native31launch_logcumsumexp_cuda_kernelERKNSD_10TensorBaseESH_lENKUlvE_clEvENKUlvE3_clEvEUlS6_S6_E_S6_EEDaPvRmT3_T4_T5_mT6_P12ihipStream_tbENKUlT_T0_E_clISt17integral_constantIbLb1EESY_EEDaST_SU_EUlST_E0_NS1_11comp_targetILNS1_3genE10ELNS1_11target_archE1200ELNS1_3gpuE4ELNS1_3repE0EEENS1_30default_config_static_selectorELNS0_4arch9wavefront6targetE0EEEvT1_.has_recursion, 0
	.set _ZN7rocprim17ROCPRIM_400000_NS6detail17trampoline_kernelINS0_14default_configENS1_20scan_config_selectorIN3c104HalfEEEZZNS1_9scan_implILNS1_25lookback_scan_determinismE0ELb0ELb0ES3_PKS6_PS6_S6_ZZZN2at6native31launch_logcumsumexp_cuda_kernelERKNSD_10TensorBaseESH_lENKUlvE_clEvENKUlvE3_clEvEUlS6_S6_E_S6_EEDaPvRmT3_T4_T5_mT6_P12ihipStream_tbENKUlT_T0_E_clISt17integral_constantIbLb1EESY_EEDaST_SU_EUlST_E0_NS1_11comp_targetILNS1_3genE10ELNS1_11target_archE1200ELNS1_3gpuE4ELNS1_3repE0EEENS1_30default_config_static_selectorELNS0_4arch9wavefront6targetE0EEEvT1_.has_indirect_call, 0
	.section	.AMDGPU.csdata,"",@progbits
; Kernel info:
; codeLenInByte = 0
; TotalNumSgprs: 0
; NumVgprs: 0
; ScratchSize: 0
; MemoryBound: 0
; FloatMode: 240
; IeeeMode: 1
; LDSByteSize: 0 bytes/workgroup (compile time only)
; SGPRBlocks: 0
; VGPRBlocks: 0
; NumSGPRsForWavesPerEU: 1
; NumVGPRsForWavesPerEU: 1
; Occupancy: 16
; WaveLimiterHint : 0
; COMPUTE_PGM_RSRC2:SCRATCH_EN: 0
; COMPUTE_PGM_RSRC2:USER_SGPR: 2
; COMPUTE_PGM_RSRC2:TRAP_HANDLER: 0
; COMPUTE_PGM_RSRC2:TGID_X_EN: 1
; COMPUTE_PGM_RSRC2:TGID_Y_EN: 0
; COMPUTE_PGM_RSRC2:TGID_Z_EN: 0
; COMPUTE_PGM_RSRC2:TIDIG_COMP_CNT: 0
	.section	.text._ZN7rocprim17ROCPRIM_400000_NS6detail17trampoline_kernelINS0_14default_configENS1_20scan_config_selectorIN3c104HalfEEEZZNS1_9scan_implILNS1_25lookback_scan_determinismE0ELb0ELb0ES3_PKS6_PS6_S6_ZZZN2at6native31launch_logcumsumexp_cuda_kernelERKNSD_10TensorBaseESH_lENKUlvE_clEvENKUlvE3_clEvEUlS6_S6_E_S6_EEDaPvRmT3_T4_T5_mT6_P12ihipStream_tbENKUlT_T0_E_clISt17integral_constantIbLb1EESY_EEDaST_SU_EUlST_E0_NS1_11comp_targetILNS1_3genE9ELNS1_11target_archE1100ELNS1_3gpuE3ELNS1_3repE0EEENS1_30default_config_static_selectorELNS0_4arch9wavefront6targetE0EEEvT1_,"axG",@progbits,_ZN7rocprim17ROCPRIM_400000_NS6detail17trampoline_kernelINS0_14default_configENS1_20scan_config_selectorIN3c104HalfEEEZZNS1_9scan_implILNS1_25lookback_scan_determinismE0ELb0ELb0ES3_PKS6_PS6_S6_ZZZN2at6native31launch_logcumsumexp_cuda_kernelERKNSD_10TensorBaseESH_lENKUlvE_clEvENKUlvE3_clEvEUlS6_S6_E_S6_EEDaPvRmT3_T4_T5_mT6_P12ihipStream_tbENKUlT_T0_E_clISt17integral_constantIbLb1EESY_EEDaST_SU_EUlST_E0_NS1_11comp_targetILNS1_3genE9ELNS1_11target_archE1100ELNS1_3gpuE3ELNS1_3repE0EEENS1_30default_config_static_selectorELNS0_4arch9wavefront6targetE0EEEvT1_,comdat
	.globl	_ZN7rocprim17ROCPRIM_400000_NS6detail17trampoline_kernelINS0_14default_configENS1_20scan_config_selectorIN3c104HalfEEEZZNS1_9scan_implILNS1_25lookback_scan_determinismE0ELb0ELb0ES3_PKS6_PS6_S6_ZZZN2at6native31launch_logcumsumexp_cuda_kernelERKNSD_10TensorBaseESH_lENKUlvE_clEvENKUlvE3_clEvEUlS6_S6_E_S6_EEDaPvRmT3_T4_T5_mT6_P12ihipStream_tbENKUlT_T0_E_clISt17integral_constantIbLb1EESY_EEDaST_SU_EUlST_E0_NS1_11comp_targetILNS1_3genE9ELNS1_11target_archE1100ELNS1_3gpuE3ELNS1_3repE0EEENS1_30default_config_static_selectorELNS0_4arch9wavefront6targetE0EEEvT1_ ; -- Begin function _ZN7rocprim17ROCPRIM_400000_NS6detail17trampoline_kernelINS0_14default_configENS1_20scan_config_selectorIN3c104HalfEEEZZNS1_9scan_implILNS1_25lookback_scan_determinismE0ELb0ELb0ES3_PKS6_PS6_S6_ZZZN2at6native31launch_logcumsumexp_cuda_kernelERKNSD_10TensorBaseESH_lENKUlvE_clEvENKUlvE3_clEvEUlS6_S6_E_S6_EEDaPvRmT3_T4_T5_mT6_P12ihipStream_tbENKUlT_T0_E_clISt17integral_constantIbLb1EESY_EEDaST_SU_EUlST_E0_NS1_11comp_targetILNS1_3genE9ELNS1_11target_archE1100ELNS1_3gpuE3ELNS1_3repE0EEENS1_30default_config_static_selectorELNS0_4arch9wavefront6targetE0EEEvT1_
	.p2align	8
	.type	_ZN7rocprim17ROCPRIM_400000_NS6detail17trampoline_kernelINS0_14default_configENS1_20scan_config_selectorIN3c104HalfEEEZZNS1_9scan_implILNS1_25lookback_scan_determinismE0ELb0ELb0ES3_PKS6_PS6_S6_ZZZN2at6native31launch_logcumsumexp_cuda_kernelERKNSD_10TensorBaseESH_lENKUlvE_clEvENKUlvE3_clEvEUlS6_S6_E_S6_EEDaPvRmT3_T4_T5_mT6_P12ihipStream_tbENKUlT_T0_E_clISt17integral_constantIbLb1EESY_EEDaST_SU_EUlST_E0_NS1_11comp_targetILNS1_3genE9ELNS1_11target_archE1100ELNS1_3gpuE3ELNS1_3repE0EEENS1_30default_config_static_selectorELNS0_4arch9wavefront6targetE0EEEvT1_,@function
_ZN7rocprim17ROCPRIM_400000_NS6detail17trampoline_kernelINS0_14default_configENS1_20scan_config_selectorIN3c104HalfEEEZZNS1_9scan_implILNS1_25lookback_scan_determinismE0ELb0ELb0ES3_PKS6_PS6_S6_ZZZN2at6native31launch_logcumsumexp_cuda_kernelERKNSD_10TensorBaseESH_lENKUlvE_clEvENKUlvE3_clEvEUlS6_S6_E_S6_EEDaPvRmT3_T4_T5_mT6_P12ihipStream_tbENKUlT_T0_E_clISt17integral_constantIbLb1EESY_EEDaST_SU_EUlST_E0_NS1_11comp_targetILNS1_3genE9ELNS1_11target_archE1100ELNS1_3gpuE3ELNS1_3repE0EEENS1_30default_config_static_selectorELNS0_4arch9wavefront6targetE0EEEvT1_: ; @_ZN7rocprim17ROCPRIM_400000_NS6detail17trampoline_kernelINS0_14default_configENS1_20scan_config_selectorIN3c104HalfEEEZZNS1_9scan_implILNS1_25lookback_scan_determinismE0ELb0ELb0ES3_PKS6_PS6_S6_ZZZN2at6native31launch_logcumsumexp_cuda_kernelERKNSD_10TensorBaseESH_lENKUlvE_clEvENKUlvE3_clEvEUlS6_S6_E_S6_EEDaPvRmT3_T4_T5_mT6_P12ihipStream_tbENKUlT_T0_E_clISt17integral_constantIbLb1EESY_EEDaST_SU_EUlST_E0_NS1_11comp_targetILNS1_3genE9ELNS1_11target_archE1100ELNS1_3gpuE3ELNS1_3repE0EEENS1_30default_config_static_selectorELNS0_4arch9wavefront6targetE0EEEvT1_
; %bb.0:
	.section	.rodata,"a",@progbits
	.p2align	6, 0x0
	.amdhsa_kernel _ZN7rocprim17ROCPRIM_400000_NS6detail17trampoline_kernelINS0_14default_configENS1_20scan_config_selectorIN3c104HalfEEEZZNS1_9scan_implILNS1_25lookback_scan_determinismE0ELb0ELb0ES3_PKS6_PS6_S6_ZZZN2at6native31launch_logcumsumexp_cuda_kernelERKNSD_10TensorBaseESH_lENKUlvE_clEvENKUlvE3_clEvEUlS6_S6_E_S6_EEDaPvRmT3_T4_T5_mT6_P12ihipStream_tbENKUlT_T0_E_clISt17integral_constantIbLb1EESY_EEDaST_SU_EUlST_E0_NS1_11comp_targetILNS1_3genE9ELNS1_11target_archE1100ELNS1_3gpuE3ELNS1_3repE0EEENS1_30default_config_static_selectorELNS0_4arch9wavefront6targetE0EEEvT1_
		.amdhsa_group_segment_fixed_size 0
		.amdhsa_private_segment_fixed_size 0
		.amdhsa_kernarg_size 32
		.amdhsa_user_sgpr_count 2
		.amdhsa_user_sgpr_dispatch_ptr 0
		.amdhsa_user_sgpr_queue_ptr 0
		.amdhsa_user_sgpr_kernarg_segment_ptr 1
		.amdhsa_user_sgpr_dispatch_id 0
		.amdhsa_user_sgpr_private_segment_size 0
		.amdhsa_wavefront_size32 1
		.amdhsa_uses_dynamic_stack 0
		.amdhsa_enable_private_segment 0
		.amdhsa_system_sgpr_workgroup_id_x 1
		.amdhsa_system_sgpr_workgroup_id_y 0
		.amdhsa_system_sgpr_workgroup_id_z 0
		.amdhsa_system_sgpr_workgroup_info 0
		.amdhsa_system_vgpr_workitem_id 0
		.amdhsa_next_free_vgpr 1
		.amdhsa_next_free_sgpr 1
		.amdhsa_reserve_vcc 0
		.amdhsa_float_round_mode_32 0
		.amdhsa_float_round_mode_16_64 0
		.amdhsa_float_denorm_mode_32 3
		.amdhsa_float_denorm_mode_16_64 3
		.amdhsa_fp16_overflow 0
		.amdhsa_workgroup_processor_mode 1
		.amdhsa_memory_ordered 1
		.amdhsa_forward_progress 1
		.amdhsa_inst_pref_size 0
		.amdhsa_round_robin_scheduling 0
		.amdhsa_exception_fp_ieee_invalid_op 0
		.amdhsa_exception_fp_denorm_src 0
		.amdhsa_exception_fp_ieee_div_zero 0
		.amdhsa_exception_fp_ieee_overflow 0
		.amdhsa_exception_fp_ieee_underflow 0
		.amdhsa_exception_fp_ieee_inexact 0
		.amdhsa_exception_int_div_zero 0
	.end_amdhsa_kernel
	.section	.text._ZN7rocprim17ROCPRIM_400000_NS6detail17trampoline_kernelINS0_14default_configENS1_20scan_config_selectorIN3c104HalfEEEZZNS1_9scan_implILNS1_25lookback_scan_determinismE0ELb0ELb0ES3_PKS6_PS6_S6_ZZZN2at6native31launch_logcumsumexp_cuda_kernelERKNSD_10TensorBaseESH_lENKUlvE_clEvENKUlvE3_clEvEUlS6_S6_E_S6_EEDaPvRmT3_T4_T5_mT6_P12ihipStream_tbENKUlT_T0_E_clISt17integral_constantIbLb1EESY_EEDaST_SU_EUlST_E0_NS1_11comp_targetILNS1_3genE9ELNS1_11target_archE1100ELNS1_3gpuE3ELNS1_3repE0EEENS1_30default_config_static_selectorELNS0_4arch9wavefront6targetE0EEEvT1_,"axG",@progbits,_ZN7rocprim17ROCPRIM_400000_NS6detail17trampoline_kernelINS0_14default_configENS1_20scan_config_selectorIN3c104HalfEEEZZNS1_9scan_implILNS1_25lookback_scan_determinismE0ELb0ELb0ES3_PKS6_PS6_S6_ZZZN2at6native31launch_logcumsumexp_cuda_kernelERKNSD_10TensorBaseESH_lENKUlvE_clEvENKUlvE3_clEvEUlS6_S6_E_S6_EEDaPvRmT3_T4_T5_mT6_P12ihipStream_tbENKUlT_T0_E_clISt17integral_constantIbLb1EESY_EEDaST_SU_EUlST_E0_NS1_11comp_targetILNS1_3genE9ELNS1_11target_archE1100ELNS1_3gpuE3ELNS1_3repE0EEENS1_30default_config_static_selectorELNS0_4arch9wavefront6targetE0EEEvT1_,comdat
.Lfunc_end394:
	.size	_ZN7rocprim17ROCPRIM_400000_NS6detail17trampoline_kernelINS0_14default_configENS1_20scan_config_selectorIN3c104HalfEEEZZNS1_9scan_implILNS1_25lookback_scan_determinismE0ELb0ELb0ES3_PKS6_PS6_S6_ZZZN2at6native31launch_logcumsumexp_cuda_kernelERKNSD_10TensorBaseESH_lENKUlvE_clEvENKUlvE3_clEvEUlS6_S6_E_S6_EEDaPvRmT3_T4_T5_mT6_P12ihipStream_tbENKUlT_T0_E_clISt17integral_constantIbLb1EESY_EEDaST_SU_EUlST_E0_NS1_11comp_targetILNS1_3genE9ELNS1_11target_archE1100ELNS1_3gpuE3ELNS1_3repE0EEENS1_30default_config_static_selectorELNS0_4arch9wavefront6targetE0EEEvT1_, .Lfunc_end394-_ZN7rocprim17ROCPRIM_400000_NS6detail17trampoline_kernelINS0_14default_configENS1_20scan_config_selectorIN3c104HalfEEEZZNS1_9scan_implILNS1_25lookback_scan_determinismE0ELb0ELb0ES3_PKS6_PS6_S6_ZZZN2at6native31launch_logcumsumexp_cuda_kernelERKNSD_10TensorBaseESH_lENKUlvE_clEvENKUlvE3_clEvEUlS6_S6_E_S6_EEDaPvRmT3_T4_T5_mT6_P12ihipStream_tbENKUlT_T0_E_clISt17integral_constantIbLb1EESY_EEDaST_SU_EUlST_E0_NS1_11comp_targetILNS1_3genE9ELNS1_11target_archE1100ELNS1_3gpuE3ELNS1_3repE0EEENS1_30default_config_static_selectorELNS0_4arch9wavefront6targetE0EEEvT1_
                                        ; -- End function
	.set _ZN7rocprim17ROCPRIM_400000_NS6detail17trampoline_kernelINS0_14default_configENS1_20scan_config_selectorIN3c104HalfEEEZZNS1_9scan_implILNS1_25lookback_scan_determinismE0ELb0ELb0ES3_PKS6_PS6_S6_ZZZN2at6native31launch_logcumsumexp_cuda_kernelERKNSD_10TensorBaseESH_lENKUlvE_clEvENKUlvE3_clEvEUlS6_S6_E_S6_EEDaPvRmT3_T4_T5_mT6_P12ihipStream_tbENKUlT_T0_E_clISt17integral_constantIbLb1EESY_EEDaST_SU_EUlST_E0_NS1_11comp_targetILNS1_3genE9ELNS1_11target_archE1100ELNS1_3gpuE3ELNS1_3repE0EEENS1_30default_config_static_selectorELNS0_4arch9wavefront6targetE0EEEvT1_.num_vgpr, 0
	.set _ZN7rocprim17ROCPRIM_400000_NS6detail17trampoline_kernelINS0_14default_configENS1_20scan_config_selectorIN3c104HalfEEEZZNS1_9scan_implILNS1_25lookback_scan_determinismE0ELb0ELb0ES3_PKS6_PS6_S6_ZZZN2at6native31launch_logcumsumexp_cuda_kernelERKNSD_10TensorBaseESH_lENKUlvE_clEvENKUlvE3_clEvEUlS6_S6_E_S6_EEDaPvRmT3_T4_T5_mT6_P12ihipStream_tbENKUlT_T0_E_clISt17integral_constantIbLb1EESY_EEDaST_SU_EUlST_E0_NS1_11comp_targetILNS1_3genE9ELNS1_11target_archE1100ELNS1_3gpuE3ELNS1_3repE0EEENS1_30default_config_static_selectorELNS0_4arch9wavefront6targetE0EEEvT1_.num_agpr, 0
	.set _ZN7rocprim17ROCPRIM_400000_NS6detail17trampoline_kernelINS0_14default_configENS1_20scan_config_selectorIN3c104HalfEEEZZNS1_9scan_implILNS1_25lookback_scan_determinismE0ELb0ELb0ES3_PKS6_PS6_S6_ZZZN2at6native31launch_logcumsumexp_cuda_kernelERKNSD_10TensorBaseESH_lENKUlvE_clEvENKUlvE3_clEvEUlS6_S6_E_S6_EEDaPvRmT3_T4_T5_mT6_P12ihipStream_tbENKUlT_T0_E_clISt17integral_constantIbLb1EESY_EEDaST_SU_EUlST_E0_NS1_11comp_targetILNS1_3genE9ELNS1_11target_archE1100ELNS1_3gpuE3ELNS1_3repE0EEENS1_30default_config_static_selectorELNS0_4arch9wavefront6targetE0EEEvT1_.numbered_sgpr, 0
	.set _ZN7rocprim17ROCPRIM_400000_NS6detail17trampoline_kernelINS0_14default_configENS1_20scan_config_selectorIN3c104HalfEEEZZNS1_9scan_implILNS1_25lookback_scan_determinismE0ELb0ELb0ES3_PKS6_PS6_S6_ZZZN2at6native31launch_logcumsumexp_cuda_kernelERKNSD_10TensorBaseESH_lENKUlvE_clEvENKUlvE3_clEvEUlS6_S6_E_S6_EEDaPvRmT3_T4_T5_mT6_P12ihipStream_tbENKUlT_T0_E_clISt17integral_constantIbLb1EESY_EEDaST_SU_EUlST_E0_NS1_11comp_targetILNS1_3genE9ELNS1_11target_archE1100ELNS1_3gpuE3ELNS1_3repE0EEENS1_30default_config_static_selectorELNS0_4arch9wavefront6targetE0EEEvT1_.num_named_barrier, 0
	.set _ZN7rocprim17ROCPRIM_400000_NS6detail17trampoline_kernelINS0_14default_configENS1_20scan_config_selectorIN3c104HalfEEEZZNS1_9scan_implILNS1_25lookback_scan_determinismE0ELb0ELb0ES3_PKS6_PS6_S6_ZZZN2at6native31launch_logcumsumexp_cuda_kernelERKNSD_10TensorBaseESH_lENKUlvE_clEvENKUlvE3_clEvEUlS6_S6_E_S6_EEDaPvRmT3_T4_T5_mT6_P12ihipStream_tbENKUlT_T0_E_clISt17integral_constantIbLb1EESY_EEDaST_SU_EUlST_E0_NS1_11comp_targetILNS1_3genE9ELNS1_11target_archE1100ELNS1_3gpuE3ELNS1_3repE0EEENS1_30default_config_static_selectorELNS0_4arch9wavefront6targetE0EEEvT1_.private_seg_size, 0
	.set _ZN7rocprim17ROCPRIM_400000_NS6detail17trampoline_kernelINS0_14default_configENS1_20scan_config_selectorIN3c104HalfEEEZZNS1_9scan_implILNS1_25lookback_scan_determinismE0ELb0ELb0ES3_PKS6_PS6_S6_ZZZN2at6native31launch_logcumsumexp_cuda_kernelERKNSD_10TensorBaseESH_lENKUlvE_clEvENKUlvE3_clEvEUlS6_S6_E_S6_EEDaPvRmT3_T4_T5_mT6_P12ihipStream_tbENKUlT_T0_E_clISt17integral_constantIbLb1EESY_EEDaST_SU_EUlST_E0_NS1_11comp_targetILNS1_3genE9ELNS1_11target_archE1100ELNS1_3gpuE3ELNS1_3repE0EEENS1_30default_config_static_selectorELNS0_4arch9wavefront6targetE0EEEvT1_.uses_vcc, 0
	.set _ZN7rocprim17ROCPRIM_400000_NS6detail17trampoline_kernelINS0_14default_configENS1_20scan_config_selectorIN3c104HalfEEEZZNS1_9scan_implILNS1_25lookback_scan_determinismE0ELb0ELb0ES3_PKS6_PS6_S6_ZZZN2at6native31launch_logcumsumexp_cuda_kernelERKNSD_10TensorBaseESH_lENKUlvE_clEvENKUlvE3_clEvEUlS6_S6_E_S6_EEDaPvRmT3_T4_T5_mT6_P12ihipStream_tbENKUlT_T0_E_clISt17integral_constantIbLb1EESY_EEDaST_SU_EUlST_E0_NS1_11comp_targetILNS1_3genE9ELNS1_11target_archE1100ELNS1_3gpuE3ELNS1_3repE0EEENS1_30default_config_static_selectorELNS0_4arch9wavefront6targetE0EEEvT1_.uses_flat_scratch, 0
	.set _ZN7rocprim17ROCPRIM_400000_NS6detail17trampoline_kernelINS0_14default_configENS1_20scan_config_selectorIN3c104HalfEEEZZNS1_9scan_implILNS1_25lookback_scan_determinismE0ELb0ELb0ES3_PKS6_PS6_S6_ZZZN2at6native31launch_logcumsumexp_cuda_kernelERKNSD_10TensorBaseESH_lENKUlvE_clEvENKUlvE3_clEvEUlS6_S6_E_S6_EEDaPvRmT3_T4_T5_mT6_P12ihipStream_tbENKUlT_T0_E_clISt17integral_constantIbLb1EESY_EEDaST_SU_EUlST_E0_NS1_11comp_targetILNS1_3genE9ELNS1_11target_archE1100ELNS1_3gpuE3ELNS1_3repE0EEENS1_30default_config_static_selectorELNS0_4arch9wavefront6targetE0EEEvT1_.has_dyn_sized_stack, 0
	.set _ZN7rocprim17ROCPRIM_400000_NS6detail17trampoline_kernelINS0_14default_configENS1_20scan_config_selectorIN3c104HalfEEEZZNS1_9scan_implILNS1_25lookback_scan_determinismE0ELb0ELb0ES3_PKS6_PS6_S6_ZZZN2at6native31launch_logcumsumexp_cuda_kernelERKNSD_10TensorBaseESH_lENKUlvE_clEvENKUlvE3_clEvEUlS6_S6_E_S6_EEDaPvRmT3_T4_T5_mT6_P12ihipStream_tbENKUlT_T0_E_clISt17integral_constantIbLb1EESY_EEDaST_SU_EUlST_E0_NS1_11comp_targetILNS1_3genE9ELNS1_11target_archE1100ELNS1_3gpuE3ELNS1_3repE0EEENS1_30default_config_static_selectorELNS0_4arch9wavefront6targetE0EEEvT1_.has_recursion, 0
	.set _ZN7rocprim17ROCPRIM_400000_NS6detail17trampoline_kernelINS0_14default_configENS1_20scan_config_selectorIN3c104HalfEEEZZNS1_9scan_implILNS1_25lookback_scan_determinismE0ELb0ELb0ES3_PKS6_PS6_S6_ZZZN2at6native31launch_logcumsumexp_cuda_kernelERKNSD_10TensorBaseESH_lENKUlvE_clEvENKUlvE3_clEvEUlS6_S6_E_S6_EEDaPvRmT3_T4_T5_mT6_P12ihipStream_tbENKUlT_T0_E_clISt17integral_constantIbLb1EESY_EEDaST_SU_EUlST_E0_NS1_11comp_targetILNS1_3genE9ELNS1_11target_archE1100ELNS1_3gpuE3ELNS1_3repE0EEENS1_30default_config_static_selectorELNS0_4arch9wavefront6targetE0EEEvT1_.has_indirect_call, 0
	.section	.AMDGPU.csdata,"",@progbits
; Kernel info:
; codeLenInByte = 0
; TotalNumSgprs: 0
; NumVgprs: 0
; ScratchSize: 0
; MemoryBound: 0
; FloatMode: 240
; IeeeMode: 1
; LDSByteSize: 0 bytes/workgroup (compile time only)
; SGPRBlocks: 0
; VGPRBlocks: 0
; NumSGPRsForWavesPerEU: 1
; NumVGPRsForWavesPerEU: 1
; Occupancy: 16
; WaveLimiterHint : 0
; COMPUTE_PGM_RSRC2:SCRATCH_EN: 0
; COMPUTE_PGM_RSRC2:USER_SGPR: 2
; COMPUTE_PGM_RSRC2:TRAP_HANDLER: 0
; COMPUTE_PGM_RSRC2:TGID_X_EN: 1
; COMPUTE_PGM_RSRC2:TGID_Y_EN: 0
; COMPUTE_PGM_RSRC2:TGID_Z_EN: 0
; COMPUTE_PGM_RSRC2:TIDIG_COMP_CNT: 0
	.section	.text._ZN7rocprim17ROCPRIM_400000_NS6detail17trampoline_kernelINS0_14default_configENS1_20scan_config_selectorIN3c104HalfEEEZZNS1_9scan_implILNS1_25lookback_scan_determinismE0ELb0ELb0ES3_PKS6_PS6_S6_ZZZN2at6native31launch_logcumsumexp_cuda_kernelERKNSD_10TensorBaseESH_lENKUlvE_clEvENKUlvE3_clEvEUlS6_S6_E_S6_EEDaPvRmT3_T4_T5_mT6_P12ihipStream_tbENKUlT_T0_E_clISt17integral_constantIbLb1EESY_EEDaST_SU_EUlST_E0_NS1_11comp_targetILNS1_3genE8ELNS1_11target_archE1030ELNS1_3gpuE2ELNS1_3repE0EEENS1_30default_config_static_selectorELNS0_4arch9wavefront6targetE0EEEvT1_,"axG",@progbits,_ZN7rocprim17ROCPRIM_400000_NS6detail17trampoline_kernelINS0_14default_configENS1_20scan_config_selectorIN3c104HalfEEEZZNS1_9scan_implILNS1_25lookback_scan_determinismE0ELb0ELb0ES3_PKS6_PS6_S6_ZZZN2at6native31launch_logcumsumexp_cuda_kernelERKNSD_10TensorBaseESH_lENKUlvE_clEvENKUlvE3_clEvEUlS6_S6_E_S6_EEDaPvRmT3_T4_T5_mT6_P12ihipStream_tbENKUlT_T0_E_clISt17integral_constantIbLb1EESY_EEDaST_SU_EUlST_E0_NS1_11comp_targetILNS1_3genE8ELNS1_11target_archE1030ELNS1_3gpuE2ELNS1_3repE0EEENS1_30default_config_static_selectorELNS0_4arch9wavefront6targetE0EEEvT1_,comdat
	.globl	_ZN7rocprim17ROCPRIM_400000_NS6detail17trampoline_kernelINS0_14default_configENS1_20scan_config_selectorIN3c104HalfEEEZZNS1_9scan_implILNS1_25lookback_scan_determinismE0ELb0ELb0ES3_PKS6_PS6_S6_ZZZN2at6native31launch_logcumsumexp_cuda_kernelERKNSD_10TensorBaseESH_lENKUlvE_clEvENKUlvE3_clEvEUlS6_S6_E_S6_EEDaPvRmT3_T4_T5_mT6_P12ihipStream_tbENKUlT_T0_E_clISt17integral_constantIbLb1EESY_EEDaST_SU_EUlST_E0_NS1_11comp_targetILNS1_3genE8ELNS1_11target_archE1030ELNS1_3gpuE2ELNS1_3repE0EEENS1_30default_config_static_selectorELNS0_4arch9wavefront6targetE0EEEvT1_ ; -- Begin function _ZN7rocprim17ROCPRIM_400000_NS6detail17trampoline_kernelINS0_14default_configENS1_20scan_config_selectorIN3c104HalfEEEZZNS1_9scan_implILNS1_25lookback_scan_determinismE0ELb0ELb0ES3_PKS6_PS6_S6_ZZZN2at6native31launch_logcumsumexp_cuda_kernelERKNSD_10TensorBaseESH_lENKUlvE_clEvENKUlvE3_clEvEUlS6_S6_E_S6_EEDaPvRmT3_T4_T5_mT6_P12ihipStream_tbENKUlT_T0_E_clISt17integral_constantIbLb1EESY_EEDaST_SU_EUlST_E0_NS1_11comp_targetILNS1_3genE8ELNS1_11target_archE1030ELNS1_3gpuE2ELNS1_3repE0EEENS1_30default_config_static_selectorELNS0_4arch9wavefront6targetE0EEEvT1_
	.p2align	8
	.type	_ZN7rocprim17ROCPRIM_400000_NS6detail17trampoline_kernelINS0_14default_configENS1_20scan_config_selectorIN3c104HalfEEEZZNS1_9scan_implILNS1_25lookback_scan_determinismE0ELb0ELb0ES3_PKS6_PS6_S6_ZZZN2at6native31launch_logcumsumexp_cuda_kernelERKNSD_10TensorBaseESH_lENKUlvE_clEvENKUlvE3_clEvEUlS6_S6_E_S6_EEDaPvRmT3_T4_T5_mT6_P12ihipStream_tbENKUlT_T0_E_clISt17integral_constantIbLb1EESY_EEDaST_SU_EUlST_E0_NS1_11comp_targetILNS1_3genE8ELNS1_11target_archE1030ELNS1_3gpuE2ELNS1_3repE0EEENS1_30default_config_static_selectorELNS0_4arch9wavefront6targetE0EEEvT1_,@function
_ZN7rocprim17ROCPRIM_400000_NS6detail17trampoline_kernelINS0_14default_configENS1_20scan_config_selectorIN3c104HalfEEEZZNS1_9scan_implILNS1_25lookback_scan_determinismE0ELb0ELb0ES3_PKS6_PS6_S6_ZZZN2at6native31launch_logcumsumexp_cuda_kernelERKNSD_10TensorBaseESH_lENKUlvE_clEvENKUlvE3_clEvEUlS6_S6_E_S6_EEDaPvRmT3_T4_T5_mT6_P12ihipStream_tbENKUlT_T0_E_clISt17integral_constantIbLb1EESY_EEDaST_SU_EUlST_E0_NS1_11comp_targetILNS1_3genE8ELNS1_11target_archE1030ELNS1_3gpuE2ELNS1_3repE0EEENS1_30default_config_static_selectorELNS0_4arch9wavefront6targetE0EEEvT1_: ; @_ZN7rocprim17ROCPRIM_400000_NS6detail17trampoline_kernelINS0_14default_configENS1_20scan_config_selectorIN3c104HalfEEEZZNS1_9scan_implILNS1_25lookback_scan_determinismE0ELb0ELb0ES3_PKS6_PS6_S6_ZZZN2at6native31launch_logcumsumexp_cuda_kernelERKNSD_10TensorBaseESH_lENKUlvE_clEvENKUlvE3_clEvEUlS6_S6_E_S6_EEDaPvRmT3_T4_T5_mT6_P12ihipStream_tbENKUlT_T0_E_clISt17integral_constantIbLb1EESY_EEDaST_SU_EUlST_E0_NS1_11comp_targetILNS1_3genE8ELNS1_11target_archE1030ELNS1_3gpuE2ELNS1_3repE0EEENS1_30default_config_static_selectorELNS0_4arch9wavefront6targetE0EEEvT1_
; %bb.0:
	.section	.rodata,"a",@progbits
	.p2align	6, 0x0
	.amdhsa_kernel _ZN7rocprim17ROCPRIM_400000_NS6detail17trampoline_kernelINS0_14default_configENS1_20scan_config_selectorIN3c104HalfEEEZZNS1_9scan_implILNS1_25lookback_scan_determinismE0ELb0ELb0ES3_PKS6_PS6_S6_ZZZN2at6native31launch_logcumsumexp_cuda_kernelERKNSD_10TensorBaseESH_lENKUlvE_clEvENKUlvE3_clEvEUlS6_S6_E_S6_EEDaPvRmT3_T4_T5_mT6_P12ihipStream_tbENKUlT_T0_E_clISt17integral_constantIbLb1EESY_EEDaST_SU_EUlST_E0_NS1_11comp_targetILNS1_3genE8ELNS1_11target_archE1030ELNS1_3gpuE2ELNS1_3repE0EEENS1_30default_config_static_selectorELNS0_4arch9wavefront6targetE0EEEvT1_
		.amdhsa_group_segment_fixed_size 0
		.amdhsa_private_segment_fixed_size 0
		.amdhsa_kernarg_size 32
		.amdhsa_user_sgpr_count 2
		.amdhsa_user_sgpr_dispatch_ptr 0
		.amdhsa_user_sgpr_queue_ptr 0
		.amdhsa_user_sgpr_kernarg_segment_ptr 1
		.amdhsa_user_sgpr_dispatch_id 0
		.amdhsa_user_sgpr_private_segment_size 0
		.amdhsa_wavefront_size32 1
		.amdhsa_uses_dynamic_stack 0
		.amdhsa_enable_private_segment 0
		.amdhsa_system_sgpr_workgroup_id_x 1
		.amdhsa_system_sgpr_workgroup_id_y 0
		.amdhsa_system_sgpr_workgroup_id_z 0
		.amdhsa_system_sgpr_workgroup_info 0
		.amdhsa_system_vgpr_workitem_id 0
		.amdhsa_next_free_vgpr 1
		.amdhsa_next_free_sgpr 1
		.amdhsa_reserve_vcc 0
		.amdhsa_float_round_mode_32 0
		.amdhsa_float_round_mode_16_64 0
		.amdhsa_float_denorm_mode_32 3
		.amdhsa_float_denorm_mode_16_64 3
		.amdhsa_fp16_overflow 0
		.amdhsa_workgroup_processor_mode 1
		.amdhsa_memory_ordered 1
		.amdhsa_forward_progress 1
		.amdhsa_inst_pref_size 0
		.amdhsa_round_robin_scheduling 0
		.amdhsa_exception_fp_ieee_invalid_op 0
		.amdhsa_exception_fp_denorm_src 0
		.amdhsa_exception_fp_ieee_div_zero 0
		.amdhsa_exception_fp_ieee_overflow 0
		.amdhsa_exception_fp_ieee_underflow 0
		.amdhsa_exception_fp_ieee_inexact 0
		.amdhsa_exception_int_div_zero 0
	.end_amdhsa_kernel
	.section	.text._ZN7rocprim17ROCPRIM_400000_NS6detail17trampoline_kernelINS0_14default_configENS1_20scan_config_selectorIN3c104HalfEEEZZNS1_9scan_implILNS1_25lookback_scan_determinismE0ELb0ELb0ES3_PKS6_PS6_S6_ZZZN2at6native31launch_logcumsumexp_cuda_kernelERKNSD_10TensorBaseESH_lENKUlvE_clEvENKUlvE3_clEvEUlS6_S6_E_S6_EEDaPvRmT3_T4_T5_mT6_P12ihipStream_tbENKUlT_T0_E_clISt17integral_constantIbLb1EESY_EEDaST_SU_EUlST_E0_NS1_11comp_targetILNS1_3genE8ELNS1_11target_archE1030ELNS1_3gpuE2ELNS1_3repE0EEENS1_30default_config_static_selectorELNS0_4arch9wavefront6targetE0EEEvT1_,"axG",@progbits,_ZN7rocprim17ROCPRIM_400000_NS6detail17trampoline_kernelINS0_14default_configENS1_20scan_config_selectorIN3c104HalfEEEZZNS1_9scan_implILNS1_25lookback_scan_determinismE0ELb0ELb0ES3_PKS6_PS6_S6_ZZZN2at6native31launch_logcumsumexp_cuda_kernelERKNSD_10TensorBaseESH_lENKUlvE_clEvENKUlvE3_clEvEUlS6_S6_E_S6_EEDaPvRmT3_T4_T5_mT6_P12ihipStream_tbENKUlT_T0_E_clISt17integral_constantIbLb1EESY_EEDaST_SU_EUlST_E0_NS1_11comp_targetILNS1_3genE8ELNS1_11target_archE1030ELNS1_3gpuE2ELNS1_3repE0EEENS1_30default_config_static_selectorELNS0_4arch9wavefront6targetE0EEEvT1_,comdat
.Lfunc_end395:
	.size	_ZN7rocprim17ROCPRIM_400000_NS6detail17trampoline_kernelINS0_14default_configENS1_20scan_config_selectorIN3c104HalfEEEZZNS1_9scan_implILNS1_25lookback_scan_determinismE0ELb0ELb0ES3_PKS6_PS6_S6_ZZZN2at6native31launch_logcumsumexp_cuda_kernelERKNSD_10TensorBaseESH_lENKUlvE_clEvENKUlvE3_clEvEUlS6_S6_E_S6_EEDaPvRmT3_T4_T5_mT6_P12ihipStream_tbENKUlT_T0_E_clISt17integral_constantIbLb1EESY_EEDaST_SU_EUlST_E0_NS1_11comp_targetILNS1_3genE8ELNS1_11target_archE1030ELNS1_3gpuE2ELNS1_3repE0EEENS1_30default_config_static_selectorELNS0_4arch9wavefront6targetE0EEEvT1_, .Lfunc_end395-_ZN7rocprim17ROCPRIM_400000_NS6detail17trampoline_kernelINS0_14default_configENS1_20scan_config_selectorIN3c104HalfEEEZZNS1_9scan_implILNS1_25lookback_scan_determinismE0ELb0ELb0ES3_PKS6_PS6_S6_ZZZN2at6native31launch_logcumsumexp_cuda_kernelERKNSD_10TensorBaseESH_lENKUlvE_clEvENKUlvE3_clEvEUlS6_S6_E_S6_EEDaPvRmT3_T4_T5_mT6_P12ihipStream_tbENKUlT_T0_E_clISt17integral_constantIbLb1EESY_EEDaST_SU_EUlST_E0_NS1_11comp_targetILNS1_3genE8ELNS1_11target_archE1030ELNS1_3gpuE2ELNS1_3repE0EEENS1_30default_config_static_selectorELNS0_4arch9wavefront6targetE0EEEvT1_
                                        ; -- End function
	.set _ZN7rocprim17ROCPRIM_400000_NS6detail17trampoline_kernelINS0_14default_configENS1_20scan_config_selectorIN3c104HalfEEEZZNS1_9scan_implILNS1_25lookback_scan_determinismE0ELb0ELb0ES3_PKS6_PS6_S6_ZZZN2at6native31launch_logcumsumexp_cuda_kernelERKNSD_10TensorBaseESH_lENKUlvE_clEvENKUlvE3_clEvEUlS6_S6_E_S6_EEDaPvRmT3_T4_T5_mT6_P12ihipStream_tbENKUlT_T0_E_clISt17integral_constantIbLb1EESY_EEDaST_SU_EUlST_E0_NS1_11comp_targetILNS1_3genE8ELNS1_11target_archE1030ELNS1_3gpuE2ELNS1_3repE0EEENS1_30default_config_static_selectorELNS0_4arch9wavefront6targetE0EEEvT1_.num_vgpr, 0
	.set _ZN7rocprim17ROCPRIM_400000_NS6detail17trampoline_kernelINS0_14default_configENS1_20scan_config_selectorIN3c104HalfEEEZZNS1_9scan_implILNS1_25lookback_scan_determinismE0ELb0ELb0ES3_PKS6_PS6_S6_ZZZN2at6native31launch_logcumsumexp_cuda_kernelERKNSD_10TensorBaseESH_lENKUlvE_clEvENKUlvE3_clEvEUlS6_S6_E_S6_EEDaPvRmT3_T4_T5_mT6_P12ihipStream_tbENKUlT_T0_E_clISt17integral_constantIbLb1EESY_EEDaST_SU_EUlST_E0_NS1_11comp_targetILNS1_3genE8ELNS1_11target_archE1030ELNS1_3gpuE2ELNS1_3repE0EEENS1_30default_config_static_selectorELNS0_4arch9wavefront6targetE0EEEvT1_.num_agpr, 0
	.set _ZN7rocprim17ROCPRIM_400000_NS6detail17trampoline_kernelINS0_14default_configENS1_20scan_config_selectorIN3c104HalfEEEZZNS1_9scan_implILNS1_25lookback_scan_determinismE0ELb0ELb0ES3_PKS6_PS6_S6_ZZZN2at6native31launch_logcumsumexp_cuda_kernelERKNSD_10TensorBaseESH_lENKUlvE_clEvENKUlvE3_clEvEUlS6_S6_E_S6_EEDaPvRmT3_T4_T5_mT6_P12ihipStream_tbENKUlT_T0_E_clISt17integral_constantIbLb1EESY_EEDaST_SU_EUlST_E0_NS1_11comp_targetILNS1_3genE8ELNS1_11target_archE1030ELNS1_3gpuE2ELNS1_3repE0EEENS1_30default_config_static_selectorELNS0_4arch9wavefront6targetE0EEEvT1_.numbered_sgpr, 0
	.set _ZN7rocprim17ROCPRIM_400000_NS6detail17trampoline_kernelINS0_14default_configENS1_20scan_config_selectorIN3c104HalfEEEZZNS1_9scan_implILNS1_25lookback_scan_determinismE0ELb0ELb0ES3_PKS6_PS6_S6_ZZZN2at6native31launch_logcumsumexp_cuda_kernelERKNSD_10TensorBaseESH_lENKUlvE_clEvENKUlvE3_clEvEUlS6_S6_E_S6_EEDaPvRmT3_T4_T5_mT6_P12ihipStream_tbENKUlT_T0_E_clISt17integral_constantIbLb1EESY_EEDaST_SU_EUlST_E0_NS1_11comp_targetILNS1_3genE8ELNS1_11target_archE1030ELNS1_3gpuE2ELNS1_3repE0EEENS1_30default_config_static_selectorELNS0_4arch9wavefront6targetE0EEEvT1_.num_named_barrier, 0
	.set _ZN7rocprim17ROCPRIM_400000_NS6detail17trampoline_kernelINS0_14default_configENS1_20scan_config_selectorIN3c104HalfEEEZZNS1_9scan_implILNS1_25lookback_scan_determinismE0ELb0ELb0ES3_PKS6_PS6_S6_ZZZN2at6native31launch_logcumsumexp_cuda_kernelERKNSD_10TensorBaseESH_lENKUlvE_clEvENKUlvE3_clEvEUlS6_S6_E_S6_EEDaPvRmT3_T4_T5_mT6_P12ihipStream_tbENKUlT_T0_E_clISt17integral_constantIbLb1EESY_EEDaST_SU_EUlST_E0_NS1_11comp_targetILNS1_3genE8ELNS1_11target_archE1030ELNS1_3gpuE2ELNS1_3repE0EEENS1_30default_config_static_selectorELNS0_4arch9wavefront6targetE0EEEvT1_.private_seg_size, 0
	.set _ZN7rocprim17ROCPRIM_400000_NS6detail17trampoline_kernelINS0_14default_configENS1_20scan_config_selectorIN3c104HalfEEEZZNS1_9scan_implILNS1_25lookback_scan_determinismE0ELb0ELb0ES3_PKS6_PS6_S6_ZZZN2at6native31launch_logcumsumexp_cuda_kernelERKNSD_10TensorBaseESH_lENKUlvE_clEvENKUlvE3_clEvEUlS6_S6_E_S6_EEDaPvRmT3_T4_T5_mT6_P12ihipStream_tbENKUlT_T0_E_clISt17integral_constantIbLb1EESY_EEDaST_SU_EUlST_E0_NS1_11comp_targetILNS1_3genE8ELNS1_11target_archE1030ELNS1_3gpuE2ELNS1_3repE0EEENS1_30default_config_static_selectorELNS0_4arch9wavefront6targetE0EEEvT1_.uses_vcc, 0
	.set _ZN7rocprim17ROCPRIM_400000_NS6detail17trampoline_kernelINS0_14default_configENS1_20scan_config_selectorIN3c104HalfEEEZZNS1_9scan_implILNS1_25lookback_scan_determinismE0ELb0ELb0ES3_PKS6_PS6_S6_ZZZN2at6native31launch_logcumsumexp_cuda_kernelERKNSD_10TensorBaseESH_lENKUlvE_clEvENKUlvE3_clEvEUlS6_S6_E_S6_EEDaPvRmT3_T4_T5_mT6_P12ihipStream_tbENKUlT_T0_E_clISt17integral_constantIbLb1EESY_EEDaST_SU_EUlST_E0_NS1_11comp_targetILNS1_3genE8ELNS1_11target_archE1030ELNS1_3gpuE2ELNS1_3repE0EEENS1_30default_config_static_selectorELNS0_4arch9wavefront6targetE0EEEvT1_.uses_flat_scratch, 0
	.set _ZN7rocprim17ROCPRIM_400000_NS6detail17trampoline_kernelINS0_14default_configENS1_20scan_config_selectorIN3c104HalfEEEZZNS1_9scan_implILNS1_25lookback_scan_determinismE0ELb0ELb0ES3_PKS6_PS6_S6_ZZZN2at6native31launch_logcumsumexp_cuda_kernelERKNSD_10TensorBaseESH_lENKUlvE_clEvENKUlvE3_clEvEUlS6_S6_E_S6_EEDaPvRmT3_T4_T5_mT6_P12ihipStream_tbENKUlT_T0_E_clISt17integral_constantIbLb1EESY_EEDaST_SU_EUlST_E0_NS1_11comp_targetILNS1_3genE8ELNS1_11target_archE1030ELNS1_3gpuE2ELNS1_3repE0EEENS1_30default_config_static_selectorELNS0_4arch9wavefront6targetE0EEEvT1_.has_dyn_sized_stack, 0
	.set _ZN7rocprim17ROCPRIM_400000_NS6detail17trampoline_kernelINS0_14default_configENS1_20scan_config_selectorIN3c104HalfEEEZZNS1_9scan_implILNS1_25lookback_scan_determinismE0ELb0ELb0ES3_PKS6_PS6_S6_ZZZN2at6native31launch_logcumsumexp_cuda_kernelERKNSD_10TensorBaseESH_lENKUlvE_clEvENKUlvE3_clEvEUlS6_S6_E_S6_EEDaPvRmT3_T4_T5_mT6_P12ihipStream_tbENKUlT_T0_E_clISt17integral_constantIbLb1EESY_EEDaST_SU_EUlST_E0_NS1_11comp_targetILNS1_3genE8ELNS1_11target_archE1030ELNS1_3gpuE2ELNS1_3repE0EEENS1_30default_config_static_selectorELNS0_4arch9wavefront6targetE0EEEvT1_.has_recursion, 0
	.set _ZN7rocprim17ROCPRIM_400000_NS6detail17trampoline_kernelINS0_14default_configENS1_20scan_config_selectorIN3c104HalfEEEZZNS1_9scan_implILNS1_25lookback_scan_determinismE0ELb0ELb0ES3_PKS6_PS6_S6_ZZZN2at6native31launch_logcumsumexp_cuda_kernelERKNSD_10TensorBaseESH_lENKUlvE_clEvENKUlvE3_clEvEUlS6_S6_E_S6_EEDaPvRmT3_T4_T5_mT6_P12ihipStream_tbENKUlT_T0_E_clISt17integral_constantIbLb1EESY_EEDaST_SU_EUlST_E0_NS1_11comp_targetILNS1_3genE8ELNS1_11target_archE1030ELNS1_3gpuE2ELNS1_3repE0EEENS1_30default_config_static_selectorELNS0_4arch9wavefront6targetE0EEEvT1_.has_indirect_call, 0
	.section	.AMDGPU.csdata,"",@progbits
; Kernel info:
; codeLenInByte = 0
; TotalNumSgprs: 0
; NumVgprs: 0
; ScratchSize: 0
; MemoryBound: 0
; FloatMode: 240
; IeeeMode: 1
; LDSByteSize: 0 bytes/workgroup (compile time only)
; SGPRBlocks: 0
; VGPRBlocks: 0
; NumSGPRsForWavesPerEU: 1
; NumVGPRsForWavesPerEU: 1
; Occupancy: 16
; WaveLimiterHint : 0
; COMPUTE_PGM_RSRC2:SCRATCH_EN: 0
; COMPUTE_PGM_RSRC2:USER_SGPR: 2
; COMPUTE_PGM_RSRC2:TRAP_HANDLER: 0
; COMPUTE_PGM_RSRC2:TGID_X_EN: 1
; COMPUTE_PGM_RSRC2:TGID_Y_EN: 0
; COMPUTE_PGM_RSRC2:TGID_Z_EN: 0
; COMPUTE_PGM_RSRC2:TIDIG_COMP_CNT: 0
	.section	.text._ZN7rocprim17ROCPRIM_400000_NS6detail31init_lookback_scan_state_kernelINS1_19lookback_scan_stateIN3c104HalfELb1ELb1EEENS1_16block_id_wrapperIjLb0EEEEEvT_jT0_jPNS9_10value_typeE,"axG",@progbits,_ZN7rocprim17ROCPRIM_400000_NS6detail31init_lookback_scan_state_kernelINS1_19lookback_scan_stateIN3c104HalfELb1ELb1EEENS1_16block_id_wrapperIjLb0EEEEEvT_jT0_jPNS9_10value_typeE,comdat
	.protected	_ZN7rocprim17ROCPRIM_400000_NS6detail31init_lookback_scan_state_kernelINS1_19lookback_scan_stateIN3c104HalfELb1ELb1EEENS1_16block_id_wrapperIjLb0EEEEEvT_jT0_jPNS9_10value_typeE ; -- Begin function _ZN7rocprim17ROCPRIM_400000_NS6detail31init_lookback_scan_state_kernelINS1_19lookback_scan_stateIN3c104HalfELb1ELb1EEENS1_16block_id_wrapperIjLb0EEEEEvT_jT0_jPNS9_10value_typeE
	.globl	_ZN7rocprim17ROCPRIM_400000_NS6detail31init_lookback_scan_state_kernelINS1_19lookback_scan_stateIN3c104HalfELb1ELb1EEENS1_16block_id_wrapperIjLb0EEEEEvT_jT0_jPNS9_10value_typeE
	.p2align	8
	.type	_ZN7rocprim17ROCPRIM_400000_NS6detail31init_lookback_scan_state_kernelINS1_19lookback_scan_stateIN3c104HalfELb1ELb1EEENS1_16block_id_wrapperIjLb0EEEEEvT_jT0_jPNS9_10value_typeE,@function
_ZN7rocprim17ROCPRIM_400000_NS6detail31init_lookback_scan_state_kernelINS1_19lookback_scan_stateIN3c104HalfELb1ELb1EEENS1_16block_id_wrapperIjLb0EEEEEvT_jT0_jPNS9_10value_typeE: ; @_ZN7rocprim17ROCPRIM_400000_NS6detail31init_lookback_scan_state_kernelINS1_19lookback_scan_stateIN3c104HalfELb1ELb1EEENS1_16block_id_wrapperIjLb0EEEEEvT_jT0_jPNS9_10value_typeE
; %bb.0:
	s_clause 0x2
	s_load_b32 s7, s[0:1], 0x2c
	s_load_b64 s[2:3], s[0:1], 0x18
	s_load_b96 s[4:6], s[0:1], 0x0
	s_wait_kmcnt 0x0
	s_and_b32 s7, s7, 0xffff
	s_cmp_eq_u64 s[2:3], 0
	v_mad_co_u64_u32 v[0:1], null, ttmp9, s7, v[0:1]
	s_cbranch_scc1 .LBB396_9
; %bb.1:
	s_load_b32 s0, s[0:1], 0x10
	s_wait_kmcnt 0x0
	s_cmp_lt_u32 s0, s6
	s_cselect_b32 s1, s0, 0
	s_wait_alu 0xfffe
	v_cmp_eq_u32_e32 vcc_lo, s1, v0
	s_mov_b32 s1, 0
	s_and_saveexec_b32 s7, vcc_lo
	s_cbranch_execz .LBB396_8
; %bb.2:
	s_add_co_i32 s0, s0, 32
	v_mov_b32_e32 v1, 0
	s_wait_alu 0xfffe
	s_lshl_b64 s[0:1], s[0:1], 2
	s_wait_alu 0xfffe
	s_add_nc_u64 s[0:1], s[4:5], s[0:1]
	global_load_b32 v2, v1, s[0:1] scope:SCOPE_DEV
	s_wait_loadcnt 0x0
	v_and_b32_e32 v3, 0xff0000, v2
	s_delay_alu instid0(VALU_DEP_1)
	v_cmp_ne_u32_e32 vcc_lo, 0, v3
	s_cbranch_vccnz .LBB396_7
; %bb.3:
	s_mov_b32 s8, 1
.LBB396_4:                              ; =>This Loop Header: Depth=1
                                        ;     Child Loop BB396_5 Depth 2
	s_delay_alu instid0(SALU_CYCLE_1)
	s_mov_b32 s9, s8
.LBB396_5:                              ;   Parent Loop BB396_4 Depth=1
                                        ; =>  This Inner Loop Header: Depth=2
	s_delay_alu instid0(SALU_CYCLE_1)
	s_add_co_i32 s9, s9, -1
	s_sleep 1
	s_cmp_eq_u32 s9, 0
	s_cbranch_scc0 .LBB396_5
; %bb.6:                                ;   in Loop: Header=BB396_4 Depth=1
	global_load_b32 v2, v1, s[0:1] scope:SCOPE_DEV
	s_cmp_lt_u32 s8, 32
	s_cselect_b32 s9, -1, 0
	s_delay_alu instid0(SALU_CYCLE_1) | instskip(SKIP_3) | instid1(VALU_DEP_1)
	s_cmp_lg_u32 s9, 0
	s_add_co_ci_u32 s8, s8, 0
	s_wait_loadcnt 0x0
	v_and_b32_e32 v3, 0xff0000, v2
	v_cmp_ne_u32_e32 vcc_lo, 0, v3
	s_cbranch_vccz .LBB396_4
.LBB396_7:
	v_mov_b32_e32 v1, 0
	global_store_b16 v1, v2, s[2:3]
.LBB396_8:
	s_wait_alu 0xfffe
	s_or_b32 exec_lo, exec_lo, s7
.LBB396_9:
	s_delay_alu instid0(SALU_CYCLE_1)
	s_mov_b32 s0, exec_lo
	v_cmpx_gt_u32_e64 s6, v0
	s_cbranch_execz .LBB396_11
; %bb.10:
	v_dual_mov_b32 v2, 0 :: v_dual_add_nc_u32 v1, 32, v0
	s_delay_alu instid0(VALU_DEP_1) | instskip(NEXT) | instid1(VALU_DEP_1)
	v_lshlrev_b64_e32 v[3:4], 2, v[1:2]
	v_add_co_u32 v3, vcc_lo, s4, v3
	s_delay_alu instid0(VALU_DEP_1)
	v_add_co_ci_u32_e64 v4, null, s5, v4, vcc_lo
	global_store_b32 v[3:4], v2, off
.LBB396_11:
	s_wait_alu 0xfffe
	s_or_b32 exec_lo, exec_lo, s0
	s_delay_alu instid0(SALU_CYCLE_1)
	s_mov_b32 s0, exec_lo
	v_cmpx_gt_u32_e32 32, v0
	s_cbranch_execz .LBB396_13
; %bb.12:
	v_dual_mov_b32 v1, 0 :: v_dual_mov_b32 v2, 0xff0000
	s_delay_alu instid0(VALU_DEP_1) | instskip(NEXT) | instid1(VALU_DEP_1)
	v_lshlrev_b64_e32 v[0:1], 2, v[0:1]
	v_add_co_u32 v0, vcc_lo, s4, v0
	s_wait_alu 0xfffd
	s_delay_alu instid0(VALU_DEP_2)
	v_add_co_ci_u32_e64 v1, null, s5, v1, vcc_lo
	global_store_b32 v[0:1], v2, off
.LBB396_13:
	s_endpgm
	.section	.rodata,"a",@progbits
	.p2align	6, 0x0
	.amdhsa_kernel _ZN7rocprim17ROCPRIM_400000_NS6detail31init_lookback_scan_state_kernelINS1_19lookback_scan_stateIN3c104HalfELb1ELb1EEENS1_16block_id_wrapperIjLb0EEEEEvT_jT0_jPNS9_10value_typeE
		.amdhsa_group_segment_fixed_size 0
		.amdhsa_private_segment_fixed_size 0
		.amdhsa_kernarg_size 288
		.amdhsa_user_sgpr_count 2
		.amdhsa_user_sgpr_dispatch_ptr 0
		.amdhsa_user_sgpr_queue_ptr 0
		.amdhsa_user_sgpr_kernarg_segment_ptr 1
		.amdhsa_user_sgpr_dispatch_id 0
		.amdhsa_user_sgpr_private_segment_size 0
		.amdhsa_wavefront_size32 1
		.amdhsa_uses_dynamic_stack 0
		.amdhsa_enable_private_segment 0
		.amdhsa_system_sgpr_workgroup_id_x 1
		.amdhsa_system_sgpr_workgroup_id_y 0
		.amdhsa_system_sgpr_workgroup_id_z 0
		.amdhsa_system_sgpr_workgroup_info 0
		.amdhsa_system_vgpr_workitem_id 0
		.amdhsa_next_free_vgpr 5
		.amdhsa_next_free_sgpr 10
		.amdhsa_reserve_vcc 1
		.amdhsa_float_round_mode_32 0
		.amdhsa_float_round_mode_16_64 0
		.amdhsa_float_denorm_mode_32 3
		.amdhsa_float_denorm_mode_16_64 3
		.amdhsa_fp16_overflow 0
		.amdhsa_workgroup_processor_mode 1
		.amdhsa_memory_ordered 1
		.amdhsa_forward_progress 1
		.amdhsa_inst_pref_size 4
		.amdhsa_round_robin_scheduling 0
		.amdhsa_exception_fp_ieee_invalid_op 0
		.amdhsa_exception_fp_denorm_src 0
		.amdhsa_exception_fp_ieee_div_zero 0
		.amdhsa_exception_fp_ieee_overflow 0
		.amdhsa_exception_fp_ieee_underflow 0
		.amdhsa_exception_fp_ieee_inexact 0
		.amdhsa_exception_int_div_zero 0
	.end_amdhsa_kernel
	.section	.text._ZN7rocprim17ROCPRIM_400000_NS6detail31init_lookback_scan_state_kernelINS1_19lookback_scan_stateIN3c104HalfELb1ELb1EEENS1_16block_id_wrapperIjLb0EEEEEvT_jT0_jPNS9_10value_typeE,"axG",@progbits,_ZN7rocprim17ROCPRIM_400000_NS6detail31init_lookback_scan_state_kernelINS1_19lookback_scan_stateIN3c104HalfELb1ELb1EEENS1_16block_id_wrapperIjLb0EEEEEvT_jT0_jPNS9_10value_typeE,comdat
.Lfunc_end396:
	.size	_ZN7rocprim17ROCPRIM_400000_NS6detail31init_lookback_scan_state_kernelINS1_19lookback_scan_stateIN3c104HalfELb1ELb1EEENS1_16block_id_wrapperIjLb0EEEEEvT_jT0_jPNS9_10value_typeE, .Lfunc_end396-_ZN7rocprim17ROCPRIM_400000_NS6detail31init_lookback_scan_state_kernelINS1_19lookback_scan_stateIN3c104HalfELb1ELb1EEENS1_16block_id_wrapperIjLb0EEEEEvT_jT0_jPNS9_10value_typeE
                                        ; -- End function
	.set _ZN7rocprim17ROCPRIM_400000_NS6detail31init_lookback_scan_state_kernelINS1_19lookback_scan_stateIN3c104HalfELb1ELb1EEENS1_16block_id_wrapperIjLb0EEEEEvT_jT0_jPNS9_10value_typeE.num_vgpr, 5
	.set _ZN7rocprim17ROCPRIM_400000_NS6detail31init_lookback_scan_state_kernelINS1_19lookback_scan_stateIN3c104HalfELb1ELb1EEENS1_16block_id_wrapperIjLb0EEEEEvT_jT0_jPNS9_10value_typeE.num_agpr, 0
	.set _ZN7rocprim17ROCPRIM_400000_NS6detail31init_lookback_scan_state_kernelINS1_19lookback_scan_stateIN3c104HalfELb1ELb1EEENS1_16block_id_wrapperIjLb0EEEEEvT_jT0_jPNS9_10value_typeE.numbered_sgpr, 10
	.set _ZN7rocprim17ROCPRIM_400000_NS6detail31init_lookback_scan_state_kernelINS1_19lookback_scan_stateIN3c104HalfELb1ELb1EEENS1_16block_id_wrapperIjLb0EEEEEvT_jT0_jPNS9_10value_typeE.num_named_barrier, 0
	.set _ZN7rocprim17ROCPRIM_400000_NS6detail31init_lookback_scan_state_kernelINS1_19lookback_scan_stateIN3c104HalfELb1ELb1EEENS1_16block_id_wrapperIjLb0EEEEEvT_jT0_jPNS9_10value_typeE.private_seg_size, 0
	.set _ZN7rocprim17ROCPRIM_400000_NS6detail31init_lookback_scan_state_kernelINS1_19lookback_scan_stateIN3c104HalfELb1ELb1EEENS1_16block_id_wrapperIjLb0EEEEEvT_jT0_jPNS9_10value_typeE.uses_vcc, 1
	.set _ZN7rocprim17ROCPRIM_400000_NS6detail31init_lookback_scan_state_kernelINS1_19lookback_scan_stateIN3c104HalfELb1ELb1EEENS1_16block_id_wrapperIjLb0EEEEEvT_jT0_jPNS9_10value_typeE.uses_flat_scratch, 0
	.set _ZN7rocprim17ROCPRIM_400000_NS6detail31init_lookback_scan_state_kernelINS1_19lookback_scan_stateIN3c104HalfELb1ELb1EEENS1_16block_id_wrapperIjLb0EEEEEvT_jT0_jPNS9_10value_typeE.has_dyn_sized_stack, 0
	.set _ZN7rocprim17ROCPRIM_400000_NS6detail31init_lookback_scan_state_kernelINS1_19lookback_scan_stateIN3c104HalfELb1ELb1EEENS1_16block_id_wrapperIjLb0EEEEEvT_jT0_jPNS9_10value_typeE.has_recursion, 0
	.set _ZN7rocprim17ROCPRIM_400000_NS6detail31init_lookback_scan_state_kernelINS1_19lookback_scan_stateIN3c104HalfELb1ELb1EEENS1_16block_id_wrapperIjLb0EEEEEvT_jT0_jPNS9_10value_typeE.has_indirect_call, 0
	.section	.AMDGPU.csdata,"",@progbits
; Kernel info:
; codeLenInByte = 416
; TotalNumSgprs: 12
; NumVgprs: 5
; ScratchSize: 0
; MemoryBound: 0
; FloatMode: 240
; IeeeMode: 1
; LDSByteSize: 0 bytes/workgroup (compile time only)
; SGPRBlocks: 0
; VGPRBlocks: 0
; NumSGPRsForWavesPerEU: 12
; NumVGPRsForWavesPerEU: 5
; Occupancy: 16
; WaveLimiterHint : 0
; COMPUTE_PGM_RSRC2:SCRATCH_EN: 0
; COMPUTE_PGM_RSRC2:USER_SGPR: 2
; COMPUTE_PGM_RSRC2:TRAP_HANDLER: 0
; COMPUTE_PGM_RSRC2:TGID_X_EN: 1
; COMPUTE_PGM_RSRC2:TGID_Y_EN: 0
; COMPUTE_PGM_RSRC2:TGID_Z_EN: 0
; COMPUTE_PGM_RSRC2:TIDIG_COMP_CNT: 0
	.section	.text._ZN7rocprim17ROCPRIM_400000_NS6detail17trampoline_kernelINS0_14default_configENS1_20scan_config_selectorIN3c104HalfEEEZZNS1_9scan_implILNS1_25lookback_scan_determinismE0ELb0ELb0ES3_PKS6_PS6_S6_ZZZN2at6native31launch_logcumsumexp_cuda_kernelERKNSD_10TensorBaseESH_lENKUlvE_clEvENKUlvE3_clEvEUlS6_S6_E_S6_EEDaPvRmT3_T4_T5_mT6_P12ihipStream_tbENKUlT_T0_E_clISt17integral_constantIbLb1EESX_IbLb0EEEEDaST_SU_EUlST_E_NS1_11comp_targetILNS1_3genE0ELNS1_11target_archE4294967295ELNS1_3gpuE0ELNS1_3repE0EEENS1_30default_config_static_selectorELNS0_4arch9wavefront6targetE0EEEvT1_,"axG",@progbits,_ZN7rocprim17ROCPRIM_400000_NS6detail17trampoline_kernelINS0_14default_configENS1_20scan_config_selectorIN3c104HalfEEEZZNS1_9scan_implILNS1_25lookback_scan_determinismE0ELb0ELb0ES3_PKS6_PS6_S6_ZZZN2at6native31launch_logcumsumexp_cuda_kernelERKNSD_10TensorBaseESH_lENKUlvE_clEvENKUlvE3_clEvEUlS6_S6_E_S6_EEDaPvRmT3_T4_T5_mT6_P12ihipStream_tbENKUlT_T0_E_clISt17integral_constantIbLb1EESX_IbLb0EEEEDaST_SU_EUlST_E_NS1_11comp_targetILNS1_3genE0ELNS1_11target_archE4294967295ELNS1_3gpuE0ELNS1_3repE0EEENS1_30default_config_static_selectorELNS0_4arch9wavefront6targetE0EEEvT1_,comdat
	.globl	_ZN7rocprim17ROCPRIM_400000_NS6detail17trampoline_kernelINS0_14default_configENS1_20scan_config_selectorIN3c104HalfEEEZZNS1_9scan_implILNS1_25lookback_scan_determinismE0ELb0ELb0ES3_PKS6_PS6_S6_ZZZN2at6native31launch_logcumsumexp_cuda_kernelERKNSD_10TensorBaseESH_lENKUlvE_clEvENKUlvE3_clEvEUlS6_S6_E_S6_EEDaPvRmT3_T4_T5_mT6_P12ihipStream_tbENKUlT_T0_E_clISt17integral_constantIbLb1EESX_IbLb0EEEEDaST_SU_EUlST_E_NS1_11comp_targetILNS1_3genE0ELNS1_11target_archE4294967295ELNS1_3gpuE0ELNS1_3repE0EEENS1_30default_config_static_selectorELNS0_4arch9wavefront6targetE0EEEvT1_ ; -- Begin function _ZN7rocprim17ROCPRIM_400000_NS6detail17trampoline_kernelINS0_14default_configENS1_20scan_config_selectorIN3c104HalfEEEZZNS1_9scan_implILNS1_25lookback_scan_determinismE0ELb0ELb0ES3_PKS6_PS6_S6_ZZZN2at6native31launch_logcumsumexp_cuda_kernelERKNSD_10TensorBaseESH_lENKUlvE_clEvENKUlvE3_clEvEUlS6_S6_E_S6_EEDaPvRmT3_T4_T5_mT6_P12ihipStream_tbENKUlT_T0_E_clISt17integral_constantIbLb1EESX_IbLb0EEEEDaST_SU_EUlST_E_NS1_11comp_targetILNS1_3genE0ELNS1_11target_archE4294967295ELNS1_3gpuE0ELNS1_3repE0EEENS1_30default_config_static_selectorELNS0_4arch9wavefront6targetE0EEEvT1_
	.p2align	8
	.type	_ZN7rocprim17ROCPRIM_400000_NS6detail17trampoline_kernelINS0_14default_configENS1_20scan_config_selectorIN3c104HalfEEEZZNS1_9scan_implILNS1_25lookback_scan_determinismE0ELb0ELb0ES3_PKS6_PS6_S6_ZZZN2at6native31launch_logcumsumexp_cuda_kernelERKNSD_10TensorBaseESH_lENKUlvE_clEvENKUlvE3_clEvEUlS6_S6_E_S6_EEDaPvRmT3_T4_T5_mT6_P12ihipStream_tbENKUlT_T0_E_clISt17integral_constantIbLb1EESX_IbLb0EEEEDaST_SU_EUlST_E_NS1_11comp_targetILNS1_3genE0ELNS1_11target_archE4294967295ELNS1_3gpuE0ELNS1_3repE0EEENS1_30default_config_static_selectorELNS0_4arch9wavefront6targetE0EEEvT1_,@function
_ZN7rocprim17ROCPRIM_400000_NS6detail17trampoline_kernelINS0_14default_configENS1_20scan_config_selectorIN3c104HalfEEEZZNS1_9scan_implILNS1_25lookback_scan_determinismE0ELb0ELb0ES3_PKS6_PS6_S6_ZZZN2at6native31launch_logcumsumexp_cuda_kernelERKNSD_10TensorBaseESH_lENKUlvE_clEvENKUlvE3_clEvEUlS6_S6_E_S6_EEDaPvRmT3_T4_T5_mT6_P12ihipStream_tbENKUlT_T0_E_clISt17integral_constantIbLb1EESX_IbLb0EEEEDaST_SU_EUlST_E_NS1_11comp_targetILNS1_3genE0ELNS1_11target_archE4294967295ELNS1_3gpuE0ELNS1_3repE0EEENS1_30default_config_static_selectorELNS0_4arch9wavefront6targetE0EEEvT1_: ; @_ZN7rocprim17ROCPRIM_400000_NS6detail17trampoline_kernelINS0_14default_configENS1_20scan_config_selectorIN3c104HalfEEEZZNS1_9scan_implILNS1_25lookback_scan_determinismE0ELb0ELb0ES3_PKS6_PS6_S6_ZZZN2at6native31launch_logcumsumexp_cuda_kernelERKNSD_10TensorBaseESH_lENKUlvE_clEvENKUlvE3_clEvEUlS6_S6_E_S6_EEDaPvRmT3_T4_T5_mT6_P12ihipStream_tbENKUlT_T0_E_clISt17integral_constantIbLb1EESX_IbLb0EEEEDaST_SU_EUlST_E_NS1_11comp_targetILNS1_3genE0ELNS1_11target_archE4294967295ELNS1_3gpuE0ELNS1_3repE0EEENS1_30default_config_static_selectorELNS0_4arch9wavefront6targetE0EEEvT1_
; %bb.0:
	.section	.rodata,"a",@progbits
	.p2align	6, 0x0
	.amdhsa_kernel _ZN7rocprim17ROCPRIM_400000_NS6detail17trampoline_kernelINS0_14default_configENS1_20scan_config_selectorIN3c104HalfEEEZZNS1_9scan_implILNS1_25lookback_scan_determinismE0ELb0ELb0ES3_PKS6_PS6_S6_ZZZN2at6native31launch_logcumsumexp_cuda_kernelERKNSD_10TensorBaseESH_lENKUlvE_clEvENKUlvE3_clEvEUlS6_S6_E_S6_EEDaPvRmT3_T4_T5_mT6_P12ihipStream_tbENKUlT_T0_E_clISt17integral_constantIbLb1EESX_IbLb0EEEEDaST_SU_EUlST_E_NS1_11comp_targetILNS1_3genE0ELNS1_11target_archE4294967295ELNS1_3gpuE0ELNS1_3repE0EEENS1_30default_config_static_selectorELNS0_4arch9wavefront6targetE0EEEvT1_
		.amdhsa_group_segment_fixed_size 0
		.amdhsa_private_segment_fixed_size 0
		.amdhsa_kernarg_size 96
		.amdhsa_user_sgpr_count 2
		.amdhsa_user_sgpr_dispatch_ptr 0
		.amdhsa_user_sgpr_queue_ptr 0
		.amdhsa_user_sgpr_kernarg_segment_ptr 1
		.amdhsa_user_sgpr_dispatch_id 0
		.amdhsa_user_sgpr_private_segment_size 0
		.amdhsa_wavefront_size32 1
		.amdhsa_uses_dynamic_stack 0
		.amdhsa_enable_private_segment 0
		.amdhsa_system_sgpr_workgroup_id_x 1
		.amdhsa_system_sgpr_workgroup_id_y 0
		.amdhsa_system_sgpr_workgroup_id_z 0
		.amdhsa_system_sgpr_workgroup_info 0
		.amdhsa_system_vgpr_workitem_id 0
		.amdhsa_next_free_vgpr 1
		.amdhsa_next_free_sgpr 1
		.amdhsa_reserve_vcc 0
		.amdhsa_float_round_mode_32 0
		.amdhsa_float_round_mode_16_64 0
		.amdhsa_float_denorm_mode_32 3
		.amdhsa_float_denorm_mode_16_64 3
		.amdhsa_fp16_overflow 0
		.amdhsa_workgroup_processor_mode 1
		.amdhsa_memory_ordered 1
		.amdhsa_forward_progress 1
		.amdhsa_inst_pref_size 0
		.amdhsa_round_robin_scheduling 0
		.amdhsa_exception_fp_ieee_invalid_op 0
		.amdhsa_exception_fp_denorm_src 0
		.amdhsa_exception_fp_ieee_div_zero 0
		.amdhsa_exception_fp_ieee_overflow 0
		.amdhsa_exception_fp_ieee_underflow 0
		.amdhsa_exception_fp_ieee_inexact 0
		.amdhsa_exception_int_div_zero 0
	.end_amdhsa_kernel
	.section	.text._ZN7rocprim17ROCPRIM_400000_NS6detail17trampoline_kernelINS0_14default_configENS1_20scan_config_selectorIN3c104HalfEEEZZNS1_9scan_implILNS1_25lookback_scan_determinismE0ELb0ELb0ES3_PKS6_PS6_S6_ZZZN2at6native31launch_logcumsumexp_cuda_kernelERKNSD_10TensorBaseESH_lENKUlvE_clEvENKUlvE3_clEvEUlS6_S6_E_S6_EEDaPvRmT3_T4_T5_mT6_P12ihipStream_tbENKUlT_T0_E_clISt17integral_constantIbLb1EESX_IbLb0EEEEDaST_SU_EUlST_E_NS1_11comp_targetILNS1_3genE0ELNS1_11target_archE4294967295ELNS1_3gpuE0ELNS1_3repE0EEENS1_30default_config_static_selectorELNS0_4arch9wavefront6targetE0EEEvT1_,"axG",@progbits,_ZN7rocprim17ROCPRIM_400000_NS6detail17trampoline_kernelINS0_14default_configENS1_20scan_config_selectorIN3c104HalfEEEZZNS1_9scan_implILNS1_25lookback_scan_determinismE0ELb0ELb0ES3_PKS6_PS6_S6_ZZZN2at6native31launch_logcumsumexp_cuda_kernelERKNSD_10TensorBaseESH_lENKUlvE_clEvENKUlvE3_clEvEUlS6_S6_E_S6_EEDaPvRmT3_T4_T5_mT6_P12ihipStream_tbENKUlT_T0_E_clISt17integral_constantIbLb1EESX_IbLb0EEEEDaST_SU_EUlST_E_NS1_11comp_targetILNS1_3genE0ELNS1_11target_archE4294967295ELNS1_3gpuE0ELNS1_3repE0EEENS1_30default_config_static_selectorELNS0_4arch9wavefront6targetE0EEEvT1_,comdat
.Lfunc_end397:
	.size	_ZN7rocprim17ROCPRIM_400000_NS6detail17trampoline_kernelINS0_14default_configENS1_20scan_config_selectorIN3c104HalfEEEZZNS1_9scan_implILNS1_25lookback_scan_determinismE0ELb0ELb0ES3_PKS6_PS6_S6_ZZZN2at6native31launch_logcumsumexp_cuda_kernelERKNSD_10TensorBaseESH_lENKUlvE_clEvENKUlvE3_clEvEUlS6_S6_E_S6_EEDaPvRmT3_T4_T5_mT6_P12ihipStream_tbENKUlT_T0_E_clISt17integral_constantIbLb1EESX_IbLb0EEEEDaST_SU_EUlST_E_NS1_11comp_targetILNS1_3genE0ELNS1_11target_archE4294967295ELNS1_3gpuE0ELNS1_3repE0EEENS1_30default_config_static_selectorELNS0_4arch9wavefront6targetE0EEEvT1_, .Lfunc_end397-_ZN7rocprim17ROCPRIM_400000_NS6detail17trampoline_kernelINS0_14default_configENS1_20scan_config_selectorIN3c104HalfEEEZZNS1_9scan_implILNS1_25lookback_scan_determinismE0ELb0ELb0ES3_PKS6_PS6_S6_ZZZN2at6native31launch_logcumsumexp_cuda_kernelERKNSD_10TensorBaseESH_lENKUlvE_clEvENKUlvE3_clEvEUlS6_S6_E_S6_EEDaPvRmT3_T4_T5_mT6_P12ihipStream_tbENKUlT_T0_E_clISt17integral_constantIbLb1EESX_IbLb0EEEEDaST_SU_EUlST_E_NS1_11comp_targetILNS1_3genE0ELNS1_11target_archE4294967295ELNS1_3gpuE0ELNS1_3repE0EEENS1_30default_config_static_selectorELNS0_4arch9wavefront6targetE0EEEvT1_
                                        ; -- End function
	.set _ZN7rocprim17ROCPRIM_400000_NS6detail17trampoline_kernelINS0_14default_configENS1_20scan_config_selectorIN3c104HalfEEEZZNS1_9scan_implILNS1_25lookback_scan_determinismE0ELb0ELb0ES3_PKS6_PS6_S6_ZZZN2at6native31launch_logcumsumexp_cuda_kernelERKNSD_10TensorBaseESH_lENKUlvE_clEvENKUlvE3_clEvEUlS6_S6_E_S6_EEDaPvRmT3_T4_T5_mT6_P12ihipStream_tbENKUlT_T0_E_clISt17integral_constantIbLb1EESX_IbLb0EEEEDaST_SU_EUlST_E_NS1_11comp_targetILNS1_3genE0ELNS1_11target_archE4294967295ELNS1_3gpuE0ELNS1_3repE0EEENS1_30default_config_static_selectorELNS0_4arch9wavefront6targetE0EEEvT1_.num_vgpr, 0
	.set _ZN7rocprim17ROCPRIM_400000_NS6detail17trampoline_kernelINS0_14default_configENS1_20scan_config_selectorIN3c104HalfEEEZZNS1_9scan_implILNS1_25lookback_scan_determinismE0ELb0ELb0ES3_PKS6_PS6_S6_ZZZN2at6native31launch_logcumsumexp_cuda_kernelERKNSD_10TensorBaseESH_lENKUlvE_clEvENKUlvE3_clEvEUlS6_S6_E_S6_EEDaPvRmT3_T4_T5_mT6_P12ihipStream_tbENKUlT_T0_E_clISt17integral_constantIbLb1EESX_IbLb0EEEEDaST_SU_EUlST_E_NS1_11comp_targetILNS1_3genE0ELNS1_11target_archE4294967295ELNS1_3gpuE0ELNS1_3repE0EEENS1_30default_config_static_selectorELNS0_4arch9wavefront6targetE0EEEvT1_.num_agpr, 0
	.set _ZN7rocprim17ROCPRIM_400000_NS6detail17trampoline_kernelINS0_14default_configENS1_20scan_config_selectorIN3c104HalfEEEZZNS1_9scan_implILNS1_25lookback_scan_determinismE0ELb0ELb0ES3_PKS6_PS6_S6_ZZZN2at6native31launch_logcumsumexp_cuda_kernelERKNSD_10TensorBaseESH_lENKUlvE_clEvENKUlvE3_clEvEUlS6_S6_E_S6_EEDaPvRmT3_T4_T5_mT6_P12ihipStream_tbENKUlT_T0_E_clISt17integral_constantIbLb1EESX_IbLb0EEEEDaST_SU_EUlST_E_NS1_11comp_targetILNS1_3genE0ELNS1_11target_archE4294967295ELNS1_3gpuE0ELNS1_3repE0EEENS1_30default_config_static_selectorELNS0_4arch9wavefront6targetE0EEEvT1_.numbered_sgpr, 0
	.set _ZN7rocprim17ROCPRIM_400000_NS6detail17trampoline_kernelINS0_14default_configENS1_20scan_config_selectorIN3c104HalfEEEZZNS1_9scan_implILNS1_25lookback_scan_determinismE0ELb0ELb0ES3_PKS6_PS6_S6_ZZZN2at6native31launch_logcumsumexp_cuda_kernelERKNSD_10TensorBaseESH_lENKUlvE_clEvENKUlvE3_clEvEUlS6_S6_E_S6_EEDaPvRmT3_T4_T5_mT6_P12ihipStream_tbENKUlT_T0_E_clISt17integral_constantIbLb1EESX_IbLb0EEEEDaST_SU_EUlST_E_NS1_11comp_targetILNS1_3genE0ELNS1_11target_archE4294967295ELNS1_3gpuE0ELNS1_3repE0EEENS1_30default_config_static_selectorELNS0_4arch9wavefront6targetE0EEEvT1_.num_named_barrier, 0
	.set _ZN7rocprim17ROCPRIM_400000_NS6detail17trampoline_kernelINS0_14default_configENS1_20scan_config_selectorIN3c104HalfEEEZZNS1_9scan_implILNS1_25lookback_scan_determinismE0ELb0ELb0ES3_PKS6_PS6_S6_ZZZN2at6native31launch_logcumsumexp_cuda_kernelERKNSD_10TensorBaseESH_lENKUlvE_clEvENKUlvE3_clEvEUlS6_S6_E_S6_EEDaPvRmT3_T4_T5_mT6_P12ihipStream_tbENKUlT_T0_E_clISt17integral_constantIbLb1EESX_IbLb0EEEEDaST_SU_EUlST_E_NS1_11comp_targetILNS1_3genE0ELNS1_11target_archE4294967295ELNS1_3gpuE0ELNS1_3repE0EEENS1_30default_config_static_selectorELNS0_4arch9wavefront6targetE0EEEvT1_.private_seg_size, 0
	.set _ZN7rocprim17ROCPRIM_400000_NS6detail17trampoline_kernelINS0_14default_configENS1_20scan_config_selectorIN3c104HalfEEEZZNS1_9scan_implILNS1_25lookback_scan_determinismE0ELb0ELb0ES3_PKS6_PS6_S6_ZZZN2at6native31launch_logcumsumexp_cuda_kernelERKNSD_10TensorBaseESH_lENKUlvE_clEvENKUlvE3_clEvEUlS6_S6_E_S6_EEDaPvRmT3_T4_T5_mT6_P12ihipStream_tbENKUlT_T0_E_clISt17integral_constantIbLb1EESX_IbLb0EEEEDaST_SU_EUlST_E_NS1_11comp_targetILNS1_3genE0ELNS1_11target_archE4294967295ELNS1_3gpuE0ELNS1_3repE0EEENS1_30default_config_static_selectorELNS0_4arch9wavefront6targetE0EEEvT1_.uses_vcc, 0
	.set _ZN7rocprim17ROCPRIM_400000_NS6detail17trampoline_kernelINS0_14default_configENS1_20scan_config_selectorIN3c104HalfEEEZZNS1_9scan_implILNS1_25lookback_scan_determinismE0ELb0ELb0ES3_PKS6_PS6_S6_ZZZN2at6native31launch_logcumsumexp_cuda_kernelERKNSD_10TensorBaseESH_lENKUlvE_clEvENKUlvE3_clEvEUlS6_S6_E_S6_EEDaPvRmT3_T4_T5_mT6_P12ihipStream_tbENKUlT_T0_E_clISt17integral_constantIbLb1EESX_IbLb0EEEEDaST_SU_EUlST_E_NS1_11comp_targetILNS1_3genE0ELNS1_11target_archE4294967295ELNS1_3gpuE0ELNS1_3repE0EEENS1_30default_config_static_selectorELNS0_4arch9wavefront6targetE0EEEvT1_.uses_flat_scratch, 0
	.set _ZN7rocprim17ROCPRIM_400000_NS6detail17trampoline_kernelINS0_14default_configENS1_20scan_config_selectorIN3c104HalfEEEZZNS1_9scan_implILNS1_25lookback_scan_determinismE0ELb0ELb0ES3_PKS6_PS6_S6_ZZZN2at6native31launch_logcumsumexp_cuda_kernelERKNSD_10TensorBaseESH_lENKUlvE_clEvENKUlvE3_clEvEUlS6_S6_E_S6_EEDaPvRmT3_T4_T5_mT6_P12ihipStream_tbENKUlT_T0_E_clISt17integral_constantIbLb1EESX_IbLb0EEEEDaST_SU_EUlST_E_NS1_11comp_targetILNS1_3genE0ELNS1_11target_archE4294967295ELNS1_3gpuE0ELNS1_3repE0EEENS1_30default_config_static_selectorELNS0_4arch9wavefront6targetE0EEEvT1_.has_dyn_sized_stack, 0
	.set _ZN7rocprim17ROCPRIM_400000_NS6detail17trampoline_kernelINS0_14default_configENS1_20scan_config_selectorIN3c104HalfEEEZZNS1_9scan_implILNS1_25lookback_scan_determinismE0ELb0ELb0ES3_PKS6_PS6_S6_ZZZN2at6native31launch_logcumsumexp_cuda_kernelERKNSD_10TensorBaseESH_lENKUlvE_clEvENKUlvE3_clEvEUlS6_S6_E_S6_EEDaPvRmT3_T4_T5_mT6_P12ihipStream_tbENKUlT_T0_E_clISt17integral_constantIbLb1EESX_IbLb0EEEEDaST_SU_EUlST_E_NS1_11comp_targetILNS1_3genE0ELNS1_11target_archE4294967295ELNS1_3gpuE0ELNS1_3repE0EEENS1_30default_config_static_selectorELNS0_4arch9wavefront6targetE0EEEvT1_.has_recursion, 0
	.set _ZN7rocprim17ROCPRIM_400000_NS6detail17trampoline_kernelINS0_14default_configENS1_20scan_config_selectorIN3c104HalfEEEZZNS1_9scan_implILNS1_25lookback_scan_determinismE0ELb0ELb0ES3_PKS6_PS6_S6_ZZZN2at6native31launch_logcumsumexp_cuda_kernelERKNSD_10TensorBaseESH_lENKUlvE_clEvENKUlvE3_clEvEUlS6_S6_E_S6_EEDaPvRmT3_T4_T5_mT6_P12ihipStream_tbENKUlT_T0_E_clISt17integral_constantIbLb1EESX_IbLb0EEEEDaST_SU_EUlST_E_NS1_11comp_targetILNS1_3genE0ELNS1_11target_archE4294967295ELNS1_3gpuE0ELNS1_3repE0EEENS1_30default_config_static_selectorELNS0_4arch9wavefront6targetE0EEEvT1_.has_indirect_call, 0
	.section	.AMDGPU.csdata,"",@progbits
; Kernel info:
; codeLenInByte = 0
; TotalNumSgprs: 0
; NumVgprs: 0
; ScratchSize: 0
; MemoryBound: 0
; FloatMode: 240
; IeeeMode: 1
; LDSByteSize: 0 bytes/workgroup (compile time only)
; SGPRBlocks: 0
; VGPRBlocks: 0
; NumSGPRsForWavesPerEU: 1
; NumVGPRsForWavesPerEU: 1
; Occupancy: 16
; WaveLimiterHint : 0
; COMPUTE_PGM_RSRC2:SCRATCH_EN: 0
; COMPUTE_PGM_RSRC2:USER_SGPR: 2
; COMPUTE_PGM_RSRC2:TRAP_HANDLER: 0
; COMPUTE_PGM_RSRC2:TGID_X_EN: 1
; COMPUTE_PGM_RSRC2:TGID_Y_EN: 0
; COMPUTE_PGM_RSRC2:TGID_Z_EN: 0
; COMPUTE_PGM_RSRC2:TIDIG_COMP_CNT: 0
	.section	.text._ZN7rocprim17ROCPRIM_400000_NS6detail17trampoline_kernelINS0_14default_configENS1_20scan_config_selectorIN3c104HalfEEEZZNS1_9scan_implILNS1_25lookback_scan_determinismE0ELb0ELb0ES3_PKS6_PS6_S6_ZZZN2at6native31launch_logcumsumexp_cuda_kernelERKNSD_10TensorBaseESH_lENKUlvE_clEvENKUlvE3_clEvEUlS6_S6_E_S6_EEDaPvRmT3_T4_T5_mT6_P12ihipStream_tbENKUlT_T0_E_clISt17integral_constantIbLb1EESX_IbLb0EEEEDaST_SU_EUlST_E_NS1_11comp_targetILNS1_3genE5ELNS1_11target_archE942ELNS1_3gpuE9ELNS1_3repE0EEENS1_30default_config_static_selectorELNS0_4arch9wavefront6targetE0EEEvT1_,"axG",@progbits,_ZN7rocprim17ROCPRIM_400000_NS6detail17trampoline_kernelINS0_14default_configENS1_20scan_config_selectorIN3c104HalfEEEZZNS1_9scan_implILNS1_25lookback_scan_determinismE0ELb0ELb0ES3_PKS6_PS6_S6_ZZZN2at6native31launch_logcumsumexp_cuda_kernelERKNSD_10TensorBaseESH_lENKUlvE_clEvENKUlvE3_clEvEUlS6_S6_E_S6_EEDaPvRmT3_T4_T5_mT6_P12ihipStream_tbENKUlT_T0_E_clISt17integral_constantIbLb1EESX_IbLb0EEEEDaST_SU_EUlST_E_NS1_11comp_targetILNS1_3genE5ELNS1_11target_archE942ELNS1_3gpuE9ELNS1_3repE0EEENS1_30default_config_static_selectorELNS0_4arch9wavefront6targetE0EEEvT1_,comdat
	.globl	_ZN7rocprim17ROCPRIM_400000_NS6detail17trampoline_kernelINS0_14default_configENS1_20scan_config_selectorIN3c104HalfEEEZZNS1_9scan_implILNS1_25lookback_scan_determinismE0ELb0ELb0ES3_PKS6_PS6_S6_ZZZN2at6native31launch_logcumsumexp_cuda_kernelERKNSD_10TensorBaseESH_lENKUlvE_clEvENKUlvE3_clEvEUlS6_S6_E_S6_EEDaPvRmT3_T4_T5_mT6_P12ihipStream_tbENKUlT_T0_E_clISt17integral_constantIbLb1EESX_IbLb0EEEEDaST_SU_EUlST_E_NS1_11comp_targetILNS1_3genE5ELNS1_11target_archE942ELNS1_3gpuE9ELNS1_3repE0EEENS1_30default_config_static_selectorELNS0_4arch9wavefront6targetE0EEEvT1_ ; -- Begin function _ZN7rocprim17ROCPRIM_400000_NS6detail17trampoline_kernelINS0_14default_configENS1_20scan_config_selectorIN3c104HalfEEEZZNS1_9scan_implILNS1_25lookback_scan_determinismE0ELb0ELb0ES3_PKS6_PS6_S6_ZZZN2at6native31launch_logcumsumexp_cuda_kernelERKNSD_10TensorBaseESH_lENKUlvE_clEvENKUlvE3_clEvEUlS6_S6_E_S6_EEDaPvRmT3_T4_T5_mT6_P12ihipStream_tbENKUlT_T0_E_clISt17integral_constantIbLb1EESX_IbLb0EEEEDaST_SU_EUlST_E_NS1_11comp_targetILNS1_3genE5ELNS1_11target_archE942ELNS1_3gpuE9ELNS1_3repE0EEENS1_30default_config_static_selectorELNS0_4arch9wavefront6targetE0EEEvT1_
	.p2align	8
	.type	_ZN7rocprim17ROCPRIM_400000_NS6detail17trampoline_kernelINS0_14default_configENS1_20scan_config_selectorIN3c104HalfEEEZZNS1_9scan_implILNS1_25lookback_scan_determinismE0ELb0ELb0ES3_PKS6_PS6_S6_ZZZN2at6native31launch_logcumsumexp_cuda_kernelERKNSD_10TensorBaseESH_lENKUlvE_clEvENKUlvE3_clEvEUlS6_S6_E_S6_EEDaPvRmT3_T4_T5_mT6_P12ihipStream_tbENKUlT_T0_E_clISt17integral_constantIbLb1EESX_IbLb0EEEEDaST_SU_EUlST_E_NS1_11comp_targetILNS1_3genE5ELNS1_11target_archE942ELNS1_3gpuE9ELNS1_3repE0EEENS1_30default_config_static_selectorELNS0_4arch9wavefront6targetE0EEEvT1_,@function
_ZN7rocprim17ROCPRIM_400000_NS6detail17trampoline_kernelINS0_14default_configENS1_20scan_config_selectorIN3c104HalfEEEZZNS1_9scan_implILNS1_25lookback_scan_determinismE0ELb0ELb0ES3_PKS6_PS6_S6_ZZZN2at6native31launch_logcumsumexp_cuda_kernelERKNSD_10TensorBaseESH_lENKUlvE_clEvENKUlvE3_clEvEUlS6_S6_E_S6_EEDaPvRmT3_T4_T5_mT6_P12ihipStream_tbENKUlT_T0_E_clISt17integral_constantIbLb1EESX_IbLb0EEEEDaST_SU_EUlST_E_NS1_11comp_targetILNS1_3genE5ELNS1_11target_archE942ELNS1_3gpuE9ELNS1_3repE0EEENS1_30default_config_static_selectorELNS0_4arch9wavefront6targetE0EEEvT1_: ; @_ZN7rocprim17ROCPRIM_400000_NS6detail17trampoline_kernelINS0_14default_configENS1_20scan_config_selectorIN3c104HalfEEEZZNS1_9scan_implILNS1_25lookback_scan_determinismE0ELb0ELb0ES3_PKS6_PS6_S6_ZZZN2at6native31launch_logcumsumexp_cuda_kernelERKNSD_10TensorBaseESH_lENKUlvE_clEvENKUlvE3_clEvEUlS6_S6_E_S6_EEDaPvRmT3_T4_T5_mT6_P12ihipStream_tbENKUlT_T0_E_clISt17integral_constantIbLb1EESX_IbLb0EEEEDaST_SU_EUlST_E_NS1_11comp_targetILNS1_3genE5ELNS1_11target_archE942ELNS1_3gpuE9ELNS1_3repE0EEENS1_30default_config_static_selectorELNS0_4arch9wavefront6targetE0EEEvT1_
; %bb.0:
	.section	.rodata,"a",@progbits
	.p2align	6, 0x0
	.amdhsa_kernel _ZN7rocprim17ROCPRIM_400000_NS6detail17trampoline_kernelINS0_14default_configENS1_20scan_config_selectorIN3c104HalfEEEZZNS1_9scan_implILNS1_25lookback_scan_determinismE0ELb0ELb0ES3_PKS6_PS6_S6_ZZZN2at6native31launch_logcumsumexp_cuda_kernelERKNSD_10TensorBaseESH_lENKUlvE_clEvENKUlvE3_clEvEUlS6_S6_E_S6_EEDaPvRmT3_T4_T5_mT6_P12ihipStream_tbENKUlT_T0_E_clISt17integral_constantIbLb1EESX_IbLb0EEEEDaST_SU_EUlST_E_NS1_11comp_targetILNS1_3genE5ELNS1_11target_archE942ELNS1_3gpuE9ELNS1_3repE0EEENS1_30default_config_static_selectorELNS0_4arch9wavefront6targetE0EEEvT1_
		.amdhsa_group_segment_fixed_size 0
		.amdhsa_private_segment_fixed_size 0
		.amdhsa_kernarg_size 96
		.amdhsa_user_sgpr_count 2
		.amdhsa_user_sgpr_dispatch_ptr 0
		.amdhsa_user_sgpr_queue_ptr 0
		.amdhsa_user_sgpr_kernarg_segment_ptr 1
		.amdhsa_user_sgpr_dispatch_id 0
		.amdhsa_user_sgpr_private_segment_size 0
		.amdhsa_wavefront_size32 1
		.amdhsa_uses_dynamic_stack 0
		.amdhsa_enable_private_segment 0
		.amdhsa_system_sgpr_workgroup_id_x 1
		.amdhsa_system_sgpr_workgroup_id_y 0
		.amdhsa_system_sgpr_workgroup_id_z 0
		.amdhsa_system_sgpr_workgroup_info 0
		.amdhsa_system_vgpr_workitem_id 0
		.amdhsa_next_free_vgpr 1
		.amdhsa_next_free_sgpr 1
		.amdhsa_reserve_vcc 0
		.amdhsa_float_round_mode_32 0
		.amdhsa_float_round_mode_16_64 0
		.amdhsa_float_denorm_mode_32 3
		.amdhsa_float_denorm_mode_16_64 3
		.amdhsa_fp16_overflow 0
		.amdhsa_workgroup_processor_mode 1
		.amdhsa_memory_ordered 1
		.amdhsa_forward_progress 1
		.amdhsa_inst_pref_size 0
		.amdhsa_round_robin_scheduling 0
		.amdhsa_exception_fp_ieee_invalid_op 0
		.amdhsa_exception_fp_denorm_src 0
		.amdhsa_exception_fp_ieee_div_zero 0
		.amdhsa_exception_fp_ieee_overflow 0
		.amdhsa_exception_fp_ieee_underflow 0
		.amdhsa_exception_fp_ieee_inexact 0
		.amdhsa_exception_int_div_zero 0
	.end_amdhsa_kernel
	.section	.text._ZN7rocprim17ROCPRIM_400000_NS6detail17trampoline_kernelINS0_14default_configENS1_20scan_config_selectorIN3c104HalfEEEZZNS1_9scan_implILNS1_25lookback_scan_determinismE0ELb0ELb0ES3_PKS6_PS6_S6_ZZZN2at6native31launch_logcumsumexp_cuda_kernelERKNSD_10TensorBaseESH_lENKUlvE_clEvENKUlvE3_clEvEUlS6_S6_E_S6_EEDaPvRmT3_T4_T5_mT6_P12ihipStream_tbENKUlT_T0_E_clISt17integral_constantIbLb1EESX_IbLb0EEEEDaST_SU_EUlST_E_NS1_11comp_targetILNS1_3genE5ELNS1_11target_archE942ELNS1_3gpuE9ELNS1_3repE0EEENS1_30default_config_static_selectorELNS0_4arch9wavefront6targetE0EEEvT1_,"axG",@progbits,_ZN7rocprim17ROCPRIM_400000_NS6detail17trampoline_kernelINS0_14default_configENS1_20scan_config_selectorIN3c104HalfEEEZZNS1_9scan_implILNS1_25lookback_scan_determinismE0ELb0ELb0ES3_PKS6_PS6_S6_ZZZN2at6native31launch_logcumsumexp_cuda_kernelERKNSD_10TensorBaseESH_lENKUlvE_clEvENKUlvE3_clEvEUlS6_S6_E_S6_EEDaPvRmT3_T4_T5_mT6_P12ihipStream_tbENKUlT_T0_E_clISt17integral_constantIbLb1EESX_IbLb0EEEEDaST_SU_EUlST_E_NS1_11comp_targetILNS1_3genE5ELNS1_11target_archE942ELNS1_3gpuE9ELNS1_3repE0EEENS1_30default_config_static_selectorELNS0_4arch9wavefront6targetE0EEEvT1_,comdat
.Lfunc_end398:
	.size	_ZN7rocprim17ROCPRIM_400000_NS6detail17trampoline_kernelINS0_14default_configENS1_20scan_config_selectorIN3c104HalfEEEZZNS1_9scan_implILNS1_25lookback_scan_determinismE0ELb0ELb0ES3_PKS6_PS6_S6_ZZZN2at6native31launch_logcumsumexp_cuda_kernelERKNSD_10TensorBaseESH_lENKUlvE_clEvENKUlvE3_clEvEUlS6_S6_E_S6_EEDaPvRmT3_T4_T5_mT6_P12ihipStream_tbENKUlT_T0_E_clISt17integral_constantIbLb1EESX_IbLb0EEEEDaST_SU_EUlST_E_NS1_11comp_targetILNS1_3genE5ELNS1_11target_archE942ELNS1_3gpuE9ELNS1_3repE0EEENS1_30default_config_static_selectorELNS0_4arch9wavefront6targetE0EEEvT1_, .Lfunc_end398-_ZN7rocprim17ROCPRIM_400000_NS6detail17trampoline_kernelINS0_14default_configENS1_20scan_config_selectorIN3c104HalfEEEZZNS1_9scan_implILNS1_25lookback_scan_determinismE0ELb0ELb0ES3_PKS6_PS6_S6_ZZZN2at6native31launch_logcumsumexp_cuda_kernelERKNSD_10TensorBaseESH_lENKUlvE_clEvENKUlvE3_clEvEUlS6_S6_E_S6_EEDaPvRmT3_T4_T5_mT6_P12ihipStream_tbENKUlT_T0_E_clISt17integral_constantIbLb1EESX_IbLb0EEEEDaST_SU_EUlST_E_NS1_11comp_targetILNS1_3genE5ELNS1_11target_archE942ELNS1_3gpuE9ELNS1_3repE0EEENS1_30default_config_static_selectorELNS0_4arch9wavefront6targetE0EEEvT1_
                                        ; -- End function
	.set _ZN7rocprim17ROCPRIM_400000_NS6detail17trampoline_kernelINS0_14default_configENS1_20scan_config_selectorIN3c104HalfEEEZZNS1_9scan_implILNS1_25lookback_scan_determinismE0ELb0ELb0ES3_PKS6_PS6_S6_ZZZN2at6native31launch_logcumsumexp_cuda_kernelERKNSD_10TensorBaseESH_lENKUlvE_clEvENKUlvE3_clEvEUlS6_S6_E_S6_EEDaPvRmT3_T4_T5_mT6_P12ihipStream_tbENKUlT_T0_E_clISt17integral_constantIbLb1EESX_IbLb0EEEEDaST_SU_EUlST_E_NS1_11comp_targetILNS1_3genE5ELNS1_11target_archE942ELNS1_3gpuE9ELNS1_3repE0EEENS1_30default_config_static_selectorELNS0_4arch9wavefront6targetE0EEEvT1_.num_vgpr, 0
	.set _ZN7rocprim17ROCPRIM_400000_NS6detail17trampoline_kernelINS0_14default_configENS1_20scan_config_selectorIN3c104HalfEEEZZNS1_9scan_implILNS1_25lookback_scan_determinismE0ELb0ELb0ES3_PKS6_PS6_S6_ZZZN2at6native31launch_logcumsumexp_cuda_kernelERKNSD_10TensorBaseESH_lENKUlvE_clEvENKUlvE3_clEvEUlS6_S6_E_S6_EEDaPvRmT3_T4_T5_mT6_P12ihipStream_tbENKUlT_T0_E_clISt17integral_constantIbLb1EESX_IbLb0EEEEDaST_SU_EUlST_E_NS1_11comp_targetILNS1_3genE5ELNS1_11target_archE942ELNS1_3gpuE9ELNS1_3repE0EEENS1_30default_config_static_selectorELNS0_4arch9wavefront6targetE0EEEvT1_.num_agpr, 0
	.set _ZN7rocprim17ROCPRIM_400000_NS6detail17trampoline_kernelINS0_14default_configENS1_20scan_config_selectorIN3c104HalfEEEZZNS1_9scan_implILNS1_25lookback_scan_determinismE0ELb0ELb0ES3_PKS6_PS6_S6_ZZZN2at6native31launch_logcumsumexp_cuda_kernelERKNSD_10TensorBaseESH_lENKUlvE_clEvENKUlvE3_clEvEUlS6_S6_E_S6_EEDaPvRmT3_T4_T5_mT6_P12ihipStream_tbENKUlT_T0_E_clISt17integral_constantIbLb1EESX_IbLb0EEEEDaST_SU_EUlST_E_NS1_11comp_targetILNS1_3genE5ELNS1_11target_archE942ELNS1_3gpuE9ELNS1_3repE0EEENS1_30default_config_static_selectorELNS0_4arch9wavefront6targetE0EEEvT1_.numbered_sgpr, 0
	.set _ZN7rocprim17ROCPRIM_400000_NS6detail17trampoline_kernelINS0_14default_configENS1_20scan_config_selectorIN3c104HalfEEEZZNS1_9scan_implILNS1_25lookback_scan_determinismE0ELb0ELb0ES3_PKS6_PS6_S6_ZZZN2at6native31launch_logcumsumexp_cuda_kernelERKNSD_10TensorBaseESH_lENKUlvE_clEvENKUlvE3_clEvEUlS6_S6_E_S6_EEDaPvRmT3_T4_T5_mT6_P12ihipStream_tbENKUlT_T0_E_clISt17integral_constantIbLb1EESX_IbLb0EEEEDaST_SU_EUlST_E_NS1_11comp_targetILNS1_3genE5ELNS1_11target_archE942ELNS1_3gpuE9ELNS1_3repE0EEENS1_30default_config_static_selectorELNS0_4arch9wavefront6targetE0EEEvT1_.num_named_barrier, 0
	.set _ZN7rocprim17ROCPRIM_400000_NS6detail17trampoline_kernelINS0_14default_configENS1_20scan_config_selectorIN3c104HalfEEEZZNS1_9scan_implILNS1_25lookback_scan_determinismE0ELb0ELb0ES3_PKS6_PS6_S6_ZZZN2at6native31launch_logcumsumexp_cuda_kernelERKNSD_10TensorBaseESH_lENKUlvE_clEvENKUlvE3_clEvEUlS6_S6_E_S6_EEDaPvRmT3_T4_T5_mT6_P12ihipStream_tbENKUlT_T0_E_clISt17integral_constantIbLb1EESX_IbLb0EEEEDaST_SU_EUlST_E_NS1_11comp_targetILNS1_3genE5ELNS1_11target_archE942ELNS1_3gpuE9ELNS1_3repE0EEENS1_30default_config_static_selectorELNS0_4arch9wavefront6targetE0EEEvT1_.private_seg_size, 0
	.set _ZN7rocprim17ROCPRIM_400000_NS6detail17trampoline_kernelINS0_14default_configENS1_20scan_config_selectorIN3c104HalfEEEZZNS1_9scan_implILNS1_25lookback_scan_determinismE0ELb0ELb0ES3_PKS6_PS6_S6_ZZZN2at6native31launch_logcumsumexp_cuda_kernelERKNSD_10TensorBaseESH_lENKUlvE_clEvENKUlvE3_clEvEUlS6_S6_E_S6_EEDaPvRmT3_T4_T5_mT6_P12ihipStream_tbENKUlT_T0_E_clISt17integral_constantIbLb1EESX_IbLb0EEEEDaST_SU_EUlST_E_NS1_11comp_targetILNS1_3genE5ELNS1_11target_archE942ELNS1_3gpuE9ELNS1_3repE0EEENS1_30default_config_static_selectorELNS0_4arch9wavefront6targetE0EEEvT1_.uses_vcc, 0
	.set _ZN7rocprim17ROCPRIM_400000_NS6detail17trampoline_kernelINS0_14default_configENS1_20scan_config_selectorIN3c104HalfEEEZZNS1_9scan_implILNS1_25lookback_scan_determinismE0ELb0ELb0ES3_PKS6_PS6_S6_ZZZN2at6native31launch_logcumsumexp_cuda_kernelERKNSD_10TensorBaseESH_lENKUlvE_clEvENKUlvE3_clEvEUlS6_S6_E_S6_EEDaPvRmT3_T4_T5_mT6_P12ihipStream_tbENKUlT_T0_E_clISt17integral_constantIbLb1EESX_IbLb0EEEEDaST_SU_EUlST_E_NS1_11comp_targetILNS1_3genE5ELNS1_11target_archE942ELNS1_3gpuE9ELNS1_3repE0EEENS1_30default_config_static_selectorELNS0_4arch9wavefront6targetE0EEEvT1_.uses_flat_scratch, 0
	.set _ZN7rocprim17ROCPRIM_400000_NS6detail17trampoline_kernelINS0_14default_configENS1_20scan_config_selectorIN3c104HalfEEEZZNS1_9scan_implILNS1_25lookback_scan_determinismE0ELb0ELb0ES3_PKS6_PS6_S6_ZZZN2at6native31launch_logcumsumexp_cuda_kernelERKNSD_10TensorBaseESH_lENKUlvE_clEvENKUlvE3_clEvEUlS6_S6_E_S6_EEDaPvRmT3_T4_T5_mT6_P12ihipStream_tbENKUlT_T0_E_clISt17integral_constantIbLb1EESX_IbLb0EEEEDaST_SU_EUlST_E_NS1_11comp_targetILNS1_3genE5ELNS1_11target_archE942ELNS1_3gpuE9ELNS1_3repE0EEENS1_30default_config_static_selectorELNS0_4arch9wavefront6targetE0EEEvT1_.has_dyn_sized_stack, 0
	.set _ZN7rocprim17ROCPRIM_400000_NS6detail17trampoline_kernelINS0_14default_configENS1_20scan_config_selectorIN3c104HalfEEEZZNS1_9scan_implILNS1_25lookback_scan_determinismE0ELb0ELb0ES3_PKS6_PS6_S6_ZZZN2at6native31launch_logcumsumexp_cuda_kernelERKNSD_10TensorBaseESH_lENKUlvE_clEvENKUlvE3_clEvEUlS6_S6_E_S6_EEDaPvRmT3_T4_T5_mT6_P12ihipStream_tbENKUlT_T0_E_clISt17integral_constantIbLb1EESX_IbLb0EEEEDaST_SU_EUlST_E_NS1_11comp_targetILNS1_3genE5ELNS1_11target_archE942ELNS1_3gpuE9ELNS1_3repE0EEENS1_30default_config_static_selectorELNS0_4arch9wavefront6targetE0EEEvT1_.has_recursion, 0
	.set _ZN7rocprim17ROCPRIM_400000_NS6detail17trampoline_kernelINS0_14default_configENS1_20scan_config_selectorIN3c104HalfEEEZZNS1_9scan_implILNS1_25lookback_scan_determinismE0ELb0ELb0ES3_PKS6_PS6_S6_ZZZN2at6native31launch_logcumsumexp_cuda_kernelERKNSD_10TensorBaseESH_lENKUlvE_clEvENKUlvE3_clEvEUlS6_S6_E_S6_EEDaPvRmT3_T4_T5_mT6_P12ihipStream_tbENKUlT_T0_E_clISt17integral_constantIbLb1EESX_IbLb0EEEEDaST_SU_EUlST_E_NS1_11comp_targetILNS1_3genE5ELNS1_11target_archE942ELNS1_3gpuE9ELNS1_3repE0EEENS1_30default_config_static_selectorELNS0_4arch9wavefront6targetE0EEEvT1_.has_indirect_call, 0
	.section	.AMDGPU.csdata,"",@progbits
; Kernel info:
; codeLenInByte = 0
; TotalNumSgprs: 0
; NumVgprs: 0
; ScratchSize: 0
; MemoryBound: 0
; FloatMode: 240
; IeeeMode: 1
; LDSByteSize: 0 bytes/workgroup (compile time only)
; SGPRBlocks: 0
; VGPRBlocks: 0
; NumSGPRsForWavesPerEU: 1
; NumVGPRsForWavesPerEU: 1
; Occupancy: 16
; WaveLimiterHint : 0
; COMPUTE_PGM_RSRC2:SCRATCH_EN: 0
; COMPUTE_PGM_RSRC2:USER_SGPR: 2
; COMPUTE_PGM_RSRC2:TRAP_HANDLER: 0
; COMPUTE_PGM_RSRC2:TGID_X_EN: 1
; COMPUTE_PGM_RSRC2:TGID_Y_EN: 0
; COMPUTE_PGM_RSRC2:TGID_Z_EN: 0
; COMPUTE_PGM_RSRC2:TIDIG_COMP_CNT: 0
	.section	.text._ZN7rocprim17ROCPRIM_400000_NS6detail17trampoline_kernelINS0_14default_configENS1_20scan_config_selectorIN3c104HalfEEEZZNS1_9scan_implILNS1_25lookback_scan_determinismE0ELb0ELb0ES3_PKS6_PS6_S6_ZZZN2at6native31launch_logcumsumexp_cuda_kernelERKNSD_10TensorBaseESH_lENKUlvE_clEvENKUlvE3_clEvEUlS6_S6_E_S6_EEDaPvRmT3_T4_T5_mT6_P12ihipStream_tbENKUlT_T0_E_clISt17integral_constantIbLb1EESX_IbLb0EEEEDaST_SU_EUlST_E_NS1_11comp_targetILNS1_3genE4ELNS1_11target_archE910ELNS1_3gpuE8ELNS1_3repE0EEENS1_30default_config_static_selectorELNS0_4arch9wavefront6targetE0EEEvT1_,"axG",@progbits,_ZN7rocprim17ROCPRIM_400000_NS6detail17trampoline_kernelINS0_14default_configENS1_20scan_config_selectorIN3c104HalfEEEZZNS1_9scan_implILNS1_25lookback_scan_determinismE0ELb0ELb0ES3_PKS6_PS6_S6_ZZZN2at6native31launch_logcumsumexp_cuda_kernelERKNSD_10TensorBaseESH_lENKUlvE_clEvENKUlvE3_clEvEUlS6_S6_E_S6_EEDaPvRmT3_T4_T5_mT6_P12ihipStream_tbENKUlT_T0_E_clISt17integral_constantIbLb1EESX_IbLb0EEEEDaST_SU_EUlST_E_NS1_11comp_targetILNS1_3genE4ELNS1_11target_archE910ELNS1_3gpuE8ELNS1_3repE0EEENS1_30default_config_static_selectorELNS0_4arch9wavefront6targetE0EEEvT1_,comdat
	.globl	_ZN7rocprim17ROCPRIM_400000_NS6detail17trampoline_kernelINS0_14default_configENS1_20scan_config_selectorIN3c104HalfEEEZZNS1_9scan_implILNS1_25lookback_scan_determinismE0ELb0ELb0ES3_PKS6_PS6_S6_ZZZN2at6native31launch_logcumsumexp_cuda_kernelERKNSD_10TensorBaseESH_lENKUlvE_clEvENKUlvE3_clEvEUlS6_S6_E_S6_EEDaPvRmT3_T4_T5_mT6_P12ihipStream_tbENKUlT_T0_E_clISt17integral_constantIbLb1EESX_IbLb0EEEEDaST_SU_EUlST_E_NS1_11comp_targetILNS1_3genE4ELNS1_11target_archE910ELNS1_3gpuE8ELNS1_3repE0EEENS1_30default_config_static_selectorELNS0_4arch9wavefront6targetE0EEEvT1_ ; -- Begin function _ZN7rocprim17ROCPRIM_400000_NS6detail17trampoline_kernelINS0_14default_configENS1_20scan_config_selectorIN3c104HalfEEEZZNS1_9scan_implILNS1_25lookback_scan_determinismE0ELb0ELb0ES3_PKS6_PS6_S6_ZZZN2at6native31launch_logcumsumexp_cuda_kernelERKNSD_10TensorBaseESH_lENKUlvE_clEvENKUlvE3_clEvEUlS6_S6_E_S6_EEDaPvRmT3_T4_T5_mT6_P12ihipStream_tbENKUlT_T0_E_clISt17integral_constantIbLb1EESX_IbLb0EEEEDaST_SU_EUlST_E_NS1_11comp_targetILNS1_3genE4ELNS1_11target_archE910ELNS1_3gpuE8ELNS1_3repE0EEENS1_30default_config_static_selectorELNS0_4arch9wavefront6targetE0EEEvT1_
	.p2align	8
	.type	_ZN7rocprim17ROCPRIM_400000_NS6detail17trampoline_kernelINS0_14default_configENS1_20scan_config_selectorIN3c104HalfEEEZZNS1_9scan_implILNS1_25lookback_scan_determinismE0ELb0ELb0ES3_PKS6_PS6_S6_ZZZN2at6native31launch_logcumsumexp_cuda_kernelERKNSD_10TensorBaseESH_lENKUlvE_clEvENKUlvE3_clEvEUlS6_S6_E_S6_EEDaPvRmT3_T4_T5_mT6_P12ihipStream_tbENKUlT_T0_E_clISt17integral_constantIbLb1EESX_IbLb0EEEEDaST_SU_EUlST_E_NS1_11comp_targetILNS1_3genE4ELNS1_11target_archE910ELNS1_3gpuE8ELNS1_3repE0EEENS1_30default_config_static_selectorELNS0_4arch9wavefront6targetE0EEEvT1_,@function
_ZN7rocprim17ROCPRIM_400000_NS6detail17trampoline_kernelINS0_14default_configENS1_20scan_config_selectorIN3c104HalfEEEZZNS1_9scan_implILNS1_25lookback_scan_determinismE0ELb0ELb0ES3_PKS6_PS6_S6_ZZZN2at6native31launch_logcumsumexp_cuda_kernelERKNSD_10TensorBaseESH_lENKUlvE_clEvENKUlvE3_clEvEUlS6_S6_E_S6_EEDaPvRmT3_T4_T5_mT6_P12ihipStream_tbENKUlT_T0_E_clISt17integral_constantIbLb1EESX_IbLb0EEEEDaST_SU_EUlST_E_NS1_11comp_targetILNS1_3genE4ELNS1_11target_archE910ELNS1_3gpuE8ELNS1_3repE0EEENS1_30default_config_static_selectorELNS0_4arch9wavefront6targetE0EEEvT1_: ; @_ZN7rocprim17ROCPRIM_400000_NS6detail17trampoline_kernelINS0_14default_configENS1_20scan_config_selectorIN3c104HalfEEEZZNS1_9scan_implILNS1_25lookback_scan_determinismE0ELb0ELb0ES3_PKS6_PS6_S6_ZZZN2at6native31launch_logcumsumexp_cuda_kernelERKNSD_10TensorBaseESH_lENKUlvE_clEvENKUlvE3_clEvEUlS6_S6_E_S6_EEDaPvRmT3_T4_T5_mT6_P12ihipStream_tbENKUlT_T0_E_clISt17integral_constantIbLb1EESX_IbLb0EEEEDaST_SU_EUlST_E_NS1_11comp_targetILNS1_3genE4ELNS1_11target_archE910ELNS1_3gpuE8ELNS1_3repE0EEENS1_30default_config_static_selectorELNS0_4arch9wavefront6targetE0EEEvT1_
; %bb.0:
	.section	.rodata,"a",@progbits
	.p2align	6, 0x0
	.amdhsa_kernel _ZN7rocprim17ROCPRIM_400000_NS6detail17trampoline_kernelINS0_14default_configENS1_20scan_config_selectorIN3c104HalfEEEZZNS1_9scan_implILNS1_25lookback_scan_determinismE0ELb0ELb0ES3_PKS6_PS6_S6_ZZZN2at6native31launch_logcumsumexp_cuda_kernelERKNSD_10TensorBaseESH_lENKUlvE_clEvENKUlvE3_clEvEUlS6_S6_E_S6_EEDaPvRmT3_T4_T5_mT6_P12ihipStream_tbENKUlT_T0_E_clISt17integral_constantIbLb1EESX_IbLb0EEEEDaST_SU_EUlST_E_NS1_11comp_targetILNS1_3genE4ELNS1_11target_archE910ELNS1_3gpuE8ELNS1_3repE0EEENS1_30default_config_static_selectorELNS0_4arch9wavefront6targetE0EEEvT1_
		.amdhsa_group_segment_fixed_size 0
		.amdhsa_private_segment_fixed_size 0
		.amdhsa_kernarg_size 96
		.amdhsa_user_sgpr_count 2
		.amdhsa_user_sgpr_dispatch_ptr 0
		.amdhsa_user_sgpr_queue_ptr 0
		.amdhsa_user_sgpr_kernarg_segment_ptr 1
		.amdhsa_user_sgpr_dispatch_id 0
		.amdhsa_user_sgpr_private_segment_size 0
		.amdhsa_wavefront_size32 1
		.amdhsa_uses_dynamic_stack 0
		.amdhsa_enable_private_segment 0
		.amdhsa_system_sgpr_workgroup_id_x 1
		.amdhsa_system_sgpr_workgroup_id_y 0
		.amdhsa_system_sgpr_workgroup_id_z 0
		.amdhsa_system_sgpr_workgroup_info 0
		.amdhsa_system_vgpr_workitem_id 0
		.amdhsa_next_free_vgpr 1
		.amdhsa_next_free_sgpr 1
		.amdhsa_reserve_vcc 0
		.amdhsa_float_round_mode_32 0
		.amdhsa_float_round_mode_16_64 0
		.amdhsa_float_denorm_mode_32 3
		.amdhsa_float_denorm_mode_16_64 3
		.amdhsa_fp16_overflow 0
		.amdhsa_workgroup_processor_mode 1
		.amdhsa_memory_ordered 1
		.amdhsa_forward_progress 1
		.amdhsa_inst_pref_size 0
		.amdhsa_round_robin_scheduling 0
		.amdhsa_exception_fp_ieee_invalid_op 0
		.amdhsa_exception_fp_denorm_src 0
		.amdhsa_exception_fp_ieee_div_zero 0
		.amdhsa_exception_fp_ieee_overflow 0
		.amdhsa_exception_fp_ieee_underflow 0
		.amdhsa_exception_fp_ieee_inexact 0
		.amdhsa_exception_int_div_zero 0
	.end_amdhsa_kernel
	.section	.text._ZN7rocprim17ROCPRIM_400000_NS6detail17trampoline_kernelINS0_14default_configENS1_20scan_config_selectorIN3c104HalfEEEZZNS1_9scan_implILNS1_25lookback_scan_determinismE0ELb0ELb0ES3_PKS6_PS6_S6_ZZZN2at6native31launch_logcumsumexp_cuda_kernelERKNSD_10TensorBaseESH_lENKUlvE_clEvENKUlvE3_clEvEUlS6_S6_E_S6_EEDaPvRmT3_T4_T5_mT6_P12ihipStream_tbENKUlT_T0_E_clISt17integral_constantIbLb1EESX_IbLb0EEEEDaST_SU_EUlST_E_NS1_11comp_targetILNS1_3genE4ELNS1_11target_archE910ELNS1_3gpuE8ELNS1_3repE0EEENS1_30default_config_static_selectorELNS0_4arch9wavefront6targetE0EEEvT1_,"axG",@progbits,_ZN7rocprim17ROCPRIM_400000_NS6detail17trampoline_kernelINS0_14default_configENS1_20scan_config_selectorIN3c104HalfEEEZZNS1_9scan_implILNS1_25lookback_scan_determinismE0ELb0ELb0ES3_PKS6_PS6_S6_ZZZN2at6native31launch_logcumsumexp_cuda_kernelERKNSD_10TensorBaseESH_lENKUlvE_clEvENKUlvE3_clEvEUlS6_S6_E_S6_EEDaPvRmT3_T4_T5_mT6_P12ihipStream_tbENKUlT_T0_E_clISt17integral_constantIbLb1EESX_IbLb0EEEEDaST_SU_EUlST_E_NS1_11comp_targetILNS1_3genE4ELNS1_11target_archE910ELNS1_3gpuE8ELNS1_3repE0EEENS1_30default_config_static_selectorELNS0_4arch9wavefront6targetE0EEEvT1_,comdat
.Lfunc_end399:
	.size	_ZN7rocprim17ROCPRIM_400000_NS6detail17trampoline_kernelINS0_14default_configENS1_20scan_config_selectorIN3c104HalfEEEZZNS1_9scan_implILNS1_25lookback_scan_determinismE0ELb0ELb0ES3_PKS6_PS6_S6_ZZZN2at6native31launch_logcumsumexp_cuda_kernelERKNSD_10TensorBaseESH_lENKUlvE_clEvENKUlvE3_clEvEUlS6_S6_E_S6_EEDaPvRmT3_T4_T5_mT6_P12ihipStream_tbENKUlT_T0_E_clISt17integral_constantIbLb1EESX_IbLb0EEEEDaST_SU_EUlST_E_NS1_11comp_targetILNS1_3genE4ELNS1_11target_archE910ELNS1_3gpuE8ELNS1_3repE0EEENS1_30default_config_static_selectorELNS0_4arch9wavefront6targetE0EEEvT1_, .Lfunc_end399-_ZN7rocprim17ROCPRIM_400000_NS6detail17trampoline_kernelINS0_14default_configENS1_20scan_config_selectorIN3c104HalfEEEZZNS1_9scan_implILNS1_25lookback_scan_determinismE0ELb0ELb0ES3_PKS6_PS6_S6_ZZZN2at6native31launch_logcumsumexp_cuda_kernelERKNSD_10TensorBaseESH_lENKUlvE_clEvENKUlvE3_clEvEUlS6_S6_E_S6_EEDaPvRmT3_T4_T5_mT6_P12ihipStream_tbENKUlT_T0_E_clISt17integral_constantIbLb1EESX_IbLb0EEEEDaST_SU_EUlST_E_NS1_11comp_targetILNS1_3genE4ELNS1_11target_archE910ELNS1_3gpuE8ELNS1_3repE0EEENS1_30default_config_static_selectorELNS0_4arch9wavefront6targetE0EEEvT1_
                                        ; -- End function
	.set _ZN7rocprim17ROCPRIM_400000_NS6detail17trampoline_kernelINS0_14default_configENS1_20scan_config_selectorIN3c104HalfEEEZZNS1_9scan_implILNS1_25lookback_scan_determinismE0ELb0ELb0ES3_PKS6_PS6_S6_ZZZN2at6native31launch_logcumsumexp_cuda_kernelERKNSD_10TensorBaseESH_lENKUlvE_clEvENKUlvE3_clEvEUlS6_S6_E_S6_EEDaPvRmT3_T4_T5_mT6_P12ihipStream_tbENKUlT_T0_E_clISt17integral_constantIbLb1EESX_IbLb0EEEEDaST_SU_EUlST_E_NS1_11comp_targetILNS1_3genE4ELNS1_11target_archE910ELNS1_3gpuE8ELNS1_3repE0EEENS1_30default_config_static_selectorELNS0_4arch9wavefront6targetE0EEEvT1_.num_vgpr, 0
	.set _ZN7rocprim17ROCPRIM_400000_NS6detail17trampoline_kernelINS0_14default_configENS1_20scan_config_selectorIN3c104HalfEEEZZNS1_9scan_implILNS1_25lookback_scan_determinismE0ELb0ELb0ES3_PKS6_PS6_S6_ZZZN2at6native31launch_logcumsumexp_cuda_kernelERKNSD_10TensorBaseESH_lENKUlvE_clEvENKUlvE3_clEvEUlS6_S6_E_S6_EEDaPvRmT3_T4_T5_mT6_P12ihipStream_tbENKUlT_T0_E_clISt17integral_constantIbLb1EESX_IbLb0EEEEDaST_SU_EUlST_E_NS1_11comp_targetILNS1_3genE4ELNS1_11target_archE910ELNS1_3gpuE8ELNS1_3repE0EEENS1_30default_config_static_selectorELNS0_4arch9wavefront6targetE0EEEvT1_.num_agpr, 0
	.set _ZN7rocprim17ROCPRIM_400000_NS6detail17trampoline_kernelINS0_14default_configENS1_20scan_config_selectorIN3c104HalfEEEZZNS1_9scan_implILNS1_25lookback_scan_determinismE0ELb0ELb0ES3_PKS6_PS6_S6_ZZZN2at6native31launch_logcumsumexp_cuda_kernelERKNSD_10TensorBaseESH_lENKUlvE_clEvENKUlvE3_clEvEUlS6_S6_E_S6_EEDaPvRmT3_T4_T5_mT6_P12ihipStream_tbENKUlT_T0_E_clISt17integral_constantIbLb1EESX_IbLb0EEEEDaST_SU_EUlST_E_NS1_11comp_targetILNS1_3genE4ELNS1_11target_archE910ELNS1_3gpuE8ELNS1_3repE0EEENS1_30default_config_static_selectorELNS0_4arch9wavefront6targetE0EEEvT1_.numbered_sgpr, 0
	.set _ZN7rocprim17ROCPRIM_400000_NS6detail17trampoline_kernelINS0_14default_configENS1_20scan_config_selectorIN3c104HalfEEEZZNS1_9scan_implILNS1_25lookback_scan_determinismE0ELb0ELb0ES3_PKS6_PS6_S6_ZZZN2at6native31launch_logcumsumexp_cuda_kernelERKNSD_10TensorBaseESH_lENKUlvE_clEvENKUlvE3_clEvEUlS6_S6_E_S6_EEDaPvRmT3_T4_T5_mT6_P12ihipStream_tbENKUlT_T0_E_clISt17integral_constantIbLb1EESX_IbLb0EEEEDaST_SU_EUlST_E_NS1_11comp_targetILNS1_3genE4ELNS1_11target_archE910ELNS1_3gpuE8ELNS1_3repE0EEENS1_30default_config_static_selectorELNS0_4arch9wavefront6targetE0EEEvT1_.num_named_barrier, 0
	.set _ZN7rocprim17ROCPRIM_400000_NS6detail17trampoline_kernelINS0_14default_configENS1_20scan_config_selectorIN3c104HalfEEEZZNS1_9scan_implILNS1_25lookback_scan_determinismE0ELb0ELb0ES3_PKS6_PS6_S6_ZZZN2at6native31launch_logcumsumexp_cuda_kernelERKNSD_10TensorBaseESH_lENKUlvE_clEvENKUlvE3_clEvEUlS6_S6_E_S6_EEDaPvRmT3_T4_T5_mT6_P12ihipStream_tbENKUlT_T0_E_clISt17integral_constantIbLb1EESX_IbLb0EEEEDaST_SU_EUlST_E_NS1_11comp_targetILNS1_3genE4ELNS1_11target_archE910ELNS1_3gpuE8ELNS1_3repE0EEENS1_30default_config_static_selectorELNS0_4arch9wavefront6targetE0EEEvT1_.private_seg_size, 0
	.set _ZN7rocprim17ROCPRIM_400000_NS6detail17trampoline_kernelINS0_14default_configENS1_20scan_config_selectorIN3c104HalfEEEZZNS1_9scan_implILNS1_25lookback_scan_determinismE0ELb0ELb0ES3_PKS6_PS6_S6_ZZZN2at6native31launch_logcumsumexp_cuda_kernelERKNSD_10TensorBaseESH_lENKUlvE_clEvENKUlvE3_clEvEUlS6_S6_E_S6_EEDaPvRmT3_T4_T5_mT6_P12ihipStream_tbENKUlT_T0_E_clISt17integral_constantIbLb1EESX_IbLb0EEEEDaST_SU_EUlST_E_NS1_11comp_targetILNS1_3genE4ELNS1_11target_archE910ELNS1_3gpuE8ELNS1_3repE0EEENS1_30default_config_static_selectorELNS0_4arch9wavefront6targetE0EEEvT1_.uses_vcc, 0
	.set _ZN7rocprim17ROCPRIM_400000_NS6detail17trampoline_kernelINS0_14default_configENS1_20scan_config_selectorIN3c104HalfEEEZZNS1_9scan_implILNS1_25lookback_scan_determinismE0ELb0ELb0ES3_PKS6_PS6_S6_ZZZN2at6native31launch_logcumsumexp_cuda_kernelERKNSD_10TensorBaseESH_lENKUlvE_clEvENKUlvE3_clEvEUlS6_S6_E_S6_EEDaPvRmT3_T4_T5_mT6_P12ihipStream_tbENKUlT_T0_E_clISt17integral_constantIbLb1EESX_IbLb0EEEEDaST_SU_EUlST_E_NS1_11comp_targetILNS1_3genE4ELNS1_11target_archE910ELNS1_3gpuE8ELNS1_3repE0EEENS1_30default_config_static_selectorELNS0_4arch9wavefront6targetE0EEEvT1_.uses_flat_scratch, 0
	.set _ZN7rocprim17ROCPRIM_400000_NS6detail17trampoline_kernelINS0_14default_configENS1_20scan_config_selectorIN3c104HalfEEEZZNS1_9scan_implILNS1_25lookback_scan_determinismE0ELb0ELb0ES3_PKS6_PS6_S6_ZZZN2at6native31launch_logcumsumexp_cuda_kernelERKNSD_10TensorBaseESH_lENKUlvE_clEvENKUlvE3_clEvEUlS6_S6_E_S6_EEDaPvRmT3_T4_T5_mT6_P12ihipStream_tbENKUlT_T0_E_clISt17integral_constantIbLb1EESX_IbLb0EEEEDaST_SU_EUlST_E_NS1_11comp_targetILNS1_3genE4ELNS1_11target_archE910ELNS1_3gpuE8ELNS1_3repE0EEENS1_30default_config_static_selectorELNS0_4arch9wavefront6targetE0EEEvT1_.has_dyn_sized_stack, 0
	.set _ZN7rocprim17ROCPRIM_400000_NS6detail17trampoline_kernelINS0_14default_configENS1_20scan_config_selectorIN3c104HalfEEEZZNS1_9scan_implILNS1_25lookback_scan_determinismE0ELb0ELb0ES3_PKS6_PS6_S6_ZZZN2at6native31launch_logcumsumexp_cuda_kernelERKNSD_10TensorBaseESH_lENKUlvE_clEvENKUlvE3_clEvEUlS6_S6_E_S6_EEDaPvRmT3_T4_T5_mT6_P12ihipStream_tbENKUlT_T0_E_clISt17integral_constantIbLb1EESX_IbLb0EEEEDaST_SU_EUlST_E_NS1_11comp_targetILNS1_3genE4ELNS1_11target_archE910ELNS1_3gpuE8ELNS1_3repE0EEENS1_30default_config_static_selectorELNS0_4arch9wavefront6targetE0EEEvT1_.has_recursion, 0
	.set _ZN7rocprim17ROCPRIM_400000_NS6detail17trampoline_kernelINS0_14default_configENS1_20scan_config_selectorIN3c104HalfEEEZZNS1_9scan_implILNS1_25lookback_scan_determinismE0ELb0ELb0ES3_PKS6_PS6_S6_ZZZN2at6native31launch_logcumsumexp_cuda_kernelERKNSD_10TensorBaseESH_lENKUlvE_clEvENKUlvE3_clEvEUlS6_S6_E_S6_EEDaPvRmT3_T4_T5_mT6_P12ihipStream_tbENKUlT_T0_E_clISt17integral_constantIbLb1EESX_IbLb0EEEEDaST_SU_EUlST_E_NS1_11comp_targetILNS1_3genE4ELNS1_11target_archE910ELNS1_3gpuE8ELNS1_3repE0EEENS1_30default_config_static_selectorELNS0_4arch9wavefront6targetE0EEEvT1_.has_indirect_call, 0
	.section	.AMDGPU.csdata,"",@progbits
; Kernel info:
; codeLenInByte = 0
; TotalNumSgprs: 0
; NumVgprs: 0
; ScratchSize: 0
; MemoryBound: 0
; FloatMode: 240
; IeeeMode: 1
; LDSByteSize: 0 bytes/workgroup (compile time only)
; SGPRBlocks: 0
; VGPRBlocks: 0
; NumSGPRsForWavesPerEU: 1
; NumVGPRsForWavesPerEU: 1
; Occupancy: 16
; WaveLimiterHint : 0
; COMPUTE_PGM_RSRC2:SCRATCH_EN: 0
; COMPUTE_PGM_RSRC2:USER_SGPR: 2
; COMPUTE_PGM_RSRC2:TRAP_HANDLER: 0
; COMPUTE_PGM_RSRC2:TGID_X_EN: 1
; COMPUTE_PGM_RSRC2:TGID_Y_EN: 0
; COMPUTE_PGM_RSRC2:TGID_Z_EN: 0
; COMPUTE_PGM_RSRC2:TIDIG_COMP_CNT: 0
	.section	.text._ZN7rocprim17ROCPRIM_400000_NS6detail17trampoline_kernelINS0_14default_configENS1_20scan_config_selectorIN3c104HalfEEEZZNS1_9scan_implILNS1_25lookback_scan_determinismE0ELb0ELb0ES3_PKS6_PS6_S6_ZZZN2at6native31launch_logcumsumexp_cuda_kernelERKNSD_10TensorBaseESH_lENKUlvE_clEvENKUlvE3_clEvEUlS6_S6_E_S6_EEDaPvRmT3_T4_T5_mT6_P12ihipStream_tbENKUlT_T0_E_clISt17integral_constantIbLb1EESX_IbLb0EEEEDaST_SU_EUlST_E_NS1_11comp_targetILNS1_3genE3ELNS1_11target_archE908ELNS1_3gpuE7ELNS1_3repE0EEENS1_30default_config_static_selectorELNS0_4arch9wavefront6targetE0EEEvT1_,"axG",@progbits,_ZN7rocprim17ROCPRIM_400000_NS6detail17trampoline_kernelINS0_14default_configENS1_20scan_config_selectorIN3c104HalfEEEZZNS1_9scan_implILNS1_25lookback_scan_determinismE0ELb0ELb0ES3_PKS6_PS6_S6_ZZZN2at6native31launch_logcumsumexp_cuda_kernelERKNSD_10TensorBaseESH_lENKUlvE_clEvENKUlvE3_clEvEUlS6_S6_E_S6_EEDaPvRmT3_T4_T5_mT6_P12ihipStream_tbENKUlT_T0_E_clISt17integral_constantIbLb1EESX_IbLb0EEEEDaST_SU_EUlST_E_NS1_11comp_targetILNS1_3genE3ELNS1_11target_archE908ELNS1_3gpuE7ELNS1_3repE0EEENS1_30default_config_static_selectorELNS0_4arch9wavefront6targetE0EEEvT1_,comdat
	.globl	_ZN7rocprim17ROCPRIM_400000_NS6detail17trampoline_kernelINS0_14default_configENS1_20scan_config_selectorIN3c104HalfEEEZZNS1_9scan_implILNS1_25lookback_scan_determinismE0ELb0ELb0ES3_PKS6_PS6_S6_ZZZN2at6native31launch_logcumsumexp_cuda_kernelERKNSD_10TensorBaseESH_lENKUlvE_clEvENKUlvE3_clEvEUlS6_S6_E_S6_EEDaPvRmT3_T4_T5_mT6_P12ihipStream_tbENKUlT_T0_E_clISt17integral_constantIbLb1EESX_IbLb0EEEEDaST_SU_EUlST_E_NS1_11comp_targetILNS1_3genE3ELNS1_11target_archE908ELNS1_3gpuE7ELNS1_3repE0EEENS1_30default_config_static_selectorELNS0_4arch9wavefront6targetE0EEEvT1_ ; -- Begin function _ZN7rocprim17ROCPRIM_400000_NS6detail17trampoline_kernelINS0_14default_configENS1_20scan_config_selectorIN3c104HalfEEEZZNS1_9scan_implILNS1_25lookback_scan_determinismE0ELb0ELb0ES3_PKS6_PS6_S6_ZZZN2at6native31launch_logcumsumexp_cuda_kernelERKNSD_10TensorBaseESH_lENKUlvE_clEvENKUlvE3_clEvEUlS6_S6_E_S6_EEDaPvRmT3_T4_T5_mT6_P12ihipStream_tbENKUlT_T0_E_clISt17integral_constantIbLb1EESX_IbLb0EEEEDaST_SU_EUlST_E_NS1_11comp_targetILNS1_3genE3ELNS1_11target_archE908ELNS1_3gpuE7ELNS1_3repE0EEENS1_30default_config_static_selectorELNS0_4arch9wavefront6targetE0EEEvT1_
	.p2align	8
	.type	_ZN7rocprim17ROCPRIM_400000_NS6detail17trampoline_kernelINS0_14default_configENS1_20scan_config_selectorIN3c104HalfEEEZZNS1_9scan_implILNS1_25lookback_scan_determinismE0ELb0ELb0ES3_PKS6_PS6_S6_ZZZN2at6native31launch_logcumsumexp_cuda_kernelERKNSD_10TensorBaseESH_lENKUlvE_clEvENKUlvE3_clEvEUlS6_S6_E_S6_EEDaPvRmT3_T4_T5_mT6_P12ihipStream_tbENKUlT_T0_E_clISt17integral_constantIbLb1EESX_IbLb0EEEEDaST_SU_EUlST_E_NS1_11comp_targetILNS1_3genE3ELNS1_11target_archE908ELNS1_3gpuE7ELNS1_3repE0EEENS1_30default_config_static_selectorELNS0_4arch9wavefront6targetE0EEEvT1_,@function
_ZN7rocprim17ROCPRIM_400000_NS6detail17trampoline_kernelINS0_14default_configENS1_20scan_config_selectorIN3c104HalfEEEZZNS1_9scan_implILNS1_25lookback_scan_determinismE0ELb0ELb0ES3_PKS6_PS6_S6_ZZZN2at6native31launch_logcumsumexp_cuda_kernelERKNSD_10TensorBaseESH_lENKUlvE_clEvENKUlvE3_clEvEUlS6_S6_E_S6_EEDaPvRmT3_T4_T5_mT6_P12ihipStream_tbENKUlT_T0_E_clISt17integral_constantIbLb1EESX_IbLb0EEEEDaST_SU_EUlST_E_NS1_11comp_targetILNS1_3genE3ELNS1_11target_archE908ELNS1_3gpuE7ELNS1_3repE0EEENS1_30default_config_static_selectorELNS0_4arch9wavefront6targetE0EEEvT1_: ; @_ZN7rocprim17ROCPRIM_400000_NS6detail17trampoline_kernelINS0_14default_configENS1_20scan_config_selectorIN3c104HalfEEEZZNS1_9scan_implILNS1_25lookback_scan_determinismE0ELb0ELb0ES3_PKS6_PS6_S6_ZZZN2at6native31launch_logcumsumexp_cuda_kernelERKNSD_10TensorBaseESH_lENKUlvE_clEvENKUlvE3_clEvEUlS6_S6_E_S6_EEDaPvRmT3_T4_T5_mT6_P12ihipStream_tbENKUlT_T0_E_clISt17integral_constantIbLb1EESX_IbLb0EEEEDaST_SU_EUlST_E_NS1_11comp_targetILNS1_3genE3ELNS1_11target_archE908ELNS1_3gpuE7ELNS1_3repE0EEENS1_30default_config_static_selectorELNS0_4arch9wavefront6targetE0EEEvT1_
; %bb.0:
	.section	.rodata,"a",@progbits
	.p2align	6, 0x0
	.amdhsa_kernel _ZN7rocprim17ROCPRIM_400000_NS6detail17trampoline_kernelINS0_14default_configENS1_20scan_config_selectorIN3c104HalfEEEZZNS1_9scan_implILNS1_25lookback_scan_determinismE0ELb0ELb0ES3_PKS6_PS6_S6_ZZZN2at6native31launch_logcumsumexp_cuda_kernelERKNSD_10TensorBaseESH_lENKUlvE_clEvENKUlvE3_clEvEUlS6_S6_E_S6_EEDaPvRmT3_T4_T5_mT6_P12ihipStream_tbENKUlT_T0_E_clISt17integral_constantIbLb1EESX_IbLb0EEEEDaST_SU_EUlST_E_NS1_11comp_targetILNS1_3genE3ELNS1_11target_archE908ELNS1_3gpuE7ELNS1_3repE0EEENS1_30default_config_static_selectorELNS0_4arch9wavefront6targetE0EEEvT1_
		.amdhsa_group_segment_fixed_size 0
		.amdhsa_private_segment_fixed_size 0
		.amdhsa_kernarg_size 96
		.amdhsa_user_sgpr_count 2
		.amdhsa_user_sgpr_dispatch_ptr 0
		.amdhsa_user_sgpr_queue_ptr 0
		.amdhsa_user_sgpr_kernarg_segment_ptr 1
		.amdhsa_user_sgpr_dispatch_id 0
		.amdhsa_user_sgpr_private_segment_size 0
		.amdhsa_wavefront_size32 1
		.amdhsa_uses_dynamic_stack 0
		.amdhsa_enable_private_segment 0
		.amdhsa_system_sgpr_workgroup_id_x 1
		.amdhsa_system_sgpr_workgroup_id_y 0
		.amdhsa_system_sgpr_workgroup_id_z 0
		.amdhsa_system_sgpr_workgroup_info 0
		.amdhsa_system_vgpr_workitem_id 0
		.amdhsa_next_free_vgpr 1
		.amdhsa_next_free_sgpr 1
		.amdhsa_reserve_vcc 0
		.amdhsa_float_round_mode_32 0
		.amdhsa_float_round_mode_16_64 0
		.amdhsa_float_denorm_mode_32 3
		.amdhsa_float_denorm_mode_16_64 3
		.amdhsa_fp16_overflow 0
		.amdhsa_workgroup_processor_mode 1
		.amdhsa_memory_ordered 1
		.amdhsa_forward_progress 1
		.amdhsa_inst_pref_size 0
		.amdhsa_round_robin_scheduling 0
		.amdhsa_exception_fp_ieee_invalid_op 0
		.amdhsa_exception_fp_denorm_src 0
		.amdhsa_exception_fp_ieee_div_zero 0
		.amdhsa_exception_fp_ieee_overflow 0
		.amdhsa_exception_fp_ieee_underflow 0
		.amdhsa_exception_fp_ieee_inexact 0
		.amdhsa_exception_int_div_zero 0
	.end_amdhsa_kernel
	.section	.text._ZN7rocprim17ROCPRIM_400000_NS6detail17trampoline_kernelINS0_14default_configENS1_20scan_config_selectorIN3c104HalfEEEZZNS1_9scan_implILNS1_25lookback_scan_determinismE0ELb0ELb0ES3_PKS6_PS6_S6_ZZZN2at6native31launch_logcumsumexp_cuda_kernelERKNSD_10TensorBaseESH_lENKUlvE_clEvENKUlvE3_clEvEUlS6_S6_E_S6_EEDaPvRmT3_T4_T5_mT6_P12ihipStream_tbENKUlT_T0_E_clISt17integral_constantIbLb1EESX_IbLb0EEEEDaST_SU_EUlST_E_NS1_11comp_targetILNS1_3genE3ELNS1_11target_archE908ELNS1_3gpuE7ELNS1_3repE0EEENS1_30default_config_static_selectorELNS0_4arch9wavefront6targetE0EEEvT1_,"axG",@progbits,_ZN7rocprim17ROCPRIM_400000_NS6detail17trampoline_kernelINS0_14default_configENS1_20scan_config_selectorIN3c104HalfEEEZZNS1_9scan_implILNS1_25lookback_scan_determinismE0ELb0ELb0ES3_PKS6_PS6_S6_ZZZN2at6native31launch_logcumsumexp_cuda_kernelERKNSD_10TensorBaseESH_lENKUlvE_clEvENKUlvE3_clEvEUlS6_S6_E_S6_EEDaPvRmT3_T4_T5_mT6_P12ihipStream_tbENKUlT_T0_E_clISt17integral_constantIbLb1EESX_IbLb0EEEEDaST_SU_EUlST_E_NS1_11comp_targetILNS1_3genE3ELNS1_11target_archE908ELNS1_3gpuE7ELNS1_3repE0EEENS1_30default_config_static_selectorELNS0_4arch9wavefront6targetE0EEEvT1_,comdat
.Lfunc_end400:
	.size	_ZN7rocprim17ROCPRIM_400000_NS6detail17trampoline_kernelINS0_14default_configENS1_20scan_config_selectorIN3c104HalfEEEZZNS1_9scan_implILNS1_25lookback_scan_determinismE0ELb0ELb0ES3_PKS6_PS6_S6_ZZZN2at6native31launch_logcumsumexp_cuda_kernelERKNSD_10TensorBaseESH_lENKUlvE_clEvENKUlvE3_clEvEUlS6_S6_E_S6_EEDaPvRmT3_T4_T5_mT6_P12ihipStream_tbENKUlT_T0_E_clISt17integral_constantIbLb1EESX_IbLb0EEEEDaST_SU_EUlST_E_NS1_11comp_targetILNS1_3genE3ELNS1_11target_archE908ELNS1_3gpuE7ELNS1_3repE0EEENS1_30default_config_static_selectorELNS0_4arch9wavefront6targetE0EEEvT1_, .Lfunc_end400-_ZN7rocprim17ROCPRIM_400000_NS6detail17trampoline_kernelINS0_14default_configENS1_20scan_config_selectorIN3c104HalfEEEZZNS1_9scan_implILNS1_25lookback_scan_determinismE0ELb0ELb0ES3_PKS6_PS6_S6_ZZZN2at6native31launch_logcumsumexp_cuda_kernelERKNSD_10TensorBaseESH_lENKUlvE_clEvENKUlvE3_clEvEUlS6_S6_E_S6_EEDaPvRmT3_T4_T5_mT6_P12ihipStream_tbENKUlT_T0_E_clISt17integral_constantIbLb1EESX_IbLb0EEEEDaST_SU_EUlST_E_NS1_11comp_targetILNS1_3genE3ELNS1_11target_archE908ELNS1_3gpuE7ELNS1_3repE0EEENS1_30default_config_static_selectorELNS0_4arch9wavefront6targetE0EEEvT1_
                                        ; -- End function
	.set _ZN7rocprim17ROCPRIM_400000_NS6detail17trampoline_kernelINS0_14default_configENS1_20scan_config_selectorIN3c104HalfEEEZZNS1_9scan_implILNS1_25lookback_scan_determinismE0ELb0ELb0ES3_PKS6_PS6_S6_ZZZN2at6native31launch_logcumsumexp_cuda_kernelERKNSD_10TensorBaseESH_lENKUlvE_clEvENKUlvE3_clEvEUlS6_S6_E_S6_EEDaPvRmT3_T4_T5_mT6_P12ihipStream_tbENKUlT_T0_E_clISt17integral_constantIbLb1EESX_IbLb0EEEEDaST_SU_EUlST_E_NS1_11comp_targetILNS1_3genE3ELNS1_11target_archE908ELNS1_3gpuE7ELNS1_3repE0EEENS1_30default_config_static_selectorELNS0_4arch9wavefront6targetE0EEEvT1_.num_vgpr, 0
	.set _ZN7rocprim17ROCPRIM_400000_NS6detail17trampoline_kernelINS0_14default_configENS1_20scan_config_selectorIN3c104HalfEEEZZNS1_9scan_implILNS1_25lookback_scan_determinismE0ELb0ELb0ES3_PKS6_PS6_S6_ZZZN2at6native31launch_logcumsumexp_cuda_kernelERKNSD_10TensorBaseESH_lENKUlvE_clEvENKUlvE3_clEvEUlS6_S6_E_S6_EEDaPvRmT3_T4_T5_mT6_P12ihipStream_tbENKUlT_T0_E_clISt17integral_constantIbLb1EESX_IbLb0EEEEDaST_SU_EUlST_E_NS1_11comp_targetILNS1_3genE3ELNS1_11target_archE908ELNS1_3gpuE7ELNS1_3repE0EEENS1_30default_config_static_selectorELNS0_4arch9wavefront6targetE0EEEvT1_.num_agpr, 0
	.set _ZN7rocprim17ROCPRIM_400000_NS6detail17trampoline_kernelINS0_14default_configENS1_20scan_config_selectorIN3c104HalfEEEZZNS1_9scan_implILNS1_25lookback_scan_determinismE0ELb0ELb0ES3_PKS6_PS6_S6_ZZZN2at6native31launch_logcumsumexp_cuda_kernelERKNSD_10TensorBaseESH_lENKUlvE_clEvENKUlvE3_clEvEUlS6_S6_E_S6_EEDaPvRmT3_T4_T5_mT6_P12ihipStream_tbENKUlT_T0_E_clISt17integral_constantIbLb1EESX_IbLb0EEEEDaST_SU_EUlST_E_NS1_11comp_targetILNS1_3genE3ELNS1_11target_archE908ELNS1_3gpuE7ELNS1_3repE0EEENS1_30default_config_static_selectorELNS0_4arch9wavefront6targetE0EEEvT1_.numbered_sgpr, 0
	.set _ZN7rocprim17ROCPRIM_400000_NS6detail17trampoline_kernelINS0_14default_configENS1_20scan_config_selectorIN3c104HalfEEEZZNS1_9scan_implILNS1_25lookback_scan_determinismE0ELb0ELb0ES3_PKS6_PS6_S6_ZZZN2at6native31launch_logcumsumexp_cuda_kernelERKNSD_10TensorBaseESH_lENKUlvE_clEvENKUlvE3_clEvEUlS6_S6_E_S6_EEDaPvRmT3_T4_T5_mT6_P12ihipStream_tbENKUlT_T0_E_clISt17integral_constantIbLb1EESX_IbLb0EEEEDaST_SU_EUlST_E_NS1_11comp_targetILNS1_3genE3ELNS1_11target_archE908ELNS1_3gpuE7ELNS1_3repE0EEENS1_30default_config_static_selectorELNS0_4arch9wavefront6targetE0EEEvT1_.num_named_barrier, 0
	.set _ZN7rocprim17ROCPRIM_400000_NS6detail17trampoline_kernelINS0_14default_configENS1_20scan_config_selectorIN3c104HalfEEEZZNS1_9scan_implILNS1_25lookback_scan_determinismE0ELb0ELb0ES3_PKS6_PS6_S6_ZZZN2at6native31launch_logcumsumexp_cuda_kernelERKNSD_10TensorBaseESH_lENKUlvE_clEvENKUlvE3_clEvEUlS6_S6_E_S6_EEDaPvRmT3_T4_T5_mT6_P12ihipStream_tbENKUlT_T0_E_clISt17integral_constantIbLb1EESX_IbLb0EEEEDaST_SU_EUlST_E_NS1_11comp_targetILNS1_3genE3ELNS1_11target_archE908ELNS1_3gpuE7ELNS1_3repE0EEENS1_30default_config_static_selectorELNS0_4arch9wavefront6targetE0EEEvT1_.private_seg_size, 0
	.set _ZN7rocprim17ROCPRIM_400000_NS6detail17trampoline_kernelINS0_14default_configENS1_20scan_config_selectorIN3c104HalfEEEZZNS1_9scan_implILNS1_25lookback_scan_determinismE0ELb0ELb0ES3_PKS6_PS6_S6_ZZZN2at6native31launch_logcumsumexp_cuda_kernelERKNSD_10TensorBaseESH_lENKUlvE_clEvENKUlvE3_clEvEUlS6_S6_E_S6_EEDaPvRmT3_T4_T5_mT6_P12ihipStream_tbENKUlT_T0_E_clISt17integral_constantIbLb1EESX_IbLb0EEEEDaST_SU_EUlST_E_NS1_11comp_targetILNS1_3genE3ELNS1_11target_archE908ELNS1_3gpuE7ELNS1_3repE0EEENS1_30default_config_static_selectorELNS0_4arch9wavefront6targetE0EEEvT1_.uses_vcc, 0
	.set _ZN7rocprim17ROCPRIM_400000_NS6detail17trampoline_kernelINS0_14default_configENS1_20scan_config_selectorIN3c104HalfEEEZZNS1_9scan_implILNS1_25lookback_scan_determinismE0ELb0ELb0ES3_PKS6_PS6_S6_ZZZN2at6native31launch_logcumsumexp_cuda_kernelERKNSD_10TensorBaseESH_lENKUlvE_clEvENKUlvE3_clEvEUlS6_S6_E_S6_EEDaPvRmT3_T4_T5_mT6_P12ihipStream_tbENKUlT_T0_E_clISt17integral_constantIbLb1EESX_IbLb0EEEEDaST_SU_EUlST_E_NS1_11comp_targetILNS1_3genE3ELNS1_11target_archE908ELNS1_3gpuE7ELNS1_3repE0EEENS1_30default_config_static_selectorELNS0_4arch9wavefront6targetE0EEEvT1_.uses_flat_scratch, 0
	.set _ZN7rocprim17ROCPRIM_400000_NS6detail17trampoline_kernelINS0_14default_configENS1_20scan_config_selectorIN3c104HalfEEEZZNS1_9scan_implILNS1_25lookback_scan_determinismE0ELb0ELb0ES3_PKS6_PS6_S6_ZZZN2at6native31launch_logcumsumexp_cuda_kernelERKNSD_10TensorBaseESH_lENKUlvE_clEvENKUlvE3_clEvEUlS6_S6_E_S6_EEDaPvRmT3_T4_T5_mT6_P12ihipStream_tbENKUlT_T0_E_clISt17integral_constantIbLb1EESX_IbLb0EEEEDaST_SU_EUlST_E_NS1_11comp_targetILNS1_3genE3ELNS1_11target_archE908ELNS1_3gpuE7ELNS1_3repE0EEENS1_30default_config_static_selectorELNS0_4arch9wavefront6targetE0EEEvT1_.has_dyn_sized_stack, 0
	.set _ZN7rocprim17ROCPRIM_400000_NS6detail17trampoline_kernelINS0_14default_configENS1_20scan_config_selectorIN3c104HalfEEEZZNS1_9scan_implILNS1_25lookback_scan_determinismE0ELb0ELb0ES3_PKS6_PS6_S6_ZZZN2at6native31launch_logcumsumexp_cuda_kernelERKNSD_10TensorBaseESH_lENKUlvE_clEvENKUlvE3_clEvEUlS6_S6_E_S6_EEDaPvRmT3_T4_T5_mT6_P12ihipStream_tbENKUlT_T0_E_clISt17integral_constantIbLb1EESX_IbLb0EEEEDaST_SU_EUlST_E_NS1_11comp_targetILNS1_3genE3ELNS1_11target_archE908ELNS1_3gpuE7ELNS1_3repE0EEENS1_30default_config_static_selectorELNS0_4arch9wavefront6targetE0EEEvT1_.has_recursion, 0
	.set _ZN7rocprim17ROCPRIM_400000_NS6detail17trampoline_kernelINS0_14default_configENS1_20scan_config_selectorIN3c104HalfEEEZZNS1_9scan_implILNS1_25lookback_scan_determinismE0ELb0ELb0ES3_PKS6_PS6_S6_ZZZN2at6native31launch_logcumsumexp_cuda_kernelERKNSD_10TensorBaseESH_lENKUlvE_clEvENKUlvE3_clEvEUlS6_S6_E_S6_EEDaPvRmT3_T4_T5_mT6_P12ihipStream_tbENKUlT_T0_E_clISt17integral_constantIbLb1EESX_IbLb0EEEEDaST_SU_EUlST_E_NS1_11comp_targetILNS1_3genE3ELNS1_11target_archE908ELNS1_3gpuE7ELNS1_3repE0EEENS1_30default_config_static_selectorELNS0_4arch9wavefront6targetE0EEEvT1_.has_indirect_call, 0
	.section	.AMDGPU.csdata,"",@progbits
; Kernel info:
; codeLenInByte = 0
; TotalNumSgprs: 0
; NumVgprs: 0
; ScratchSize: 0
; MemoryBound: 0
; FloatMode: 240
; IeeeMode: 1
; LDSByteSize: 0 bytes/workgroup (compile time only)
; SGPRBlocks: 0
; VGPRBlocks: 0
; NumSGPRsForWavesPerEU: 1
; NumVGPRsForWavesPerEU: 1
; Occupancy: 16
; WaveLimiterHint : 0
; COMPUTE_PGM_RSRC2:SCRATCH_EN: 0
; COMPUTE_PGM_RSRC2:USER_SGPR: 2
; COMPUTE_PGM_RSRC2:TRAP_HANDLER: 0
; COMPUTE_PGM_RSRC2:TGID_X_EN: 1
; COMPUTE_PGM_RSRC2:TGID_Y_EN: 0
; COMPUTE_PGM_RSRC2:TGID_Z_EN: 0
; COMPUTE_PGM_RSRC2:TIDIG_COMP_CNT: 0
	.section	.text._ZN7rocprim17ROCPRIM_400000_NS6detail17trampoline_kernelINS0_14default_configENS1_20scan_config_selectorIN3c104HalfEEEZZNS1_9scan_implILNS1_25lookback_scan_determinismE0ELb0ELb0ES3_PKS6_PS6_S6_ZZZN2at6native31launch_logcumsumexp_cuda_kernelERKNSD_10TensorBaseESH_lENKUlvE_clEvENKUlvE3_clEvEUlS6_S6_E_S6_EEDaPvRmT3_T4_T5_mT6_P12ihipStream_tbENKUlT_T0_E_clISt17integral_constantIbLb1EESX_IbLb0EEEEDaST_SU_EUlST_E_NS1_11comp_targetILNS1_3genE2ELNS1_11target_archE906ELNS1_3gpuE6ELNS1_3repE0EEENS1_30default_config_static_selectorELNS0_4arch9wavefront6targetE0EEEvT1_,"axG",@progbits,_ZN7rocprim17ROCPRIM_400000_NS6detail17trampoline_kernelINS0_14default_configENS1_20scan_config_selectorIN3c104HalfEEEZZNS1_9scan_implILNS1_25lookback_scan_determinismE0ELb0ELb0ES3_PKS6_PS6_S6_ZZZN2at6native31launch_logcumsumexp_cuda_kernelERKNSD_10TensorBaseESH_lENKUlvE_clEvENKUlvE3_clEvEUlS6_S6_E_S6_EEDaPvRmT3_T4_T5_mT6_P12ihipStream_tbENKUlT_T0_E_clISt17integral_constantIbLb1EESX_IbLb0EEEEDaST_SU_EUlST_E_NS1_11comp_targetILNS1_3genE2ELNS1_11target_archE906ELNS1_3gpuE6ELNS1_3repE0EEENS1_30default_config_static_selectorELNS0_4arch9wavefront6targetE0EEEvT1_,comdat
	.globl	_ZN7rocprim17ROCPRIM_400000_NS6detail17trampoline_kernelINS0_14default_configENS1_20scan_config_selectorIN3c104HalfEEEZZNS1_9scan_implILNS1_25lookback_scan_determinismE0ELb0ELb0ES3_PKS6_PS6_S6_ZZZN2at6native31launch_logcumsumexp_cuda_kernelERKNSD_10TensorBaseESH_lENKUlvE_clEvENKUlvE3_clEvEUlS6_S6_E_S6_EEDaPvRmT3_T4_T5_mT6_P12ihipStream_tbENKUlT_T0_E_clISt17integral_constantIbLb1EESX_IbLb0EEEEDaST_SU_EUlST_E_NS1_11comp_targetILNS1_3genE2ELNS1_11target_archE906ELNS1_3gpuE6ELNS1_3repE0EEENS1_30default_config_static_selectorELNS0_4arch9wavefront6targetE0EEEvT1_ ; -- Begin function _ZN7rocprim17ROCPRIM_400000_NS6detail17trampoline_kernelINS0_14default_configENS1_20scan_config_selectorIN3c104HalfEEEZZNS1_9scan_implILNS1_25lookback_scan_determinismE0ELb0ELb0ES3_PKS6_PS6_S6_ZZZN2at6native31launch_logcumsumexp_cuda_kernelERKNSD_10TensorBaseESH_lENKUlvE_clEvENKUlvE3_clEvEUlS6_S6_E_S6_EEDaPvRmT3_T4_T5_mT6_P12ihipStream_tbENKUlT_T0_E_clISt17integral_constantIbLb1EESX_IbLb0EEEEDaST_SU_EUlST_E_NS1_11comp_targetILNS1_3genE2ELNS1_11target_archE906ELNS1_3gpuE6ELNS1_3repE0EEENS1_30default_config_static_selectorELNS0_4arch9wavefront6targetE0EEEvT1_
	.p2align	8
	.type	_ZN7rocprim17ROCPRIM_400000_NS6detail17trampoline_kernelINS0_14default_configENS1_20scan_config_selectorIN3c104HalfEEEZZNS1_9scan_implILNS1_25lookback_scan_determinismE0ELb0ELb0ES3_PKS6_PS6_S6_ZZZN2at6native31launch_logcumsumexp_cuda_kernelERKNSD_10TensorBaseESH_lENKUlvE_clEvENKUlvE3_clEvEUlS6_S6_E_S6_EEDaPvRmT3_T4_T5_mT6_P12ihipStream_tbENKUlT_T0_E_clISt17integral_constantIbLb1EESX_IbLb0EEEEDaST_SU_EUlST_E_NS1_11comp_targetILNS1_3genE2ELNS1_11target_archE906ELNS1_3gpuE6ELNS1_3repE0EEENS1_30default_config_static_selectorELNS0_4arch9wavefront6targetE0EEEvT1_,@function
_ZN7rocprim17ROCPRIM_400000_NS6detail17trampoline_kernelINS0_14default_configENS1_20scan_config_selectorIN3c104HalfEEEZZNS1_9scan_implILNS1_25lookback_scan_determinismE0ELb0ELb0ES3_PKS6_PS6_S6_ZZZN2at6native31launch_logcumsumexp_cuda_kernelERKNSD_10TensorBaseESH_lENKUlvE_clEvENKUlvE3_clEvEUlS6_S6_E_S6_EEDaPvRmT3_T4_T5_mT6_P12ihipStream_tbENKUlT_T0_E_clISt17integral_constantIbLb1EESX_IbLb0EEEEDaST_SU_EUlST_E_NS1_11comp_targetILNS1_3genE2ELNS1_11target_archE906ELNS1_3gpuE6ELNS1_3repE0EEENS1_30default_config_static_selectorELNS0_4arch9wavefront6targetE0EEEvT1_: ; @_ZN7rocprim17ROCPRIM_400000_NS6detail17trampoline_kernelINS0_14default_configENS1_20scan_config_selectorIN3c104HalfEEEZZNS1_9scan_implILNS1_25lookback_scan_determinismE0ELb0ELb0ES3_PKS6_PS6_S6_ZZZN2at6native31launch_logcumsumexp_cuda_kernelERKNSD_10TensorBaseESH_lENKUlvE_clEvENKUlvE3_clEvEUlS6_S6_E_S6_EEDaPvRmT3_T4_T5_mT6_P12ihipStream_tbENKUlT_T0_E_clISt17integral_constantIbLb1EESX_IbLb0EEEEDaST_SU_EUlST_E_NS1_11comp_targetILNS1_3genE2ELNS1_11target_archE906ELNS1_3gpuE6ELNS1_3repE0EEENS1_30default_config_static_selectorELNS0_4arch9wavefront6targetE0EEEvT1_
; %bb.0:
	.section	.rodata,"a",@progbits
	.p2align	6, 0x0
	.amdhsa_kernel _ZN7rocprim17ROCPRIM_400000_NS6detail17trampoline_kernelINS0_14default_configENS1_20scan_config_selectorIN3c104HalfEEEZZNS1_9scan_implILNS1_25lookback_scan_determinismE0ELb0ELb0ES3_PKS6_PS6_S6_ZZZN2at6native31launch_logcumsumexp_cuda_kernelERKNSD_10TensorBaseESH_lENKUlvE_clEvENKUlvE3_clEvEUlS6_S6_E_S6_EEDaPvRmT3_T4_T5_mT6_P12ihipStream_tbENKUlT_T0_E_clISt17integral_constantIbLb1EESX_IbLb0EEEEDaST_SU_EUlST_E_NS1_11comp_targetILNS1_3genE2ELNS1_11target_archE906ELNS1_3gpuE6ELNS1_3repE0EEENS1_30default_config_static_selectorELNS0_4arch9wavefront6targetE0EEEvT1_
		.amdhsa_group_segment_fixed_size 0
		.amdhsa_private_segment_fixed_size 0
		.amdhsa_kernarg_size 96
		.amdhsa_user_sgpr_count 2
		.amdhsa_user_sgpr_dispatch_ptr 0
		.amdhsa_user_sgpr_queue_ptr 0
		.amdhsa_user_sgpr_kernarg_segment_ptr 1
		.amdhsa_user_sgpr_dispatch_id 0
		.amdhsa_user_sgpr_private_segment_size 0
		.amdhsa_wavefront_size32 1
		.amdhsa_uses_dynamic_stack 0
		.amdhsa_enable_private_segment 0
		.amdhsa_system_sgpr_workgroup_id_x 1
		.amdhsa_system_sgpr_workgroup_id_y 0
		.amdhsa_system_sgpr_workgroup_id_z 0
		.amdhsa_system_sgpr_workgroup_info 0
		.amdhsa_system_vgpr_workitem_id 0
		.amdhsa_next_free_vgpr 1
		.amdhsa_next_free_sgpr 1
		.amdhsa_reserve_vcc 0
		.amdhsa_float_round_mode_32 0
		.amdhsa_float_round_mode_16_64 0
		.amdhsa_float_denorm_mode_32 3
		.amdhsa_float_denorm_mode_16_64 3
		.amdhsa_fp16_overflow 0
		.amdhsa_workgroup_processor_mode 1
		.amdhsa_memory_ordered 1
		.amdhsa_forward_progress 1
		.amdhsa_inst_pref_size 0
		.amdhsa_round_robin_scheduling 0
		.amdhsa_exception_fp_ieee_invalid_op 0
		.amdhsa_exception_fp_denorm_src 0
		.amdhsa_exception_fp_ieee_div_zero 0
		.amdhsa_exception_fp_ieee_overflow 0
		.amdhsa_exception_fp_ieee_underflow 0
		.amdhsa_exception_fp_ieee_inexact 0
		.amdhsa_exception_int_div_zero 0
	.end_amdhsa_kernel
	.section	.text._ZN7rocprim17ROCPRIM_400000_NS6detail17trampoline_kernelINS0_14default_configENS1_20scan_config_selectorIN3c104HalfEEEZZNS1_9scan_implILNS1_25lookback_scan_determinismE0ELb0ELb0ES3_PKS6_PS6_S6_ZZZN2at6native31launch_logcumsumexp_cuda_kernelERKNSD_10TensorBaseESH_lENKUlvE_clEvENKUlvE3_clEvEUlS6_S6_E_S6_EEDaPvRmT3_T4_T5_mT6_P12ihipStream_tbENKUlT_T0_E_clISt17integral_constantIbLb1EESX_IbLb0EEEEDaST_SU_EUlST_E_NS1_11comp_targetILNS1_3genE2ELNS1_11target_archE906ELNS1_3gpuE6ELNS1_3repE0EEENS1_30default_config_static_selectorELNS0_4arch9wavefront6targetE0EEEvT1_,"axG",@progbits,_ZN7rocprim17ROCPRIM_400000_NS6detail17trampoline_kernelINS0_14default_configENS1_20scan_config_selectorIN3c104HalfEEEZZNS1_9scan_implILNS1_25lookback_scan_determinismE0ELb0ELb0ES3_PKS6_PS6_S6_ZZZN2at6native31launch_logcumsumexp_cuda_kernelERKNSD_10TensorBaseESH_lENKUlvE_clEvENKUlvE3_clEvEUlS6_S6_E_S6_EEDaPvRmT3_T4_T5_mT6_P12ihipStream_tbENKUlT_T0_E_clISt17integral_constantIbLb1EESX_IbLb0EEEEDaST_SU_EUlST_E_NS1_11comp_targetILNS1_3genE2ELNS1_11target_archE906ELNS1_3gpuE6ELNS1_3repE0EEENS1_30default_config_static_selectorELNS0_4arch9wavefront6targetE0EEEvT1_,comdat
.Lfunc_end401:
	.size	_ZN7rocprim17ROCPRIM_400000_NS6detail17trampoline_kernelINS0_14default_configENS1_20scan_config_selectorIN3c104HalfEEEZZNS1_9scan_implILNS1_25lookback_scan_determinismE0ELb0ELb0ES3_PKS6_PS6_S6_ZZZN2at6native31launch_logcumsumexp_cuda_kernelERKNSD_10TensorBaseESH_lENKUlvE_clEvENKUlvE3_clEvEUlS6_S6_E_S6_EEDaPvRmT3_T4_T5_mT6_P12ihipStream_tbENKUlT_T0_E_clISt17integral_constantIbLb1EESX_IbLb0EEEEDaST_SU_EUlST_E_NS1_11comp_targetILNS1_3genE2ELNS1_11target_archE906ELNS1_3gpuE6ELNS1_3repE0EEENS1_30default_config_static_selectorELNS0_4arch9wavefront6targetE0EEEvT1_, .Lfunc_end401-_ZN7rocprim17ROCPRIM_400000_NS6detail17trampoline_kernelINS0_14default_configENS1_20scan_config_selectorIN3c104HalfEEEZZNS1_9scan_implILNS1_25lookback_scan_determinismE0ELb0ELb0ES3_PKS6_PS6_S6_ZZZN2at6native31launch_logcumsumexp_cuda_kernelERKNSD_10TensorBaseESH_lENKUlvE_clEvENKUlvE3_clEvEUlS6_S6_E_S6_EEDaPvRmT3_T4_T5_mT6_P12ihipStream_tbENKUlT_T0_E_clISt17integral_constantIbLb1EESX_IbLb0EEEEDaST_SU_EUlST_E_NS1_11comp_targetILNS1_3genE2ELNS1_11target_archE906ELNS1_3gpuE6ELNS1_3repE0EEENS1_30default_config_static_selectorELNS0_4arch9wavefront6targetE0EEEvT1_
                                        ; -- End function
	.set _ZN7rocprim17ROCPRIM_400000_NS6detail17trampoline_kernelINS0_14default_configENS1_20scan_config_selectorIN3c104HalfEEEZZNS1_9scan_implILNS1_25lookback_scan_determinismE0ELb0ELb0ES3_PKS6_PS6_S6_ZZZN2at6native31launch_logcumsumexp_cuda_kernelERKNSD_10TensorBaseESH_lENKUlvE_clEvENKUlvE3_clEvEUlS6_S6_E_S6_EEDaPvRmT3_T4_T5_mT6_P12ihipStream_tbENKUlT_T0_E_clISt17integral_constantIbLb1EESX_IbLb0EEEEDaST_SU_EUlST_E_NS1_11comp_targetILNS1_3genE2ELNS1_11target_archE906ELNS1_3gpuE6ELNS1_3repE0EEENS1_30default_config_static_selectorELNS0_4arch9wavefront6targetE0EEEvT1_.num_vgpr, 0
	.set _ZN7rocprim17ROCPRIM_400000_NS6detail17trampoline_kernelINS0_14default_configENS1_20scan_config_selectorIN3c104HalfEEEZZNS1_9scan_implILNS1_25lookback_scan_determinismE0ELb0ELb0ES3_PKS6_PS6_S6_ZZZN2at6native31launch_logcumsumexp_cuda_kernelERKNSD_10TensorBaseESH_lENKUlvE_clEvENKUlvE3_clEvEUlS6_S6_E_S6_EEDaPvRmT3_T4_T5_mT6_P12ihipStream_tbENKUlT_T0_E_clISt17integral_constantIbLb1EESX_IbLb0EEEEDaST_SU_EUlST_E_NS1_11comp_targetILNS1_3genE2ELNS1_11target_archE906ELNS1_3gpuE6ELNS1_3repE0EEENS1_30default_config_static_selectorELNS0_4arch9wavefront6targetE0EEEvT1_.num_agpr, 0
	.set _ZN7rocprim17ROCPRIM_400000_NS6detail17trampoline_kernelINS0_14default_configENS1_20scan_config_selectorIN3c104HalfEEEZZNS1_9scan_implILNS1_25lookback_scan_determinismE0ELb0ELb0ES3_PKS6_PS6_S6_ZZZN2at6native31launch_logcumsumexp_cuda_kernelERKNSD_10TensorBaseESH_lENKUlvE_clEvENKUlvE3_clEvEUlS6_S6_E_S6_EEDaPvRmT3_T4_T5_mT6_P12ihipStream_tbENKUlT_T0_E_clISt17integral_constantIbLb1EESX_IbLb0EEEEDaST_SU_EUlST_E_NS1_11comp_targetILNS1_3genE2ELNS1_11target_archE906ELNS1_3gpuE6ELNS1_3repE0EEENS1_30default_config_static_selectorELNS0_4arch9wavefront6targetE0EEEvT1_.numbered_sgpr, 0
	.set _ZN7rocprim17ROCPRIM_400000_NS6detail17trampoline_kernelINS0_14default_configENS1_20scan_config_selectorIN3c104HalfEEEZZNS1_9scan_implILNS1_25lookback_scan_determinismE0ELb0ELb0ES3_PKS6_PS6_S6_ZZZN2at6native31launch_logcumsumexp_cuda_kernelERKNSD_10TensorBaseESH_lENKUlvE_clEvENKUlvE3_clEvEUlS6_S6_E_S6_EEDaPvRmT3_T4_T5_mT6_P12ihipStream_tbENKUlT_T0_E_clISt17integral_constantIbLb1EESX_IbLb0EEEEDaST_SU_EUlST_E_NS1_11comp_targetILNS1_3genE2ELNS1_11target_archE906ELNS1_3gpuE6ELNS1_3repE0EEENS1_30default_config_static_selectorELNS0_4arch9wavefront6targetE0EEEvT1_.num_named_barrier, 0
	.set _ZN7rocprim17ROCPRIM_400000_NS6detail17trampoline_kernelINS0_14default_configENS1_20scan_config_selectorIN3c104HalfEEEZZNS1_9scan_implILNS1_25lookback_scan_determinismE0ELb0ELb0ES3_PKS6_PS6_S6_ZZZN2at6native31launch_logcumsumexp_cuda_kernelERKNSD_10TensorBaseESH_lENKUlvE_clEvENKUlvE3_clEvEUlS6_S6_E_S6_EEDaPvRmT3_T4_T5_mT6_P12ihipStream_tbENKUlT_T0_E_clISt17integral_constantIbLb1EESX_IbLb0EEEEDaST_SU_EUlST_E_NS1_11comp_targetILNS1_3genE2ELNS1_11target_archE906ELNS1_3gpuE6ELNS1_3repE0EEENS1_30default_config_static_selectorELNS0_4arch9wavefront6targetE0EEEvT1_.private_seg_size, 0
	.set _ZN7rocprim17ROCPRIM_400000_NS6detail17trampoline_kernelINS0_14default_configENS1_20scan_config_selectorIN3c104HalfEEEZZNS1_9scan_implILNS1_25lookback_scan_determinismE0ELb0ELb0ES3_PKS6_PS6_S6_ZZZN2at6native31launch_logcumsumexp_cuda_kernelERKNSD_10TensorBaseESH_lENKUlvE_clEvENKUlvE3_clEvEUlS6_S6_E_S6_EEDaPvRmT3_T4_T5_mT6_P12ihipStream_tbENKUlT_T0_E_clISt17integral_constantIbLb1EESX_IbLb0EEEEDaST_SU_EUlST_E_NS1_11comp_targetILNS1_3genE2ELNS1_11target_archE906ELNS1_3gpuE6ELNS1_3repE0EEENS1_30default_config_static_selectorELNS0_4arch9wavefront6targetE0EEEvT1_.uses_vcc, 0
	.set _ZN7rocprim17ROCPRIM_400000_NS6detail17trampoline_kernelINS0_14default_configENS1_20scan_config_selectorIN3c104HalfEEEZZNS1_9scan_implILNS1_25lookback_scan_determinismE0ELb0ELb0ES3_PKS6_PS6_S6_ZZZN2at6native31launch_logcumsumexp_cuda_kernelERKNSD_10TensorBaseESH_lENKUlvE_clEvENKUlvE3_clEvEUlS6_S6_E_S6_EEDaPvRmT3_T4_T5_mT6_P12ihipStream_tbENKUlT_T0_E_clISt17integral_constantIbLb1EESX_IbLb0EEEEDaST_SU_EUlST_E_NS1_11comp_targetILNS1_3genE2ELNS1_11target_archE906ELNS1_3gpuE6ELNS1_3repE0EEENS1_30default_config_static_selectorELNS0_4arch9wavefront6targetE0EEEvT1_.uses_flat_scratch, 0
	.set _ZN7rocprim17ROCPRIM_400000_NS6detail17trampoline_kernelINS0_14default_configENS1_20scan_config_selectorIN3c104HalfEEEZZNS1_9scan_implILNS1_25lookback_scan_determinismE0ELb0ELb0ES3_PKS6_PS6_S6_ZZZN2at6native31launch_logcumsumexp_cuda_kernelERKNSD_10TensorBaseESH_lENKUlvE_clEvENKUlvE3_clEvEUlS6_S6_E_S6_EEDaPvRmT3_T4_T5_mT6_P12ihipStream_tbENKUlT_T0_E_clISt17integral_constantIbLb1EESX_IbLb0EEEEDaST_SU_EUlST_E_NS1_11comp_targetILNS1_3genE2ELNS1_11target_archE906ELNS1_3gpuE6ELNS1_3repE0EEENS1_30default_config_static_selectorELNS0_4arch9wavefront6targetE0EEEvT1_.has_dyn_sized_stack, 0
	.set _ZN7rocprim17ROCPRIM_400000_NS6detail17trampoline_kernelINS0_14default_configENS1_20scan_config_selectorIN3c104HalfEEEZZNS1_9scan_implILNS1_25lookback_scan_determinismE0ELb0ELb0ES3_PKS6_PS6_S6_ZZZN2at6native31launch_logcumsumexp_cuda_kernelERKNSD_10TensorBaseESH_lENKUlvE_clEvENKUlvE3_clEvEUlS6_S6_E_S6_EEDaPvRmT3_T4_T5_mT6_P12ihipStream_tbENKUlT_T0_E_clISt17integral_constantIbLb1EESX_IbLb0EEEEDaST_SU_EUlST_E_NS1_11comp_targetILNS1_3genE2ELNS1_11target_archE906ELNS1_3gpuE6ELNS1_3repE0EEENS1_30default_config_static_selectorELNS0_4arch9wavefront6targetE0EEEvT1_.has_recursion, 0
	.set _ZN7rocprim17ROCPRIM_400000_NS6detail17trampoline_kernelINS0_14default_configENS1_20scan_config_selectorIN3c104HalfEEEZZNS1_9scan_implILNS1_25lookback_scan_determinismE0ELb0ELb0ES3_PKS6_PS6_S6_ZZZN2at6native31launch_logcumsumexp_cuda_kernelERKNSD_10TensorBaseESH_lENKUlvE_clEvENKUlvE3_clEvEUlS6_S6_E_S6_EEDaPvRmT3_T4_T5_mT6_P12ihipStream_tbENKUlT_T0_E_clISt17integral_constantIbLb1EESX_IbLb0EEEEDaST_SU_EUlST_E_NS1_11comp_targetILNS1_3genE2ELNS1_11target_archE906ELNS1_3gpuE6ELNS1_3repE0EEENS1_30default_config_static_selectorELNS0_4arch9wavefront6targetE0EEEvT1_.has_indirect_call, 0
	.section	.AMDGPU.csdata,"",@progbits
; Kernel info:
; codeLenInByte = 0
; TotalNumSgprs: 0
; NumVgprs: 0
; ScratchSize: 0
; MemoryBound: 0
; FloatMode: 240
; IeeeMode: 1
; LDSByteSize: 0 bytes/workgroup (compile time only)
; SGPRBlocks: 0
; VGPRBlocks: 0
; NumSGPRsForWavesPerEU: 1
; NumVGPRsForWavesPerEU: 1
; Occupancy: 16
; WaveLimiterHint : 0
; COMPUTE_PGM_RSRC2:SCRATCH_EN: 0
; COMPUTE_PGM_RSRC2:USER_SGPR: 2
; COMPUTE_PGM_RSRC2:TRAP_HANDLER: 0
; COMPUTE_PGM_RSRC2:TGID_X_EN: 1
; COMPUTE_PGM_RSRC2:TGID_Y_EN: 0
; COMPUTE_PGM_RSRC2:TGID_Z_EN: 0
; COMPUTE_PGM_RSRC2:TIDIG_COMP_CNT: 0
	.section	.text._ZN7rocprim17ROCPRIM_400000_NS6detail17trampoline_kernelINS0_14default_configENS1_20scan_config_selectorIN3c104HalfEEEZZNS1_9scan_implILNS1_25lookback_scan_determinismE0ELb0ELb0ES3_PKS6_PS6_S6_ZZZN2at6native31launch_logcumsumexp_cuda_kernelERKNSD_10TensorBaseESH_lENKUlvE_clEvENKUlvE3_clEvEUlS6_S6_E_S6_EEDaPvRmT3_T4_T5_mT6_P12ihipStream_tbENKUlT_T0_E_clISt17integral_constantIbLb1EESX_IbLb0EEEEDaST_SU_EUlST_E_NS1_11comp_targetILNS1_3genE10ELNS1_11target_archE1201ELNS1_3gpuE5ELNS1_3repE0EEENS1_30default_config_static_selectorELNS0_4arch9wavefront6targetE0EEEvT1_,"axG",@progbits,_ZN7rocprim17ROCPRIM_400000_NS6detail17trampoline_kernelINS0_14default_configENS1_20scan_config_selectorIN3c104HalfEEEZZNS1_9scan_implILNS1_25lookback_scan_determinismE0ELb0ELb0ES3_PKS6_PS6_S6_ZZZN2at6native31launch_logcumsumexp_cuda_kernelERKNSD_10TensorBaseESH_lENKUlvE_clEvENKUlvE3_clEvEUlS6_S6_E_S6_EEDaPvRmT3_T4_T5_mT6_P12ihipStream_tbENKUlT_T0_E_clISt17integral_constantIbLb1EESX_IbLb0EEEEDaST_SU_EUlST_E_NS1_11comp_targetILNS1_3genE10ELNS1_11target_archE1201ELNS1_3gpuE5ELNS1_3repE0EEENS1_30default_config_static_selectorELNS0_4arch9wavefront6targetE0EEEvT1_,comdat
	.globl	_ZN7rocprim17ROCPRIM_400000_NS6detail17trampoline_kernelINS0_14default_configENS1_20scan_config_selectorIN3c104HalfEEEZZNS1_9scan_implILNS1_25lookback_scan_determinismE0ELb0ELb0ES3_PKS6_PS6_S6_ZZZN2at6native31launch_logcumsumexp_cuda_kernelERKNSD_10TensorBaseESH_lENKUlvE_clEvENKUlvE3_clEvEUlS6_S6_E_S6_EEDaPvRmT3_T4_T5_mT6_P12ihipStream_tbENKUlT_T0_E_clISt17integral_constantIbLb1EESX_IbLb0EEEEDaST_SU_EUlST_E_NS1_11comp_targetILNS1_3genE10ELNS1_11target_archE1201ELNS1_3gpuE5ELNS1_3repE0EEENS1_30default_config_static_selectorELNS0_4arch9wavefront6targetE0EEEvT1_ ; -- Begin function _ZN7rocprim17ROCPRIM_400000_NS6detail17trampoline_kernelINS0_14default_configENS1_20scan_config_selectorIN3c104HalfEEEZZNS1_9scan_implILNS1_25lookback_scan_determinismE0ELb0ELb0ES3_PKS6_PS6_S6_ZZZN2at6native31launch_logcumsumexp_cuda_kernelERKNSD_10TensorBaseESH_lENKUlvE_clEvENKUlvE3_clEvEUlS6_S6_E_S6_EEDaPvRmT3_T4_T5_mT6_P12ihipStream_tbENKUlT_T0_E_clISt17integral_constantIbLb1EESX_IbLb0EEEEDaST_SU_EUlST_E_NS1_11comp_targetILNS1_3genE10ELNS1_11target_archE1201ELNS1_3gpuE5ELNS1_3repE0EEENS1_30default_config_static_selectorELNS0_4arch9wavefront6targetE0EEEvT1_
	.p2align	8
	.type	_ZN7rocprim17ROCPRIM_400000_NS6detail17trampoline_kernelINS0_14default_configENS1_20scan_config_selectorIN3c104HalfEEEZZNS1_9scan_implILNS1_25lookback_scan_determinismE0ELb0ELb0ES3_PKS6_PS6_S6_ZZZN2at6native31launch_logcumsumexp_cuda_kernelERKNSD_10TensorBaseESH_lENKUlvE_clEvENKUlvE3_clEvEUlS6_S6_E_S6_EEDaPvRmT3_T4_T5_mT6_P12ihipStream_tbENKUlT_T0_E_clISt17integral_constantIbLb1EESX_IbLb0EEEEDaST_SU_EUlST_E_NS1_11comp_targetILNS1_3genE10ELNS1_11target_archE1201ELNS1_3gpuE5ELNS1_3repE0EEENS1_30default_config_static_selectorELNS0_4arch9wavefront6targetE0EEEvT1_,@function
_ZN7rocprim17ROCPRIM_400000_NS6detail17trampoline_kernelINS0_14default_configENS1_20scan_config_selectorIN3c104HalfEEEZZNS1_9scan_implILNS1_25lookback_scan_determinismE0ELb0ELb0ES3_PKS6_PS6_S6_ZZZN2at6native31launch_logcumsumexp_cuda_kernelERKNSD_10TensorBaseESH_lENKUlvE_clEvENKUlvE3_clEvEUlS6_S6_E_S6_EEDaPvRmT3_T4_T5_mT6_P12ihipStream_tbENKUlT_T0_E_clISt17integral_constantIbLb1EESX_IbLb0EEEEDaST_SU_EUlST_E_NS1_11comp_targetILNS1_3genE10ELNS1_11target_archE1201ELNS1_3gpuE5ELNS1_3repE0EEENS1_30default_config_static_selectorELNS0_4arch9wavefront6targetE0EEEvT1_: ; @_ZN7rocprim17ROCPRIM_400000_NS6detail17trampoline_kernelINS0_14default_configENS1_20scan_config_selectorIN3c104HalfEEEZZNS1_9scan_implILNS1_25lookback_scan_determinismE0ELb0ELb0ES3_PKS6_PS6_S6_ZZZN2at6native31launch_logcumsumexp_cuda_kernelERKNSD_10TensorBaseESH_lENKUlvE_clEvENKUlvE3_clEvEUlS6_S6_E_S6_EEDaPvRmT3_T4_T5_mT6_P12ihipStream_tbENKUlT_T0_E_clISt17integral_constantIbLb1EESX_IbLb0EEEEDaST_SU_EUlST_E_NS1_11comp_targetILNS1_3genE10ELNS1_11target_archE1201ELNS1_3gpuE5ELNS1_3repE0EEENS1_30default_config_static_selectorELNS0_4arch9wavefront6targetE0EEEvT1_
; %bb.0:
	s_endpgm
	.section	.rodata,"a",@progbits
	.p2align	6, 0x0
	.amdhsa_kernel _ZN7rocprim17ROCPRIM_400000_NS6detail17trampoline_kernelINS0_14default_configENS1_20scan_config_selectorIN3c104HalfEEEZZNS1_9scan_implILNS1_25lookback_scan_determinismE0ELb0ELb0ES3_PKS6_PS6_S6_ZZZN2at6native31launch_logcumsumexp_cuda_kernelERKNSD_10TensorBaseESH_lENKUlvE_clEvENKUlvE3_clEvEUlS6_S6_E_S6_EEDaPvRmT3_T4_T5_mT6_P12ihipStream_tbENKUlT_T0_E_clISt17integral_constantIbLb1EESX_IbLb0EEEEDaST_SU_EUlST_E_NS1_11comp_targetILNS1_3genE10ELNS1_11target_archE1201ELNS1_3gpuE5ELNS1_3repE0EEENS1_30default_config_static_selectorELNS0_4arch9wavefront6targetE0EEEvT1_
		.amdhsa_group_segment_fixed_size 0
		.amdhsa_private_segment_fixed_size 0
		.amdhsa_kernarg_size 96
		.amdhsa_user_sgpr_count 2
		.amdhsa_user_sgpr_dispatch_ptr 0
		.amdhsa_user_sgpr_queue_ptr 0
		.amdhsa_user_sgpr_kernarg_segment_ptr 1
		.amdhsa_user_sgpr_dispatch_id 0
		.amdhsa_user_sgpr_private_segment_size 0
		.amdhsa_wavefront_size32 1
		.amdhsa_uses_dynamic_stack 0
		.amdhsa_enable_private_segment 0
		.amdhsa_system_sgpr_workgroup_id_x 1
		.amdhsa_system_sgpr_workgroup_id_y 0
		.amdhsa_system_sgpr_workgroup_id_z 0
		.amdhsa_system_sgpr_workgroup_info 0
		.amdhsa_system_vgpr_workitem_id 0
		.amdhsa_next_free_vgpr 1
		.amdhsa_next_free_sgpr 1
		.amdhsa_reserve_vcc 0
		.amdhsa_float_round_mode_32 0
		.amdhsa_float_round_mode_16_64 0
		.amdhsa_float_denorm_mode_32 3
		.amdhsa_float_denorm_mode_16_64 3
		.amdhsa_fp16_overflow 0
		.amdhsa_workgroup_processor_mode 1
		.amdhsa_memory_ordered 1
		.amdhsa_forward_progress 1
		.amdhsa_inst_pref_size 1
		.amdhsa_round_robin_scheduling 0
		.amdhsa_exception_fp_ieee_invalid_op 0
		.amdhsa_exception_fp_denorm_src 0
		.amdhsa_exception_fp_ieee_div_zero 0
		.amdhsa_exception_fp_ieee_overflow 0
		.amdhsa_exception_fp_ieee_underflow 0
		.amdhsa_exception_fp_ieee_inexact 0
		.amdhsa_exception_int_div_zero 0
	.end_amdhsa_kernel
	.section	.text._ZN7rocprim17ROCPRIM_400000_NS6detail17trampoline_kernelINS0_14default_configENS1_20scan_config_selectorIN3c104HalfEEEZZNS1_9scan_implILNS1_25lookback_scan_determinismE0ELb0ELb0ES3_PKS6_PS6_S6_ZZZN2at6native31launch_logcumsumexp_cuda_kernelERKNSD_10TensorBaseESH_lENKUlvE_clEvENKUlvE3_clEvEUlS6_S6_E_S6_EEDaPvRmT3_T4_T5_mT6_P12ihipStream_tbENKUlT_T0_E_clISt17integral_constantIbLb1EESX_IbLb0EEEEDaST_SU_EUlST_E_NS1_11comp_targetILNS1_3genE10ELNS1_11target_archE1201ELNS1_3gpuE5ELNS1_3repE0EEENS1_30default_config_static_selectorELNS0_4arch9wavefront6targetE0EEEvT1_,"axG",@progbits,_ZN7rocprim17ROCPRIM_400000_NS6detail17trampoline_kernelINS0_14default_configENS1_20scan_config_selectorIN3c104HalfEEEZZNS1_9scan_implILNS1_25lookback_scan_determinismE0ELb0ELb0ES3_PKS6_PS6_S6_ZZZN2at6native31launch_logcumsumexp_cuda_kernelERKNSD_10TensorBaseESH_lENKUlvE_clEvENKUlvE3_clEvEUlS6_S6_E_S6_EEDaPvRmT3_T4_T5_mT6_P12ihipStream_tbENKUlT_T0_E_clISt17integral_constantIbLb1EESX_IbLb0EEEEDaST_SU_EUlST_E_NS1_11comp_targetILNS1_3genE10ELNS1_11target_archE1201ELNS1_3gpuE5ELNS1_3repE0EEENS1_30default_config_static_selectorELNS0_4arch9wavefront6targetE0EEEvT1_,comdat
.Lfunc_end402:
	.size	_ZN7rocprim17ROCPRIM_400000_NS6detail17trampoline_kernelINS0_14default_configENS1_20scan_config_selectorIN3c104HalfEEEZZNS1_9scan_implILNS1_25lookback_scan_determinismE0ELb0ELb0ES3_PKS6_PS6_S6_ZZZN2at6native31launch_logcumsumexp_cuda_kernelERKNSD_10TensorBaseESH_lENKUlvE_clEvENKUlvE3_clEvEUlS6_S6_E_S6_EEDaPvRmT3_T4_T5_mT6_P12ihipStream_tbENKUlT_T0_E_clISt17integral_constantIbLb1EESX_IbLb0EEEEDaST_SU_EUlST_E_NS1_11comp_targetILNS1_3genE10ELNS1_11target_archE1201ELNS1_3gpuE5ELNS1_3repE0EEENS1_30default_config_static_selectorELNS0_4arch9wavefront6targetE0EEEvT1_, .Lfunc_end402-_ZN7rocprim17ROCPRIM_400000_NS6detail17trampoline_kernelINS0_14default_configENS1_20scan_config_selectorIN3c104HalfEEEZZNS1_9scan_implILNS1_25lookback_scan_determinismE0ELb0ELb0ES3_PKS6_PS6_S6_ZZZN2at6native31launch_logcumsumexp_cuda_kernelERKNSD_10TensorBaseESH_lENKUlvE_clEvENKUlvE3_clEvEUlS6_S6_E_S6_EEDaPvRmT3_T4_T5_mT6_P12ihipStream_tbENKUlT_T0_E_clISt17integral_constantIbLb1EESX_IbLb0EEEEDaST_SU_EUlST_E_NS1_11comp_targetILNS1_3genE10ELNS1_11target_archE1201ELNS1_3gpuE5ELNS1_3repE0EEENS1_30default_config_static_selectorELNS0_4arch9wavefront6targetE0EEEvT1_
                                        ; -- End function
	.set _ZN7rocprim17ROCPRIM_400000_NS6detail17trampoline_kernelINS0_14default_configENS1_20scan_config_selectorIN3c104HalfEEEZZNS1_9scan_implILNS1_25lookback_scan_determinismE0ELb0ELb0ES3_PKS6_PS6_S6_ZZZN2at6native31launch_logcumsumexp_cuda_kernelERKNSD_10TensorBaseESH_lENKUlvE_clEvENKUlvE3_clEvEUlS6_S6_E_S6_EEDaPvRmT3_T4_T5_mT6_P12ihipStream_tbENKUlT_T0_E_clISt17integral_constantIbLb1EESX_IbLb0EEEEDaST_SU_EUlST_E_NS1_11comp_targetILNS1_3genE10ELNS1_11target_archE1201ELNS1_3gpuE5ELNS1_3repE0EEENS1_30default_config_static_selectorELNS0_4arch9wavefront6targetE0EEEvT1_.num_vgpr, 0
	.set _ZN7rocprim17ROCPRIM_400000_NS6detail17trampoline_kernelINS0_14default_configENS1_20scan_config_selectorIN3c104HalfEEEZZNS1_9scan_implILNS1_25lookback_scan_determinismE0ELb0ELb0ES3_PKS6_PS6_S6_ZZZN2at6native31launch_logcumsumexp_cuda_kernelERKNSD_10TensorBaseESH_lENKUlvE_clEvENKUlvE3_clEvEUlS6_S6_E_S6_EEDaPvRmT3_T4_T5_mT6_P12ihipStream_tbENKUlT_T0_E_clISt17integral_constantIbLb1EESX_IbLb0EEEEDaST_SU_EUlST_E_NS1_11comp_targetILNS1_3genE10ELNS1_11target_archE1201ELNS1_3gpuE5ELNS1_3repE0EEENS1_30default_config_static_selectorELNS0_4arch9wavefront6targetE0EEEvT1_.num_agpr, 0
	.set _ZN7rocprim17ROCPRIM_400000_NS6detail17trampoline_kernelINS0_14default_configENS1_20scan_config_selectorIN3c104HalfEEEZZNS1_9scan_implILNS1_25lookback_scan_determinismE0ELb0ELb0ES3_PKS6_PS6_S6_ZZZN2at6native31launch_logcumsumexp_cuda_kernelERKNSD_10TensorBaseESH_lENKUlvE_clEvENKUlvE3_clEvEUlS6_S6_E_S6_EEDaPvRmT3_T4_T5_mT6_P12ihipStream_tbENKUlT_T0_E_clISt17integral_constantIbLb1EESX_IbLb0EEEEDaST_SU_EUlST_E_NS1_11comp_targetILNS1_3genE10ELNS1_11target_archE1201ELNS1_3gpuE5ELNS1_3repE0EEENS1_30default_config_static_selectorELNS0_4arch9wavefront6targetE0EEEvT1_.numbered_sgpr, 0
	.set _ZN7rocprim17ROCPRIM_400000_NS6detail17trampoline_kernelINS0_14default_configENS1_20scan_config_selectorIN3c104HalfEEEZZNS1_9scan_implILNS1_25lookback_scan_determinismE0ELb0ELb0ES3_PKS6_PS6_S6_ZZZN2at6native31launch_logcumsumexp_cuda_kernelERKNSD_10TensorBaseESH_lENKUlvE_clEvENKUlvE3_clEvEUlS6_S6_E_S6_EEDaPvRmT3_T4_T5_mT6_P12ihipStream_tbENKUlT_T0_E_clISt17integral_constantIbLb1EESX_IbLb0EEEEDaST_SU_EUlST_E_NS1_11comp_targetILNS1_3genE10ELNS1_11target_archE1201ELNS1_3gpuE5ELNS1_3repE0EEENS1_30default_config_static_selectorELNS0_4arch9wavefront6targetE0EEEvT1_.num_named_barrier, 0
	.set _ZN7rocprim17ROCPRIM_400000_NS6detail17trampoline_kernelINS0_14default_configENS1_20scan_config_selectorIN3c104HalfEEEZZNS1_9scan_implILNS1_25lookback_scan_determinismE0ELb0ELb0ES3_PKS6_PS6_S6_ZZZN2at6native31launch_logcumsumexp_cuda_kernelERKNSD_10TensorBaseESH_lENKUlvE_clEvENKUlvE3_clEvEUlS6_S6_E_S6_EEDaPvRmT3_T4_T5_mT6_P12ihipStream_tbENKUlT_T0_E_clISt17integral_constantIbLb1EESX_IbLb0EEEEDaST_SU_EUlST_E_NS1_11comp_targetILNS1_3genE10ELNS1_11target_archE1201ELNS1_3gpuE5ELNS1_3repE0EEENS1_30default_config_static_selectorELNS0_4arch9wavefront6targetE0EEEvT1_.private_seg_size, 0
	.set _ZN7rocprim17ROCPRIM_400000_NS6detail17trampoline_kernelINS0_14default_configENS1_20scan_config_selectorIN3c104HalfEEEZZNS1_9scan_implILNS1_25lookback_scan_determinismE0ELb0ELb0ES3_PKS6_PS6_S6_ZZZN2at6native31launch_logcumsumexp_cuda_kernelERKNSD_10TensorBaseESH_lENKUlvE_clEvENKUlvE3_clEvEUlS6_S6_E_S6_EEDaPvRmT3_T4_T5_mT6_P12ihipStream_tbENKUlT_T0_E_clISt17integral_constantIbLb1EESX_IbLb0EEEEDaST_SU_EUlST_E_NS1_11comp_targetILNS1_3genE10ELNS1_11target_archE1201ELNS1_3gpuE5ELNS1_3repE0EEENS1_30default_config_static_selectorELNS0_4arch9wavefront6targetE0EEEvT1_.uses_vcc, 0
	.set _ZN7rocprim17ROCPRIM_400000_NS6detail17trampoline_kernelINS0_14default_configENS1_20scan_config_selectorIN3c104HalfEEEZZNS1_9scan_implILNS1_25lookback_scan_determinismE0ELb0ELb0ES3_PKS6_PS6_S6_ZZZN2at6native31launch_logcumsumexp_cuda_kernelERKNSD_10TensorBaseESH_lENKUlvE_clEvENKUlvE3_clEvEUlS6_S6_E_S6_EEDaPvRmT3_T4_T5_mT6_P12ihipStream_tbENKUlT_T0_E_clISt17integral_constantIbLb1EESX_IbLb0EEEEDaST_SU_EUlST_E_NS1_11comp_targetILNS1_3genE10ELNS1_11target_archE1201ELNS1_3gpuE5ELNS1_3repE0EEENS1_30default_config_static_selectorELNS0_4arch9wavefront6targetE0EEEvT1_.uses_flat_scratch, 0
	.set _ZN7rocprim17ROCPRIM_400000_NS6detail17trampoline_kernelINS0_14default_configENS1_20scan_config_selectorIN3c104HalfEEEZZNS1_9scan_implILNS1_25lookback_scan_determinismE0ELb0ELb0ES3_PKS6_PS6_S6_ZZZN2at6native31launch_logcumsumexp_cuda_kernelERKNSD_10TensorBaseESH_lENKUlvE_clEvENKUlvE3_clEvEUlS6_S6_E_S6_EEDaPvRmT3_T4_T5_mT6_P12ihipStream_tbENKUlT_T0_E_clISt17integral_constantIbLb1EESX_IbLb0EEEEDaST_SU_EUlST_E_NS1_11comp_targetILNS1_3genE10ELNS1_11target_archE1201ELNS1_3gpuE5ELNS1_3repE0EEENS1_30default_config_static_selectorELNS0_4arch9wavefront6targetE0EEEvT1_.has_dyn_sized_stack, 0
	.set _ZN7rocprim17ROCPRIM_400000_NS6detail17trampoline_kernelINS0_14default_configENS1_20scan_config_selectorIN3c104HalfEEEZZNS1_9scan_implILNS1_25lookback_scan_determinismE0ELb0ELb0ES3_PKS6_PS6_S6_ZZZN2at6native31launch_logcumsumexp_cuda_kernelERKNSD_10TensorBaseESH_lENKUlvE_clEvENKUlvE3_clEvEUlS6_S6_E_S6_EEDaPvRmT3_T4_T5_mT6_P12ihipStream_tbENKUlT_T0_E_clISt17integral_constantIbLb1EESX_IbLb0EEEEDaST_SU_EUlST_E_NS1_11comp_targetILNS1_3genE10ELNS1_11target_archE1201ELNS1_3gpuE5ELNS1_3repE0EEENS1_30default_config_static_selectorELNS0_4arch9wavefront6targetE0EEEvT1_.has_recursion, 0
	.set _ZN7rocprim17ROCPRIM_400000_NS6detail17trampoline_kernelINS0_14default_configENS1_20scan_config_selectorIN3c104HalfEEEZZNS1_9scan_implILNS1_25lookback_scan_determinismE0ELb0ELb0ES3_PKS6_PS6_S6_ZZZN2at6native31launch_logcumsumexp_cuda_kernelERKNSD_10TensorBaseESH_lENKUlvE_clEvENKUlvE3_clEvEUlS6_S6_E_S6_EEDaPvRmT3_T4_T5_mT6_P12ihipStream_tbENKUlT_T0_E_clISt17integral_constantIbLb1EESX_IbLb0EEEEDaST_SU_EUlST_E_NS1_11comp_targetILNS1_3genE10ELNS1_11target_archE1201ELNS1_3gpuE5ELNS1_3repE0EEENS1_30default_config_static_selectorELNS0_4arch9wavefront6targetE0EEEvT1_.has_indirect_call, 0
	.section	.AMDGPU.csdata,"",@progbits
; Kernel info:
; codeLenInByte = 4
; TotalNumSgprs: 0
; NumVgprs: 0
; ScratchSize: 0
; MemoryBound: 0
; FloatMode: 240
; IeeeMode: 1
; LDSByteSize: 0 bytes/workgroup (compile time only)
; SGPRBlocks: 0
; VGPRBlocks: 0
; NumSGPRsForWavesPerEU: 1
; NumVGPRsForWavesPerEU: 1
; Occupancy: 16
; WaveLimiterHint : 0
; COMPUTE_PGM_RSRC2:SCRATCH_EN: 0
; COMPUTE_PGM_RSRC2:USER_SGPR: 2
; COMPUTE_PGM_RSRC2:TRAP_HANDLER: 0
; COMPUTE_PGM_RSRC2:TGID_X_EN: 1
; COMPUTE_PGM_RSRC2:TGID_Y_EN: 0
; COMPUTE_PGM_RSRC2:TGID_Z_EN: 0
; COMPUTE_PGM_RSRC2:TIDIG_COMP_CNT: 0
	.section	.text._ZN7rocprim17ROCPRIM_400000_NS6detail17trampoline_kernelINS0_14default_configENS1_20scan_config_selectorIN3c104HalfEEEZZNS1_9scan_implILNS1_25lookback_scan_determinismE0ELb0ELb0ES3_PKS6_PS6_S6_ZZZN2at6native31launch_logcumsumexp_cuda_kernelERKNSD_10TensorBaseESH_lENKUlvE_clEvENKUlvE3_clEvEUlS6_S6_E_S6_EEDaPvRmT3_T4_T5_mT6_P12ihipStream_tbENKUlT_T0_E_clISt17integral_constantIbLb1EESX_IbLb0EEEEDaST_SU_EUlST_E_NS1_11comp_targetILNS1_3genE10ELNS1_11target_archE1200ELNS1_3gpuE4ELNS1_3repE0EEENS1_30default_config_static_selectorELNS0_4arch9wavefront6targetE0EEEvT1_,"axG",@progbits,_ZN7rocprim17ROCPRIM_400000_NS6detail17trampoline_kernelINS0_14default_configENS1_20scan_config_selectorIN3c104HalfEEEZZNS1_9scan_implILNS1_25lookback_scan_determinismE0ELb0ELb0ES3_PKS6_PS6_S6_ZZZN2at6native31launch_logcumsumexp_cuda_kernelERKNSD_10TensorBaseESH_lENKUlvE_clEvENKUlvE3_clEvEUlS6_S6_E_S6_EEDaPvRmT3_T4_T5_mT6_P12ihipStream_tbENKUlT_T0_E_clISt17integral_constantIbLb1EESX_IbLb0EEEEDaST_SU_EUlST_E_NS1_11comp_targetILNS1_3genE10ELNS1_11target_archE1200ELNS1_3gpuE4ELNS1_3repE0EEENS1_30default_config_static_selectorELNS0_4arch9wavefront6targetE0EEEvT1_,comdat
	.globl	_ZN7rocprim17ROCPRIM_400000_NS6detail17trampoline_kernelINS0_14default_configENS1_20scan_config_selectorIN3c104HalfEEEZZNS1_9scan_implILNS1_25lookback_scan_determinismE0ELb0ELb0ES3_PKS6_PS6_S6_ZZZN2at6native31launch_logcumsumexp_cuda_kernelERKNSD_10TensorBaseESH_lENKUlvE_clEvENKUlvE3_clEvEUlS6_S6_E_S6_EEDaPvRmT3_T4_T5_mT6_P12ihipStream_tbENKUlT_T0_E_clISt17integral_constantIbLb1EESX_IbLb0EEEEDaST_SU_EUlST_E_NS1_11comp_targetILNS1_3genE10ELNS1_11target_archE1200ELNS1_3gpuE4ELNS1_3repE0EEENS1_30default_config_static_selectorELNS0_4arch9wavefront6targetE0EEEvT1_ ; -- Begin function _ZN7rocprim17ROCPRIM_400000_NS6detail17trampoline_kernelINS0_14default_configENS1_20scan_config_selectorIN3c104HalfEEEZZNS1_9scan_implILNS1_25lookback_scan_determinismE0ELb0ELb0ES3_PKS6_PS6_S6_ZZZN2at6native31launch_logcumsumexp_cuda_kernelERKNSD_10TensorBaseESH_lENKUlvE_clEvENKUlvE3_clEvEUlS6_S6_E_S6_EEDaPvRmT3_T4_T5_mT6_P12ihipStream_tbENKUlT_T0_E_clISt17integral_constantIbLb1EESX_IbLb0EEEEDaST_SU_EUlST_E_NS1_11comp_targetILNS1_3genE10ELNS1_11target_archE1200ELNS1_3gpuE4ELNS1_3repE0EEENS1_30default_config_static_selectorELNS0_4arch9wavefront6targetE0EEEvT1_
	.p2align	8
	.type	_ZN7rocprim17ROCPRIM_400000_NS6detail17trampoline_kernelINS0_14default_configENS1_20scan_config_selectorIN3c104HalfEEEZZNS1_9scan_implILNS1_25lookback_scan_determinismE0ELb0ELb0ES3_PKS6_PS6_S6_ZZZN2at6native31launch_logcumsumexp_cuda_kernelERKNSD_10TensorBaseESH_lENKUlvE_clEvENKUlvE3_clEvEUlS6_S6_E_S6_EEDaPvRmT3_T4_T5_mT6_P12ihipStream_tbENKUlT_T0_E_clISt17integral_constantIbLb1EESX_IbLb0EEEEDaST_SU_EUlST_E_NS1_11comp_targetILNS1_3genE10ELNS1_11target_archE1200ELNS1_3gpuE4ELNS1_3repE0EEENS1_30default_config_static_selectorELNS0_4arch9wavefront6targetE0EEEvT1_,@function
_ZN7rocprim17ROCPRIM_400000_NS6detail17trampoline_kernelINS0_14default_configENS1_20scan_config_selectorIN3c104HalfEEEZZNS1_9scan_implILNS1_25lookback_scan_determinismE0ELb0ELb0ES3_PKS6_PS6_S6_ZZZN2at6native31launch_logcumsumexp_cuda_kernelERKNSD_10TensorBaseESH_lENKUlvE_clEvENKUlvE3_clEvEUlS6_S6_E_S6_EEDaPvRmT3_T4_T5_mT6_P12ihipStream_tbENKUlT_T0_E_clISt17integral_constantIbLb1EESX_IbLb0EEEEDaST_SU_EUlST_E_NS1_11comp_targetILNS1_3genE10ELNS1_11target_archE1200ELNS1_3gpuE4ELNS1_3repE0EEENS1_30default_config_static_selectorELNS0_4arch9wavefront6targetE0EEEvT1_: ; @_ZN7rocprim17ROCPRIM_400000_NS6detail17trampoline_kernelINS0_14default_configENS1_20scan_config_selectorIN3c104HalfEEEZZNS1_9scan_implILNS1_25lookback_scan_determinismE0ELb0ELb0ES3_PKS6_PS6_S6_ZZZN2at6native31launch_logcumsumexp_cuda_kernelERKNSD_10TensorBaseESH_lENKUlvE_clEvENKUlvE3_clEvEUlS6_S6_E_S6_EEDaPvRmT3_T4_T5_mT6_P12ihipStream_tbENKUlT_T0_E_clISt17integral_constantIbLb1EESX_IbLb0EEEEDaST_SU_EUlST_E_NS1_11comp_targetILNS1_3genE10ELNS1_11target_archE1200ELNS1_3gpuE4ELNS1_3repE0EEENS1_30default_config_static_selectorELNS0_4arch9wavefront6targetE0EEEvT1_
; %bb.0:
	.section	.rodata,"a",@progbits
	.p2align	6, 0x0
	.amdhsa_kernel _ZN7rocprim17ROCPRIM_400000_NS6detail17trampoline_kernelINS0_14default_configENS1_20scan_config_selectorIN3c104HalfEEEZZNS1_9scan_implILNS1_25lookback_scan_determinismE0ELb0ELb0ES3_PKS6_PS6_S6_ZZZN2at6native31launch_logcumsumexp_cuda_kernelERKNSD_10TensorBaseESH_lENKUlvE_clEvENKUlvE3_clEvEUlS6_S6_E_S6_EEDaPvRmT3_T4_T5_mT6_P12ihipStream_tbENKUlT_T0_E_clISt17integral_constantIbLb1EESX_IbLb0EEEEDaST_SU_EUlST_E_NS1_11comp_targetILNS1_3genE10ELNS1_11target_archE1200ELNS1_3gpuE4ELNS1_3repE0EEENS1_30default_config_static_selectorELNS0_4arch9wavefront6targetE0EEEvT1_
		.amdhsa_group_segment_fixed_size 0
		.amdhsa_private_segment_fixed_size 0
		.amdhsa_kernarg_size 96
		.amdhsa_user_sgpr_count 2
		.amdhsa_user_sgpr_dispatch_ptr 0
		.amdhsa_user_sgpr_queue_ptr 0
		.amdhsa_user_sgpr_kernarg_segment_ptr 1
		.amdhsa_user_sgpr_dispatch_id 0
		.amdhsa_user_sgpr_private_segment_size 0
		.amdhsa_wavefront_size32 1
		.amdhsa_uses_dynamic_stack 0
		.amdhsa_enable_private_segment 0
		.amdhsa_system_sgpr_workgroup_id_x 1
		.amdhsa_system_sgpr_workgroup_id_y 0
		.amdhsa_system_sgpr_workgroup_id_z 0
		.amdhsa_system_sgpr_workgroup_info 0
		.amdhsa_system_vgpr_workitem_id 0
		.amdhsa_next_free_vgpr 1
		.amdhsa_next_free_sgpr 1
		.amdhsa_reserve_vcc 0
		.amdhsa_float_round_mode_32 0
		.amdhsa_float_round_mode_16_64 0
		.amdhsa_float_denorm_mode_32 3
		.amdhsa_float_denorm_mode_16_64 3
		.amdhsa_fp16_overflow 0
		.amdhsa_workgroup_processor_mode 1
		.amdhsa_memory_ordered 1
		.amdhsa_forward_progress 1
		.amdhsa_inst_pref_size 0
		.amdhsa_round_robin_scheduling 0
		.amdhsa_exception_fp_ieee_invalid_op 0
		.amdhsa_exception_fp_denorm_src 0
		.amdhsa_exception_fp_ieee_div_zero 0
		.amdhsa_exception_fp_ieee_overflow 0
		.amdhsa_exception_fp_ieee_underflow 0
		.amdhsa_exception_fp_ieee_inexact 0
		.amdhsa_exception_int_div_zero 0
	.end_amdhsa_kernel
	.section	.text._ZN7rocprim17ROCPRIM_400000_NS6detail17trampoline_kernelINS0_14default_configENS1_20scan_config_selectorIN3c104HalfEEEZZNS1_9scan_implILNS1_25lookback_scan_determinismE0ELb0ELb0ES3_PKS6_PS6_S6_ZZZN2at6native31launch_logcumsumexp_cuda_kernelERKNSD_10TensorBaseESH_lENKUlvE_clEvENKUlvE3_clEvEUlS6_S6_E_S6_EEDaPvRmT3_T4_T5_mT6_P12ihipStream_tbENKUlT_T0_E_clISt17integral_constantIbLb1EESX_IbLb0EEEEDaST_SU_EUlST_E_NS1_11comp_targetILNS1_3genE10ELNS1_11target_archE1200ELNS1_3gpuE4ELNS1_3repE0EEENS1_30default_config_static_selectorELNS0_4arch9wavefront6targetE0EEEvT1_,"axG",@progbits,_ZN7rocprim17ROCPRIM_400000_NS6detail17trampoline_kernelINS0_14default_configENS1_20scan_config_selectorIN3c104HalfEEEZZNS1_9scan_implILNS1_25lookback_scan_determinismE0ELb0ELb0ES3_PKS6_PS6_S6_ZZZN2at6native31launch_logcumsumexp_cuda_kernelERKNSD_10TensorBaseESH_lENKUlvE_clEvENKUlvE3_clEvEUlS6_S6_E_S6_EEDaPvRmT3_T4_T5_mT6_P12ihipStream_tbENKUlT_T0_E_clISt17integral_constantIbLb1EESX_IbLb0EEEEDaST_SU_EUlST_E_NS1_11comp_targetILNS1_3genE10ELNS1_11target_archE1200ELNS1_3gpuE4ELNS1_3repE0EEENS1_30default_config_static_selectorELNS0_4arch9wavefront6targetE0EEEvT1_,comdat
.Lfunc_end403:
	.size	_ZN7rocprim17ROCPRIM_400000_NS6detail17trampoline_kernelINS0_14default_configENS1_20scan_config_selectorIN3c104HalfEEEZZNS1_9scan_implILNS1_25lookback_scan_determinismE0ELb0ELb0ES3_PKS6_PS6_S6_ZZZN2at6native31launch_logcumsumexp_cuda_kernelERKNSD_10TensorBaseESH_lENKUlvE_clEvENKUlvE3_clEvEUlS6_S6_E_S6_EEDaPvRmT3_T4_T5_mT6_P12ihipStream_tbENKUlT_T0_E_clISt17integral_constantIbLb1EESX_IbLb0EEEEDaST_SU_EUlST_E_NS1_11comp_targetILNS1_3genE10ELNS1_11target_archE1200ELNS1_3gpuE4ELNS1_3repE0EEENS1_30default_config_static_selectorELNS0_4arch9wavefront6targetE0EEEvT1_, .Lfunc_end403-_ZN7rocprim17ROCPRIM_400000_NS6detail17trampoline_kernelINS0_14default_configENS1_20scan_config_selectorIN3c104HalfEEEZZNS1_9scan_implILNS1_25lookback_scan_determinismE0ELb0ELb0ES3_PKS6_PS6_S6_ZZZN2at6native31launch_logcumsumexp_cuda_kernelERKNSD_10TensorBaseESH_lENKUlvE_clEvENKUlvE3_clEvEUlS6_S6_E_S6_EEDaPvRmT3_T4_T5_mT6_P12ihipStream_tbENKUlT_T0_E_clISt17integral_constantIbLb1EESX_IbLb0EEEEDaST_SU_EUlST_E_NS1_11comp_targetILNS1_3genE10ELNS1_11target_archE1200ELNS1_3gpuE4ELNS1_3repE0EEENS1_30default_config_static_selectorELNS0_4arch9wavefront6targetE0EEEvT1_
                                        ; -- End function
	.set _ZN7rocprim17ROCPRIM_400000_NS6detail17trampoline_kernelINS0_14default_configENS1_20scan_config_selectorIN3c104HalfEEEZZNS1_9scan_implILNS1_25lookback_scan_determinismE0ELb0ELb0ES3_PKS6_PS6_S6_ZZZN2at6native31launch_logcumsumexp_cuda_kernelERKNSD_10TensorBaseESH_lENKUlvE_clEvENKUlvE3_clEvEUlS6_S6_E_S6_EEDaPvRmT3_T4_T5_mT6_P12ihipStream_tbENKUlT_T0_E_clISt17integral_constantIbLb1EESX_IbLb0EEEEDaST_SU_EUlST_E_NS1_11comp_targetILNS1_3genE10ELNS1_11target_archE1200ELNS1_3gpuE4ELNS1_3repE0EEENS1_30default_config_static_selectorELNS0_4arch9wavefront6targetE0EEEvT1_.num_vgpr, 0
	.set _ZN7rocprim17ROCPRIM_400000_NS6detail17trampoline_kernelINS0_14default_configENS1_20scan_config_selectorIN3c104HalfEEEZZNS1_9scan_implILNS1_25lookback_scan_determinismE0ELb0ELb0ES3_PKS6_PS6_S6_ZZZN2at6native31launch_logcumsumexp_cuda_kernelERKNSD_10TensorBaseESH_lENKUlvE_clEvENKUlvE3_clEvEUlS6_S6_E_S6_EEDaPvRmT3_T4_T5_mT6_P12ihipStream_tbENKUlT_T0_E_clISt17integral_constantIbLb1EESX_IbLb0EEEEDaST_SU_EUlST_E_NS1_11comp_targetILNS1_3genE10ELNS1_11target_archE1200ELNS1_3gpuE4ELNS1_3repE0EEENS1_30default_config_static_selectorELNS0_4arch9wavefront6targetE0EEEvT1_.num_agpr, 0
	.set _ZN7rocprim17ROCPRIM_400000_NS6detail17trampoline_kernelINS0_14default_configENS1_20scan_config_selectorIN3c104HalfEEEZZNS1_9scan_implILNS1_25lookback_scan_determinismE0ELb0ELb0ES3_PKS6_PS6_S6_ZZZN2at6native31launch_logcumsumexp_cuda_kernelERKNSD_10TensorBaseESH_lENKUlvE_clEvENKUlvE3_clEvEUlS6_S6_E_S6_EEDaPvRmT3_T4_T5_mT6_P12ihipStream_tbENKUlT_T0_E_clISt17integral_constantIbLb1EESX_IbLb0EEEEDaST_SU_EUlST_E_NS1_11comp_targetILNS1_3genE10ELNS1_11target_archE1200ELNS1_3gpuE4ELNS1_3repE0EEENS1_30default_config_static_selectorELNS0_4arch9wavefront6targetE0EEEvT1_.numbered_sgpr, 0
	.set _ZN7rocprim17ROCPRIM_400000_NS6detail17trampoline_kernelINS0_14default_configENS1_20scan_config_selectorIN3c104HalfEEEZZNS1_9scan_implILNS1_25lookback_scan_determinismE0ELb0ELb0ES3_PKS6_PS6_S6_ZZZN2at6native31launch_logcumsumexp_cuda_kernelERKNSD_10TensorBaseESH_lENKUlvE_clEvENKUlvE3_clEvEUlS6_S6_E_S6_EEDaPvRmT3_T4_T5_mT6_P12ihipStream_tbENKUlT_T0_E_clISt17integral_constantIbLb1EESX_IbLb0EEEEDaST_SU_EUlST_E_NS1_11comp_targetILNS1_3genE10ELNS1_11target_archE1200ELNS1_3gpuE4ELNS1_3repE0EEENS1_30default_config_static_selectorELNS0_4arch9wavefront6targetE0EEEvT1_.num_named_barrier, 0
	.set _ZN7rocprim17ROCPRIM_400000_NS6detail17trampoline_kernelINS0_14default_configENS1_20scan_config_selectorIN3c104HalfEEEZZNS1_9scan_implILNS1_25lookback_scan_determinismE0ELb0ELb0ES3_PKS6_PS6_S6_ZZZN2at6native31launch_logcumsumexp_cuda_kernelERKNSD_10TensorBaseESH_lENKUlvE_clEvENKUlvE3_clEvEUlS6_S6_E_S6_EEDaPvRmT3_T4_T5_mT6_P12ihipStream_tbENKUlT_T0_E_clISt17integral_constantIbLb1EESX_IbLb0EEEEDaST_SU_EUlST_E_NS1_11comp_targetILNS1_3genE10ELNS1_11target_archE1200ELNS1_3gpuE4ELNS1_3repE0EEENS1_30default_config_static_selectorELNS0_4arch9wavefront6targetE0EEEvT1_.private_seg_size, 0
	.set _ZN7rocprim17ROCPRIM_400000_NS6detail17trampoline_kernelINS0_14default_configENS1_20scan_config_selectorIN3c104HalfEEEZZNS1_9scan_implILNS1_25lookback_scan_determinismE0ELb0ELb0ES3_PKS6_PS6_S6_ZZZN2at6native31launch_logcumsumexp_cuda_kernelERKNSD_10TensorBaseESH_lENKUlvE_clEvENKUlvE3_clEvEUlS6_S6_E_S6_EEDaPvRmT3_T4_T5_mT6_P12ihipStream_tbENKUlT_T0_E_clISt17integral_constantIbLb1EESX_IbLb0EEEEDaST_SU_EUlST_E_NS1_11comp_targetILNS1_3genE10ELNS1_11target_archE1200ELNS1_3gpuE4ELNS1_3repE0EEENS1_30default_config_static_selectorELNS0_4arch9wavefront6targetE0EEEvT1_.uses_vcc, 0
	.set _ZN7rocprim17ROCPRIM_400000_NS6detail17trampoline_kernelINS0_14default_configENS1_20scan_config_selectorIN3c104HalfEEEZZNS1_9scan_implILNS1_25lookback_scan_determinismE0ELb0ELb0ES3_PKS6_PS6_S6_ZZZN2at6native31launch_logcumsumexp_cuda_kernelERKNSD_10TensorBaseESH_lENKUlvE_clEvENKUlvE3_clEvEUlS6_S6_E_S6_EEDaPvRmT3_T4_T5_mT6_P12ihipStream_tbENKUlT_T0_E_clISt17integral_constantIbLb1EESX_IbLb0EEEEDaST_SU_EUlST_E_NS1_11comp_targetILNS1_3genE10ELNS1_11target_archE1200ELNS1_3gpuE4ELNS1_3repE0EEENS1_30default_config_static_selectorELNS0_4arch9wavefront6targetE0EEEvT1_.uses_flat_scratch, 0
	.set _ZN7rocprim17ROCPRIM_400000_NS6detail17trampoline_kernelINS0_14default_configENS1_20scan_config_selectorIN3c104HalfEEEZZNS1_9scan_implILNS1_25lookback_scan_determinismE0ELb0ELb0ES3_PKS6_PS6_S6_ZZZN2at6native31launch_logcumsumexp_cuda_kernelERKNSD_10TensorBaseESH_lENKUlvE_clEvENKUlvE3_clEvEUlS6_S6_E_S6_EEDaPvRmT3_T4_T5_mT6_P12ihipStream_tbENKUlT_T0_E_clISt17integral_constantIbLb1EESX_IbLb0EEEEDaST_SU_EUlST_E_NS1_11comp_targetILNS1_3genE10ELNS1_11target_archE1200ELNS1_3gpuE4ELNS1_3repE0EEENS1_30default_config_static_selectorELNS0_4arch9wavefront6targetE0EEEvT1_.has_dyn_sized_stack, 0
	.set _ZN7rocprim17ROCPRIM_400000_NS6detail17trampoline_kernelINS0_14default_configENS1_20scan_config_selectorIN3c104HalfEEEZZNS1_9scan_implILNS1_25lookback_scan_determinismE0ELb0ELb0ES3_PKS6_PS6_S6_ZZZN2at6native31launch_logcumsumexp_cuda_kernelERKNSD_10TensorBaseESH_lENKUlvE_clEvENKUlvE3_clEvEUlS6_S6_E_S6_EEDaPvRmT3_T4_T5_mT6_P12ihipStream_tbENKUlT_T0_E_clISt17integral_constantIbLb1EESX_IbLb0EEEEDaST_SU_EUlST_E_NS1_11comp_targetILNS1_3genE10ELNS1_11target_archE1200ELNS1_3gpuE4ELNS1_3repE0EEENS1_30default_config_static_selectorELNS0_4arch9wavefront6targetE0EEEvT1_.has_recursion, 0
	.set _ZN7rocprim17ROCPRIM_400000_NS6detail17trampoline_kernelINS0_14default_configENS1_20scan_config_selectorIN3c104HalfEEEZZNS1_9scan_implILNS1_25lookback_scan_determinismE0ELb0ELb0ES3_PKS6_PS6_S6_ZZZN2at6native31launch_logcumsumexp_cuda_kernelERKNSD_10TensorBaseESH_lENKUlvE_clEvENKUlvE3_clEvEUlS6_S6_E_S6_EEDaPvRmT3_T4_T5_mT6_P12ihipStream_tbENKUlT_T0_E_clISt17integral_constantIbLb1EESX_IbLb0EEEEDaST_SU_EUlST_E_NS1_11comp_targetILNS1_3genE10ELNS1_11target_archE1200ELNS1_3gpuE4ELNS1_3repE0EEENS1_30default_config_static_selectorELNS0_4arch9wavefront6targetE0EEEvT1_.has_indirect_call, 0
	.section	.AMDGPU.csdata,"",@progbits
; Kernel info:
; codeLenInByte = 0
; TotalNumSgprs: 0
; NumVgprs: 0
; ScratchSize: 0
; MemoryBound: 0
; FloatMode: 240
; IeeeMode: 1
; LDSByteSize: 0 bytes/workgroup (compile time only)
; SGPRBlocks: 0
; VGPRBlocks: 0
; NumSGPRsForWavesPerEU: 1
; NumVGPRsForWavesPerEU: 1
; Occupancy: 16
; WaveLimiterHint : 0
; COMPUTE_PGM_RSRC2:SCRATCH_EN: 0
; COMPUTE_PGM_RSRC2:USER_SGPR: 2
; COMPUTE_PGM_RSRC2:TRAP_HANDLER: 0
; COMPUTE_PGM_RSRC2:TGID_X_EN: 1
; COMPUTE_PGM_RSRC2:TGID_Y_EN: 0
; COMPUTE_PGM_RSRC2:TGID_Z_EN: 0
; COMPUTE_PGM_RSRC2:TIDIG_COMP_CNT: 0
	.section	.text._ZN7rocprim17ROCPRIM_400000_NS6detail17trampoline_kernelINS0_14default_configENS1_20scan_config_selectorIN3c104HalfEEEZZNS1_9scan_implILNS1_25lookback_scan_determinismE0ELb0ELb0ES3_PKS6_PS6_S6_ZZZN2at6native31launch_logcumsumexp_cuda_kernelERKNSD_10TensorBaseESH_lENKUlvE_clEvENKUlvE3_clEvEUlS6_S6_E_S6_EEDaPvRmT3_T4_T5_mT6_P12ihipStream_tbENKUlT_T0_E_clISt17integral_constantIbLb1EESX_IbLb0EEEEDaST_SU_EUlST_E_NS1_11comp_targetILNS1_3genE9ELNS1_11target_archE1100ELNS1_3gpuE3ELNS1_3repE0EEENS1_30default_config_static_selectorELNS0_4arch9wavefront6targetE0EEEvT1_,"axG",@progbits,_ZN7rocprim17ROCPRIM_400000_NS6detail17trampoline_kernelINS0_14default_configENS1_20scan_config_selectorIN3c104HalfEEEZZNS1_9scan_implILNS1_25lookback_scan_determinismE0ELb0ELb0ES3_PKS6_PS6_S6_ZZZN2at6native31launch_logcumsumexp_cuda_kernelERKNSD_10TensorBaseESH_lENKUlvE_clEvENKUlvE3_clEvEUlS6_S6_E_S6_EEDaPvRmT3_T4_T5_mT6_P12ihipStream_tbENKUlT_T0_E_clISt17integral_constantIbLb1EESX_IbLb0EEEEDaST_SU_EUlST_E_NS1_11comp_targetILNS1_3genE9ELNS1_11target_archE1100ELNS1_3gpuE3ELNS1_3repE0EEENS1_30default_config_static_selectorELNS0_4arch9wavefront6targetE0EEEvT1_,comdat
	.globl	_ZN7rocprim17ROCPRIM_400000_NS6detail17trampoline_kernelINS0_14default_configENS1_20scan_config_selectorIN3c104HalfEEEZZNS1_9scan_implILNS1_25lookback_scan_determinismE0ELb0ELb0ES3_PKS6_PS6_S6_ZZZN2at6native31launch_logcumsumexp_cuda_kernelERKNSD_10TensorBaseESH_lENKUlvE_clEvENKUlvE3_clEvEUlS6_S6_E_S6_EEDaPvRmT3_T4_T5_mT6_P12ihipStream_tbENKUlT_T0_E_clISt17integral_constantIbLb1EESX_IbLb0EEEEDaST_SU_EUlST_E_NS1_11comp_targetILNS1_3genE9ELNS1_11target_archE1100ELNS1_3gpuE3ELNS1_3repE0EEENS1_30default_config_static_selectorELNS0_4arch9wavefront6targetE0EEEvT1_ ; -- Begin function _ZN7rocprim17ROCPRIM_400000_NS6detail17trampoline_kernelINS0_14default_configENS1_20scan_config_selectorIN3c104HalfEEEZZNS1_9scan_implILNS1_25lookback_scan_determinismE0ELb0ELb0ES3_PKS6_PS6_S6_ZZZN2at6native31launch_logcumsumexp_cuda_kernelERKNSD_10TensorBaseESH_lENKUlvE_clEvENKUlvE3_clEvEUlS6_S6_E_S6_EEDaPvRmT3_T4_T5_mT6_P12ihipStream_tbENKUlT_T0_E_clISt17integral_constantIbLb1EESX_IbLb0EEEEDaST_SU_EUlST_E_NS1_11comp_targetILNS1_3genE9ELNS1_11target_archE1100ELNS1_3gpuE3ELNS1_3repE0EEENS1_30default_config_static_selectorELNS0_4arch9wavefront6targetE0EEEvT1_
	.p2align	8
	.type	_ZN7rocprim17ROCPRIM_400000_NS6detail17trampoline_kernelINS0_14default_configENS1_20scan_config_selectorIN3c104HalfEEEZZNS1_9scan_implILNS1_25lookback_scan_determinismE0ELb0ELb0ES3_PKS6_PS6_S6_ZZZN2at6native31launch_logcumsumexp_cuda_kernelERKNSD_10TensorBaseESH_lENKUlvE_clEvENKUlvE3_clEvEUlS6_S6_E_S6_EEDaPvRmT3_T4_T5_mT6_P12ihipStream_tbENKUlT_T0_E_clISt17integral_constantIbLb1EESX_IbLb0EEEEDaST_SU_EUlST_E_NS1_11comp_targetILNS1_3genE9ELNS1_11target_archE1100ELNS1_3gpuE3ELNS1_3repE0EEENS1_30default_config_static_selectorELNS0_4arch9wavefront6targetE0EEEvT1_,@function
_ZN7rocprim17ROCPRIM_400000_NS6detail17trampoline_kernelINS0_14default_configENS1_20scan_config_selectorIN3c104HalfEEEZZNS1_9scan_implILNS1_25lookback_scan_determinismE0ELb0ELb0ES3_PKS6_PS6_S6_ZZZN2at6native31launch_logcumsumexp_cuda_kernelERKNSD_10TensorBaseESH_lENKUlvE_clEvENKUlvE3_clEvEUlS6_S6_E_S6_EEDaPvRmT3_T4_T5_mT6_P12ihipStream_tbENKUlT_T0_E_clISt17integral_constantIbLb1EESX_IbLb0EEEEDaST_SU_EUlST_E_NS1_11comp_targetILNS1_3genE9ELNS1_11target_archE1100ELNS1_3gpuE3ELNS1_3repE0EEENS1_30default_config_static_selectorELNS0_4arch9wavefront6targetE0EEEvT1_: ; @_ZN7rocprim17ROCPRIM_400000_NS6detail17trampoline_kernelINS0_14default_configENS1_20scan_config_selectorIN3c104HalfEEEZZNS1_9scan_implILNS1_25lookback_scan_determinismE0ELb0ELb0ES3_PKS6_PS6_S6_ZZZN2at6native31launch_logcumsumexp_cuda_kernelERKNSD_10TensorBaseESH_lENKUlvE_clEvENKUlvE3_clEvEUlS6_S6_E_S6_EEDaPvRmT3_T4_T5_mT6_P12ihipStream_tbENKUlT_T0_E_clISt17integral_constantIbLb1EESX_IbLb0EEEEDaST_SU_EUlST_E_NS1_11comp_targetILNS1_3genE9ELNS1_11target_archE1100ELNS1_3gpuE3ELNS1_3repE0EEENS1_30default_config_static_selectorELNS0_4arch9wavefront6targetE0EEEvT1_
; %bb.0:
	.section	.rodata,"a",@progbits
	.p2align	6, 0x0
	.amdhsa_kernel _ZN7rocprim17ROCPRIM_400000_NS6detail17trampoline_kernelINS0_14default_configENS1_20scan_config_selectorIN3c104HalfEEEZZNS1_9scan_implILNS1_25lookback_scan_determinismE0ELb0ELb0ES3_PKS6_PS6_S6_ZZZN2at6native31launch_logcumsumexp_cuda_kernelERKNSD_10TensorBaseESH_lENKUlvE_clEvENKUlvE3_clEvEUlS6_S6_E_S6_EEDaPvRmT3_T4_T5_mT6_P12ihipStream_tbENKUlT_T0_E_clISt17integral_constantIbLb1EESX_IbLb0EEEEDaST_SU_EUlST_E_NS1_11comp_targetILNS1_3genE9ELNS1_11target_archE1100ELNS1_3gpuE3ELNS1_3repE0EEENS1_30default_config_static_selectorELNS0_4arch9wavefront6targetE0EEEvT1_
		.amdhsa_group_segment_fixed_size 0
		.amdhsa_private_segment_fixed_size 0
		.amdhsa_kernarg_size 96
		.amdhsa_user_sgpr_count 2
		.amdhsa_user_sgpr_dispatch_ptr 0
		.amdhsa_user_sgpr_queue_ptr 0
		.amdhsa_user_sgpr_kernarg_segment_ptr 1
		.amdhsa_user_sgpr_dispatch_id 0
		.amdhsa_user_sgpr_private_segment_size 0
		.amdhsa_wavefront_size32 1
		.amdhsa_uses_dynamic_stack 0
		.amdhsa_enable_private_segment 0
		.amdhsa_system_sgpr_workgroup_id_x 1
		.amdhsa_system_sgpr_workgroup_id_y 0
		.amdhsa_system_sgpr_workgroup_id_z 0
		.amdhsa_system_sgpr_workgroup_info 0
		.amdhsa_system_vgpr_workitem_id 0
		.amdhsa_next_free_vgpr 1
		.amdhsa_next_free_sgpr 1
		.amdhsa_reserve_vcc 0
		.amdhsa_float_round_mode_32 0
		.amdhsa_float_round_mode_16_64 0
		.amdhsa_float_denorm_mode_32 3
		.amdhsa_float_denorm_mode_16_64 3
		.amdhsa_fp16_overflow 0
		.amdhsa_workgroup_processor_mode 1
		.amdhsa_memory_ordered 1
		.amdhsa_forward_progress 1
		.amdhsa_inst_pref_size 0
		.amdhsa_round_robin_scheduling 0
		.amdhsa_exception_fp_ieee_invalid_op 0
		.amdhsa_exception_fp_denorm_src 0
		.amdhsa_exception_fp_ieee_div_zero 0
		.amdhsa_exception_fp_ieee_overflow 0
		.amdhsa_exception_fp_ieee_underflow 0
		.amdhsa_exception_fp_ieee_inexact 0
		.amdhsa_exception_int_div_zero 0
	.end_amdhsa_kernel
	.section	.text._ZN7rocprim17ROCPRIM_400000_NS6detail17trampoline_kernelINS0_14default_configENS1_20scan_config_selectorIN3c104HalfEEEZZNS1_9scan_implILNS1_25lookback_scan_determinismE0ELb0ELb0ES3_PKS6_PS6_S6_ZZZN2at6native31launch_logcumsumexp_cuda_kernelERKNSD_10TensorBaseESH_lENKUlvE_clEvENKUlvE3_clEvEUlS6_S6_E_S6_EEDaPvRmT3_T4_T5_mT6_P12ihipStream_tbENKUlT_T0_E_clISt17integral_constantIbLb1EESX_IbLb0EEEEDaST_SU_EUlST_E_NS1_11comp_targetILNS1_3genE9ELNS1_11target_archE1100ELNS1_3gpuE3ELNS1_3repE0EEENS1_30default_config_static_selectorELNS0_4arch9wavefront6targetE0EEEvT1_,"axG",@progbits,_ZN7rocprim17ROCPRIM_400000_NS6detail17trampoline_kernelINS0_14default_configENS1_20scan_config_selectorIN3c104HalfEEEZZNS1_9scan_implILNS1_25lookback_scan_determinismE0ELb0ELb0ES3_PKS6_PS6_S6_ZZZN2at6native31launch_logcumsumexp_cuda_kernelERKNSD_10TensorBaseESH_lENKUlvE_clEvENKUlvE3_clEvEUlS6_S6_E_S6_EEDaPvRmT3_T4_T5_mT6_P12ihipStream_tbENKUlT_T0_E_clISt17integral_constantIbLb1EESX_IbLb0EEEEDaST_SU_EUlST_E_NS1_11comp_targetILNS1_3genE9ELNS1_11target_archE1100ELNS1_3gpuE3ELNS1_3repE0EEENS1_30default_config_static_selectorELNS0_4arch9wavefront6targetE0EEEvT1_,comdat
.Lfunc_end404:
	.size	_ZN7rocprim17ROCPRIM_400000_NS6detail17trampoline_kernelINS0_14default_configENS1_20scan_config_selectorIN3c104HalfEEEZZNS1_9scan_implILNS1_25lookback_scan_determinismE0ELb0ELb0ES3_PKS6_PS6_S6_ZZZN2at6native31launch_logcumsumexp_cuda_kernelERKNSD_10TensorBaseESH_lENKUlvE_clEvENKUlvE3_clEvEUlS6_S6_E_S6_EEDaPvRmT3_T4_T5_mT6_P12ihipStream_tbENKUlT_T0_E_clISt17integral_constantIbLb1EESX_IbLb0EEEEDaST_SU_EUlST_E_NS1_11comp_targetILNS1_3genE9ELNS1_11target_archE1100ELNS1_3gpuE3ELNS1_3repE0EEENS1_30default_config_static_selectorELNS0_4arch9wavefront6targetE0EEEvT1_, .Lfunc_end404-_ZN7rocprim17ROCPRIM_400000_NS6detail17trampoline_kernelINS0_14default_configENS1_20scan_config_selectorIN3c104HalfEEEZZNS1_9scan_implILNS1_25lookback_scan_determinismE0ELb0ELb0ES3_PKS6_PS6_S6_ZZZN2at6native31launch_logcumsumexp_cuda_kernelERKNSD_10TensorBaseESH_lENKUlvE_clEvENKUlvE3_clEvEUlS6_S6_E_S6_EEDaPvRmT3_T4_T5_mT6_P12ihipStream_tbENKUlT_T0_E_clISt17integral_constantIbLb1EESX_IbLb0EEEEDaST_SU_EUlST_E_NS1_11comp_targetILNS1_3genE9ELNS1_11target_archE1100ELNS1_3gpuE3ELNS1_3repE0EEENS1_30default_config_static_selectorELNS0_4arch9wavefront6targetE0EEEvT1_
                                        ; -- End function
	.set _ZN7rocprim17ROCPRIM_400000_NS6detail17trampoline_kernelINS0_14default_configENS1_20scan_config_selectorIN3c104HalfEEEZZNS1_9scan_implILNS1_25lookback_scan_determinismE0ELb0ELb0ES3_PKS6_PS6_S6_ZZZN2at6native31launch_logcumsumexp_cuda_kernelERKNSD_10TensorBaseESH_lENKUlvE_clEvENKUlvE3_clEvEUlS6_S6_E_S6_EEDaPvRmT3_T4_T5_mT6_P12ihipStream_tbENKUlT_T0_E_clISt17integral_constantIbLb1EESX_IbLb0EEEEDaST_SU_EUlST_E_NS1_11comp_targetILNS1_3genE9ELNS1_11target_archE1100ELNS1_3gpuE3ELNS1_3repE0EEENS1_30default_config_static_selectorELNS0_4arch9wavefront6targetE0EEEvT1_.num_vgpr, 0
	.set _ZN7rocprim17ROCPRIM_400000_NS6detail17trampoline_kernelINS0_14default_configENS1_20scan_config_selectorIN3c104HalfEEEZZNS1_9scan_implILNS1_25lookback_scan_determinismE0ELb0ELb0ES3_PKS6_PS6_S6_ZZZN2at6native31launch_logcumsumexp_cuda_kernelERKNSD_10TensorBaseESH_lENKUlvE_clEvENKUlvE3_clEvEUlS6_S6_E_S6_EEDaPvRmT3_T4_T5_mT6_P12ihipStream_tbENKUlT_T0_E_clISt17integral_constantIbLb1EESX_IbLb0EEEEDaST_SU_EUlST_E_NS1_11comp_targetILNS1_3genE9ELNS1_11target_archE1100ELNS1_3gpuE3ELNS1_3repE0EEENS1_30default_config_static_selectorELNS0_4arch9wavefront6targetE0EEEvT1_.num_agpr, 0
	.set _ZN7rocprim17ROCPRIM_400000_NS6detail17trampoline_kernelINS0_14default_configENS1_20scan_config_selectorIN3c104HalfEEEZZNS1_9scan_implILNS1_25lookback_scan_determinismE0ELb0ELb0ES3_PKS6_PS6_S6_ZZZN2at6native31launch_logcumsumexp_cuda_kernelERKNSD_10TensorBaseESH_lENKUlvE_clEvENKUlvE3_clEvEUlS6_S6_E_S6_EEDaPvRmT3_T4_T5_mT6_P12ihipStream_tbENKUlT_T0_E_clISt17integral_constantIbLb1EESX_IbLb0EEEEDaST_SU_EUlST_E_NS1_11comp_targetILNS1_3genE9ELNS1_11target_archE1100ELNS1_3gpuE3ELNS1_3repE0EEENS1_30default_config_static_selectorELNS0_4arch9wavefront6targetE0EEEvT1_.numbered_sgpr, 0
	.set _ZN7rocprim17ROCPRIM_400000_NS6detail17trampoline_kernelINS0_14default_configENS1_20scan_config_selectorIN3c104HalfEEEZZNS1_9scan_implILNS1_25lookback_scan_determinismE0ELb0ELb0ES3_PKS6_PS6_S6_ZZZN2at6native31launch_logcumsumexp_cuda_kernelERKNSD_10TensorBaseESH_lENKUlvE_clEvENKUlvE3_clEvEUlS6_S6_E_S6_EEDaPvRmT3_T4_T5_mT6_P12ihipStream_tbENKUlT_T0_E_clISt17integral_constantIbLb1EESX_IbLb0EEEEDaST_SU_EUlST_E_NS1_11comp_targetILNS1_3genE9ELNS1_11target_archE1100ELNS1_3gpuE3ELNS1_3repE0EEENS1_30default_config_static_selectorELNS0_4arch9wavefront6targetE0EEEvT1_.num_named_barrier, 0
	.set _ZN7rocprim17ROCPRIM_400000_NS6detail17trampoline_kernelINS0_14default_configENS1_20scan_config_selectorIN3c104HalfEEEZZNS1_9scan_implILNS1_25lookback_scan_determinismE0ELb0ELb0ES3_PKS6_PS6_S6_ZZZN2at6native31launch_logcumsumexp_cuda_kernelERKNSD_10TensorBaseESH_lENKUlvE_clEvENKUlvE3_clEvEUlS6_S6_E_S6_EEDaPvRmT3_T4_T5_mT6_P12ihipStream_tbENKUlT_T0_E_clISt17integral_constantIbLb1EESX_IbLb0EEEEDaST_SU_EUlST_E_NS1_11comp_targetILNS1_3genE9ELNS1_11target_archE1100ELNS1_3gpuE3ELNS1_3repE0EEENS1_30default_config_static_selectorELNS0_4arch9wavefront6targetE0EEEvT1_.private_seg_size, 0
	.set _ZN7rocprim17ROCPRIM_400000_NS6detail17trampoline_kernelINS0_14default_configENS1_20scan_config_selectorIN3c104HalfEEEZZNS1_9scan_implILNS1_25lookback_scan_determinismE0ELb0ELb0ES3_PKS6_PS6_S6_ZZZN2at6native31launch_logcumsumexp_cuda_kernelERKNSD_10TensorBaseESH_lENKUlvE_clEvENKUlvE3_clEvEUlS6_S6_E_S6_EEDaPvRmT3_T4_T5_mT6_P12ihipStream_tbENKUlT_T0_E_clISt17integral_constantIbLb1EESX_IbLb0EEEEDaST_SU_EUlST_E_NS1_11comp_targetILNS1_3genE9ELNS1_11target_archE1100ELNS1_3gpuE3ELNS1_3repE0EEENS1_30default_config_static_selectorELNS0_4arch9wavefront6targetE0EEEvT1_.uses_vcc, 0
	.set _ZN7rocprim17ROCPRIM_400000_NS6detail17trampoline_kernelINS0_14default_configENS1_20scan_config_selectorIN3c104HalfEEEZZNS1_9scan_implILNS1_25lookback_scan_determinismE0ELb0ELb0ES3_PKS6_PS6_S6_ZZZN2at6native31launch_logcumsumexp_cuda_kernelERKNSD_10TensorBaseESH_lENKUlvE_clEvENKUlvE3_clEvEUlS6_S6_E_S6_EEDaPvRmT3_T4_T5_mT6_P12ihipStream_tbENKUlT_T0_E_clISt17integral_constantIbLb1EESX_IbLb0EEEEDaST_SU_EUlST_E_NS1_11comp_targetILNS1_3genE9ELNS1_11target_archE1100ELNS1_3gpuE3ELNS1_3repE0EEENS1_30default_config_static_selectorELNS0_4arch9wavefront6targetE0EEEvT1_.uses_flat_scratch, 0
	.set _ZN7rocprim17ROCPRIM_400000_NS6detail17trampoline_kernelINS0_14default_configENS1_20scan_config_selectorIN3c104HalfEEEZZNS1_9scan_implILNS1_25lookback_scan_determinismE0ELb0ELb0ES3_PKS6_PS6_S6_ZZZN2at6native31launch_logcumsumexp_cuda_kernelERKNSD_10TensorBaseESH_lENKUlvE_clEvENKUlvE3_clEvEUlS6_S6_E_S6_EEDaPvRmT3_T4_T5_mT6_P12ihipStream_tbENKUlT_T0_E_clISt17integral_constantIbLb1EESX_IbLb0EEEEDaST_SU_EUlST_E_NS1_11comp_targetILNS1_3genE9ELNS1_11target_archE1100ELNS1_3gpuE3ELNS1_3repE0EEENS1_30default_config_static_selectorELNS0_4arch9wavefront6targetE0EEEvT1_.has_dyn_sized_stack, 0
	.set _ZN7rocprim17ROCPRIM_400000_NS6detail17trampoline_kernelINS0_14default_configENS1_20scan_config_selectorIN3c104HalfEEEZZNS1_9scan_implILNS1_25lookback_scan_determinismE0ELb0ELb0ES3_PKS6_PS6_S6_ZZZN2at6native31launch_logcumsumexp_cuda_kernelERKNSD_10TensorBaseESH_lENKUlvE_clEvENKUlvE3_clEvEUlS6_S6_E_S6_EEDaPvRmT3_T4_T5_mT6_P12ihipStream_tbENKUlT_T0_E_clISt17integral_constantIbLb1EESX_IbLb0EEEEDaST_SU_EUlST_E_NS1_11comp_targetILNS1_3genE9ELNS1_11target_archE1100ELNS1_3gpuE3ELNS1_3repE0EEENS1_30default_config_static_selectorELNS0_4arch9wavefront6targetE0EEEvT1_.has_recursion, 0
	.set _ZN7rocprim17ROCPRIM_400000_NS6detail17trampoline_kernelINS0_14default_configENS1_20scan_config_selectorIN3c104HalfEEEZZNS1_9scan_implILNS1_25lookback_scan_determinismE0ELb0ELb0ES3_PKS6_PS6_S6_ZZZN2at6native31launch_logcumsumexp_cuda_kernelERKNSD_10TensorBaseESH_lENKUlvE_clEvENKUlvE3_clEvEUlS6_S6_E_S6_EEDaPvRmT3_T4_T5_mT6_P12ihipStream_tbENKUlT_T0_E_clISt17integral_constantIbLb1EESX_IbLb0EEEEDaST_SU_EUlST_E_NS1_11comp_targetILNS1_3genE9ELNS1_11target_archE1100ELNS1_3gpuE3ELNS1_3repE0EEENS1_30default_config_static_selectorELNS0_4arch9wavefront6targetE0EEEvT1_.has_indirect_call, 0
	.section	.AMDGPU.csdata,"",@progbits
; Kernel info:
; codeLenInByte = 0
; TotalNumSgprs: 0
; NumVgprs: 0
; ScratchSize: 0
; MemoryBound: 0
; FloatMode: 240
; IeeeMode: 1
; LDSByteSize: 0 bytes/workgroup (compile time only)
; SGPRBlocks: 0
; VGPRBlocks: 0
; NumSGPRsForWavesPerEU: 1
; NumVGPRsForWavesPerEU: 1
; Occupancy: 16
; WaveLimiterHint : 0
; COMPUTE_PGM_RSRC2:SCRATCH_EN: 0
; COMPUTE_PGM_RSRC2:USER_SGPR: 2
; COMPUTE_PGM_RSRC2:TRAP_HANDLER: 0
; COMPUTE_PGM_RSRC2:TGID_X_EN: 1
; COMPUTE_PGM_RSRC2:TGID_Y_EN: 0
; COMPUTE_PGM_RSRC2:TGID_Z_EN: 0
; COMPUTE_PGM_RSRC2:TIDIG_COMP_CNT: 0
	.section	.text._ZN7rocprim17ROCPRIM_400000_NS6detail17trampoline_kernelINS0_14default_configENS1_20scan_config_selectorIN3c104HalfEEEZZNS1_9scan_implILNS1_25lookback_scan_determinismE0ELb0ELb0ES3_PKS6_PS6_S6_ZZZN2at6native31launch_logcumsumexp_cuda_kernelERKNSD_10TensorBaseESH_lENKUlvE_clEvENKUlvE3_clEvEUlS6_S6_E_S6_EEDaPvRmT3_T4_T5_mT6_P12ihipStream_tbENKUlT_T0_E_clISt17integral_constantIbLb1EESX_IbLb0EEEEDaST_SU_EUlST_E_NS1_11comp_targetILNS1_3genE8ELNS1_11target_archE1030ELNS1_3gpuE2ELNS1_3repE0EEENS1_30default_config_static_selectorELNS0_4arch9wavefront6targetE0EEEvT1_,"axG",@progbits,_ZN7rocprim17ROCPRIM_400000_NS6detail17trampoline_kernelINS0_14default_configENS1_20scan_config_selectorIN3c104HalfEEEZZNS1_9scan_implILNS1_25lookback_scan_determinismE0ELb0ELb0ES3_PKS6_PS6_S6_ZZZN2at6native31launch_logcumsumexp_cuda_kernelERKNSD_10TensorBaseESH_lENKUlvE_clEvENKUlvE3_clEvEUlS6_S6_E_S6_EEDaPvRmT3_T4_T5_mT6_P12ihipStream_tbENKUlT_T0_E_clISt17integral_constantIbLb1EESX_IbLb0EEEEDaST_SU_EUlST_E_NS1_11comp_targetILNS1_3genE8ELNS1_11target_archE1030ELNS1_3gpuE2ELNS1_3repE0EEENS1_30default_config_static_selectorELNS0_4arch9wavefront6targetE0EEEvT1_,comdat
	.globl	_ZN7rocprim17ROCPRIM_400000_NS6detail17trampoline_kernelINS0_14default_configENS1_20scan_config_selectorIN3c104HalfEEEZZNS1_9scan_implILNS1_25lookback_scan_determinismE0ELb0ELb0ES3_PKS6_PS6_S6_ZZZN2at6native31launch_logcumsumexp_cuda_kernelERKNSD_10TensorBaseESH_lENKUlvE_clEvENKUlvE3_clEvEUlS6_S6_E_S6_EEDaPvRmT3_T4_T5_mT6_P12ihipStream_tbENKUlT_T0_E_clISt17integral_constantIbLb1EESX_IbLb0EEEEDaST_SU_EUlST_E_NS1_11comp_targetILNS1_3genE8ELNS1_11target_archE1030ELNS1_3gpuE2ELNS1_3repE0EEENS1_30default_config_static_selectorELNS0_4arch9wavefront6targetE0EEEvT1_ ; -- Begin function _ZN7rocprim17ROCPRIM_400000_NS6detail17trampoline_kernelINS0_14default_configENS1_20scan_config_selectorIN3c104HalfEEEZZNS1_9scan_implILNS1_25lookback_scan_determinismE0ELb0ELb0ES3_PKS6_PS6_S6_ZZZN2at6native31launch_logcumsumexp_cuda_kernelERKNSD_10TensorBaseESH_lENKUlvE_clEvENKUlvE3_clEvEUlS6_S6_E_S6_EEDaPvRmT3_T4_T5_mT6_P12ihipStream_tbENKUlT_T0_E_clISt17integral_constantIbLb1EESX_IbLb0EEEEDaST_SU_EUlST_E_NS1_11comp_targetILNS1_3genE8ELNS1_11target_archE1030ELNS1_3gpuE2ELNS1_3repE0EEENS1_30default_config_static_selectorELNS0_4arch9wavefront6targetE0EEEvT1_
	.p2align	8
	.type	_ZN7rocprim17ROCPRIM_400000_NS6detail17trampoline_kernelINS0_14default_configENS1_20scan_config_selectorIN3c104HalfEEEZZNS1_9scan_implILNS1_25lookback_scan_determinismE0ELb0ELb0ES3_PKS6_PS6_S6_ZZZN2at6native31launch_logcumsumexp_cuda_kernelERKNSD_10TensorBaseESH_lENKUlvE_clEvENKUlvE3_clEvEUlS6_S6_E_S6_EEDaPvRmT3_T4_T5_mT6_P12ihipStream_tbENKUlT_T0_E_clISt17integral_constantIbLb1EESX_IbLb0EEEEDaST_SU_EUlST_E_NS1_11comp_targetILNS1_3genE8ELNS1_11target_archE1030ELNS1_3gpuE2ELNS1_3repE0EEENS1_30default_config_static_selectorELNS0_4arch9wavefront6targetE0EEEvT1_,@function
_ZN7rocprim17ROCPRIM_400000_NS6detail17trampoline_kernelINS0_14default_configENS1_20scan_config_selectorIN3c104HalfEEEZZNS1_9scan_implILNS1_25lookback_scan_determinismE0ELb0ELb0ES3_PKS6_PS6_S6_ZZZN2at6native31launch_logcumsumexp_cuda_kernelERKNSD_10TensorBaseESH_lENKUlvE_clEvENKUlvE3_clEvEUlS6_S6_E_S6_EEDaPvRmT3_T4_T5_mT6_P12ihipStream_tbENKUlT_T0_E_clISt17integral_constantIbLb1EESX_IbLb0EEEEDaST_SU_EUlST_E_NS1_11comp_targetILNS1_3genE8ELNS1_11target_archE1030ELNS1_3gpuE2ELNS1_3repE0EEENS1_30default_config_static_selectorELNS0_4arch9wavefront6targetE0EEEvT1_: ; @_ZN7rocprim17ROCPRIM_400000_NS6detail17trampoline_kernelINS0_14default_configENS1_20scan_config_selectorIN3c104HalfEEEZZNS1_9scan_implILNS1_25lookback_scan_determinismE0ELb0ELb0ES3_PKS6_PS6_S6_ZZZN2at6native31launch_logcumsumexp_cuda_kernelERKNSD_10TensorBaseESH_lENKUlvE_clEvENKUlvE3_clEvEUlS6_S6_E_S6_EEDaPvRmT3_T4_T5_mT6_P12ihipStream_tbENKUlT_T0_E_clISt17integral_constantIbLb1EESX_IbLb0EEEEDaST_SU_EUlST_E_NS1_11comp_targetILNS1_3genE8ELNS1_11target_archE1030ELNS1_3gpuE2ELNS1_3repE0EEENS1_30default_config_static_selectorELNS0_4arch9wavefront6targetE0EEEvT1_
; %bb.0:
	.section	.rodata,"a",@progbits
	.p2align	6, 0x0
	.amdhsa_kernel _ZN7rocprim17ROCPRIM_400000_NS6detail17trampoline_kernelINS0_14default_configENS1_20scan_config_selectorIN3c104HalfEEEZZNS1_9scan_implILNS1_25lookback_scan_determinismE0ELb0ELb0ES3_PKS6_PS6_S6_ZZZN2at6native31launch_logcumsumexp_cuda_kernelERKNSD_10TensorBaseESH_lENKUlvE_clEvENKUlvE3_clEvEUlS6_S6_E_S6_EEDaPvRmT3_T4_T5_mT6_P12ihipStream_tbENKUlT_T0_E_clISt17integral_constantIbLb1EESX_IbLb0EEEEDaST_SU_EUlST_E_NS1_11comp_targetILNS1_3genE8ELNS1_11target_archE1030ELNS1_3gpuE2ELNS1_3repE0EEENS1_30default_config_static_selectorELNS0_4arch9wavefront6targetE0EEEvT1_
		.amdhsa_group_segment_fixed_size 0
		.amdhsa_private_segment_fixed_size 0
		.amdhsa_kernarg_size 96
		.amdhsa_user_sgpr_count 2
		.amdhsa_user_sgpr_dispatch_ptr 0
		.amdhsa_user_sgpr_queue_ptr 0
		.amdhsa_user_sgpr_kernarg_segment_ptr 1
		.amdhsa_user_sgpr_dispatch_id 0
		.amdhsa_user_sgpr_private_segment_size 0
		.amdhsa_wavefront_size32 1
		.amdhsa_uses_dynamic_stack 0
		.amdhsa_enable_private_segment 0
		.amdhsa_system_sgpr_workgroup_id_x 1
		.amdhsa_system_sgpr_workgroup_id_y 0
		.amdhsa_system_sgpr_workgroup_id_z 0
		.amdhsa_system_sgpr_workgroup_info 0
		.amdhsa_system_vgpr_workitem_id 0
		.amdhsa_next_free_vgpr 1
		.amdhsa_next_free_sgpr 1
		.amdhsa_reserve_vcc 0
		.amdhsa_float_round_mode_32 0
		.amdhsa_float_round_mode_16_64 0
		.amdhsa_float_denorm_mode_32 3
		.amdhsa_float_denorm_mode_16_64 3
		.amdhsa_fp16_overflow 0
		.amdhsa_workgroup_processor_mode 1
		.amdhsa_memory_ordered 1
		.amdhsa_forward_progress 1
		.amdhsa_inst_pref_size 0
		.amdhsa_round_robin_scheduling 0
		.amdhsa_exception_fp_ieee_invalid_op 0
		.amdhsa_exception_fp_denorm_src 0
		.amdhsa_exception_fp_ieee_div_zero 0
		.amdhsa_exception_fp_ieee_overflow 0
		.amdhsa_exception_fp_ieee_underflow 0
		.amdhsa_exception_fp_ieee_inexact 0
		.amdhsa_exception_int_div_zero 0
	.end_amdhsa_kernel
	.section	.text._ZN7rocprim17ROCPRIM_400000_NS6detail17trampoline_kernelINS0_14default_configENS1_20scan_config_selectorIN3c104HalfEEEZZNS1_9scan_implILNS1_25lookback_scan_determinismE0ELb0ELb0ES3_PKS6_PS6_S6_ZZZN2at6native31launch_logcumsumexp_cuda_kernelERKNSD_10TensorBaseESH_lENKUlvE_clEvENKUlvE3_clEvEUlS6_S6_E_S6_EEDaPvRmT3_T4_T5_mT6_P12ihipStream_tbENKUlT_T0_E_clISt17integral_constantIbLb1EESX_IbLb0EEEEDaST_SU_EUlST_E_NS1_11comp_targetILNS1_3genE8ELNS1_11target_archE1030ELNS1_3gpuE2ELNS1_3repE0EEENS1_30default_config_static_selectorELNS0_4arch9wavefront6targetE0EEEvT1_,"axG",@progbits,_ZN7rocprim17ROCPRIM_400000_NS6detail17trampoline_kernelINS0_14default_configENS1_20scan_config_selectorIN3c104HalfEEEZZNS1_9scan_implILNS1_25lookback_scan_determinismE0ELb0ELb0ES3_PKS6_PS6_S6_ZZZN2at6native31launch_logcumsumexp_cuda_kernelERKNSD_10TensorBaseESH_lENKUlvE_clEvENKUlvE3_clEvEUlS6_S6_E_S6_EEDaPvRmT3_T4_T5_mT6_P12ihipStream_tbENKUlT_T0_E_clISt17integral_constantIbLb1EESX_IbLb0EEEEDaST_SU_EUlST_E_NS1_11comp_targetILNS1_3genE8ELNS1_11target_archE1030ELNS1_3gpuE2ELNS1_3repE0EEENS1_30default_config_static_selectorELNS0_4arch9wavefront6targetE0EEEvT1_,comdat
.Lfunc_end405:
	.size	_ZN7rocprim17ROCPRIM_400000_NS6detail17trampoline_kernelINS0_14default_configENS1_20scan_config_selectorIN3c104HalfEEEZZNS1_9scan_implILNS1_25lookback_scan_determinismE0ELb0ELb0ES3_PKS6_PS6_S6_ZZZN2at6native31launch_logcumsumexp_cuda_kernelERKNSD_10TensorBaseESH_lENKUlvE_clEvENKUlvE3_clEvEUlS6_S6_E_S6_EEDaPvRmT3_T4_T5_mT6_P12ihipStream_tbENKUlT_T0_E_clISt17integral_constantIbLb1EESX_IbLb0EEEEDaST_SU_EUlST_E_NS1_11comp_targetILNS1_3genE8ELNS1_11target_archE1030ELNS1_3gpuE2ELNS1_3repE0EEENS1_30default_config_static_selectorELNS0_4arch9wavefront6targetE0EEEvT1_, .Lfunc_end405-_ZN7rocprim17ROCPRIM_400000_NS6detail17trampoline_kernelINS0_14default_configENS1_20scan_config_selectorIN3c104HalfEEEZZNS1_9scan_implILNS1_25lookback_scan_determinismE0ELb0ELb0ES3_PKS6_PS6_S6_ZZZN2at6native31launch_logcumsumexp_cuda_kernelERKNSD_10TensorBaseESH_lENKUlvE_clEvENKUlvE3_clEvEUlS6_S6_E_S6_EEDaPvRmT3_T4_T5_mT6_P12ihipStream_tbENKUlT_T0_E_clISt17integral_constantIbLb1EESX_IbLb0EEEEDaST_SU_EUlST_E_NS1_11comp_targetILNS1_3genE8ELNS1_11target_archE1030ELNS1_3gpuE2ELNS1_3repE0EEENS1_30default_config_static_selectorELNS0_4arch9wavefront6targetE0EEEvT1_
                                        ; -- End function
	.set _ZN7rocprim17ROCPRIM_400000_NS6detail17trampoline_kernelINS0_14default_configENS1_20scan_config_selectorIN3c104HalfEEEZZNS1_9scan_implILNS1_25lookback_scan_determinismE0ELb0ELb0ES3_PKS6_PS6_S6_ZZZN2at6native31launch_logcumsumexp_cuda_kernelERKNSD_10TensorBaseESH_lENKUlvE_clEvENKUlvE3_clEvEUlS6_S6_E_S6_EEDaPvRmT3_T4_T5_mT6_P12ihipStream_tbENKUlT_T0_E_clISt17integral_constantIbLb1EESX_IbLb0EEEEDaST_SU_EUlST_E_NS1_11comp_targetILNS1_3genE8ELNS1_11target_archE1030ELNS1_3gpuE2ELNS1_3repE0EEENS1_30default_config_static_selectorELNS0_4arch9wavefront6targetE0EEEvT1_.num_vgpr, 0
	.set _ZN7rocprim17ROCPRIM_400000_NS6detail17trampoline_kernelINS0_14default_configENS1_20scan_config_selectorIN3c104HalfEEEZZNS1_9scan_implILNS1_25lookback_scan_determinismE0ELb0ELb0ES3_PKS6_PS6_S6_ZZZN2at6native31launch_logcumsumexp_cuda_kernelERKNSD_10TensorBaseESH_lENKUlvE_clEvENKUlvE3_clEvEUlS6_S6_E_S6_EEDaPvRmT3_T4_T5_mT6_P12ihipStream_tbENKUlT_T0_E_clISt17integral_constantIbLb1EESX_IbLb0EEEEDaST_SU_EUlST_E_NS1_11comp_targetILNS1_3genE8ELNS1_11target_archE1030ELNS1_3gpuE2ELNS1_3repE0EEENS1_30default_config_static_selectorELNS0_4arch9wavefront6targetE0EEEvT1_.num_agpr, 0
	.set _ZN7rocprim17ROCPRIM_400000_NS6detail17trampoline_kernelINS0_14default_configENS1_20scan_config_selectorIN3c104HalfEEEZZNS1_9scan_implILNS1_25lookback_scan_determinismE0ELb0ELb0ES3_PKS6_PS6_S6_ZZZN2at6native31launch_logcumsumexp_cuda_kernelERKNSD_10TensorBaseESH_lENKUlvE_clEvENKUlvE3_clEvEUlS6_S6_E_S6_EEDaPvRmT3_T4_T5_mT6_P12ihipStream_tbENKUlT_T0_E_clISt17integral_constantIbLb1EESX_IbLb0EEEEDaST_SU_EUlST_E_NS1_11comp_targetILNS1_3genE8ELNS1_11target_archE1030ELNS1_3gpuE2ELNS1_3repE0EEENS1_30default_config_static_selectorELNS0_4arch9wavefront6targetE0EEEvT1_.numbered_sgpr, 0
	.set _ZN7rocprim17ROCPRIM_400000_NS6detail17trampoline_kernelINS0_14default_configENS1_20scan_config_selectorIN3c104HalfEEEZZNS1_9scan_implILNS1_25lookback_scan_determinismE0ELb0ELb0ES3_PKS6_PS6_S6_ZZZN2at6native31launch_logcumsumexp_cuda_kernelERKNSD_10TensorBaseESH_lENKUlvE_clEvENKUlvE3_clEvEUlS6_S6_E_S6_EEDaPvRmT3_T4_T5_mT6_P12ihipStream_tbENKUlT_T0_E_clISt17integral_constantIbLb1EESX_IbLb0EEEEDaST_SU_EUlST_E_NS1_11comp_targetILNS1_3genE8ELNS1_11target_archE1030ELNS1_3gpuE2ELNS1_3repE0EEENS1_30default_config_static_selectorELNS0_4arch9wavefront6targetE0EEEvT1_.num_named_barrier, 0
	.set _ZN7rocprim17ROCPRIM_400000_NS6detail17trampoline_kernelINS0_14default_configENS1_20scan_config_selectorIN3c104HalfEEEZZNS1_9scan_implILNS1_25lookback_scan_determinismE0ELb0ELb0ES3_PKS6_PS6_S6_ZZZN2at6native31launch_logcumsumexp_cuda_kernelERKNSD_10TensorBaseESH_lENKUlvE_clEvENKUlvE3_clEvEUlS6_S6_E_S6_EEDaPvRmT3_T4_T5_mT6_P12ihipStream_tbENKUlT_T0_E_clISt17integral_constantIbLb1EESX_IbLb0EEEEDaST_SU_EUlST_E_NS1_11comp_targetILNS1_3genE8ELNS1_11target_archE1030ELNS1_3gpuE2ELNS1_3repE0EEENS1_30default_config_static_selectorELNS0_4arch9wavefront6targetE0EEEvT1_.private_seg_size, 0
	.set _ZN7rocprim17ROCPRIM_400000_NS6detail17trampoline_kernelINS0_14default_configENS1_20scan_config_selectorIN3c104HalfEEEZZNS1_9scan_implILNS1_25lookback_scan_determinismE0ELb0ELb0ES3_PKS6_PS6_S6_ZZZN2at6native31launch_logcumsumexp_cuda_kernelERKNSD_10TensorBaseESH_lENKUlvE_clEvENKUlvE3_clEvEUlS6_S6_E_S6_EEDaPvRmT3_T4_T5_mT6_P12ihipStream_tbENKUlT_T0_E_clISt17integral_constantIbLb1EESX_IbLb0EEEEDaST_SU_EUlST_E_NS1_11comp_targetILNS1_3genE8ELNS1_11target_archE1030ELNS1_3gpuE2ELNS1_3repE0EEENS1_30default_config_static_selectorELNS0_4arch9wavefront6targetE0EEEvT1_.uses_vcc, 0
	.set _ZN7rocprim17ROCPRIM_400000_NS6detail17trampoline_kernelINS0_14default_configENS1_20scan_config_selectorIN3c104HalfEEEZZNS1_9scan_implILNS1_25lookback_scan_determinismE0ELb0ELb0ES3_PKS6_PS6_S6_ZZZN2at6native31launch_logcumsumexp_cuda_kernelERKNSD_10TensorBaseESH_lENKUlvE_clEvENKUlvE3_clEvEUlS6_S6_E_S6_EEDaPvRmT3_T4_T5_mT6_P12ihipStream_tbENKUlT_T0_E_clISt17integral_constantIbLb1EESX_IbLb0EEEEDaST_SU_EUlST_E_NS1_11comp_targetILNS1_3genE8ELNS1_11target_archE1030ELNS1_3gpuE2ELNS1_3repE0EEENS1_30default_config_static_selectorELNS0_4arch9wavefront6targetE0EEEvT1_.uses_flat_scratch, 0
	.set _ZN7rocprim17ROCPRIM_400000_NS6detail17trampoline_kernelINS0_14default_configENS1_20scan_config_selectorIN3c104HalfEEEZZNS1_9scan_implILNS1_25lookback_scan_determinismE0ELb0ELb0ES3_PKS6_PS6_S6_ZZZN2at6native31launch_logcumsumexp_cuda_kernelERKNSD_10TensorBaseESH_lENKUlvE_clEvENKUlvE3_clEvEUlS6_S6_E_S6_EEDaPvRmT3_T4_T5_mT6_P12ihipStream_tbENKUlT_T0_E_clISt17integral_constantIbLb1EESX_IbLb0EEEEDaST_SU_EUlST_E_NS1_11comp_targetILNS1_3genE8ELNS1_11target_archE1030ELNS1_3gpuE2ELNS1_3repE0EEENS1_30default_config_static_selectorELNS0_4arch9wavefront6targetE0EEEvT1_.has_dyn_sized_stack, 0
	.set _ZN7rocprim17ROCPRIM_400000_NS6detail17trampoline_kernelINS0_14default_configENS1_20scan_config_selectorIN3c104HalfEEEZZNS1_9scan_implILNS1_25lookback_scan_determinismE0ELb0ELb0ES3_PKS6_PS6_S6_ZZZN2at6native31launch_logcumsumexp_cuda_kernelERKNSD_10TensorBaseESH_lENKUlvE_clEvENKUlvE3_clEvEUlS6_S6_E_S6_EEDaPvRmT3_T4_T5_mT6_P12ihipStream_tbENKUlT_T0_E_clISt17integral_constantIbLb1EESX_IbLb0EEEEDaST_SU_EUlST_E_NS1_11comp_targetILNS1_3genE8ELNS1_11target_archE1030ELNS1_3gpuE2ELNS1_3repE0EEENS1_30default_config_static_selectorELNS0_4arch9wavefront6targetE0EEEvT1_.has_recursion, 0
	.set _ZN7rocprim17ROCPRIM_400000_NS6detail17trampoline_kernelINS0_14default_configENS1_20scan_config_selectorIN3c104HalfEEEZZNS1_9scan_implILNS1_25lookback_scan_determinismE0ELb0ELb0ES3_PKS6_PS6_S6_ZZZN2at6native31launch_logcumsumexp_cuda_kernelERKNSD_10TensorBaseESH_lENKUlvE_clEvENKUlvE3_clEvEUlS6_S6_E_S6_EEDaPvRmT3_T4_T5_mT6_P12ihipStream_tbENKUlT_T0_E_clISt17integral_constantIbLb1EESX_IbLb0EEEEDaST_SU_EUlST_E_NS1_11comp_targetILNS1_3genE8ELNS1_11target_archE1030ELNS1_3gpuE2ELNS1_3repE0EEENS1_30default_config_static_selectorELNS0_4arch9wavefront6targetE0EEEvT1_.has_indirect_call, 0
	.section	.AMDGPU.csdata,"",@progbits
; Kernel info:
; codeLenInByte = 0
; TotalNumSgprs: 0
; NumVgprs: 0
; ScratchSize: 0
; MemoryBound: 0
; FloatMode: 240
; IeeeMode: 1
; LDSByteSize: 0 bytes/workgroup (compile time only)
; SGPRBlocks: 0
; VGPRBlocks: 0
; NumSGPRsForWavesPerEU: 1
; NumVGPRsForWavesPerEU: 1
; Occupancy: 16
; WaveLimiterHint : 0
; COMPUTE_PGM_RSRC2:SCRATCH_EN: 0
; COMPUTE_PGM_RSRC2:USER_SGPR: 2
; COMPUTE_PGM_RSRC2:TRAP_HANDLER: 0
; COMPUTE_PGM_RSRC2:TGID_X_EN: 1
; COMPUTE_PGM_RSRC2:TGID_Y_EN: 0
; COMPUTE_PGM_RSRC2:TGID_Z_EN: 0
; COMPUTE_PGM_RSRC2:TIDIG_COMP_CNT: 0
	.section	.text._ZN7rocprim17ROCPRIM_400000_NS6detail17trampoline_kernelINS0_14default_configENS1_20scan_config_selectorIN3c104HalfEEEZZNS1_9scan_implILNS1_25lookback_scan_determinismE0ELb0ELb0ES3_PKS6_PS6_S6_ZZZN2at6native31launch_logcumsumexp_cuda_kernelERKNSD_10TensorBaseESH_lENKUlvE_clEvENKUlvE3_clEvEUlS6_S6_E_S6_EEDaPvRmT3_T4_T5_mT6_P12ihipStream_tbENKUlT_T0_E_clISt17integral_constantIbLb1EESX_IbLb0EEEEDaST_SU_EUlST_E0_NS1_11comp_targetILNS1_3genE0ELNS1_11target_archE4294967295ELNS1_3gpuE0ELNS1_3repE0EEENS1_30default_config_static_selectorELNS0_4arch9wavefront6targetE0EEEvT1_,"axG",@progbits,_ZN7rocprim17ROCPRIM_400000_NS6detail17trampoline_kernelINS0_14default_configENS1_20scan_config_selectorIN3c104HalfEEEZZNS1_9scan_implILNS1_25lookback_scan_determinismE0ELb0ELb0ES3_PKS6_PS6_S6_ZZZN2at6native31launch_logcumsumexp_cuda_kernelERKNSD_10TensorBaseESH_lENKUlvE_clEvENKUlvE3_clEvEUlS6_S6_E_S6_EEDaPvRmT3_T4_T5_mT6_P12ihipStream_tbENKUlT_T0_E_clISt17integral_constantIbLb1EESX_IbLb0EEEEDaST_SU_EUlST_E0_NS1_11comp_targetILNS1_3genE0ELNS1_11target_archE4294967295ELNS1_3gpuE0ELNS1_3repE0EEENS1_30default_config_static_selectorELNS0_4arch9wavefront6targetE0EEEvT1_,comdat
	.globl	_ZN7rocprim17ROCPRIM_400000_NS6detail17trampoline_kernelINS0_14default_configENS1_20scan_config_selectorIN3c104HalfEEEZZNS1_9scan_implILNS1_25lookback_scan_determinismE0ELb0ELb0ES3_PKS6_PS6_S6_ZZZN2at6native31launch_logcumsumexp_cuda_kernelERKNSD_10TensorBaseESH_lENKUlvE_clEvENKUlvE3_clEvEUlS6_S6_E_S6_EEDaPvRmT3_T4_T5_mT6_P12ihipStream_tbENKUlT_T0_E_clISt17integral_constantIbLb1EESX_IbLb0EEEEDaST_SU_EUlST_E0_NS1_11comp_targetILNS1_3genE0ELNS1_11target_archE4294967295ELNS1_3gpuE0ELNS1_3repE0EEENS1_30default_config_static_selectorELNS0_4arch9wavefront6targetE0EEEvT1_ ; -- Begin function _ZN7rocprim17ROCPRIM_400000_NS6detail17trampoline_kernelINS0_14default_configENS1_20scan_config_selectorIN3c104HalfEEEZZNS1_9scan_implILNS1_25lookback_scan_determinismE0ELb0ELb0ES3_PKS6_PS6_S6_ZZZN2at6native31launch_logcumsumexp_cuda_kernelERKNSD_10TensorBaseESH_lENKUlvE_clEvENKUlvE3_clEvEUlS6_S6_E_S6_EEDaPvRmT3_T4_T5_mT6_P12ihipStream_tbENKUlT_T0_E_clISt17integral_constantIbLb1EESX_IbLb0EEEEDaST_SU_EUlST_E0_NS1_11comp_targetILNS1_3genE0ELNS1_11target_archE4294967295ELNS1_3gpuE0ELNS1_3repE0EEENS1_30default_config_static_selectorELNS0_4arch9wavefront6targetE0EEEvT1_
	.p2align	8
	.type	_ZN7rocprim17ROCPRIM_400000_NS6detail17trampoline_kernelINS0_14default_configENS1_20scan_config_selectorIN3c104HalfEEEZZNS1_9scan_implILNS1_25lookback_scan_determinismE0ELb0ELb0ES3_PKS6_PS6_S6_ZZZN2at6native31launch_logcumsumexp_cuda_kernelERKNSD_10TensorBaseESH_lENKUlvE_clEvENKUlvE3_clEvEUlS6_S6_E_S6_EEDaPvRmT3_T4_T5_mT6_P12ihipStream_tbENKUlT_T0_E_clISt17integral_constantIbLb1EESX_IbLb0EEEEDaST_SU_EUlST_E0_NS1_11comp_targetILNS1_3genE0ELNS1_11target_archE4294967295ELNS1_3gpuE0ELNS1_3repE0EEENS1_30default_config_static_selectorELNS0_4arch9wavefront6targetE0EEEvT1_,@function
_ZN7rocprim17ROCPRIM_400000_NS6detail17trampoline_kernelINS0_14default_configENS1_20scan_config_selectorIN3c104HalfEEEZZNS1_9scan_implILNS1_25lookback_scan_determinismE0ELb0ELb0ES3_PKS6_PS6_S6_ZZZN2at6native31launch_logcumsumexp_cuda_kernelERKNSD_10TensorBaseESH_lENKUlvE_clEvENKUlvE3_clEvEUlS6_S6_E_S6_EEDaPvRmT3_T4_T5_mT6_P12ihipStream_tbENKUlT_T0_E_clISt17integral_constantIbLb1EESX_IbLb0EEEEDaST_SU_EUlST_E0_NS1_11comp_targetILNS1_3genE0ELNS1_11target_archE4294967295ELNS1_3gpuE0ELNS1_3repE0EEENS1_30default_config_static_selectorELNS0_4arch9wavefront6targetE0EEEvT1_: ; @_ZN7rocprim17ROCPRIM_400000_NS6detail17trampoline_kernelINS0_14default_configENS1_20scan_config_selectorIN3c104HalfEEEZZNS1_9scan_implILNS1_25lookback_scan_determinismE0ELb0ELb0ES3_PKS6_PS6_S6_ZZZN2at6native31launch_logcumsumexp_cuda_kernelERKNSD_10TensorBaseESH_lENKUlvE_clEvENKUlvE3_clEvEUlS6_S6_E_S6_EEDaPvRmT3_T4_T5_mT6_P12ihipStream_tbENKUlT_T0_E_clISt17integral_constantIbLb1EESX_IbLb0EEEEDaST_SU_EUlST_E0_NS1_11comp_targetILNS1_3genE0ELNS1_11target_archE4294967295ELNS1_3gpuE0ELNS1_3repE0EEENS1_30default_config_static_selectorELNS0_4arch9wavefront6targetE0EEEvT1_
; %bb.0:
	.section	.rodata,"a",@progbits
	.p2align	6, 0x0
	.amdhsa_kernel _ZN7rocprim17ROCPRIM_400000_NS6detail17trampoline_kernelINS0_14default_configENS1_20scan_config_selectorIN3c104HalfEEEZZNS1_9scan_implILNS1_25lookback_scan_determinismE0ELb0ELb0ES3_PKS6_PS6_S6_ZZZN2at6native31launch_logcumsumexp_cuda_kernelERKNSD_10TensorBaseESH_lENKUlvE_clEvENKUlvE3_clEvEUlS6_S6_E_S6_EEDaPvRmT3_T4_T5_mT6_P12ihipStream_tbENKUlT_T0_E_clISt17integral_constantIbLb1EESX_IbLb0EEEEDaST_SU_EUlST_E0_NS1_11comp_targetILNS1_3genE0ELNS1_11target_archE4294967295ELNS1_3gpuE0ELNS1_3repE0EEENS1_30default_config_static_selectorELNS0_4arch9wavefront6targetE0EEEvT1_
		.amdhsa_group_segment_fixed_size 0
		.amdhsa_private_segment_fixed_size 0
		.amdhsa_kernarg_size 32
		.amdhsa_user_sgpr_count 2
		.amdhsa_user_sgpr_dispatch_ptr 0
		.amdhsa_user_sgpr_queue_ptr 0
		.amdhsa_user_sgpr_kernarg_segment_ptr 1
		.amdhsa_user_sgpr_dispatch_id 0
		.amdhsa_user_sgpr_private_segment_size 0
		.amdhsa_wavefront_size32 1
		.amdhsa_uses_dynamic_stack 0
		.amdhsa_enable_private_segment 0
		.amdhsa_system_sgpr_workgroup_id_x 1
		.amdhsa_system_sgpr_workgroup_id_y 0
		.amdhsa_system_sgpr_workgroup_id_z 0
		.amdhsa_system_sgpr_workgroup_info 0
		.amdhsa_system_vgpr_workitem_id 0
		.amdhsa_next_free_vgpr 1
		.amdhsa_next_free_sgpr 1
		.amdhsa_reserve_vcc 0
		.amdhsa_float_round_mode_32 0
		.amdhsa_float_round_mode_16_64 0
		.amdhsa_float_denorm_mode_32 3
		.amdhsa_float_denorm_mode_16_64 3
		.amdhsa_fp16_overflow 0
		.amdhsa_workgroup_processor_mode 1
		.amdhsa_memory_ordered 1
		.amdhsa_forward_progress 1
		.amdhsa_inst_pref_size 0
		.amdhsa_round_robin_scheduling 0
		.amdhsa_exception_fp_ieee_invalid_op 0
		.amdhsa_exception_fp_denorm_src 0
		.amdhsa_exception_fp_ieee_div_zero 0
		.amdhsa_exception_fp_ieee_overflow 0
		.amdhsa_exception_fp_ieee_underflow 0
		.amdhsa_exception_fp_ieee_inexact 0
		.amdhsa_exception_int_div_zero 0
	.end_amdhsa_kernel
	.section	.text._ZN7rocprim17ROCPRIM_400000_NS6detail17trampoline_kernelINS0_14default_configENS1_20scan_config_selectorIN3c104HalfEEEZZNS1_9scan_implILNS1_25lookback_scan_determinismE0ELb0ELb0ES3_PKS6_PS6_S6_ZZZN2at6native31launch_logcumsumexp_cuda_kernelERKNSD_10TensorBaseESH_lENKUlvE_clEvENKUlvE3_clEvEUlS6_S6_E_S6_EEDaPvRmT3_T4_T5_mT6_P12ihipStream_tbENKUlT_T0_E_clISt17integral_constantIbLb1EESX_IbLb0EEEEDaST_SU_EUlST_E0_NS1_11comp_targetILNS1_3genE0ELNS1_11target_archE4294967295ELNS1_3gpuE0ELNS1_3repE0EEENS1_30default_config_static_selectorELNS0_4arch9wavefront6targetE0EEEvT1_,"axG",@progbits,_ZN7rocprim17ROCPRIM_400000_NS6detail17trampoline_kernelINS0_14default_configENS1_20scan_config_selectorIN3c104HalfEEEZZNS1_9scan_implILNS1_25lookback_scan_determinismE0ELb0ELb0ES3_PKS6_PS6_S6_ZZZN2at6native31launch_logcumsumexp_cuda_kernelERKNSD_10TensorBaseESH_lENKUlvE_clEvENKUlvE3_clEvEUlS6_S6_E_S6_EEDaPvRmT3_T4_T5_mT6_P12ihipStream_tbENKUlT_T0_E_clISt17integral_constantIbLb1EESX_IbLb0EEEEDaST_SU_EUlST_E0_NS1_11comp_targetILNS1_3genE0ELNS1_11target_archE4294967295ELNS1_3gpuE0ELNS1_3repE0EEENS1_30default_config_static_selectorELNS0_4arch9wavefront6targetE0EEEvT1_,comdat
.Lfunc_end406:
	.size	_ZN7rocprim17ROCPRIM_400000_NS6detail17trampoline_kernelINS0_14default_configENS1_20scan_config_selectorIN3c104HalfEEEZZNS1_9scan_implILNS1_25lookback_scan_determinismE0ELb0ELb0ES3_PKS6_PS6_S6_ZZZN2at6native31launch_logcumsumexp_cuda_kernelERKNSD_10TensorBaseESH_lENKUlvE_clEvENKUlvE3_clEvEUlS6_S6_E_S6_EEDaPvRmT3_T4_T5_mT6_P12ihipStream_tbENKUlT_T0_E_clISt17integral_constantIbLb1EESX_IbLb0EEEEDaST_SU_EUlST_E0_NS1_11comp_targetILNS1_3genE0ELNS1_11target_archE4294967295ELNS1_3gpuE0ELNS1_3repE0EEENS1_30default_config_static_selectorELNS0_4arch9wavefront6targetE0EEEvT1_, .Lfunc_end406-_ZN7rocprim17ROCPRIM_400000_NS6detail17trampoline_kernelINS0_14default_configENS1_20scan_config_selectorIN3c104HalfEEEZZNS1_9scan_implILNS1_25lookback_scan_determinismE0ELb0ELb0ES3_PKS6_PS6_S6_ZZZN2at6native31launch_logcumsumexp_cuda_kernelERKNSD_10TensorBaseESH_lENKUlvE_clEvENKUlvE3_clEvEUlS6_S6_E_S6_EEDaPvRmT3_T4_T5_mT6_P12ihipStream_tbENKUlT_T0_E_clISt17integral_constantIbLb1EESX_IbLb0EEEEDaST_SU_EUlST_E0_NS1_11comp_targetILNS1_3genE0ELNS1_11target_archE4294967295ELNS1_3gpuE0ELNS1_3repE0EEENS1_30default_config_static_selectorELNS0_4arch9wavefront6targetE0EEEvT1_
                                        ; -- End function
	.set _ZN7rocprim17ROCPRIM_400000_NS6detail17trampoline_kernelINS0_14default_configENS1_20scan_config_selectorIN3c104HalfEEEZZNS1_9scan_implILNS1_25lookback_scan_determinismE0ELb0ELb0ES3_PKS6_PS6_S6_ZZZN2at6native31launch_logcumsumexp_cuda_kernelERKNSD_10TensorBaseESH_lENKUlvE_clEvENKUlvE3_clEvEUlS6_S6_E_S6_EEDaPvRmT3_T4_T5_mT6_P12ihipStream_tbENKUlT_T0_E_clISt17integral_constantIbLb1EESX_IbLb0EEEEDaST_SU_EUlST_E0_NS1_11comp_targetILNS1_3genE0ELNS1_11target_archE4294967295ELNS1_3gpuE0ELNS1_3repE0EEENS1_30default_config_static_selectorELNS0_4arch9wavefront6targetE0EEEvT1_.num_vgpr, 0
	.set _ZN7rocprim17ROCPRIM_400000_NS6detail17trampoline_kernelINS0_14default_configENS1_20scan_config_selectorIN3c104HalfEEEZZNS1_9scan_implILNS1_25lookback_scan_determinismE0ELb0ELb0ES3_PKS6_PS6_S6_ZZZN2at6native31launch_logcumsumexp_cuda_kernelERKNSD_10TensorBaseESH_lENKUlvE_clEvENKUlvE3_clEvEUlS6_S6_E_S6_EEDaPvRmT3_T4_T5_mT6_P12ihipStream_tbENKUlT_T0_E_clISt17integral_constantIbLb1EESX_IbLb0EEEEDaST_SU_EUlST_E0_NS1_11comp_targetILNS1_3genE0ELNS1_11target_archE4294967295ELNS1_3gpuE0ELNS1_3repE0EEENS1_30default_config_static_selectorELNS0_4arch9wavefront6targetE0EEEvT1_.num_agpr, 0
	.set _ZN7rocprim17ROCPRIM_400000_NS6detail17trampoline_kernelINS0_14default_configENS1_20scan_config_selectorIN3c104HalfEEEZZNS1_9scan_implILNS1_25lookback_scan_determinismE0ELb0ELb0ES3_PKS6_PS6_S6_ZZZN2at6native31launch_logcumsumexp_cuda_kernelERKNSD_10TensorBaseESH_lENKUlvE_clEvENKUlvE3_clEvEUlS6_S6_E_S6_EEDaPvRmT3_T4_T5_mT6_P12ihipStream_tbENKUlT_T0_E_clISt17integral_constantIbLb1EESX_IbLb0EEEEDaST_SU_EUlST_E0_NS1_11comp_targetILNS1_3genE0ELNS1_11target_archE4294967295ELNS1_3gpuE0ELNS1_3repE0EEENS1_30default_config_static_selectorELNS0_4arch9wavefront6targetE0EEEvT1_.numbered_sgpr, 0
	.set _ZN7rocprim17ROCPRIM_400000_NS6detail17trampoline_kernelINS0_14default_configENS1_20scan_config_selectorIN3c104HalfEEEZZNS1_9scan_implILNS1_25lookback_scan_determinismE0ELb0ELb0ES3_PKS6_PS6_S6_ZZZN2at6native31launch_logcumsumexp_cuda_kernelERKNSD_10TensorBaseESH_lENKUlvE_clEvENKUlvE3_clEvEUlS6_S6_E_S6_EEDaPvRmT3_T4_T5_mT6_P12ihipStream_tbENKUlT_T0_E_clISt17integral_constantIbLb1EESX_IbLb0EEEEDaST_SU_EUlST_E0_NS1_11comp_targetILNS1_3genE0ELNS1_11target_archE4294967295ELNS1_3gpuE0ELNS1_3repE0EEENS1_30default_config_static_selectorELNS0_4arch9wavefront6targetE0EEEvT1_.num_named_barrier, 0
	.set _ZN7rocprim17ROCPRIM_400000_NS6detail17trampoline_kernelINS0_14default_configENS1_20scan_config_selectorIN3c104HalfEEEZZNS1_9scan_implILNS1_25lookback_scan_determinismE0ELb0ELb0ES3_PKS6_PS6_S6_ZZZN2at6native31launch_logcumsumexp_cuda_kernelERKNSD_10TensorBaseESH_lENKUlvE_clEvENKUlvE3_clEvEUlS6_S6_E_S6_EEDaPvRmT3_T4_T5_mT6_P12ihipStream_tbENKUlT_T0_E_clISt17integral_constantIbLb1EESX_IbLb0EEEEDaST_SU_EUlST_E0_NS1_11comp_targetILNS1_3genE0ELNS1_11target_archE4294967295ELNS1_3gpuE0ELNS1_3repE0EEENS1_30default_config_static_selectorELNS0_4arch9wavefront6targetE0EEEvT1_.private_seg_size, 0
	.set _ZN7rocprim17ROCPRIM_400000_NS6detail17trampoline_kernelINS0_14default_configENS1_20scan_config_selectorIN3c104HalfEEEZZNS1_9scan_implILNS1_25lookback_scan_determinismE0ELb0ELb0ES3_PKS6_PS6_S6_ZZZN2at6native31launch_logcumsumexp_cuda_kernelERKNSD_10TensorBaseESH_lENKUlvE_clEvENKUlvE3_clEvEUlS6_S6_E_S6_EEDaPvRmT3_T4_T5_mT6_P12ihipStream_tbENKUlT_T0_E_clISt17integral_constantIbLb1EESX_IbLb0EEEEDaST_SU_EUlST_E0_NS1_11comp_targetILNS1_3genE0ELNS1_11target_archE4294967295ELNS1_3gpuE0ELNS1_3repE0EEENS1_30default_config_static_selectorELNS0_4arch9wavefront6targetE0EEEvT1_.uses_vcc, 0
	.set _ZN7rocprim17ROCPRIM_400000_NS6detail17trampoline_kernelINS0_14default_configENS1_20scan_config_selectorIN3c104HalfEEEZZNS1_9scan_implILNS1_25lookback_scan_determinismE0ELb0ELb0ES3_PKS6_PS6_S6_ZZZN2at6native31launch_logcumsumexp_cuda_kernelERKNSD_10TensorBaseESH_lENKUlvE_clEvENKUlvE3_clEvEUlS6_S6_E_S6_EEDaPvRmT3_T4_T5_mT6_P12ihipStream_tbENKUlT_T0_E_clISt17integral_constantIbLb1EESX_IbLb0EEEEDaST_SU_EUlST_E0_NS1_11comp_targetILNS1_3genE0ELNS1_11target_archE4294967295ELNS1_3gpuE0ELNS1_3repE0EEENS1_30default_config_static_selectorELNS0_4arch9wavefront6targetE0EEEvT1_.uses_flat_scratch, 0
	.set _ZN7rocprim17ROCPRIM_400000_NS6detail17trampoline_kernelINS0_14default_configENS1_20scan_config_selectorIN3c104HalfEEEZZNS1_9scan_implILNS1_25lookback_scan_determinismE0ELb0ELb0ES3_PKS6_PS6_S6_ZZZN2at6native31launch_logcumsumexp_cuda_kernelERKNSD_10TensorBaseESH_lENKUlvE_clEvENKUlvE3_clEvEUlS6_S6_E_S6_EEDaPvRmT3_T4_T5_mT6_P12ihipStream_tbENKUlT_T0_E_clISt17integral_constantIbLb1EESX_IbLb0EEEEDaST_SU_EUlST_E0_NS1_11comp_targetILNS1_3genE0ELNS1_11target_archE4294967295ELNS1_3gpuE0ELNS1_3repE0EEENS1_30default_config_static_selectorELNS0_4arch9wavefront6targetE0EEEvT1_.has_dyn_sized_stack, 0
	.set _ZN7rocprim17ROCPRIM_400000_NS6detail17trampoline_kernelINS0_14default_configENS1_20scan_config_selectorIN3c104HalfEEEZZNS1_9scan_implILNS1_25lookback_scan_determinismE0ELb0ELb0ES3_PKS6_PS6_S6_ZZZN2at6native31launch_logcumsumexp_cuda_kernelERKNSD_10TensorBaseESH_lENKUlvE_clEvENKUlvE3_clEvEUlS6_S6_E_S6_EEDaPvRmT3_T4_T5_mT6_P12ihipStream_tbENKUlT_T0_E_clISt17integral_constantIbLb1EESX_IbLb0EEEEDaST_SU_EUlST_E0_NS1_11comp_targetILNS1_3genE0ELNS1_11target_archE4294967295ELNS1_3gpuE0ELNS1_3repE0EEENS1_30default_config_static_selectorELNS0_4arch9wavefront6targetE0EEEvT1_.has_recursion, 0
	.set _ZN7rocprim17ROCPRIM_400000_NS6detail17trampoline_kernelINS0_14default_configENS1_20scan_config_selectorIN3c104HalfEEEZZNS1_9scan_implILNS1_25lookback_scan_determinismE0ELb0ELb0ES3_PKS6_PS6_S6_ZZZN2at6native31launch_logcumsumexp_cuda_kernelERKNSD_10TensorBaseESH_lENKUlvE_clEvENKUlvE3_clEvEUlS6_S6_E_S6_EEDaPvRmT3_T4_T5_mT6_P12ihipStream_tbENKUlT_T0_E_clISt17integral_constantIbLb1EESX_IbLb0EEEEDaST_SU_EUlST_E0_NS1_11comp_targetILNS1_3genE0ELNS1_11target_archE4294967295ELNS1_3gpuE0ELNS1_3repE0EEENS1_30default_config_static_selectorELNS0_4arch9wavefront6targetE0EEEvT1_.has_indirect_call, 0
	.section	.AMDGPU.csdata,"",@progbits
; Kernel info:
; codeLenInByte = 0
; TotalNumSgprs: 0
; NumVgprs: 0
; ScratchSize: 0
; MemoryBound: 0
; FloatMode: 240
; IeeeMode: 1
; LDSByteSize: 0 bytes/workgroup (compile time only)
; SGPRBlocks: 0
; VGPRBlocks: 0
; NumSGPRsForWavesPerEU: 1
; NumVGPRsForWavesPerEU: 1
; Occupancy: 16
; WaveLimiterHint : 0
; COMPUTE_PGM_RSRC2:SCRATCH_EN: 0
; COMPUTE_PGM_RSRC2:USER_SGPR: 2
; COMPUTE_PGM_RSRC2:TRAP_HANDLER: 0
; COMPUTE_PGM_RSRC2:TGID_X_EN: 1
; COMPUTE_PGM_RSRC2:TGID_Y_EN: 0
; COMPUTE_PGM_RSRC2:TGID_Z_EN: 0
; COMPUTE_PGM_RSRC2:TIDIG_COMP_CNT: 0
	.section	.text._ZN7rocprim17ROCPRIM_400000_NS6detail17trampoline_kernelINS0_14default_configENS1_20scan_config_selectorIN3c104HalfEEEZZNS1_9scan_implILNS1_25lookback_scan_determinismE0ELb0ELb0ES3_PKS6_PS6_S6_ZZZN2at6native31launch_logcumsumexp_cuda_kernelERKNSD_10TensorBaseESH_lENKUlvE_clEvENKUlvE3_clEvEUlS6_S6_E_S6_EEDaPvRmT3_T4_T5_mT6_P12ihipStream_tbENKUlT_T0_E_clISt17integral_constantIbLb1EESX_IbLb0EEEEDaST_SU_EUlST_E0_NS1_11comp_targetILNS1_3genE5ELNS1_11target_archE942ELNS1_3gpuE9ELNS1_3repE0EEENS1_30default_config_static_selectorELNS0_4arch9wavefront6targetE0EEEvT1_,"axG",@progbits,_ZN7rocprim17ROCPRIM_400000_NS6detail17trampoline_kernelINS0_14default_configENS1_20scan_config_selectorIN3c104HalfEEEZZNS1_9scan_implILNS1_25lookback_scan_determinismE0ELb0ELb0ES3_PKS6_PS6_S6_ZZZN2at6native31launch_logcumsumexp_cuda_kernelERKNSD_10TensorBaseESH_lENKUlvE_clEvENKUlvE3_clEvEUlS6_S6_E_S6_EEDaPvRmT3_T4_T5_mT6_P12ihipStream_tbENKUlT_T0_E_clISt17integral_constantIbLb1EESX_IbLb0EEEEDaST_SU_EUlST_E0_NS1_11comp_targetILNS1_3genE5ELNS1_11target_archE942ELNS1_3gpuE9ELNS1_3repE0EEENS1_30default_config_static_selectorELNS0_4arch9wavefront6targetE0EEEvT1_,comdat
	.globl	_ZN7rocprim17ROCPRIM_400000_NS6detail17trampoline_kernelINS0_14default_configENS1_20scan_config_selectorIN3c104HalfEEEZZNS1_9scan_implILNS1_25lookback_scan_determinismE0ELb0ELb0ES3_PKS6_PS6_S6_ZZZN2at6native31launch_logcumsumexp_cuda_kernelERKNSD_10TensorBaseESH_lENKUlvE_clEvENKUlvE3_clEvEUlS6_S6_E_S6_EEDaPvRmT3_T4_T5_mT6_P12ihipStream_tbENKUlT_T0_E_clISt17integral_constantIbLb1EESX_IbLb0EEEEDaST_SU_EUlST_E0_NS1_11comp_targetILNS1_3genE5ELNS1_11target_archE942ELNS1_3gpuE9ELNS1_3repE0EEENS1_30default_config_static_selectorELNS0_4arch9wavefront6targetE0EEEvT1_ ; -- Begin function _ZN7rocprim17ROCPRIM_400000_NS6detail17trampoline_kernelINS0_14default_configENS1_20scan_config_selectorIN3c104HalfEEEZZNS1_9scan_implILNS1_25lookback_scan_determinismE0ELb0ELb0ES3_PKS6_PS6_S6_ZZZN2at6native31launch_logcumsumexp_cuda_kernelERKNSD_10TensorBaseESH_lENKUlvE_clEvENKUlvE3_clEvEUlS6_S6_E_S6_EEDaPvRmT3_T4_T5_mT6_P12ihipStream_tbENKUlT_T0_E_clISt17integral_constantIbLb1EESX_IbLb0EEEEDaST_SU_EUlST_E0_NS1_11comp_targetILNS1_3genE5ELNS1_11target_archE942ELNS1_3gpuE9ELNS1_3repE0EEENS1_30default_config_static_selectorELNS0_4arch9wavefront6targetE0EEEvT1_
	.p2align	8
	.type	_ZN7rocprim17ROCPRIM_400000_NS6detail17trampoline_kernelINS0_14default_configENS1_20scan_config_selectorIN3c104HalfEEEZZNS1_9scan_implILNS1_25lookback_scan_determinismE0ELb0ELb0ES3_PKS6_PS6_S6_ZZZN2at6native31launch_logcumsumexp_cuda_kernelERKNSD_10TensorBaseESH_lENKUlvE_clEvENKUlvE3_clEvEUlS6_S6_E_S6_EEDaPvRmT3_T4_T5_mT6_P12ihipStream_tbENKUlT_T0_E_clISt17integral_constantIbLb1EESX_IbLb0EEEEDaST_SU_EUlST_E0_NS1_11comp_targetILNS1_3genE5ELNS1_11target_archE942ELNS1_3gpuE9ELNS1_3repE0EEENS1_30default_config_static_selectorELNS0_4arch9wavefront6targetE0EEEvT1_,@function
_ZN7rocprim17ROCPRIM_400000_NS6detail17trampoline_kernelINS0_14default_configENS1_20scan_config_selectorIN3c104HalfEEEZZNS1_9scan_implILNS1_25lookback_scan_determinismE0ELb0ELb0ES3_PKS6_PS6_S6_ZZZN2at6native31launch_logcumsumexp_cuda_kernelERKNSD_10TensorBaseESH_lENKUlvE_clEvENKUlvE3_clEvEUlS6_S6_E_S6_EEDaPvRmT3_T4_T5_mT6_P12ihipStream_tbENKUlT_T0_E_clISt17integral_constantIbLb1EESX_IbLb0EEEEDaST_SU_EUlST_E0_NS1_11comp_targetILNS1_3genE5ELNS1_11target_archE942ELNS1_3gpuE9ELNS1_3repE0EEENS1_30default_config_static_selectorELNS0_4arch9wavefront6targetE0EEEvT1_: ; @_ZN7rocprim17ROCPRIM_400000_NS6detail17trampoline_kernelINS0_14default_configENS1_20scan_config_selectorIN3c104HalfEEEZZNS1_9scan_implILNS1_25lookback_scan_determinismE0ELb0ELb0ES3_PKS6_PS6_S6_ZZZN2at6native31launch_logcumsumexp_cuda_kernelERKNSD_10TensorBaseESH_lENKUlvE_clEvENKUlvE3_clEvEUlS6_S6_E_S6_EEDaPvRmT3_T4_T5_mT6_P12ihipStream_tbENKUlT_T0_E_clISt17integral_constantIbLb1EESX_IbLb0EEEEDaST_SU_EUlST_E0_NS1_11comp_targetILNS1_3genE5ELNS1_11target_archE942ELNS1_3gpuE9ELNS1_3repE0EEENS1_30default_config_static_selectorELNS0_4arch9wavefront6targetE0EEEvT1_
; %bb.0:
	.section	.rodata,"a",@progbits
	.p2align	6, 0x0
	.amdhsa_kernel _ZN7rocprim17ROCPRIM_400000_NS6detail17trampoline_kernelINS0_14default_configENS1_20scan_config_selectorIN3c104HalfEEEZZNS1_9scan_implILNS1_25lookback_scan_determinismE0ELb0ELb0ES3_PKS6_PS6_S6_ZZZN2at6native31launch_logcumsumexp_cuda_kernelERKNSD_10TensorBaseESH_lENKUlvE_clEvENKUlvE3_clEvEUlS6_S6_E_S6_EEDaPvRmT3_T4_T5_mT6_P12ihipStream_tbENKUlT_T0_E_clISt17integral_constantIbLb1EESX_IbLb0EEEEDaST_SU_EUlST_E0_NS1_11comp_targetILNS1_3genE5ELNS1_11target_archE942ELNS1_3gpuE9ELNS1_3repE0EEENS1_30default_config_static_selectorELNS0_4arch9wavefront6targetE0EEEvT1_
		.amdhsa_group_segment_fixed_size 0
		.amdhsa_private_segment_fixed_size 0
		.amdhsa_kernarg_size 32
		.amdhsa_user_sgpr_count 2
		.amdhsa_user_sgpr_dispatch_ptr 0
		.amdhsa_user_sgpr_queue_ptr 0
		.amdhsa_user_sgpr_kernarg_segment_ptr 1
		.amdhsa_user_sgpr_dispatch_id 0
		.amdhsa_user_sgpr_private_segment_size 0
		.amdhsa_wavefront_size32 1
		.amdhsa_uses_dynamic_stack 0
		.amdhsa_enable_private_segment 0
		.amdhsa_system_sgpr_workgroup_id_x 1
		.amdhsa_system_sgpr_workgroup_id_y 0
		.amdhsa_system_sgpr_workgroup_id_z 0
		.amdhsa_system_sgpr_workgroup_info 0
		.amdhsa_system_vgpr_workitem_id 0
		.amdhsa_next_free_vgpr 1
		.amdhsa_next_free_sgpr 1
		.amdhsa_reserve_vcc 0
		.amdhsa_float_round_mode_32 0
		.amdhsa_float_round_mode_16_64 0
		.amdhsa_float_denorm_mode_32 3
		.amdhsa_float_denorm_mode_16_64 3
		.amdhsa_fp16_overflow 0
		.amdhsa_workgroup_processor_mode 1
		.amdhsa_memory_ordered 1
		.amdhsa_forward_progress 1
		.amdhsa_inst_pref_size 0
		.amdhsa_round_robin_scheduling 0
		.amdhsa_exception_fp_ieee_invalid_op 0
		.amdhsa_exception_fp_denorm_src 0
		.amdhsa_exception_fp_ieee_div_zero 0
		.amdhsa_exception_fp_ieee_overflow 0
		.amdhsa_exception_fp_ieee_underflow 0
		.amdhsa_exception_fp_ieee_inexact 0
		.amdhsa_exception_int_div_zero 0
	.end_amdhsa_kernel
	.section	.text._ZN7rocprim17ROCPRIM_400000_NS6detail17trampoline_kernelINS0_14default_configENS1_20scan_config_selectorIN3c104HalfEEEZZNS1_9scan_implILNS1_25lookback_scan_determinismE0ELb0ELb0ES3_PKS6_PS6_S6_ZZZN2at6native31launch_logcumsumexp_cuda_kernelERKNSD_10TensorBaseESH_lENKUlvE_clEvENKUlvE3_clEvEUlS6_S6_E_S6_EEDaPvRmT3_T4_T5_mT6_P12ihipStream_tbENKUlT_T0_E_clISt17integral_constantIbLb1EESX_IbLb0EEEEDaST_SU_EUlST_E0_NS1_11comp_targetILNS1_3genE5ELNS1_11target_archE942ELNS1_3gpuE9ELNS1_3repE0EEENS1_30default_config_static_selectorELNS0_4arch9wavefront6targetE0EEEvT1_,"axG",@progbits,_ZN7rocprim17ROCPRIM_400000_NS6detail17trampoline_kernelINS0_14default_configENS1_20scan_config_selectorIN3c104HalfEEEZZNS1_9scan_implILNS1_25lookback_scan_determinismE0ELb0ELb0ES3_PKS6_PS6_S6_ZZZN2at6native31launch_logcumsumexp_cuda_kernelERKNSD_10TensorBaseESH_lENKUlvE_clEvENKUlvE3_clEvEUlS6_S6_E_S6_EEDaPvRmT3_T4_T5_mT6_P12ihipStream_tbENKUlT_T0_E_clISt17integral_constantIbLb1EESX_IbLb0EEEEDaST_SU_EUlST_E0_NS1_11comp_targetILNS1_3genE5ELNS1_11target_archE942ELNS1_3gpuE9ELNS1_3repE0EEENS1_30default_config_static_selectorELNS0_4arch9wavefront6targetE0EEEvT1_,comdat
.Lfunc_end407:
	.size	_ZN7rocprim17ROCPRIM_400000_NS6detail17trampoline_kernelINS0_14default_configENS1_20scan_config_selectorIN3c104HalfEEEZZNS1_9scan_implILNS1_25lookback_scan_determinismE0ELb0ELb0ES3_PKS6_PS6_S6_ZZZN2at6native31launch_logcumsumexp_cuda_kernelERKNSD_10TensorBaseESH_lENKUlvE_clEvENKUlvE3_clEvEUlS6_S6_E_S6_EEDaPvRmT3_T4_T5_mT6_P12ihipStream_tbENKUlT_T0_E_clISt17integral_constantIbLb1EESX_IbLb0EEEEDaST_SU_EUlST_E0_NS1_11comp_targetILNS1_3genE5ELNS1_11target_archE942ELNS1_3gpuE9ELNS1_3repE0EEENS1_30default_config_static_selectorELNS0_4arch9wavefront6targetE0EEEvT1_, .Lfunc_end407-_ZN7rocprim17ROCPRIM_400000_NS6detail17trampoline_kernelINS0_14default_configENS1_20scan_config_selectorIN3c104HalfEEEZZNS1_9scan_implILNS1_25lookback_scan_determinismE0ELb0ELb0ES3_PKS6_PS6_S6_ZZZN2at6native31launch_logcumsumexp_cuda_kernelERKNSD_10TensorBaseESH_lENKUlvE_clEvENKUlvE3_clEvEUlS6_S6_E_S6_EEDaPvRmT3_T4_T5_mT6_P12ihipStream_tbENKUlT_T0_E_clISt17integral_constantIbLb1EESX_IbLb0EEEEDaST_SU_EUlST_E0_NS1_11comp_targetILNS1_3genE5ELNS1_11target_archE942ELNS1_3gpuE9ELNS1_3repE0EEENS1_30default_config_static_selectorELNS0_4arch9wavefront6targetE0EEEvT1_
                                        ; -- End function
	.set _ZN7rocprim17ROCPRIM_400000_NS6detail17trampoline_kernelINS0_14default_configENS1_20scan_config_selectorIN3c104HalfEEEZZNS1_9scan_implILNS1_25lookback_scan_determinismE0ELb0ELb0ES3_PKS6_PS6_S6_ZZZN2at6native31launch_logcumsumexp_cuda_kernelERKNSD_10TensorBaseESH_lENKUlvE_clEvENKUlvE3_clEvEUlS6_S6_E_S6_EEDaPvRmT3_T4_T5_mT6_P12ihipStream_tbENKUlT_T0_E_clISt17integral_constantIbLb1EESX_IbLb0EEEEDaST_SU_EUlST_E0_NS1_11comp_targetILNS1_3genE5ELNS1_11target_archE942ELNS1_3gpuE9ELNS1_3repE0EEENS1_30default_config_static_selectorELNS0_4arch9wavefront6targetE0EEEvT1_.num_vgpr, 0
	.set _ZN7rocprim17ROCPRIM_400000_NS6detail17trampoline_kernelINS0_14default_configENS1_20scan_config_selectorIN3c104HalfEEEZZNS1_9scan_implILNS1_25lookback_scan_determinismE0ELb0ELb0ES3_PKS6_PS6_S6_ZZZN2at6native31launch_logcumsumexp_cuda_kernelERKNSD_10TensorBaseESH_lENKUlvE_clEvENKUlvE3_clEvEUlS6_S6_E_S6_EEDaPvRmT3_T4_T5_mT6_P12ihipStream_tbENKUlT_T0_E_clISt17integral_constantIbLb1EESX_IbLb0EEEEDaST_SU_EUlST_E0_NS1_11comp_targetILNS1_3genE5ELNS1_11target_archE942ELNS1_3gpuE9ELNS1_3repE0EEENS1_30default_config_static_selectorELNS0_4arch9wavefront6targetE0EEEvT1_.num_agpr, 0
	.set _ZN7rocprim17ROCPRIM_400000_NS6detail17trampoline_kernelINS0_14default_configENS1_20scan_config_selectorIN3c104HalfEEEZZNS1_9scan_implILNS1_25lookback_scan_determinismE0ELb0ELb0ES3_PKS6_PS6_S6_ZZZN2at6native31launch_logcumsumexp_cuda_kernelERKNSD_10TensorBaseESH_lENKUlvE_clEvENKUlvE3_clEvEUlS6_S6_E_S6_EEDaPvRmT3_T4_T5_mT6_P12ihipStream_tbENKUlT_T0_E_clISt17integral_constantIbLb1EESX_IbLb0EEEEDaST_SU_EUlST_E0_NS1_11comp_targetILNS1_3genE5ELNS1_11target_archE942ELNS1_3gpuE9ELNS1_3repE0EEENS1_30default_config_static_selectorELNS0_4arch9wavefront6targetE0EEEvT1_.numbered_sgpr, 0
	.set _ZN7rocprim17ROCPRIM_400000_NS6detail17trampoline_kernelINS0_14default_configENS1_20scan_config_selectorIN3c104HalfEEEZZNS1_9scan_implILNS1_25lookback_scan_determinismE0ELb0ELb0ES3_PKS6_PS6_S6_ZZZN2at6native31launch_logcumsumexp_cuda_kernelERKNSD_10TensorBaseESH_lENKUlvE_clEvENKUlvE3_clEvEUlS6_S6_E_S6_EEDaPvRmT3_T4_T5_mT6_P12ihipStream_tbENKUlT_T0_E_clISt17integral_constantIbLb1EESX_IbLb0EEEEDaST_SU_EUlST_E0_NS1_11comp_targetILNS1_3genE5ELNS1_11target_archE942ELNS1_3gpuE9ELNS1_3repE0EEENS1_30default_config_static_selectorELNS0_4arch9wavefront6targetE0EEEvT1_.num_named_barrier, 0
	.set _ZN7rocprim17ROCPRIM_400000_NS6detail17trampoline_kernelINS0_14default_configENS1_20scan_config_selectorIN3c104HalfEEEZZNS1_9scan_implILNS1_25lookback_scan_determinismE0ELb0ELb0ES3_PKS6_PS6_S6_ZZZN2at6native31launch_logcumsumexp_cuda_kernelERKNSD_10TensorBaseESH_lENKUlvE_clEvENKUlvE3_clEvEUlS6_S6_E_S6_EEDaPvRmT3_T4_T5_mT6_P12ihipStream_tbENKUlT_T0_E_clISt17integral_constantIbLb1EESX_IbLb0EEEEDaST_SU_EUlST_E0_NS1_11comp_targetILNS1_3genE5ELNS1_11target_archE942ELNS1_3gpuE9ELNS1_3repE0EEENS1_30default_config_static_selectorELNS0_4arch9wavefront6targetE0EEEvT1_.private_seg_size, 0
	.set _ZN7rocprim17ROCPRIM_400000_NS6detail17trampoline_kernelINS0_14default_configENS1_20scan_config_selectorIN3c104HalfEEEZZNS1_9scan_implILNS1_25lookback_scan_determinismE0ELb0ELb0ES3_PKS6_PS6_S6_ZZZN2at6native31launch_logcumsumexp_cuda_kernelERKNSD_10TensorBaseESH_lENKUlvE_clEvENKUlvE3_clEvEUlS6_S6_E_S6_EEDaPvRmT3_T4_T5_mT6_P12ihipStream_tbENKUlT_T0_E_clISt17integral_constantIbLb1EESX_IbLb0EEEEDaST_SU_EUlST_E0_NS1_11comp_targetILNS1_3genE5ELNS1_11target_archE942ELNS1_3gpuE9ELNS1_3repE0EEENS1_30default_config_static_selectorELNS0_4arch9wavefront6targetE0EEEvT1_.uses_vcc, 0
	.set _ZN7rocprim17ROCPRIM_400000_NS6detail17trampoline_kernelINS0_14default_configENS1_20scan_config_selectorIN3c104HalfEEEZZNS1_9scan_implILNS1_25lookback_scan_determinismE0ELb0ELb0ES3_PKS6_PS6_S6_ZZZN2at6native31launch_logcumsumexp_cuda_kernelERKNSD_10TensorBaseESH_lENKUlvE_clEvENKUlvE3_clEvEUlS6_S6_E_S6_EEDaPvRmT3_T4_T5_mT6_P12ihipStream_tbENKUlT_T0_E_clISt17integral_constantIbLb1EESX_IbLb0EEEEDaST_SU_EUlST_E0_NS1_11comp_targetILNS1_3genE5ELNS1_11target_archE942ELNS1_3gpuE9ELNS1_3repE0EEENS1_30default_config_static_selectorELNS0_4arch9wavefront6targetE0EEEvT1_.uses_flat_scratch, 0
	.set _ZN7rocprim17ROCPRIM_400000_NS6detail17trampoline_kernelINS0_14default_configENS1_20scan_config_selectorIN3c104HalfEEEZZNS1_9scan_implILNS1_25lookback_scan_determinismE0ELb0ELb0ES3_PKS6_PS6_S6_ZZZN2at6native31launch_logcumsumexp_cuda_kernelERKNSD_10TensorBaseESH_lENKUlvE_clEvENKUlvE3_clEvEUlS6_S6_E_S6_EEDaPvRmT3_T4_T5_mT6_P12ihipStream_tbENKUlT_T0_E_clISt17integral_constantIbLb1EESX_IbLb0EEEEDaST_SU_EUlST_E0_NS1_11comp_targetILNS1_3genE5ELNS1_11target_archE942ELNS1_3gpuE9ELNS1_3repE0EEENS1_30default_config_static_selectorELNS0_4arch9wavefront6targetE0EEEvT1_.has_dyn_sized_stack, 0
	.set _ZN7rocprim17ROCPRIM_400000_NS6detail17trampoline_kernelINS0_14default_configENS1_20scan_config_selectorIN3c104HalfEEEZZNS1_9scan_implILNS1_25lookback_scan_determinismE0ELb0ELb0ES3_PKS6_PS6_S6_ZZZN2at6native31launch_logcumsumexp_cuda_kernelERKNSD_10TensorBaseESH_lENKUlvE_clEvENKUlvE3_clEvEUlS6_S6_E_S6_EEDaPvRmT3_T4_T5_mT6_P12ihipStream_tbENKUlT_T0_E_clISt17integral_constantIbLb1EESX_IbLb0EEEEDaST_SU_EUlST_E0_NS1_11comp_targetILNS1_3genE5ELNS1_11target_archE942ELNS1_3gpuE9ELNS1_3repE0EEENS1_30default_config_static_selectorELNS0_4arch9wavefront6targetE0EEEvT1_.has_recursion, 0
	.set _ZN7rocprim17ROCPRIM_400000_NS6detail17trampoline_kernelINS0_14default_configENS1_20scan_config_selectorIN3c104HalfEEEZZNS1_9scan_implILNS1_25lookback_scan_determinismE0ELb0ELb0ES3_PKS6_PS6_S6_ZZZN2at6native31launch_logcumsumexp_cuda_kernelERKNSD_10TensorBaseESH_lENKUlvE_clEvENKUlvE3_clEvEUlS6_S6_E_S6_EEDaPvRmT3_T4_T5_mT6_P12ihipStream_tbENKUlT_T0_E_clISt17integral_constantIbLb1EESX_IbLb0EEEEDaST_SU_EUlST_E0_NS1_11comp_targetILNS1_3genE5ELNS1_11target_archE942ELNS1_3gpuE9ELNS1_3repE0EEENS1_30default_config_static_selectorELNS0_4arch9wavefront6targetE0EEEvT1_.has_indirect_call, 0
	.section	.AMDGPU.csdata,"",@progbits
; Kernel info:
; codeLenInByte = 0
; TotalNumSgprs: 0
; NumVgprs: 0
; ScratchSize: 0
; MemoryBound: 0
; FloatMode: 240
; IeeeMode: 1
; LDSByteSize: 0 bytes/workgroup (compile time only)
; SGPRBlocks: 0
; VGPRBlocks: 0
; NumSGPRsForWavesPerEU: 1
; NumVGPRsForWavesPerEU: 1
; Occupancy: 16
; WaveLimiterHint : 0
; COMPUTE_PGM_RSRC2:SCRATCH_EN: 0
; COMPUTE_PGM_RSRC2:USER_SGPR: 2
; COMPUTE_PGM_RSRC2:TRAP_HANDLER: 0
; COMPUTE_PGM_RSRC2:TGID_X_EN: 1
; COMPUTE_PGM_RSRC2:TGID_Y_EN: 0
; COMPUTE_PGM_RSRC2:TGID_Z_EN: 0
; COMPUTE_PGM_RSRC2:TIDIG_COMP_CNT: 0
	.section	.text._ZN7rocprim17ROCPRIM_400000_NS6detail17trampoline_kernelINS0_14default_configENS1_20scan_config_selectorIN3c104HalfEEEZZNS1_9scan_implILNS1_25lookback_scan_determinismE0ELb0ELb0ES3_PKS6_PS6_S6_ZZZN2at6native31launch_logcumsumexp_cuda_kernelERKNSD_10TensorBaseESH_lENKUlvE_clEvENKUlvE3_clEvEUlS6_S6_E_S6_EEDaPvRmT3_T4_T5_mT6_P12ihipStream_tbENKUlT_T0_E_clISt17integral_constantIbLb1EESX_IbLb0EEEEDaST_SU_EUlST_E0_NS1_11comp_targetILNS1_3genE4ELNS1_11target_archE910ELNS1_3gpuE8ELNS1_3repE0EEENS1_30default_config_static_selectorELNS0_4arch9wavefront6targetE0EEEvT1_,"axG",@progbits,_ZN7rocprim17ROCPRIM_400000_NS6detail17trampoline_kernelINS0_14default_configENS1_20scan_config_selectorIN3c104HalfEEEZZNS1_9scan_implILNS1_25lookback_scan_determinismE0ELb0ELb0ES3_PKS6_PS6_S6_ZZZN2at6native31launch_logcumsumexp_cuda_kernelERKNSD_10TensorBaseESH_lENKUlvE_clEvENKUlvE3_clEvEUlS6_S6_E_S6_EEDaPvRmT3_T4_T5_mT6_P12ihipStream_tbENKUlT_T0_E_clISt17integral_constantIbLb1EESX_IbLb0EEEEDaST_SU_EUlST_E0_NS1_11comp_targetILNS1_3genE4ELNS1_11target_archE910ELNS1_3gpuE8ELNS1_3repE0EEENS1_30default_config_static_selectorELNS0_4arch9wavefront6targetE0EEEvT1_,comdat
	.globl	_ZN7rocprim17ROCPRIM_400000_NS6detail17trampoline_kernelINS0_14default_configENS1_20scan_config_selectorIN3c104HalfEEEZZNS1_9scan_implILNS1_25lookback_scan_determinismE0ELb0ELb0ES3_PKS6_PS6_S6_ZZZN2at6native31launch_logcumsumexp_cuda_kernelERKNSD_10TensorBaseESH_lENKUlvE_clEvENKUlvE3_clEvEUlS6_S6_E_S6_EEDaPvRmT3_T4_T5_mT6_P12ihipStream_tbENKUlT_T0_E_clISt17integral_constantIbLb1EESX_IbLb0EEEEDaST_SU_EUlST_E0_NS1_11comp_targetILNS1_3genE4ELNS1_11target_archE910ELNS1_3gpuE8ELNS1_3repE0EEENS1_30default_config_static_selectorELNS0_4arch9wavefront6targetE0EEEvT1_ ; -- Begin function _ZN7rocprim17ROCPRIM_400000_NS6detail17trampoline_kernelINS0_14default_configENS1_20scan_config_selectorIN3c104HalfEEEZZNS1_9scan_implILNS1_25lookback_scan_determinismE0ELb0ELb0ES3_PKS6_PS6_S6_ZZZN2at6native31launch_logcumsumexp_cuda_kernelERKNSD_10TensorBaseESH_lENKUlvE_clEvENKUlvE3_clEvEUlS6_S6_E_S6_EEDaPvRmT3_T4_T5_mT6_P12ihipStream_tbENKUlT_T0_E_clISt17integral_constantIbLb1EESX_IbLb0EEEEDaST_SU_EUlST_E0_NS1_11comp_targetILNS1_3genE4ELNS1_11target_archE910ELNS1_3gpuE8ELNS1_3repE0EEENS1_30default_config_static_selectorELNS0_4arch9wavefront6targetE0EEEvT1_
	.p2align	8
	.type	_ZN7rocprim17ROCPRIM_400000_NS6detail17trampoline_kernelINS0_14default_configENS1_20scan_config_selectorIN3c104HalfEEEZZNS1_9scan_implILNS1_25lookback_scan_determinismE0ELb0ELb0ES3_PKS6_PS6_S6_ZZZN2at6native31launch_logcumsumexp_cuda_kernelERKNSD_10TensorBaseESH_lENKUlvE_clEvENKUlvE3_clEvEUlS6_S6_E_S6_EEDaPvRmT3_T4_T5_mT6_P12ihipStream_tbENKUlT_T0_E_clISt17integral_constantIbLb1EESX_IbLb0EEEEDaST_SU_EUlST_E0_NS1_11comp_targetILNS1_3genE4ELNS1_11target_archE910ELNS1_3gpuE8ELNS1_3repE0EEENS1_30default_config_static_selectorELNS0_4arch9wavefront6targetE0EEEvT1_,@function
_ZN7rocprim17ROCPRIM_400000_NS6detail17trampoline_kernelINS0_14default_configENS1_20scan_config_selectorIN3c104HalfEEEZZNS1_9scan_implILNS1_25lookback_scan_determinismE0ELb0ELb0ES3_PKS6_PS6_S6_ZZZN2at6native31launch_logcumsumexp_cuda_kernelERKNSD_10TensorBaseESH_lENKUlvE_clEvENKUlvE3_clEvEUlS6_S6_E_S6_EEDaPvRmT3_T4_T5_mT6_P12ihipStream_tbENKUlT_T0_E_clISt17integral_constantIbLb1EESX_IbLb0EEEEDaST_SU_EUlST_E0_NS1_11comp_targetILNS1_3genE4ELNS1_11target_archE910ELNS1_3gpuE8ELNS1_3repE0EEENS1_30default_config_static_selectorELNS0_4arch9wavefront6targetE0EEEvT1_: ; @_ZN7rocprim17ROCPRIM_400000_NS6detail17trampoline_kernelINS0_14default_configENS1_20scan_config_selectorIN3c104HalfEEEZZNS1_9scan_implILNS1_25lookback_scan_determinismE0ELb0ELb0ES3_PKS6_PS6_S6_ZZZN2at6native31launch_logcumsumexp_cuda_kernelERKNSD_10TensorBaseESH_lENKUlvE_clEvENKUlvE3_clEvEUlS6_S6_E_S6_EEDaPvRmT3_T4_T5_mT6_P12ihipStream_tbENKUlT_T0_E_clISt17integral_constantIbLb1EESX_IbLb0EEEEDaST_SU_EUlST_E0_NS1_11comp_targetILNS1_3genE4ELNS1_11target_archE910ELNS1_3gpuE8ELNS1_3repE0EEENS1_30default_config_static_selectorELNS0_4arch9wavefront6targetE0EEEvT1_
; %bb.0:
	.section	.rodata,"a",@progbits
	.p2align	6, 0x0
	.amdhsa_kernel _ZN7rocprim17ROCPRIM_400000_NS6detail17trampoline_kernelINS0_14default_configENS1_20scan_config_selectorIN3c104HalfEEEZZNS1_9scan_implILNS1_25lookback_scan_determinismE0ELb0ELb0ES3_PKS6_PS6_S6_ZZZN2at6native31launch_logcumsumexp_cuda_kernelERKNSD_10TensorBaseESH_lENKUlvE_clEvENKUlvE3_clEvEUlS6_S6_E_S6_EEDaPvRmT3_T4_T5_mT6_P12ihipStream_tbENKUlT_T0_E_clISt17integral_constantIbLb1EESX_IbLb0EEEEDaST_SU_EUlST_E0_NS1_11comp_targetILNS1_3genE4ELNS1_11target_archE910ELNS1_3gpuE8ELNS1_3repE0EEENS1_30default_config_static_selectorELNS0_4arch9wavefront6targetE0EEEvT1_
		.amdhsa_group_segment_fixed_size 0
		.amdhsa_private_segment_fixed_size 0
		.amdhsa_kernarg_size 32
		.amdhsa_user_sgpr_count 2
		.amdhsa_user_sgpr_dispatch_ptr 0
		.amdhsa_user_sgpr_queue_ptr 0
		.amdhsa_user_sgpr_kernarg_segment_ptr 1
		.amdhsa_user_sgpr_dispatch_id 0
		.amdhsa_user_sgpr_private_segment_size 0
		.amdhsa_wavefront_size32 1
		.amdhsa_uses_dynamic_stack 0
		.amdhsa_enable_private_segment 0
		.amdhsa_system_sgpr_workgroup_id_x 1
		.amdhsa_system_sgpr_workgroup_id_y 0
		.amdhsa_system_sgpr_workgroup_id_z 0
		.amdhsa_system_sgpr_workgroup_info 0
		.amdhsa_system_vgpr_workitem_id 0
		.amdhsa_next_free_vgpr 1
		.amdhsa_next_free_sgpr 1
		.amdhsa_reserve_vcc 0
		.amdhsa_float_round_mode_32 0
		.amdhsa_float_round_mode_16_64 0
		.amdhsa_float_denorm_mode_32 3
		.amdhsa_float_denorm_mode_16_64 3
		.amdhsa_fp16_overflow 0
		.amdhsa_workgroup_processor_mode 1
		.amdhsa_memory_ordered 1
		.amdhsa_forward_progress 1
		.amdhsa_inst_pref_size 0
		.amdhsa_round_robin_scheduling 0
		.amdhsa_exception_fp_ieee_invalid_op 0
		.amdhsa_exception_fp_denorm_src 0
		.amdhsa_exception_fp_ieee_div_zero 0
		.amdhsa_exception_fp_ieee_overflow 0
		.amdhsa_exception_fp_ieee_underflow 0
		.amdhsa_exception_fp_ieee_inexact 0
		.amdhsa_exception_int_div_zero 0
	.end_amdhsa_kernel
	.section	.text._ZN7rocprim17ROCPRIM_400000_NS6detail17trampoline_kernelINS0_14default_configENS1_20scan_config_selectorIN3c104HalfEEEZZNS1_9scan_implILNS1_25lookback_scan_determinismE0ELb0ELb0ES3_PKS6_PS6_S6_ZZZN2at6native31launch_logcumsumexp_cuda_kernelERKNSD_10TensorBaseESH_lENKUlvE_clEvENKUlvE3_clEvEUlS6_S6_E_S6_EEDaPvRmT3_T4_T5_mT6_P12ihipStream_tbENKUlT_T0_E_clISt17integral_constantIbLb1EESX_IbLb0EEEEDaST_SU_EUlST_E0_NS1_11comp_targetILNS1_3genE4ELNS1_11target_archE910ELNS1_3gpuE8ELNS1_3repE0EEENS1_30default_config_static_selectorELNS0_4arch9wavefront6targetE0EEEvT1_,"axG",@progbits,_ZN7rocprim17ROCPRIM_400000_NS6detail17trampoline_kernelINS0_14default_configENS1_20scan_config_selectorIN3c104HalfEEEZZNS1_9scan_implILNS1_25lookback_scan_determinismE0ELb0ELb0ES3_PKS6_PS6_S6_ZZZN2at6native31launch_logcumsumexp_cuda_kernelERKNSD_10TensorBaseESH_lENKUlvE_clEvENKUlvE3_clEvEUlS6_S6_E_S6_EEDaPvRmT3_T4_T5_mT6_P12ihipStream_tbENKUlT_T0_E_clISt17integral_constantIbLb1EESX_IbLb0EEEEDaST_SU_EUlST_E0_NS1_11comp_targetILNS1_3genE4ELNS1_11target_archE910ELNS1_3gpuE8ELNS1_3repE0EEENS1_30default_config_static_selectorELNS0_4arch9wavefront6targetE0EEEvT1_,comdat
.Lfunc_end408:
	.size	_ZN7rocprim17ROCPRIM_400000_NS6detail17trampoline_kernelINS0_14default_configENS1_20scan_config_selectorIN3c104HalfEEEZZNS1_9scan_implILNS1_25lookback_scan_determinismE0ELb0ELb0ES3_PKS6_PS6_S6_ZZZN2at6native31launch_logcumsumexp_cuda_kernelERKNSD_10TensorBaseESH_lENKUlvE_clEvENKUlvE3_clEvEUlS6_S6_E_S6_EEDaPvRmT3_T4_T5_mT6_P12ihipStream_tbENKUlT_T0_E_clISt17integral_constantIbLb1EESX_IbLb0EEEEDaST_SU_EUlST_E0_NS1_11comp_targetILNS1_3genE4ELNS1_11target_archE910ELNS1_3gpuE8ELNS1_3repE0EEENS1_30default_config_static_selectorELNS0_4arch9wavefront6targetE0EEEvT1_, .Lfunc_end408-_ZN7rocprim17ROCPRIM_400000_NS6detail17trampoline_kernelINS0_14default_configENS1_20scan_config_selectorIN3c104HalfEEEZZNS1_9scan_implILNS1_25lookback_scan_determinismE0ELb0ELb0ES3_PKS6_PS6_S6_ZZZN2at6native31launch_logcumsumexp_cuda_kernelERKNSD_10TensorBaseESH_lENKUlvE_clEvENKUlvE3_clEvEUlS6_S6_E_S6_EEDaPvRmT3_T4_T5_mT6_P12ihipStream_tbENKUlT_T0_E_clISt17integral_constantIbLb1EESX_IbLb0EEEEDaST_SU_EUlST_E0_NS1_11comp_targetILNS1_3genE4ELNS1_11target_archE910ELNS1_3gpuE8ELNS1_3repE0EEENS1_30default_config_static_selectorELNS0_4arch9wavefront6targetE0EEEvT1_
                                        ; -- End function
	.set _ZN7rocprim17ROCPRIM_400000_NS6detail17trampoline_kernelINS0_14default_configENS1_20scan_config_selectorIN3c104HalfEEEZZNS1_9scan_implILNS1_25lookback_scan_determinismE0ELb0ELb0ES3_PKS6_PS6_S6_ZZZN2at6native31launch_logcumsumexp_cuda_kernelERKNSD_10TensorBaseESH_lENKUlvE_clEvENKUlvE3_clEvEUlS6_S6_E_S6_EEDaPvRmT3_T4_T5_mT6_P12ihipStream_tbENKUlT_T0_E_clISt17integral_constantIbLb1EESX_IbLb0EEEEDaST_SU_EUlST_E0_NS1_11comp_targetILNS1_3genE4ELNS1_11target_archE910ELNS1_3gpuE8ELNS1_3repE0EEENS1_30default_config_static_selectorELNS0_4arch9wavefront6targetE0EEEvT1_.num_vgpr, 0
	.set _ZN7rocprim17ROCPRIM_400000_NS6detail17trampoline_kernelINS0_14default_configENS1_20scan_config_selectorIN3c104HalfEEEZZNS1_9scan_implILNS1_25lookback_scan_determinismE0ELb0ELb0ES3_PKS6_PS6_S6_ZZZN2at6native31launch_logcumsumexp_cuda_kernelERKNSD_10TensorBaseESH_lENKUlvE_clEvENKUlvE3_clEvEUlS6_S6_E_S6_EEDaPvRmT3_T4_T5_mT6_P12ihipStream_tbENKUlT_T0_E_clISt17integral_constantIbLb1EESX_IbLb0EEEEDaST_SU_EUlST_E0_NS1_11comp_targetILNS1_3genE4ELNS1_11target_archE910ELNS1_3gpuE8ELNS1_3repE0EEENS1_30default_config_static_selectorELNS0_4arch9wavefront6targetE0EEEvT1_.num_agpr, 0
	.set _ZN7rocprim17ROCPRIM_400000_NS6detail17trampoline_kernelINS0_14default_configENS1_20scan_config_selectorIN3c104HalfEEEZZNS1_9scan_implILNS1_25lookback_scan_determinismE0ELb0ELb0ES3_PKS6_PS6_S6_ZZZN2at6native31launch_logcumsumexp_cuda_kernelERKNSD_10TensorBaseESH_lENKUlvE_clEvENKUlvE3_clEvEUlS6_S6_E_S6_EEDaPvRmT3_T4_T5_mT6_P12ihipStream_tbENKUlT_T0_E_clISt17integral_constantIbLb1EESX_IbLb0EEEEDaST_SU_EUlST_E0_NS1_11comp_targetILNS1_3genE4ELNS1_11target_archE910ELNS1_3gpuE8ELNS1_3repE0EEENS1_30default_config_static_selectorELNS0_4arch9wavefront6targetE0EEEvT1_.numbered_sgpr, 0
	.set _ZN7rocprim17ROCPRIM_400000_NS6detail17trampoline_kernelINS0_14default_configENS1_20scan_config_selectorIN3c104HalfEEEZZNS1_9scan_implILNS1_25lookback_scan_determinismE0ELb0ELb0ES3_PKS6_PS6_S6_ZZZN2at6native31launch_logcumsumexp_cuda_kernelERKNSD_10TensorBaseESH_lENKUlvE_clEvENKUlvE3_clEvEUlS6_S6_E_S6_EEDaPvRmT3_T4_T5_mT6_P12ihipStream_tbENKUlT_T0_E_clISt17integral_constantIbLb1EESX_IbLb0EEEEDaST_SU_EUlST_E0_NS1_11comp_targetILNS1_3genE4ELNS1_11target_archE910ELNS1_3gpuE8ELNS1_3repE0EEENS1_30default_config_static_selectorELNS0_4arch9wavefront6targetE0EEEvT1_.num_named_barrier, 0
	.set _ZN7rocprim17ROCPRIM_400000_NS6detail17trampoline_kernelINS0_14default_configENS1_20scan_config_selectorIN3c104HalfEEEZZNS1_9scan_implILNS1_25lookback_scan_determinismE0ELb0ELb0ES3_PKS6_PS6_S6_ZZZN2at6native31launch_logcumsumexp_cuda_kernelERKNSD_10TensorBaseESH_lENKUlvE_clEvENKUlvE3_clEvEUlS6_S6_E_S6_EEDaPvRmT3_T4_T5_mT6_P12ihipStream_tbENKUlT_T0_E_clISt17integral_constantIbLb1EESX_IbLb0EEEEDaST_SU_EUlST_E0_NS1_11comp_targetILNS1_3genE4ELNS1_11target_archE910ELNS1_3gpuE8ELNS1_3repE0EEENS1_30default_config_static_selectorELNS0_4arch9wavefront6targetE0EEEvT1_.private_seg_size, 0
	.set _ZN7rocprim17ROCPRIM_400000_NS6detail17trampoline_kernelINS0_14default_configENS1_20scan_config_selectorIN3c104HalfEEEZZNS1_9scan_implILNS1_25lookback_scan_determinismE0ELb0ELb0ES3_PKS6_PS6_S6_ZZZN2at6native31launch_logcumsumexp_cuda_kernelERKNSD_10TensorBaseESH_lENKUlvE_clEvENKUlvE3_clEvEUlS6_S6_E_S6_EEDaPvRmT3_T4_T5_mT6_P12ihipStream_tbENKUlT_T0_E_clISt17integral_constantIbLb1EESX_IbLb0EEEEDaST_SU_EUlST_E0_NS1_11comp_targetILNS1_3genE4ELNS1_11target_archE910ELNS1_3gpuE8ELNS1_3repE0EEENS1_30default_config_static_selectorELNS0_4arch9wavefront6targetE0EEEvT1_.uses_vcc, 0
	.set _ZN7rocprim17ROCPRIM_400000_NS6detail17trampoline_kernelINS0_14default_configENS1_20scan_config_selectorIN3c104HalfEEEZZNS1_9scan_implILNS1_25lookback_scan_determinismE0ELb0ELb0ES3_PKS6_PS6_S6_ZZZN2at6native31launch_logcumsumexp_cuda_kernelERKNSD_10TensorBaseESH_lENKUlvE_clEvENKUlvE3_clEvEUlS6_S6_E_S6_EEDaPvRmT3_T4_T5_mT6_P12ihipStream_tbENKUlT_T0_E_clISt17integral_constantIbLb1EESX_IbLb0EEEEDaST_SU_EUlST_E0_NS1_11comp_targetILNS1_3genE4ELNS1_11target_archE910ELNS1_3gpuE8ELNS1_3repE0EEENS1_30default_config_static_selectorELNS0_4arch9wavefront6targetE0EEEvT1_.uses_flat_scratch, 0
	.set _ZN7rocprim17ROCPRIM_400000_NS6detail17trampoline_kernelINS0_14default_configENS1_20scan_config_selectorIN3c104HalfEEEZZNS1_9scan_implILNS1_25lookback_scan_determinismE0ELb0ELb0ES3_PKS6_PS6_S6_ZZZN2at6native31launch_logcumsumexp_cuda_kernelERKNSD_10TensorBaseESH_lENKUlvE_clEvENKUlvE3_clEvEUlS6_S6_E_S6_EEDaPvRmT3_T4_T5_mT6_P12ihipStream_tbENKUlT_T0_E_clISt17integral_constantIbLb1EESX_IbLb0EEEEDaST_SU_EUlST_E0_NS1_11comp_targetILNS1_3genE4ELNS1_11target_archE910ELNS1_3gpuE8ELNS1_3repE0EEENS1_30default_config_static_selectorELNS0_4arch9wavefront6targetE0EEEvT1_.has_dyn_sized_stack, 0
	.set _ZN7rocprim17ROCPRIM_400000_NS6detail17trampoline_kernelINS0_14default_configENS1_20scan_config_selectorIN3c104HalfEEEZZNS1_9scan_implILNS1_25lookback_scan_determinismE0ELb0ELb0ES3_PKS6_PS6_S6_ZZZN2at6native31launch_logcumsumexp_cuda_kernelERKNSD_10TensorBaseESH_lENKUlvE_clEvENKUlvE3_clEvEUlS6_S6_E_S6_EEDaPvRmT3_T4_T5_mT6_P12ihipStream_tbENKUlT_T0_E_clISt17integral_constantIbLb1EESX_IbLb0EEEEDaST_SU_EUlST_E0_NS1_11comp_targetILNS1_3genE4ELNS1_11target_archE910ELNS1_3gpuE8ELNS1_3repE0EEENS1_30default_config_static_selectorELNS0_4arch9wavefront6targetE0EEEvT1_.has_recursion, 0
	.set _ZN7rocprim17ROCPRIM_400000_NS6detail17trampoline_kernelINS0_14default_configENS1_20scan_config_selectorIN3c104HalfEEEZZNS1_9scan_implILNS1_25lookback_scan_determinismE0ELb0ELb0ES3_PKS6_PS6_S6_ZZZN2at6native31launch_logcumsumexp_cuda_kernelERKNSD_10TensorBaseESH_lENKUlvE_clEvENKUlvE3_clEvEUlS6_S6_E_S6_EEDaPvRmT3_T4_T5_mT6_P12ihipStream_tbENKUlT_T0_E_clISt17integral_constantIbLb1EESX_IbLb0EEEEDaST_SU_EUlST_E0_NS1_11comp_targetILNS1_3genE4ELNS1_11target_archE910ELNS1_3gpuE8ELNS1_3repE0EEENS1_30default_config_static_selectorELNS0_4arch9wavefront6targetE0EEEvT1_.has_indirect_call, 0
	.section	.AMDGPU.csdata,"",@progbits
; Kernel info:
; codeLenInByte = 0
; TotalNumSgprs: 0
; NumVgprs: 0
; ScratchSize: 0
; MemoryBound: 0
; FloatMode: 240
; IeeeMode: 1
; LDSByteSize: 0 bytes/workgroup (compile time only)
; SGPRBlocks: 0
; VGPRBlocks: 0
; NumSGPRsForWavesPerEU: 1
; NumVGPRsForWavesPerEU: 1
; Occupancy: 16
; WaveLimiterHint : 0
; COMPUTE_PGM_RSRC2:SCRATCH_EN: 0
; COMPUTE_PGM_RSRC2:USER_SGPR: 2
; COMPUTE_PGM_RSRC2:TRAP_HANDLER: 0
; COMPUTE_PGM_RSRC2:TGID_X_EN: 1
; COMPUTE_PGM_RSRC2:TGID_Y_EN: 0
; COMPUTE_PGM_RSRC2:TGID_Z_EN: 0
; COMPUTE_PGM_RSRC2:TIDIG_COMP_CNT: 0
	.section	.text._ZN7rocprim17ROCPRIM_400000_NS6detail17trampoline_kernelINS0_14default_configENS1_20scan_config_selectorIN3c104HalfEEEZZNS1_9scan_implILNS1_25lookback_scan_determinismE0ELb0ELb0ES3_PKS6_PS6_S6_ZZZN2at6native31launch_logcumsumexp_cuda_kernelERKNSD_10TensorBaseESH_lENKUlvE_clEvENKUlvE3_clEvEUlS6_S6_E_S6_EEDaPvRmT3_T4_T5_mT6_P12ihipStream_tbENKUlT_T0_E_clISt17integral_constantIbLb1EESX_IbLb0EEEEDaST_SU_EUlST_E0_NS1_11comp_targetILNS1_3genE3ELNS1_11target_archE908ELNS1_3gpuE7ELNS1_3repE0EEENS1_30default_config_static_selectorELNS0_4arch9wavefront6targetE0EEEvT1_,"axG",@progbits,_ZN7rocprim17ROCPRIM_400000_NS6detail17trampoline_kernelINS0_14default_configENS1_20scan_config_selectorIN3c104HalfEEEZZNS1_9scan_implILNS1_25lookback_scan_determinismE0ELb0ELb0ES3_PKS6_PS6_S6_ZZZN2at6native31launch_logcumsumexp_cuda_kernelERKNSD_10TensorBaseESH_lENKUlvE_clEvENKUlvE3_clEvEUlS6_S6_E_S6_EEDaPvRmT3_T4_T5_mT6_P12ihipStream_tbENKUlT_T0_E_clISt17integral_constantIbLb1EESX_IbLb0EEEEDaST_SU_EUlST_E0_NS1_11comp_targetILNS1_3genE3ELNS1_11target_archE908ELNS1_3gpuE7ELNS1_3repE0EEENS1_30default_config_static_selectorELNS0_4arch9wavefront6targetE0EEEvT1_,comdat
	.globl	_ZN7rocprim17ROCPRIM_400000_NS6detail17trampoline_kernelINS0_14default_configENS1_20scan_config_selectorIN3c104HalfEEEZZNS1_9scan_implILNS1_25lookback_scan_determinismE0ELb0ELb0ES3_PKS6_PS6_S6_ZZZN2at6native31launch_logcumsumexp_cuda_kernelERKNSD_10TensorBaseESH_lENKUlvE_clEvENKUlvE3_clEvEUlS6_S6_E_S6_EEDaPvRmT3_T4_T5_mT6_P12ihipStream_tbENKUlT_T0_E_clISt17integral_constantIbLb1EESX_IbLb0EEEEDaST_SU_EUlST_E0_NS1_11comp_targetILNS1_3genE3ELNS1_11target_archE908ELNS1_3gpuE7ELNS1_3repE0EEENS1_30default_config_static_selectorELNS0_4arch9wavefront6targetE0EEEvT1_ ; -- Begin function _ZN7rocprim17ROCPRIM_400000_NS6detail17trampoline_kernelINS0_14default_configENS1_20scan_config_selectorIN3c104HalfEEEZZNS1_9scan_implILNS1_25lookback_scan_determinismE0ELb0ELb0ES3_PKS6_PS6_S6_ZZZN2at6native31launch_logcumsumexp_cuda_kernelERKNSD_10TensorBaseESH_lENKUlvE_clEvENKUlvE3_clEvEUlS6_S6_E_S6_EEDaPvRmT3_T4_T5_mT6_P12ihipStream_tbENKUlT_T0_E_clISt17integral_constantIbLb1EESX_IbLb0EEEEDaST_SU_EUlST_E0_NS1_11comp_targetILNS1_3genE3ELNS1_11target_archE908ELNS1_3gpuE7ELNS1_3repE0EEENS1_30default_config_static_selectorELNS0_4arch9wavefront6targetE0EEEvT1_
	.p2align	8
	.type	_ZN7rocprim17ROCPRIM_400000_NS6detail17trampoline_kernelINS0_14default_configENS1_20scan_config_selectorIN3c104HalfEEEZZNS1_9scan_implILNS1_25lookback_scan_determinismE0ELb0ELb0ES3_PKS6_PS6_S6_ZZZN2at6native31launch_logcumsumexp_cuda_kernelERKNSD_10TensorBaseESH_lENKUlvE_clEvENKUlvE3_clEvEUlS6_S6_E_S6_EEDaPvRmT3_T4_T5_mT6_P12ihipStream_tbENKUlT_T0_E_clISt17integral_constantIbLb1EESX_IbLb0EEEEDaST_SU_EUlST_E0_NS1_11comp_targetILNS1_3genE3ELNS1_11target_archE908ELNS1_3gpuE7ELNS1_3repE0EEENS1_30default_config_static_selectorELNS0_4arch9wavefront6targetE0EEEvT1_,@function
_ZN7rocprim17ROCPRIM_400000_NS6detail17trampoline_kernelINS0_14default_configENS1_20scan_config_selectorIN3c104HalfEEEZZNS1_9scan_implILNS1_25lookback_scan_determinismE0ELb0ELb0ES3_PKS6_PS6_S6_ZZZN2at6native31launch_logcumsumexp_cuda_kernelERKNSD_10TensorBaseESH_lENKUlvE_clEvENKUlvE3_clEvEUlS6_S6_E_S6_EEDaPvRmT3_T4_T5_mT6_P12ihipStream_tbENKUlT_T0_E_clISt17integral_constantIbLb1EESX_IbLb0EEEEDaST_SU_EUlST_E0_NS1_11comp_targetILNS1_3genE3ELNS1_11target_archE908ELNS1_3gpuE7ELNS1_3repE0EEENS1_30default_config_static_selectorELNS0_4arch9wavefront6targetE0EEEvT1_: ; @_ZN7rocprim17ROCPRIM_400000_NS6detail17trampoline_kernelINS0_14default_configENS1_20scan_config_selectorIN3c104HalfEEEZZNS1_9scan_implILNS1_25lookback_scan_determinismE0ELb0ELb0ES3_PKS6_PS6_S6_ZZZN2at6native31launch_logcumsumexp_cuda_kernelERKNSD_10TensorBaseESH_lENKUlvE_clEvENKUlvE3_clEvEUlS6_S6_E_S6_EEDaPvRmT3_T4_T5_mT6_P12ihipStream_tbENKUlT_T0_E_clISt17integral_constantIbLb1EESX_IbLb0EEEEDaST_SU_EUlST_E0_NS1_11comp_targetILNS1_3genE3ELNS1_11target_archE908ELNS1_3gpuE7ELNS1_3repE0EEENS1_30default_config_static_selectorELNS0_4arch9wavefront6targetE0EEEvT1_
; %bb.0:
	.section	.rodata,"a",@progbits
	.p2align	6, 0x0
	.amdhsa_kernel _ZN7rocprim17ROCPRIM_400000_NS6detail17trampoline_kernelINS0_14default_configENS1_20scan_config_selectorIN3c104HalfEEEZZNS1_9scan_implILNS1_25lookback_scan_determinismE0ELb0ELb0ES3_PKS6_PS6_S6_ZZZN2at6native31launch_logcumsumexp_cuda_kernelERKNSD_10TensorBaseESH_lENKUlvE_clEvENKUlvE3_clEvEUlS6_S6_E_S6_EEDaPvRmT3_T4_T5_mT6_P12ihipStream_tbENKUlT_T0_E_clISt17integral_constantIbLb1EESX_IbLb0EEEEDaST_SU_EUlST_E0_NS1_11comp_targetILNS1_3genE3ELNS1_11target_archE908ELNS1_3gpuE7ELNS1_3repE0EEENS1_30default_config_static_selectorELNS0_4arch9wavefront6targetE0EEEvT1_
		.amdhsa_group_segment_fixed_size 0
		.amdhsa_private_segment_fixed_size 0
		.amdhsa_kernarg_size 32
		.amdhsa_user_sgpr_count 2
		.amdhsa_user_sgpr_dispatch_ptr 0
		.amdhsa_user_sgpr_queue_ptr 0
		.amdhsa_user_sgpr_kernarg_segment_ptr 1
		.amdhsa_user_sgpr_dispatch_id 0
		.amdhsa_user_sgpr_private_segment_size 0
		.amdhsa_wavefront_size32 1
		.amdhsa_uses_dynamic_stack 0
		.amdhsa_enable_private_segment 0
		.amdhsa_system_sgpr_workgroup_id_x 1
		.amdhsa_system_sgpr_workgroup_id_y 0
		.amdhsa_system_sgpr_workgroup_id_z 0
		.amdhsa_system_sgpr_workgroup_info 0
		.amdhsa_system_vgpr_workitem_id 0
		.amdhsa_next_free_vgpr 1
		.amdhsa_next_free_sgpr 1
		.amdhsa_reserve_vcc 0
		.amdhsa_float_round_mode_32 0
		.amdhsa_float_round_mode_16_64 0
		.amdhsa_float_denorm_mode_32 3
		.amdhsa_float_denorm_mode_16_64 3
		.amdhsa_fp16_overflow 0
		.amdhsa_workgroup_processor_mode 1
		.amdhsa_memory_ordered 1
		.amdhsa_forward_progress 1
		.amdhsa_inst_pref_size 0
		.amdhsa_round_robin_scheduling 0
		.amdhsa_exception_fp_ieee_invalid_op 0
		.amdhsa_exception_fp_denorm_src 0
		.amdhsa_exception_fp_ieee_div_zero 0
		.amdhsa_exception_fp_ieee_overflow 0
		.amdhsa_exception_fp_ieee_underflow 0
		.amdhsa_exception_fp_ieee_inexact 0
		.amdhsa_exception_int_div_zero 0
	.end_amdhsa_kernel
	.section	.text._ZN7rocprim17ROCPRIM_400000_NS6detail17trampoline_kernelINS0_14default_configENS1_20scan_config_selectorIN3c104HalfEEEZZNS1_9scan_implILNS1_25lookback_scan_determinismE0ELb0ELb0ES3_PKS6_PS6_S6_ZZZN2at6native31launch_logcumsumexp_cuda_kernelERKNSD_10TensorBaseESH_lENKUlvE_clEvENKUlvE3_clEvEUlS6_S6_E_S6_EEDaPvRmT3_T4_T5_mT6_P12ihipStream_tbENKUlT_T0_E_clISt17integral_constantIbLb1EESX_IbLb0EEEEDaST_SU_EUlST_E0_NS1_11comp_targetILNS1_3genE3ELNS1_11target_archE908ELNS1_3gpuE7ELNS1_3repE0EEENS1_30default_config_static_selectorELNS0_4arch9wavefront6targetE0EEEvT1_,"axG",@progbits,_ZN7rocprim17ROCPRIM_400000_NS6detail17trampoline_kernelINS0_14default_configENS1_20scan_config_selectorIN3c104HalfEEEZZNS1_9scan_implILNS1_25lookback_scan_determinismE0ELb0ELb0ES3_PKS6_PS6_S6_ZZZN2at6native31launch_logcumsumexp_cuda_kernelERKNSD_10TensorBaseESH_lENKUlvE_clEvENKUlvE3_clEvEUlS6_S6_E_S6_EEDaPvRmT3_T4_T5_mT6_P12ihipStream_tbENKUlT_T0_E_clISt17integral_constantIbLb1EESX_IbLb0EEEEDaST_SU_EUlST_E0_NS1_11comp_targetILNS1_3genE3ELNS1_11target_archE908ELNS1_3gpuE7ELNS1_3repE0EEENS1_30default_config_static_selectorELNS0_4arch9wavefront6targetE0EEEvT1_,comdat
.Lfunc_end409:
	.size	_ZN7rocprim17ROCPRIM_400000_NS6detail17trampoline_kernelINS0_14default_configENS1_20scan_config_selectorIN3c104HalfEEEZZNS1_9scan_implILNS1_25lookback_scan_determinismE0ELb0ELb0ES3_PKS6_PS6_S6_ZZZN2at6native31launch_logcumsumexp_cuda_kernelERKNSD_10TensorBaseESH_lENKUlvE_clEvENKUlvE3_clEvEUlS6_S6_E_S6_EEDaPvRmT3_T4_T5_mT6_P12ihipStream_tbENKUlT_T0_E_clISt17integral_constantIbLb1EESX_IbLb0EEEEDaST_SU_EUlST_E0_NS1_11comp_targetILNS1_3genE3ELNS1_11target_archE908ELNS1_3gpuE7ELNS1_3repE0EEENS1_30default_config_static_selectorELNS0_4arch9wavefront6targetE0EEEvT1_, .Lfunc_end409-_ZN7rocprim17ROCPRIM_400000_NS6detail17trampoline_kernelINS0_14default_configENS1_20scan_config_selectorIN3c104HalfEEEZZNS1_9scan_implILNS1_25lookback_scan_determinismE0ELb0ELb0ES3_PKS6_PS6_S6_ZZZN2at6native31launch_logcumsumexp_cuda_kernelERKNSD_10TensorBaseESH_lENKUlvE_clEvENKUlvE3_clEvEUlS6_S6_E_S6_EEDaPvRmT3_T4_T5_mT6_P12ihipStream_tbENKUlT_T0_E_clISt17integral_constantIbLb1EESX_IbLb0EEEEDaST_SU_EUlST_E0_NS1_11comp_targetILNS1_3genE3ELNS1_11target_archE908ELNS1_3gpuE7ELNS1_3repE0EEENS1_30default_config_static_selectorELNS0_4arch9wavefront6targetE0EEEvT1_
                                        ; -- End function
	.set _ZN7rocprim17ROCPRIM_400000_NS6detail17trampoline_kernelINS0_14default_configENS1_20scan_config_selectorIN3c104HalfEEEZZNS1_9scan_implILNS1_25lookback_scan_determinismE0ELb0ELb0ES3_PKS6_PS6_S6_ZZZN2at6native31launch_logcumsumexp_cuda_kernelERKNSD_10TensorBaseESH_lENKUlvE_clEvENKUlvE3_clEvEUlS6_S6_E_S6_EEDaPvRmT3_T4_T5_mT6_P12ihipStream_tbENKUlT_T0_E_clISt17integral_constantIbLb1EESX_IbLb0EEEEDaST_SU_EUlST_E0_NS1_11comp_targetILNS1_3genE3ELNS1_11target_archE908ELNS1_3gpuE7ELNS1_3repE0EEENS1_30default_config_static_selectorELNS0_4arch9wavefront6targetE0EEEvT1_.num_vgpr, 0
	.set _ZN7rocprim17ROCPRIM_400000_NS6detail17trampoline_kernelINS0_14default_configENS1_20scan_config_selectorIN3c104HalfEEEZZNS1_9scan_implILNS1_25lookback_scan_determinismE0ELb0ELb0ES3_PKS6_PS6_S6_ZZZN2at6native31launch_logcumsumexp_cuda_kernelERKNSD_10TensorBaseESH_lENKUlvE_clEvENKUlvE3_clEvEUlS6_S6_E_S6_EEDaPvRmT3_T4_T5_mT6_P12ihipStream_tbENKUlT_T0_E_clISt17integral_constantIbLb1EESX_IbLb0EEEEDaST_SU_EUlST_E0_NS1_11comp_targetILNS1_3genE3ELNS1_11target_archE908ELNS1_3gpuE7ELNS1_3repE0EEENS1_30default_config_static_selectorELNS0_4arch9wavefront6targetE0EEEvT1_.num_agpr, 0
	.set _ZN7rocprim17ROCPRIM_400000_NS6detail17trampoline_kernelINS0_14default_configENS1_20scan_config_selectorIN3c104HalfEEEZZNS1_9scan_implILNS1_25lookback_scan_determinismE0ELb0ELb0ES3_PKS6_PS6_S6_ZZZN2at6native31launch_logcumsumexp_cuda_kernelERKNSD_10TensorBaseESH_lENKUlvE_clEvENKUlvE3_clEvEUlS6_S6_E_S6_EEDaPvRmT3_T4_T5_mT6_P12ihipStream_tbENKUlT_T0_E_clISt17integral_constantIbLb1EESX_IbLb0EEEEDaST_SU_EUlST_E0_NS1_11comp_targetILNS1_3genE3ELNS1_11target_archE908ELNS1_3gpuE7ELNS1_3repE0EEENS1_30default_config_static_selectorELNS0_4arch9wavefront6targetE0EEEvT1_.numbered_sgpr, 0
	.set _ZN7rocprim17ROCPRIM_400000_NS6detail17trampoline_kernelINS0_14default_configENS1_20scan_config_selectorIN3c104HalfEEEZZNS1_9scan_implILNS1_25lookback_scan_determinismE0ELb0ELb0ES3_PKS6_PS6_S6_ZZZN2at6native31launch_logcumsumexp_cuda_kernelERKNSD_10TensorBaseESH_lENKUlvE_clEvENKUlvE3_clEvEUlS6_S6_E_S6_EEDaPvRmT3_T4_T5_mT6_P12ihipStream_tbENKUlT_T0_E_clISt17integral_constantIbLb1EESX_IbLb0EEEEDaST_SU_EUlST_E0_NS1_11comp_targetILNS1_3genE3ELNS1_11target_archE908ELNS1_3gpuE7ELNS1_3repE0EEENS1_30default_config_static_selectorELNS0_4arch9wavefront6targetE0EEEvT1_.num_named_barrier, 0
	.set _ZN7rocprim17ROCPRIM_400000_NS6detail17trampoline_kernelINS0_14default_configENS1_20scan_config_selectorIN3c104HalfEEEZZNS1_9scan_implILNS1_25lookback_scan_determinismE0ELb0ELb0ES3_PKS6_PS6_S6_ZZZN2at6native31launch_logcumsumexp_cuda_kernelERKNSD_10TensorBaseESH_lENKUlvE_clEvENKUlvE3_clEvEUlS6_S6_E_S6_EEDaPvRmT3_T4_T5_mT6_P12ihipStream_tbENKUlT_T0_E_clISt17integral_constantIbLb1EESX_IbLb0EEEEDaST_SU_EUlST_E0_NS1_11comp_targetILNS1_3genE3ELNS1_11target_archE908ELNS1_3gpuE7ELNS1_3repE0EEENS1_30default_config_static_selectorELNS0_4arch9wavefront6targetE0EEEvT1_.private_seg_size, 0
	.set _ZN7rocprim17ROCPRIM_400000_NS6detail17trampoline_kernelINS0_14default_configENS1_20scan_config_selectorIN3c104HalfEEEZZNS1_9scan_implILNS1_25lookback_scan_determinismE0ELb0ELb0ES3_PKS6_PS6_S6_ZZZN2at6native31launch_logcumsumexp_cuda_kernelERKNSD_10TensorBaseESH_lENKUlvE_clEvENKUlvE3_clEvEUlS6_S6_E_S6_EEDaPvRmT3_T4_T5_mT6_P12ihipStream_tbENKUlT_T0_E_clISt17integral_constantIbLb1EESX_IbLb0EEEEDaST_SU_EUlST_E0_NS1_11comp_targetILNS1_3genE3ELNS1_11target_archE908ELNS1_3gpuE7ELNS1_3repE0EEENS1_30default_config_static_selectorELNS0_4arch9wavefront6targetE0EEEvT1_.uses_vcc, 0
	.set _ZN7rocprim17ROCPRIM_400000_NS6detail17trampoline_kernelINS0_14default_configENS1_20scan_config_selectorIN3c104HalfEEEZZNS1_9scan_implILNS1_25lookback_scan_determinismE0ELb0ELb0ES3_PKS6_PS6_S6_ZZZN2at6native31launch_logcumsumexp_cuda_kernelERKNSD_10TensorBaseESH_lENKUlvE_clEvENKUlvE3_clEvEUlS6_S6_E_S6_EEDaPvRmT3_T4_T5_mT6_P12ihipStream_tbENKUlT_T0_E_clISt17integral_constantIbLb1EESX_IbLb0EEEEDaST_SU_EUlST_E0_NS1_11comp_targetILNS1_3genE3ELNS1_11target_archE908ELNS1_3gpuE7ELNS1_3repE0EEENS1_30default_config_static_selectorELNS0_4arch9wavefront6targetE0EEEvT1_.uses_flat_scratch, 0
	.set _ZN7rocprim17ROCPRIM_400000_NS6detail17trampoline_kernelINS0_14default_configENS1_20scan_config_selectorIN3c104HalfEEEZZNS1_9scan_implILNS1_25lookback_scan_determinismE0ELb0ELb0ES3_PKS6_PS6_S6_ZZZN2at6native31launch_logcumsumexp_cuda_kernelERKNSD_10TensorBaseESH_lENKUlvE_clEvENKUlvE3_clEvEUlS6_S6_E_S6_EEDaPvRmT3_T4_T5_mT6_P12ihipStream_tbENKUlT_T0_E_clISt17integral_constantIbLb1EESX_IbLb0EEEEDaST_SU_EUlST_E0_NS1_11comp_targetILNS1_3genE3ELNS1_11target_archE908ELNS1_3gpuE7ELNS1_3repE0EEENS1_30default_config_static_selectorELNS0_4arch9wavefront6targetE0EEEvT1_.has_dyn_sized_stack, 0
	.set _ZN7rocprim17ROCPRIM_400000_NS6detail17trampoline_kernelINS0_14default_configENS1_20scan_config_selectorIN3c104HalfEEEZZNS1_9scan_implILNS1_25lookback_scan_determinismE0ELb0ELb0ES3_PKS6_PS6_S6_ZZZN2at6native31launch_logcumsumexp_cuda_kernelERKNSD_10TensorBaseESH_lENKUlvE_clEvENKUlvE3_clEvEUlS6_S6_E_S6_EEDaPvRmT3_T4_T5_mT6_P12ihipStream_tbENKUlT_T0_E_clISt17integral_constantIbLb1EESX_IbLb0EEEEDaST_SU_EUlST_E0_NS1_11comp_targetILNS1_3genE3ELNS1_11target_archE908ELNS1_3gpuE7ELNS1_3repE0EEENS1_30default_config_static_selectorELNS0_4arch9wavefront6targetE0EEEvT1_.has_recursion, 0
	.set _ZN7rocprim17ROCPRIM_400000_NS6detail17trampoline_kernelINS0_14default_configENS1_20scan_config_selectorIN3c104HalfEEEZZNS1_9scan_implILNS1_25lookback_scan_determinismE0ELb0ELb0ES3_PKS6_PS6_S6_ZZZN2at6native31launch_logcumsumexp_cuda_kernelERKNSD_10TensorBaseESH_lENKUlvE_clEvENKUlvE3_clEvEUlS6_S6_E_S6_EEDaPvRmT3_T4_T5_mT6_P12ihipStream_tbENKUlT_T0_E_clISt17integral_constantIbLb1EESX_IbLb0EEEEDaST_SU_EUlST_E0_NS1_11comp_targetILNS1_3genE3ELNS1_11target_archE908ELNS1_3gpuE7ELNS1_3repE0EEENS1_30default_config_static_selectorELNS0_4arch9wavefront6targetE0EEEvT1_.has_indirect_call, 0
	.section	.AMDGPU.csdata,"",@progbits
; Kernel info:
; codeLenInByte = 0
; TotalNumSgprs: 0
; NumVgprs: 0
; ScratchSize: 0
; MemoryBound: 0
; FloatMode: 240
; IeeeMode: 1
; LDSByteSize: 0 bytes/workgroup (compile time only)
; SGPRBlocks: 0
; VGPRBlocks: 0
; NumSGPRsForWavesPerEU: 1
; NumVGPRsForWavesPerEU: 1
; Occupancy: 16
; WaveLimiterHint : 0
; COMPUTE_PGM_RSRC2:SCRATCH_EN: 0
; COMPUTE_PGM_RSRC2:USER_SGPR: 2
; COMPUTE_PGM_RSRC2:TRAP_HANDLER: 0
; COMPUTE_PGM_RSRC2:TGID_X_EN: 1
; COMPUTE_PGM_RSRC2:TGID_Y_EN: 0
; COMPUTE_PGM_RSRC2:TGID_Z_EN: 0
; COMPUTE_PGM_RSRC2:TIDIG_COMP_CNT: 0
	.section	.text._ZN7rocprim17ROCPRIM_400000_NS6detail17trampoline_kernelINS0_14default_configENS1_20scan_config_selectorIN3c104HalfEEEZZNS1_9scan_implILNS1_25lookback_scan_determinismE0ELb0ELb0ES3_PKS6_PS6_S6_ZZZN2at6native31launch_logcumsumexp_cuda_kernelERKNSD_10TensorBaseESH_lENKUlvE_clEvENKUlvE3_clEvEUlS6_S6_E_S6_EEDaPvRmT3_T4_T5_mT6_P12ihipStream_tbENKUlT_T0_E_clISt17integral_constantIbLb1EESX_IbLb0EEEEDaST_SU_EUlST_E0_NS1_11comp_targetILNS1_3genE2ELNS1_11target_archE906ELNS1_3gpuE6ELNS1_3repE0EEENS1_30default_config_static_selectorELNS0_4arch9wavefront6targetE0EEEvT1_,"axG",@progbits,_ZN7rocprim17ROCPRIM_400000_NS6detail17trampoline_kernelINS0_14default_configENS1_20scan_config_selectorIN3c104HalfEEEZZNS1_9scan_implILNS1_25lookback_scan_determinismE0ELb0ELb0ES3_PKS6_PS6_S6_ZZZN2at6native31launch_logcumsumexp_cuda_kernelERKNSD_10TensorBaseESH_lENKUlvE_clEvENKUlvE3_clEvEUlS6_S6_E_S6_EEDaPvRmT3_T4_T5_mT6_P12ihipStream_tbENKUlT_T0_E_clISt17integral_constantIbLb1EESX_IbLb0EEEEDaST_SU_EUlST_E0_NS1_11comp_targetILNS1_3genE2ELNS1_11target_archE906ELNS1_3gpuE6ELNS1_3repE0EEENS1_30default_config_static_selectorELNS0_4arch9wavefront6targetE0EEEvT1_,comdat
	.globl	_ZN7rocprim17ROCPRIM_400000_NS6detail17trampoline_kernelINS0_14default_configENS1_20scan_config_selectorIN3c104HalfEEEZZNS1_9scan_implILNS1_25lookback_scan_determinismE0ELb0ELb0ES3_PKS6_PS6_S6_ZZZN2at6native31launch_logcumsumexp_cuda_kernelERKNSD_10TensorBaseESH_lENKUlvE_clEvENKUlvE3_clEvEUlS6_S6_E_S6_EEDaPvRmT3_T4_T5_mT6_P12ihipStream_tbENKUlT_T0_E_clISt17integral_constantIbLb1EESX_IbLb0EEEEDaST_SU_EUlST_E0_NS1_11comp_targetILNS1_3genE2ELNS1_11target_archE906ELNS1_3gpuE6ELNS1_3repE0EEENS1_30default_config_static_selectorELNS0_4arch9wavefront6targetE0EEEvT1_ ; -- Begin function _ZN7rocprim17ROCPRIM_400000_NS6detail17trampoline_kernelINS0_14default_configENS1_20scan_config_selectorIN3c104HalfEEEZZNS1_9scan_implILNS1_25lookback_scan_determinismE0ELb0ELb0ES3_PKS6_PS6_S6_ZZZN2at6native31launch_logcumsumexp_cuda_kernelERKNSD_10TensorBaseESH_lENKUlvE_clEvENKUlvE3_clEvEUlS6_S6_E_S6_EEDaPvRmT3_T4_T5_mT6_P12ihipStream_tbENKUlT_T0_E_clISt17integral_constantIbLb1EESX_IbLb0EEEEDaST_SU_EUlST_E0_NS1_11comp_targetILNS1_3genE2ELNS1_11target_archE906ELNS1_3gpuE6ELNS1_3repE0EEENS1_30default_config_static_selectorELNS0_4arch9wavefront6targetE0EEEvT1_
	.p2align	8
	.type	_ZN7rocprim17ROCPRIM_400000_NS6detail17trampoline_kernelINS0_14default_configENS1_20scan_config_selectorIN3c104HalfEEEZZNS1_9scan_implILNS1_25lookback_scan_determinismE0ELb0ELb0ES3_PKS6_PS6_S6_ZZZN2at6native31launch_logcumsumexp_cuda_kernelERKNSD_10TensorBaseESH_lENKUlvE_clEvENKUlvE3_clEvEUlS6_S6_E_S6_EEDaPvRmT3_T4_T5_mT6_P12ihipStream_tbENKUlT_T0_E_clISt17integral_constantIbLb1EESX_IbLb0EEEEDaST_SU_EUlST_E0_NS1_11comp_targetILNS1_3genE2ELNS1_11target_archE906ELNS1_3gpuE6ELNS1_3repE0EEENS1_30default_config_static_selectorELNS0_4arch9wavefront6targetE0EEEvT1_,@function
_ZN7rocprim17ROCPRIM_400000_NS6detail17trampoline_kernelINS0_14default_configENS1_20scan_config_selectorIN3c104HalfEEEZZNS1_9scan_implILNS1_25lookback_scan_determinismE0ELb0ELb0ES3_PKS6_PS6_S6_ZZZN2at6native31launch_logcumsumexp_cuda_kernelERKNSD_10TensorBaseESH_lENKUlvE_clEvENKUlvE3_clEvEUlS6_S6_E_S6_EEDaPvRmT3_T4_T5_mT6_P12ihipStream_tbENKUlT_T0_E_clISt17integral_constantIbLb1EESX_IbLb0EEEEDaST_SU_EUlST_E0_NS1_11comp_targetILNS1_3genE2ELNS1_11target_archE906ELNS1_3gpuE6ELNS1_3repE0EEENS1_30default_config_static_selectorELNS0_4arch9wavefront6targetE0EEEvT1_: ; @_ZN7rocprim17ROCPRIM_400000_NS6detail17trampoline_kernelINS0_14default_configENS1_20scan_config_selectorIN3c104HalfEEEZZNS1_9scan_implILNS1_25lookback_scan_determinismE0ELb0ELb0ES3_PKS6_PS6_S6_ZZZN2at6native31launch_logcumsumexp_cuda_kernelERKNSD_10TensorBaseESH_lENKUlvE_clEvENKUlvE3_clEvEUlS6_S6_E_S6_EEDaPvRmT3_T4_T5_mT6_P12ihipStream_tbENKUlT_T0_E_clISt17integral_constantIbLb1EESX_IbLb0EEEEDaST_SU_EUlST_E0_NS1_11comp_targetILNS1_3genE2ELNS1_11target_archE906ELNS1_3gpuE6ELNS1_3repE0EEENS1_30default_config_static_selectorELNS0_4arch9wavefront6targetE0EEEvT1_
; %bb.0:
	.section	.rodata,"a",@progbits
	.p2align	6, 0x0
	.amdhsa_kernel _ZN7rocprim17ROCPRIM_400000_NS6detail17trampoline_kernelINS0_14default_configENS1_20scan_config_selectorIN3c104HalfEEEZZNS1_9scan_implILNS1_25lookback_scan_determinismE0ELb0ELb0ES3_PKS6_PS6_S6_ZZZN2at6native31launch_logcumsumexp_cuda_kernelERKNSD_10TensorBaseESH_lENKUlvE_clEvENKUlvE3_clEvEUlS6_S6_E_S6_EEDaPvRmT3_T4_T5_mT6_P12ihipStream_tbENKUlT_T0_E_clISt17integral_constantIbLb1EESX_IbLb0EEEEDaST_SU_EUlST_E0_NS1_11comp_targetILNS1_3genE2ELNS1_11target_archE906ELNS1_3gpuE6ELNS1_3repE0EEENS1_30default_config_static_selectorELNS0_4arch9wavefront6targetE0EEEvT1_
		.amdhsa_group_segment_fixed_size 0
		.amdhsa_private_segment_fixed_size 0
		.amdhsa_kernarg_size 32
		.amdhsa_user_sgpr_count 2
		.amdhsa_user_sgpr_dispatch_ptr 0
		.amdhsa_user_sgpr_queue_ptr 0
		.amdhsa_user_sgpr_kernarg_segment_ptr 1
		.amdhsa_user_sgpr_dispatch_id 0
		.amdhsa_user_sgpr_private_segment_size 0
		.amdhsa_wavefront_size32 1
		.amdhsa_uses_dynamic_stack 0
		.amdhsa_enable_private_segment 0
		.amdhsa_system_sgpr_workgroup_id_x 1
		.amdhsa_system_sgpr_workgroup_id_y 0
		.amdhsa_system_sgpr_workgroup_id_z 0
		.amdhsa_system_sgpr_workgroup_info 0
		.amdhsa_system_vgpr_workitem_id 0
		.amdhsa_next_free_vgpr 1
		.amdhsa_next_free_sgpr 1
		.amdhsa_reserve_vcc 0
		.amdhsa_float_round_mode_32 0
		.amdhsa_float_round_mode_16_64 0
		.amdhsa_float_denorm_mode_32 3
		.amdhsa_float_denorm_mode_16_64 3
		.amdhsa_fp16_overflow 0
		.amdhsa_workgroup_processor_mode 1
		.amdhsa_memory_ordered 1
		.amdhsa_forward_progress 1
		.amdhsa_inst_pref_size 0
		.amdhsa_round_robin_scheduling 0
		.amdhsa_exception_fp_ieee_invalid_op 0
		.amdhsa_exception_fp_denorm_src 0
		.amdhsa_exception_fp_ieee_div_zero 0
		.amdhsa_exception_fp_ieee_overflow 0
		.amdhsa_exception_fp_ieee_underflow 0
		.amdhsa_exception_fp_ieee_inexact 0
		.amdhsa_exception_int_div_zero 0
	.end_amdhsa_kernel
	.section	.text._ZN7rocprim17ROCPRIM_400000_NS6detail17trampoline_kernelINS0_14default_configENS1_20scan_config_selectorIN3c104HalfEEEZZNS1_9scan_implILNS1_25lookback_scan_determinismE0ELb0ELb0ES3_PKS6_PS6_S6_ZZZN2at6native31launch_logcumsumexp_cuda_kernelERKNSD_10TensorBaseESH_lENKUlvE_clEvENKUlvE3_clEvEUlS6_S6_E_S6_EEDaPvRmT3_T4_T5_mT6_P12ihipStream_tbENKUlT_T0_E_clISt17integral_constantIbLb1EESX_IbLb0EEEEDaST_SU_EUlST_E0_NS1_11comp_targetILNS1_3genE2ELNS1_11target_archE906ELNS1_3gpuE6ELNS1_3repE0EEENS1_30default_config_static_selectorELNS0_4arch9wavefront6targetE0EEEvT1_,"axG",@progbits,_ZN7rocprim17ROCPRIM_400000_NS6detail17trampoline_kernelINS0_14default_configENS1_20scan_config_selectorIN3c104HalfEEEZZNS1_9scan_implILNS1_25lookback_scan_determinismE0ELb0ELb0ES3_PKS6_PS6_S6_ZZZN2at6native31launch_logcumsumexp_cuda_kernelERKNSD_10TensorBaseESH_lENKUlvE_clEvENKUlvE3_clEvEUlS6_S6_E_S6_EEDaPvRmT3_T4_T5_mT6_P12ihipStream_tbENKUlT_T0_E_clISt17integral_constantIbLb1EESX_IbLb0EEEEDaST_SU_EUlST_E0_NS1_11comp_targetILNS1_3genE2ELNS1_11target_archE906ELNS1_3gpuE6ELNS1_3repE0EEENS1_30default_config_static_selectorELNS0_4arch9wavefront6targetE0EEEvT1_,comdat
.Lfunc_end410:
	.size	_ZN7rocprim17ROCPRIM_400000_NS6detail17trampoline_kernelINS0_14default_configENS1_20scan_config_selectorIN3c104HalfEEEZZNS1_9scan_implILNS1_25lookback_scan_determinismE0ELb0ELb0ES3_PKS6_PS6_S6_ZZZN2at6native31launch_logcumsumexp_cuda_kernelERKNSD_10TensorBaseESH_lENKUlvE_clEvENKUlvE3_clEvEUlS6_S6_E_S6_EEDaPvRmT3_T4_T5_mT6_P12ihipStream_tbENKUlT_T0_E_clISt17integral_constantIbLb1EESX_IbLb0EEEEDaST_SU_EUlST_E0_NS1_11comp_targetILNS1_3genE2ELNS1_11target_archE906ELNS1_3gpuE6ELNS1_3repE0EEENS1_30default_config_static_selectorELNS0_4arch9wavefront6targetE0EEEvT1_, .Lfunc_end410-_ZN7rocprim17ROCPRIM_400000_NS6detail17trampoline_kernelINS0_14default_configENS1_20scan_config_selectorIN3c104HalfEEEZZNS1_9scan_implILNS1_25lookback_scan_determinismE0ELb0ELb0ES3_PKS6_PS6_S6_ZZZN2at6native31launch_logcumsumexp_cuda_kernelERKNSD_10TensorBaseESH_lENKUlvE_clEvENKUlvE3_clEvEUlS6_S6_E_S6_EEDaPvRmT3_T4_T5_mT6_P12ihipStream_tbENKUlT_T0_E_clISt17integral_constantIbLb1EESX_IbLb0EEEEDaST_SU_EUlST_E0_NS1_11comp_targetILNS1_3genE2ELNS1_11target_archE906ELNS1_3gpuE6ELNS1_3repE0EEENS1_30default_config_static_selectorELNS0_4arch9wavefront6targetE0EEEvT1_
                                        ; -- End function
	.set _ZN7rocprim17ROCPRIM_400000_NS6detail17trampoline_kernelINS0_14default_configENS1_20scan_config_selectorIN3c104HalfEEEZZNS1_9scan_implILNS1_25lookback_scan_determinismE0ELb0ELb0ES3_PKS6_PS6_S6_ZZZN2at6native31launch_logcumsumexp_cuda_kernelERKNSD_10TensorBaseESH_lENKUlvE_clEvENKUlvE3_clEvEUlS6_S6_E_S6_EEDaPvRmT3_T4_T5_mT6_P12ihipStream_tbENKUlT_T0_E_clISt17integral_constantIbLb1EESX_IbLb0EEEEDaST_SU_EUlST_E0_NS1_11comp_targetILNS1_3genE2ELNS1_11target_archE906ELNS1_3gpuE6ELNS1_3repE0EEENS1_30default_config_static_selectorELNS0_4arch9wavefront6targetE0EEEvT1_.num_vgpr, 0
	.set _ZN7rocprim17ROCPRIM_400000_NS6detail17trampoline_kernelINS0_14default_configENS1_20scan_config_selectorIN3c104HalfEEEZZNS1_9scan_implILNS1_25lookback_scan_determinismE0ELb0ELb0ES3_PKS6_PS6_S6_ZZZN2at6native31launch_logcumsumexp_cuda_kernelERKNSD_10TensorBaseESH_lENKUlvE_clEvENKUlvE3_clEvEUlS6_S6_E_S6_EEDaPvRmT3_T4_T5_mT6_P12ihipStream_tbENKUlT_T0_E_clISt17integral_constantIbLb1EESX_IbLb0EEEEDaST_SU_EUlST_E0_NS1_11comp_targetILNS1_3genE2ELNS1_11target_archE906ELNS1_3gpuE6ELNS1_3repE0EEENS1_30default_config_static_selectorELNS0_4arch9wavefront6targetE0EEEvT1_.num_agpr, 0
	.set _ZN7rocprim17ROCPRIM_400000_NS6detail17trampoline_kernelINS0_14default_configENS1_20scan_config_selectorIN3c104HalfEEEZZNS1_9scan_implILNS1_25lookback_scan_determinismE0ELb0ELb0ES3_PKS6_PS6_S6_ZZZN2at6native31launch_logcumsumexp_cuda_kernelERKNSD_10TensorBaseESH_lENKUlvE_clEvENKUlvE3_clEvEUlS6_S6_E_S6_EEDaPvRmT3_T4_T5_mT6_P12ihipStream_tbENKUlT_T0_E_clISt17integral_constantIbLb1EESX_IbLb0EEEEDaST_SU_EUlST_E0_NS1_11comp_targetILNS1_3genE2ELNS1_11target_archE906ELNS1_3gpuE6ELNS1_3repE0EEENS1_30default_config_static_selectorELNS0_4arch9wavefront6targetE0EEEvT1_.numbered_sgpr, 0
	.set _ZN7rocprim17ROCPRIM_400000_NS6detail17trampoline_kernelINS0_14default_configENS1_20scan_config_selectorIN3c104HalfEEEZZNS1_9scan_implILNS1_25lookback_scan_determinismE0ELb0ELb0ES3_PKS6_PS6_S6_ZZZN2at6native31launch_logcumsumexp_cuda_kernelERKNSD_10TensorBaseESH_lENKUlvE_clEvENKUlvE3_clEvEUlS6_S6_E_S6_EEDaPvRmT3_T4_T5_mT6_P12ihipStream_tbENKUlT_T0_E_clISt17integral_constantIbLb1EESX_IbLb0EEEEDaST_SU_EUlST_E0_NS1_11comp_targetILNS1_3genE2ELNS1_11target_archE906ELNS1_3gpuE6ELNS1_3repE0EEENS1_30default_config_static_selectorELNS0_4arch9wavefront6targetE0EEEvT1_.num_named_barrier, 0
	.set _ZN7rocprim17ROCPRIM_400000_NS6detail17trampoline_kernelINS0_14default_configENS1_20scan_config_selectorIN3c104HalfEEEZZNS1_9scan_implILNS1_25lookback_scan_determinismE0ELb0ELb0ES3_PKS6_PS6_S6_ZZZN2at6native31launch_logcumsumexp_cuda_kernelERKNSD_10TensorBaseESH_lENKUlvE_clEvENKUlvE3_clEvEUlS6_S6_E_S6_EEDaPvRmT3_T4_T5_mT6_P12ihipStream_tbENKUlT_T0_E_clISt17integral_constantIbLb1EESX_IbLb0EEEEDaST_SU_EUlST_E0_NS1_11comp_targetILNS1_3genE2ELNS1_11target_archE906ELNS1_3gpuE6ELNS1_3repE0EEENS1_30default_config_static_selectorELNS0_4arch9wavefront6targetE0EEEvT1_.private_seg_size, 0
	.set _ZN7rocprim17ROCPRIM_400000_NS6detail17trampoline_kernelINS0_14default_configENS1_20scan_config_selectorIN3c104HalfEEEZZNS1_9scan_implILNS1_25lookback_scan_determinismE0ELb0ELb0ES3_PKS6_PS6_S6_ZZZN2at6native31launch_logcumsumexp_cuda_kernelERKNSD_10TensorBaseESH_lENKUlvE_clEvENKUlvE3_clEvEUlS6_S6_E_S6_EEDaPvRmT3_T4_T5_mT6_P12ihipStream_tbENKUlT_T0_E_clISt17integral_constantIbLb1EESX_IbLb0EEEEDaST_SU_EUlST_E0_NS1_11comp_targetILNS1_3genE2ELNS1_11target_archE906ELNS1_3gpuE6ELNS1_3repE0EEENS1_30default_config_static_selectorELNS0_4arch9wavefront6targetE0EEEvT1_.uses_vcc, 0
	.set _ZN7rocprim17ROCPRIM_400000_NS6detail17trampoline_kernelINS0_14default_configENS1_20scan_config_selectorIN3c104HalfEEEZZNS1_9scan_implILNS1_25lookback_scan_determinismE0ELb0ELb0ES3_PKS6_PS6_S6_ZZZN2at6native31launch_logcumsumexp_cuda_kernelERKNSD_10TensorBaseESH_lENKUlvE_clEvENKUlvE3_clEvEUlS6_S6_E_S6_EEDaPvRmT3_T4_T5_mT6_P12ihipStream_tbENKUlT_T0_E_clISt17integral_constantIbLb1EESX_IbLb0EEEEDaST_SU_EUlST_E0_NS1_11comp_targetILNS1_3genE2ELNS1_11target_archE906ELNS1_3gpuE6ELNS1_3repE0EEENS1_30default_config_static_selectorELNS0_4arch9wavefront6targetE0EEEvT1_.uses_flat_scratch, 0
	.set _ZN7rocprim17ROCPRIM_400000_NS6detail17trampoline_kernelINS0_14default_configENS1_20scan_config_selectorIN3c104HalfEEEZZNS1_9scan_implILNS1_25lookback_scan_determinismE0ELb0ELb0ES3_PKS6_PS6_S6_ZZZN2at6native31launch_logcumsumexp_cuda_kernelERKNSD_10TensorBaseESH_lENKUlvE_clEvENKUlvE3_clEvEUlS6_S6_E_S6_EEDaPvRmT3_T4_T5_mT6_P12ihipStream_tbENKUlT_T0_E_clISt17integral_constantIbLb1EESX_IbLb0EEEEDaST_SU_EUlST_E0_NS1_11comp_targetILNS1_3genE2ELNS1_11target_archE906ELNS1_3gpuE6ELNS1_3repE0EEENS1_30default_config_static_selectorELNS0_4arch9wavefront6targetE0EEEvT1_.has_dyn_sized_stack, 0
	.set _ZN7rocprim17ROCPRIM_400000_NS6detail17trampoline_kernelINS0_14default_configENS1_20scan_config_selectorIN3c104HalfEEEZZNS1_9scan_implILNS1_25lookback_scan_determinismE0ELb0ELb0ES3_PKS6_PS6_S6_ZZZN2at6native31launch_logcumsumexp_cuda_kernelERKNSD_10TensorBaseESH_lENKUlvE_clEvENKUlvE3_clEvEUlS6_S6_E_S6_EEDaPvRmT3_T4_T5_mT6_P12ihipStream_tbENKUlT_T0_E_clISt17integral_constantIbLb1EESX_IbLb0EEEEDaST_SU_EUlST_E0_NS1_11comp_targetILNS1_3genE2ELNS1_11target_archE906ELNS1_3gpuE6ELNS1_3repE0EEENS1_30default_config_static_selectorELNS0_4arch9wavefront6targetE0EEEvT1_.has_recursion, 0
	.set _ZN7rocprim17ROCPRIM_400000_NS6detail17trampoline_kernelINS0_14default_configENS1_20scan_config_selectorIN3c104HalfEEEZZNS1_9scan_implILNS1_25lookback_scan_determinismE0ELb0ELb0ES3_PKS6_PS6_S6_ZZZN2at6native31launch_logcumsumexp_cuda_kernelERKNSD_10TensorBaseESH_lENKUlvE_clEvENKUlvE3_clEvEUlS6_S6_E_S6_EEDaPvRmT3_T4_T5_mT6_P12ihipStream_tbENKUlT_T0_E_clISt17integral_constantIbLb1EESX_IbLb0EEEEDaST_SU_EUlST_E0_NS1_11comp_targetILNS1_3genE2ELNS1_11target_archE906ELNS1_3gpuE6ELNS1_3repE0EEENS1_30default_config_static_selectorELNS0_4arch9wavefront6targetE0EEEvT1_.has_indirect_call, 0
	.section	.AMDGPU.csdata,"",@progbits
; Kernel info:
; codeLenInByte = 0
; TotalNumSgprs: 0
; NumVgprs: 0
; ScratchSize: 0
; MemoryBound: 0
; FloatMode: 240
; IeeeMode: 1
; LDSByteSize: 0 bytes/workgroup (compile time only)
; SGPRBlocks: 0
; VGPRBlocks: 0
; NumSGPRsForWavesPerEU: 1
; NumVGPRsForWavesPerEU: 1
; Occupancy: 16
; WaveLimiterHint : 0
; COMPUTE_PGM_RSRC2:SCRATCH_EN: 0
; COMPUTE_PGM_RSRC2:USER_SGPR: 2
; COMPUTE_PGM_RSRC2:TRAP_HANDLER: 0
; COMPUTE_PGM_RSRC2:TGID_X_EN: 1
; COMPUTE_PGM_RSRC2:TGID_Y_EN: 0
; COMPUTE_PGM_RSRC2:TGID_Z_EN: 0
; COMPUTE_PGM_RSRC2:TIDIG_COMP_CNT: 0
	.section	.text._ZN7rocprim17ROCPRIM_400000_NS6detail17trampoline_kernelINS0_14default_configENS1_20scan_config_selectorIN3c104HalfEEEZZNS1_9scan_implILNS1_25lookback_scan_determinismE0ELb0ELb0ES3_PKS6_PS6_S6_ZZZN2at6native31launch_logcumsumexp_cuda_kernelERKNSD_10TensorBaseESH_lENKUlvE_clEvENKUlvE3_clEvEUlS6_S6_E_S6_EEDaPvRmT3_T4_T5_mT6_P12ihipStream_tbENKUlT_T0_E_clISt17integral_constantIbLb1EESX_IbLb0EEEEDaST_SU_EUlST_E0_NS1_11comp_targetILNS1_3genE10ELNS1_11target_archE1201ELNS1_3gpuE5ELNS1_3repE0EEENS1_30default_config_static_selectorELNS0_4arch9wavefront6targetE0EEEvT1_,"axG",@progbits,_ZN7rocprim17ROCPRIM_400000_NS6detail17trampoline_kernelINS0_14default_configENS1_20scan_config_selectorIN3c104HalfEEEZZNS1_9scan_implILNS1_25lookback_scan_determinismE0ELb0ELb0ES3_PKS6_PS6_S6_ZZZN2at6native31launch_logcumsumexp_cuda_kernelERKNSD_10TensorBaseESH_lENKUlvE_clEvENKUlvE3_clEvEUlS6_S6_E_S6_EEDaPvRmT3_T4_T5_mT6_P12ihipStream_tbENKUlT_T0_E_clISt17integral_constantIbLb1EESX_IbLb0EEEEDaST_SU_EUlST_E0_NS1_11comp_targetILNS1_3genE10ELNS1_11target_archE1201ELNS1_3gpuE5ELNS1_3repE0EEENS1_30default_config_static_selectorELNS0_4arch9wavefront6targetE0EEEvT1_,comdat
	.globl	_ZN7rocprim17ROCPRIM_400000_NS6detail17trampoline_kernelINS0_14default_configENS1_20scan_config_selectorIN3c104HalfEEEZZNS1_9scan_implILNS1_25lookback_scan_determinismE0ELb0ELb0ES3_PKS6_PS6_S6_ZZZN2at6native31launch_logcumsumexp_cuda_kernelERKNSD_10TensorBaseESH_lENKUlvE_clEvENKUlvE3_clEvEUlS6_S6_E_S6_EEDaPvRmT3_T4_T5_mT6_P12ihipStream_tbENKUlT_T0_E_clISt17integral_constantIbLb1EESX_IbLb0EEEEDaST_SU_EUlST_E0_NS1_11comp_targetILNS1_3genE10ELNS1_11target_archE1201ELNS1_3gpuE5ELNS1_3repE0EEENS1_30default_config_static_selectorELNS0_4arch9wavefront6targetE0EEEvT1_ ; -- Begin function _ZN7rocprim17ROCPRIM_400000_NS6detail17trampoline_kernelINS0_14default_configENS1_20scan_config_selectorIN3c104HalfEEEZZNS1_9scan_implILNS1_25lookback_scan_determinismE0ELb0ELb0ES3_PKS6_PS6_S6_ZZZN2at6native31launch_logcumsumexp_cuda_kernelERKNSD_10TensorBaseESH_lENKUlvE_clEvENKUlvE3_clEvEUlS6_S6_E_S6_EEDaPvRmT3_T4_T5_mT6_P12ihipStream_tbENKUlT_T0_E_clISt17integral_constantIbLb1EESX_IbLb0EEEEDaST_SU_EUlST_E0_NS1_11comp_targetILNS1_3genE10ELNS1_11target_archE1201ELNS1_3gpuE5ELNS1_3repE0EEENS1_30default_config_static_selectorELNS0_4arch9wavefront6targetE0EEEvT1_
	.p2align	8
	.type	_ZN7rocprim17ROCPRIM_400000_NS6detail17trampoline_kernelINS0_14default_configENS1_20scan_config_selectorIN3c104HalfEEEZZNS1_9scan_implILNS1_25lookback_scan_determinismE0ELb0ELb0ES3_PKS6_PS6_S6_ZZZN2at6native31launch_logcumsumexp_cuda_kernelERKNSD_10TensorBaseESH_lENKUlvE_clEvENKUlvE3_clEvEUlS6_S6_E_S6_EEDaPvRmT3_T4_T5_mT6_P12ihipStream_tbENKUlT_T0_E_clISt17integral_constantIbLb1EESX_IbLb0EEEEDaST_SU_EUlST_E0_NS1_11comp_targetILNS1_3genE10ELNS1_11target_archE1201ELNS1_3gpuE5ELNS1_3repE0EEENS1_30default_config_static_selectorELNS0_4arch9wavefront6targetE0EEEvT1_,@function
_ZN7rocprim17ROCPRIM_400000_NS6detail17trampoline_kernelINS0_14default_configENS1_20scan_config_selectorIN3c104HalfEEEZZNS1_9scan_implILNS1_25lookback_scan_determinismE0ELb0ELb0ES3_PKS6_PS6_S6_ZZZN2at6native31launch_logcumsumexp_cuda_kernelERKNSD_10TensorBaseESH_lENKUlvE_clEvENKUlvE3_clEvEUlS6_S6_E_S6_EEDaPvRmT3_T4_T5_mT6_P12ihipStream_tbENKUlT_T0_E_clISt17integral_constantIbLb1EESX_IbLb0EEEEDaST_SU_EUlST_E0_NS1_11comp_targetILNS1_3genE10ELNS1_11target_archE1201ELNS1_3gpuE5ELNS1_3repE0EEENS1_30default_config_static_selectorELNS0_4arch9wavefront6targetE0EEEvT1_: ; @_ZN7rocprim17ROCPRIM_400000_NS6detail17trampoline_kernelINS0_14default_configENS1_20scan_config_selectorIN3c104HalfEEEZZNS1_9scan_implILNS1_25lookback_scan_determinismE0ELb0ELb0ES3_PKS6_PS6_S6_ZZZN2at6native31launch_logcumsumexp_cuda_kernelERKNSD_10TensorBaseESH_lENKUlvE_clEvENKUlvE3_clEvEUlS6_S6_E_S6_EEDaPvRmT3_T4_T5_mT6_P12ihipStream_tbENKUlT_T0_E_clISt17integral_constantIbLb1EESX_IbLb0EEEEDaST_SU_EUlST_E0_NS1_11comp_targetILNS1_3genE10ELNS1_11target_archE1201ELNS1_3gpuE5ELNS1_3repE0EEENS1_30default_config_static_selectorELNS0_4arch9wavefront6targetE0EEEvT1_
; %bb.0:
	s_load_b128 s[16:19], s[0:1], 0x0
	v_mov_b32_e32 v1, 0
	s_wait_kmcnt 0x0
	global_load_u16 v1, v1, s[16:17]
	v_cmp_gt_u32_e32 vcc_lo, s18, v0
	s_wait_loadcnt 0x0
	v_dual_mov_b32 v2, v1 :: v_dual_lshlrev_b32 v7, 1, v0
	s_and_saveexec_b32 s2, vcc_lo
	s_cbranch_execz .LBB411_2
; %bb.1:
	global_load_u16 v2, v7, s[16:17]
.LBB411_2:
	s_or_b32 exec_lo, exec_lo, s2
	v_or_b32_e32 v3, 0x100, v0
	s_delay_alu instid0(VALU_DEP_1)
	v_cmp_gt_u32_e64 s2, s18, v3
	v_mov_b32_e32 v3, v1
	s_and_saveexec_b32 s3, s2
	s_cbranch_execz .LBB411_4
; %bb.3:
	global_load_u16 v3, v7, s[16:17] offset:512
.LBB411_4:
	s_or_b32 exec_lo, exec_lo, s3
	v_or_b32_e32 v4, 0x200, v0
	s_delay_alu instid0(VALU_DEP_1)
	v_cmp_gt_u32_e64 s3, s18, v4
	v_mov_b32_e32 v4, v1
	s_and_saveexec_b32 s4, s3
	s_cbranch_execz .LBB411_6
; %bb.5:
	global_load_u16 v4, v7, s[16:17] offset:1024
.LBB411_6:
	;; [unrolled: 10-line block ×10, first 2 shown]
	s_or_b32 exec_lo, exec_lo, s12
	v_or_b32_e32 v14, 0xb00, v0
	s_delay_alu instid0(VALU_DEP_1) | instskip(SKIP_2) | instid1(SALU_CYCLE_1)
	v_cmp_gt_u32_e64 s12, s18, v14
	v_cmp_le_u32_e64 s13, s18, v14
	s_and_saveexec_b32 s14, s13
	s_xor_b32 s13, exec_lo, s14
	s_delay_alu instid0(SALU_CYCLE_1)
	s_and_not1_saveexec_b32 s13, s13
	s_cbranch_execz .LBB411_24
; %bb.23:
	v_lshlrev_b32_e32 v1, 1, v0
	global_load_u16 v1, v1, s[16:17] offset:5632
.LBB411_24:
	s_or_b32 exec_lo, exec_lo, s13
	s_wait_loadcnt 0x0
	ds_store_b16 v7, v2
	ds_store_b16 v7, v3 offset:512
	ds_store_b16 v7, v4 offset:1024
	;; [unrolled: 1-line block ×11, first 2 shown]
	v_mad_u32_u24 v5, v0, 22, v7
	s_wait_dscnt 0x0
	s_barrier_signal -1
	s_barrier_wait -1
	global_inv scope:SCOPE_SE
	ds_load_2addr_b64 v[1:4], v5 offset1:1
	ds_load_b64 v[5:6], v5 offset:16
	s_wait_loadcnt_dscnt 0x0
	s_barrier_signal -1
	s_barrier_wait -1
	global_inv scope:SCOPE_SE
	v_lshrrev_b32_e32 v10, 16, v1
	v_cvt_f32_f16_e32 v8, v1
	v_cmp_u_f16_e64 s24, v1, v1
	v_dual_mov_b32 v17, v1 :: v_dual_mov_b32 v18, v1
	s_delay_alu instid0(VALU_DEP_4) | instskip(SKIP_2) | instid1(VALU_DEP_3)
	v_cvt_f32_f16_e32 v9, v10
	v_cmp_u_f16_e64 s13, v10, v10
	v_mov_b32_e32 v19, v8
	v_min_num_f32_e32 v15, v8, v9
	v_max_num_f32_e32 v16, v8, v9
	s_delay_alu instid0(VALU_DEP_2) | instskip(NEXT) | instid1(VALU_DEP_2)
	v_cndmask_b32_e64 v11, v15, v8, s24
	v_cndmask_b32_e64 v12, v16, v8, s24
	s_delay_alu instid0(VALU_DEP_2) | instskip(NEXT) | instid1(VALU_DEP_2)
	v_cndmask_b32_e64 v11, v11, v9, s13
	v_cndmask_b32_e64 v10, v12, v9, s13
	s_delay_alu instid0(VALU_DEP_2) | instskip(NEXT) | instid1(VALU_DEP_2)
	v_cmp_class_f32_e64 s15, v11, 0x1f8
	v_cmp_neq_f32_e64 s14, v11, v10
	s_or_b32 s14, s14, s15
	s_delay_alu instid0(SALU_CYCLE_1)
	s_and_saveexec_b32 s15, s14
	s_cbranch_execz .LBB411_26
; %bb.25:
	v_sub_f32_e32 v11, v11, v10
	s_delay_alu instid0(VALU_DEP_1) | instskip(NEXT) | instid1(VALU_DEP_1)
	v_mul_f32_e32 v12, 0x3fb8aa3b, v11
	v_fma_f32 v13, 0x3fb8aa3b, v11, -v12
	v_rndne_f32_e32 v14, v12
	s_delay_alu instid0(VALU_DEP_1) | instskip(NEXT) | instid1(VALU_DEP_1)
	v_dual_fmamk_f32 v13, v11, 0x32a5705f, v13 :: v_dual_sub_f32 v12, v12, v14
	v_add_f32_e32 v12, v12, v13
	v_cvt_i32_f32_e32 v13, v14
	v_cmp_ngt_f32_e64 s14, 0xc2ce8ed0, v11
	s_delay_alu instid0(VALU_DEP_3) | instskip(NEXT) | instid1(TRANS32_DEP_1)
	v_exp_f32_e32 v12, v12
	v_ldexp_f32 v12, v12, v13
	s_delay_alu instid0(VALU_DEP_1) | instskip(SKIP_2) | instid1(VALU_DEP_1)
	v_cndmask_b32_e64 v12, 0, v12, s14
	v_cmp_nlt_f32_e64 s14, 0x42b17218, v11
	s_wait_alu 0xf1ff
	v_cndmask_b32_e64 v13, 0x7f800000, v12, s14
	s_delay_alu instid0(VALU_DEP_1) | instskip(NEXT) | instid1(VALU_DEP_1)
	v_add_f32_e32 v14, 1.0, v13
	v_cvt_f64_f32_e32 v[11:12], v14
	s_delay_alu instid0(VALU_DEP_1) | instskip(SKIP_1) | instid1(VALU_DEP_1)
	v_frexp_exp_i32_f64_e32 v11, v[11:12]
	v_frexp_mant_f32_e32 v12, v14
	v_cmp_gt_f32_e64 s14, 0x3f2aaaab, v12
	v_add_f32_e32 v12, -1.0, v14
	s_delay_alu instid0(VALU_DEP_1) | instskip(NEXT) | instid1(VALU_DEP_1)
	v_sub_f32_e32 v18, v12, v14
	v_add_f32_e32 v18, 1.0, v18
	s_wait_alu 0xf1ff
	v_subrev_co_ci_u32_e64 v11, null, 0, v11, s14
	s_mov_b32 s14, 0x3e9b6dac
	v_sub_nc_u32_e32 v17, 0, v11
	v_cvt_f32_i32_e32 v11, v11
	s_delay_alu instid0(VALU_DEP_2) | instskip(NEXT) | instid1(VALU_DEP_1)
	v_ldexp_f32 v14, v14, v17
	v_dual_sub_f32 v12, v13, v12 :: v_dual_add_f32 v19, 1.0, v14
	s_delay_alu instid0(VALU_DEP_1) | instskip(NEXT) | instid1(VALU_DEP_2)
	v_add_f32_e32 v12, v12, v18
	v_add_f32_e32 v18, -1.0, v19
	s_delay_alu instid0(VALU_DEP_2) | instskip(SKIP_1) | instid1(VALU_DEP_3)
	v_ldexp_f32 v12, v12, v17
	v_add_f32_e32 v17, -1.0, v14
	v_sub_f32_e32 v18, v14, v18
	s_delay_alu instid0(VALU_DEP_2) | instskip(NEXT) | instid1(VALU_DEP_2)
	v_add_f32_e32 v20, 1.0, v17
	v_add_f32_e32 v18, v12, v18
	s_delay_alu instid0(VALU_DEP_2) | instskip(NEXT) | instid1(VALU_DEP_2)
	v_sub_f32_e32 v14, v14, v20
	v_add_f32_e32 v20, v19, v18
	s_delay_alu instid0(VALU_DEP_2) | instskip(NEXT) | instid1(VALU_DEP_2)
	v_add_f32_e32 v12, v12, v14
	v_rcp_f32_e32 v14, v20
	v_sub_f32_e32 v19, v19, v20
	s_delay_alu instid0(VALU_DEP_1) | instskip(NEXT) | instid1(VALU_DEP_1)
	v_dual_add_f32 v21, v17, v12 :: v_dual_add_f32 v18, v18, v19
	v_sub_f32_e32 v17, v17, v21
	s_delay_alu instid0(TRANS32_DEP_1) | instskip(NEXT) | instid1(VALU_DEP_2)
	v_mul_f32_e32 v22, v21, v14
	v_add_f32_e32 v12, v12, v17
	s_delay_alu instid0(VALU_DEP_2) | instskip(NEXT) | instid1(VALU_DEP_1)
	v_mul_f32_e32 v23, v20, v22
	v_fma_f32 v19, v22, v20, -v23
	s_delay_alu instid0(VALU_DEP_1) | instskip(NEXT) | instid1(VALU_DEP_1)
	v_fmac_f32_e32 v19, v22, v18
	v_add_f32_e32 v24, v23, v19
	s_delay_alu instid0(VALU_DEP_1) | instskip(SKIP_1) | instid1(VALU_DEP_2)
	v_sub_f32_e32 v25, v21, v24
	v_sub_f32_e32 v17, v24, v23
	;; [unrolled: 1-line block ×3, first 2 shown]
	s_delay_alu instid0(VALU_DEP_2) | instskip(NEXT) | instid1(VALU_DEP_2)
	v_sub_f32_e32 v17, v17, v19
	v_sub_f32_e32 v21, v21, v24
	s_delay_alu instid0(VALU_DEP_1) | instskip(NEXT) | instid1(VALU_DEP_1)
	v_add_f32_e32 v12, v12, v21
	v_add_f32_e32 v12, v17, v12
	s_delay_alu instid0(VALU_DEP_1) | instskip(NEXT) | instid1(VALU_DEP_1)
	v_add_f32_e32 v17, v25, v12
	v_mul_f32_e32 v19, v14, v17
	s_delay_alu instid0(VALU_DEP_1) | instskip(NEXT) | instid1(VALU_DEP_1)
	v_dual_sub_f32 v24, v25, v17 :: v_dual_mul_f32 v21, v20, v19
	v_fma_f32 v20, v19, v20, -v21
	s_delay_alu instid0(VALU_DEP_1) | instskip(NEXT) | instid1(VALU_DEP_1)
	v_fmac_f32_e32 v20, v19, v18
	v_add_f32_e32 v18, v21, v20
	s_delay_alu instid0(VALU_DEP_1) | instskip(SKIP_1) | instid1(VALU_DEP_2)
	v_sub_f32_e32 v23, v17, v18
	v_dual_sub_f32 v21, v18, v21 :: v_dual_add_f32 v12, v12, v24
	v_sub_f32_e32 v17, v17, v23
	s_delay_alu instid0(VALU_DEP_1) | instskip(NEXT) | instid1(VALU_DEP_1)
	v_sub_f32_e32 v17, v17, v18
	v_dual_add_f32 v12, v12, v17 :: v_dual_add_f32 v17, v22, v19
	s_delay_alu instid0(VALU_DEP_4) | instskip(NEXT) | instid1(VALU_DEP_1)
	v_sub_f32_e32 v18, v21, v20
	v_add_f32_e32 v12, v18, v12
	s_delay_alu instid0(VALU_DEP_3) | instskip(NEXT) | instid1(VALU_DEP_2)
	v_sub_f32_e32 v18, v17, v22
	v_add_f32_e32 v12, v23, v12
	s_delay_alu instid0(VALU_DEP_2) | instskip(NEXT) | instid1(VALU_DEP_2)
	v_sub_f32_e32 v18, v19, v18
	v_mul_f32_e32 v12, v14, v12
	s_delay_alu instid0(VALU_DEP_1) | instskip(NEXT) | instid1(VALU_DEP_1)
	v_add_f32_e32 v12, v18, v12
	v_add_f32_e32 v14, v17, v12
	s_delay_alu instid0(VALU_DEP_1) | instskip(SKIP_1) | instid1(VALU_DEP_1)
	v_mul_f32_e32 v18, v14, v14
	s_wait_alu 0xfffe
	v_fmaak_f32 v19, s14, v18, 0x3ecc95a3
	v_mul_f32_e32 v20, v14, v18
	v_cmp_neq_f32_e64 s14, 0x7f800000, v13
	s_delay_alu instid0(VALU_DEP_3) | instskip(SKIP_2) | instid1(VALU_DEP_3)
	v_fmaak_f32 v18, v18, v19, 0x3f2aaada
	v_ldexp_f32 v19, v14, 1
	v_sub_f32_e32 v14, v14, v17
	v_mul_f32_e32 v18, v20, v18
	v_mul_f32_e32 v20, 0x3f317218, v11
	s_delay_alu instid0(VALU_DEP_3) | instskip(NEXT) | instid1(VALU_DEP_3)
	v_sub_f32_e32 v12, v12, v14
	v_add_f32_e32 v17, v19, v18
	s_delay_alu instid0(VALU_DEP_2) | instskip(NEXT) | instid1(VALU_DEP_2)
	v_ldexp_f32 v12, v12, 1
	v_sub_f32_e32 v14, v17, v19
	v_fma_f32 v19, 0x3f317218, v11, -v20
	s_delay_alu instid0(VALU_DEP_1) | instskip(NEXT) | instid1(VALU_DEP_1)
	v_dual_sub_f32 v14, v18, v14 :: v_dual_fmamk_f32 v11, v11, 0xb102e308, v19
	v_add_f32_e32 v12, v12, v14
	s_delay_alu instid0(VALU_DEP_2) | instskip(NEXT) | instid1(VALU_DEP_2)
	v_add_f32_e32 v14, v20, v11
	v_add_f32_e32 v18, v17, v12
	s_delay_alu instid0(VALU_DEP_2) | instskip(NEXT) | instid1(VALU_DEP_2)
	v_sub_f32_e32 v20, v14, v20
	v_add_f32_e32 v19, v14, v18
	v_sub_f32_e32 v17, v18, v17
	s_delay_alu instid0(VALU_DEP_3) | instskip(NEXT) | instid1(VALU_DEP_2)
	v_sub_f32_e32 v11, v11, v20
	v_dual_sub_f32 v21, v19, v14 :: v_dual_sub_f32 v12, v12, v17
	s_delay_alu instid0(VALU_DEP_1) | instskip(NEXT) | instid1(VALU_DEP_2)
	v_sub_f32_e32 v22, v19, v21
	v_dual_sub_f32 v17, v18, v21 :: v_dual_add_f32 v18, v11, v12
	s_delay_alu instid0(VALU_DEP_2) | instskip(NEXT) | instid1(VALU_DEP_1)
	v_sub_f32_e32 v14, v14, v22
	v_dual_add_f32 v14, v17, v14 :: v_dual_sub_f32 v17, v18, v11
	s_delay_alu instid0(VALU_DEP_1) | instskip(NEXT) | instid1(VALU_DEP_2)
	v_add_f32_e32 v14, v18, v14
	v_sub_f32_e32 v18, v18, v17
	v_sub_f32_e32 v12, v12, v17
	s_delay_alu instid0(VALU_DEP_3) | instskip(NEXT) | instid1(VALU_DEP_3)
	v_add_f32_e32 v20, v19, v14
	v_sub_f32_e32 v11, v11, v18
	s_delay_alu instid0(VALU_DEP_2) | instskip(NEXT) | instid1(VALU_DEP_1)
	v_sub_f32_e32 v17, v20, v19
	v_dual_add_f32 v11, v12, v11 :: v_dual_sub_f32 v12, v14, v17
	s_delay_alu instid0(VALU_DEP_1) | instskip(NEXT) | instid1(VALU_DEP_1)
	v_add_f32_e32 v11, v11, v12
	v_add_f32_e32 v11, v20, v11
	s_wait_alu 0xf1ff
	s_delay_alu instid0(VALU_DEP_1) | instskip(SKIP_2) | instid1(VALU_DEP_1)
	v_cndmask_b32_e64 v11, 0x7f800000, v11, s14
	v_cmp_gt_f32_e64 s14, 0x33800000, |v13|
	s_wait_alu 0xf1ff
	v_cndmask_b32_e64 v11, v11, v13, s14
	s_delay_alu instid0(VALU_DEP_1) | instskip(NEXT) | instid1(VALU_DEP_1)
	v_add_f32_e32 v10, v10, v11
	v_cvt_f16_f32_e32 v17, v10
	s_delay_alu instid0(VALU_DEP_1)
	v_cvt_f32_f16_e32 v19, v17
	v_mov_b32_e32 v18, v17
.LBB411_26:
	s_or_b32 exec_lo, exec_lo, s15
	v_cvt_f32_f16_e32 v10, v2
	s_delay_alu instid0(VALU_DEP_3) | instskip(SKIP_1) | instid1(VALU_DEP_2)
	v_max_num_f32_e32 v11, v19, v19
	v_cmp_u_f16_e64 s14, v17, v17
	v_min_num_f32_e32 v12, v11, v10
	v_max_num_f32_e32 v11, v11, v10
	s_wait_alu 0xf1ff
	s_delay_alu instid0(VALU_DEP_2) | instskip(NEXT) | instid1(VALU_DEP_2)
	v_cndmask_b32_e64 v12, v12, v19, s14
	v_cndmask_b32_e64 v11, v11, v19, s14
	v_cmp_u_f16_e64 s14, v2, v2
	s_wait_alu 0xf1ff
	s_delay_alu instid0(VALU_DEP_1) | instskip(NEXT) | instid1(VALU_DEP_3)
	v_cndmask_b32_e64 v12, v12, v10, s14
	v_cndmask_b32_e64 v11, v11, v10, s14
	s_delay_alu instid0(VALU_DEP_2) | instskip(NEXT) | instid1(VALU_DEP_2)
	v_cmp_class_f32_e64 s16, v12, 0x1f8
	v_cmp_neq_f32_e64 s15, v12, v11
	s_or_b32 s15, s15, s16
	s_wait_alu 0xfffe
	s_and_saveexec_b32 s16, s15
	s_cbranch_execz .LBB411_28
; %bb.27:
	v_sub_f32_e32 v12, v12, v11
	s_delay_alu instid0(VALU_DEP_1) | instskip(NEXT) | instid1(VALU_DEP_1)
	v_mul_f32_e32 v13, 0x3fb8aa3b, v12
	v_fma_f32 v14, 0x3fb8aa3b, v12, -v13
	v_rndne_f32_e32 v17, v13
	s_delay_alu instid0(VALU_DEP_1) | instskip(SKIP_1) | instid1(VALU_DEP_2)
	v_dual_sub_f32 v13, v13, v17 :: v_dual_fmamk_f32 v14, v12, 0x32a5705f, v14
	v_cmp_ngt_f32_e64 s15, 0xc2ce8ed0, v12
	v_add_f32_e32 v13, v13, v14
	v_cvt_i32_f32_e32 v14, v17
	s_delay_alu instid0(VALU_DEP_2) | instskip(NEXT) | instid1(TRANS32_DEP_1)
	v_exp_f32_e32 v13, v13
	v_ldexp_f32 v13, v13, v14
	s_wait_alu 0xf1ff
	s_delay_alu instid0(VALU_DEP_1) | instskip(SKIP_2) | instid1(VALU_DEP_1)
	v_cndmask_b32_e64 v13, 0, v13, s15
	v_cmp_nlt_f32_e64 s15, 0x42b17218, v12
	s_wait_alu 0xf1ff
	v_cndmask_b32_e64 v14, 0x7f800000, v13, s15
	s_delay_alu instid0(VALU_DEP_1) | instskip(NEXT) | instid1(VALU_DEP_1)
	v_add_f32_e32 v17, 1.0, v14
	v_cvt_f64_f32_e32 v[12:13], v17
	s_delay_alu instid0(VALU_DEP_1) | instskip(SKIP_1) | instid1(VALU_DEP_1)
	v_frexp_exp_i32_f64_e32 v12, v[12:13]
	v_frexp_mant_f32_e32 v13, v17
	v_cmp_gt_f32_e64 s15, 0x3f2aaaab, v13
	v_add_f32_e32 v13, -1.0, v17
	s_delay_alu instid0(VALU_DEP_1)
	v_sub_f32_e32 v19, v13, v17
	v_sub_f32_e32 v13, v14, v13
	s_wait_alu 0xf1ff
	v_subrev_co_ci_u32_e64 v12, null, 0, v12, s15
	s_mov_b32 s15, 0x3e9b6dac
	v_sub_nc_u32_e32 v18, 0, v12
	v_cvt_f32_i32_e32 v12, v12
	s_delay_alu instid0(VALU_DEP_2) | instskip(NEXT) | instid1(VALU_DEP_1)
	v_ldexp_f32 v17, v17, v18
	v_dual_add_f32 v20, 1.0, v17 :: v_dual_add_f32 v19, 1.0, v19
	s_delay_alu instid0(VALU_DEP_1) | instskip(NEXT) | instid1(VALU_DEP_2)
	v_add_f32_e32 v13, v13, v19
	v_add_f32_e32 v19, -1.0, v20
	s_delay_alu instid0(VALU_DEP_2) | instskip(NEXT) | instid1(VALU_DEP_2)
	v_ldexp_f32 v13, v13, v18
	v_dual_add_f32 v18, -1.0, v17 :: v_dual_sub_f32 v19, v17, v19
	s_delay_alu instid0(VALU_DEP_1) | instskip(NEXT) | instid1(VALU_DEP_2)
	v_add_f32_e32 v21, 1.0, v18
	v_add_f32_e32 v19, v13, v19
	s_delay_alu instid0(VALU_DEP_2) | instskip(NEXT) | instid1(VALU_DEP_2)
	v_sub_f32_e32 v17, v17, v21
	v_add_f32_e32 v21, v20, v19
	s_delay_alu instid0(VALU_DEP_2) | instskip(NEXT) | instid1(VALU_DEP_2)
	v_add_f32_e32 v13, v13, v17
	v_rcp_f32_e32 v17, v21
	v_sub_f32_e32 v20, v20, v21
	s_delay_alu instid0(VALU_DEP_1) | instskip(NEXT) | instid1(VALU_DEP_1)
	v_dual_add_f32 v22, v18, v13 :: v_dual_add_f32 v19, v19, v20
	v_sub_f32_e32 v18, v18, v22
	s_delay_alu instid0(TRANS32_DEP_1) | instskip(NEXT) | instid1(VALU_DEP_2)
	v_mul_f32_e32 v23, v22, v17
	v_add_f32_e32 v13, v13, v18
	s_delay_alu instid0(VALU_DEP_2) | instskip(NEXT) | instid1(VALU_DEP_1)
	v_mul_f32_e32 v24, v21, v23
	v_fma_f32 v20, v23, v21, -v24
	s_delay_alu instid0(VALU_DEP_1) | instskip(NEXT) | instid1(VALU_DEP_1)
	v_fmac_f32_e32 v20, v23, v19
	v_add_f32_e32 v25, v24, v20
	s_delay_alu instid0(VALU_DEP_1) | instskip(SKIP_1) | instid1(VALU_DEP_2)
	v_sub_f32_e32 v26, v22, v25
	v_sub_f32_e32 v18, v25, v24
	v_sub_f32_e32 v22, v22, v26
	s_delay_alu instid0(VALU_DEP_2) | instskip(NEXT) | instid1(VALU_DEP_2)
	v_sub_f32_e32 v18, v18, v20
	v_sub_f32_e32 v22, v22, v25
	s_delay_alu instid0(VALU_DEP_1) | instskip(NEXT) | instid1(VALU_DEP_1)
	v_add_f32_e32 v13, v13, v22
	v_add_f32_e32 v13, v18, v13
	s_delay_alu instid0(VALU_DEP_1) | instskip(NEXT) | instid1(VALU_DEP_1)
	v_add_f32_e32 v18, v26, v13
	v_mul_f32_e32 v20, v17, v18
	s_delay_alu instid0(VALU_DEP_1) | instskip(NEXT) | instid1(VALU_DEP_1)
	v_dual_sub_f32 v25, v26, v18 :: v_dual_mul_f32 v22, v21, v20
	v_add_f32_e32 v13, v13, v25
	s_delay_alu instid0(VALU_DEP_2) | instskip(NEXT) | instid1(VALU_DEP_1)
	v_fma_f32 v21, v20, v21, -v22
	v_fmac_f32_e32 v21, v20, v19
	s_delay_alu instid0(VALU_DEP_1) | instskip(NEXT) | instid1(VALU_DEP_1)
	v_add_f32_e32 v19, v22, v21
	v_sub_f32_e32 v24, v18, v19
	v_sub_f32_e32 v22, v19, v22
	s_delay_alu instid0(VALU_DEP_2) | instskip(NEXT) | instid1(VALU_DEP_1)
	v_sub_f32_e32 v18, v18, v24
	v_sub_f32_e32 v18, v18, v19
	s_delay_alu instid0(VALU_DEP_3) | instskip(NEXT) | instid1(VALU_DEP_2)
	v_sub_f32_e32 v19, v22, v21
	v_dual_add_f32 v13, v13, v18 :: v_dual_add_f32 v18, v23, v20
	s_delay_alu instid0(VALU_DEP_1) | instskip(NEXT) | instid1(VALU_DEP_2)
	v_add_f32_e32 v13, v19, v13
	v_sub_f32_e32 v19, v18, v23
	s_delay_alu instid0(VALU_DEP_2) | instskip(NEXT) | instid1(VALU_DEP_2)
	v_add_f32_e32 v13, v24, v13
	v_sub_f32_e32 v19, v20, v19
	s_delay_alu instid0(VALU_DEP_2) | instskip(NEXT) | instid1(VALU_DEP_1)
	v_mul_f32_e32 v13, v17, v13
	v_add_f32_e32 v13, v19, v13
	s_delay_alu instid0(VALU_DEP_1) | instskip(NEXT) | instid1(VALU_DEP_1)
	v_add_f32_e32 v17, v18, v13
	v_mul_f32_e32 v19, v17, v17
	s_wait_alu 0xfffe
	s_delay_alu instid0(VALU_DEP_1) | instskip(SKIP_2) | instid1(VALU_DEP_3)
	v_fmaak_f32 v20, s15, v19, 0x3ecc95a3
	v_mul_f32_e32 v21, v17, v19
	v_cmp_neq_f32_e64 s15, 0x7f800000, v14
	v_fmaak_f32 v19, v19, v20, 0x3f2aaada
	v_ldexp_f32 v20, v17, 1
	v_sub_f32_e32 v17, v17, v18
	s_delay_alu instid0(VALU_DEP_3) | instskip(SKIP_1) | instid1(VALU_DEP_2)
	v_mul_f32_e32 v19, v21, v19
	v_mul_f32_e32 v21, 0x3f317218, v12
	v_dual_sub_f32 v13, v13, v17 :: v_dual_add_f32 v18, v20, v19
	s_delay_alu instid0(VALU_DEP_1) | instskip(NEXT) | instid1(VALU_DEP_2)
	v_ldexp_f32 v13, v13, 1
	v_sub_f32_e32 v17, v18, v20
	s_delay_alu instid0(VALU_DEP_4) | instskip(NEXT) | instid1(VALU_DEP_1)
	v_fma_f32 v20, 0x3f317218, v12, -v21
	v_dual_sub_f32 v17, v19, v17 :: v_dual_fmamk_f32 v12, v12, 0xb102e308, v20
	s_delay_alu instid0(VALU_DEP_1) | instskip(NEXT) | instid1(VALU_DEP_2)
	v_add_f32_e32 v13, v13, v17
	v_add_f32_e32 v17, v21, v12
	s_delay_alu instid0(VALU_DEP_2) | instskip(NEXT) | instid1(VALU_DEP_2)
	v_add_f32_e32 v19, v18, v13
	v_sub_f32_e32 v21, v17, v21
	s_delay_alu instid0(VALU_DEP_2) | instskip(SKIP_1) | instid1(VALU_DEP_3)
	v_add_f32_e32 v20, v17, v19
	v_sub_f32_e32 v18, v19, v18
	v_sub_f32_e32 v12, v12, v21
	s_delay_alu instid0(VALU_DEP_2) | instskip(NEXT) | instid1(VALU_DEP_1)
	v_dual_sub_f32 v22, v20, v17 :: v_dual_sub_f32 v13, v13, v18
	v_sub_f32_e32 v23, v20, v22
	s_delay_alu instid0(VALU_DEP_2) | instskip(NEXT) | instid1(VALU_DEP_2)
	v_dual_sub_f32 v18, v19, v22 :: v_dual_add_f32 v19, v12, v13
	v_sub_f32_e32 v17, v17, v23
	s_delay_alu instid0(VALU_DEP_1) | instskip(NEXT) | instid1(VALU_DEP_1)
	v_dual_add_f32 v17, v18, v17 :: v_dual_sub_f32 v18, v19, v12
	v_add_f32_e32 v17, v19, v17
	s_delay_alu instid0(VALU_DEP_2) | instskip(SKIP_1) | instid1(VALU_DEP_3)
	v_sub_f32_e32 v19, v19, v18
	v_sub_f32_e32 v13, v13, v18
	v_add_f32_e32 v21, v20, v17
	s_delay_alu instid0(VALU_DEP_3) | instskip(NEXT) | instid1(VALU_DEP_2)
	v_sub_f32_e32 v12, v12, v19
	v_sub_f32_e32 v18, v21, v20
	s_delay_alu instid0(VALU_DEP_2) | instskip(NEXT) | instid1(VALU_DEP_2)
	v_add_f32_e32 v12, v13, v12
	v_sub_f32_e32 v13, v17, v18
	s_delay_alu instid0(VALU_DEP_1) | instskip(NEXT) | instid1(VALU_DEP_1)
	v_add_f32_e32 v12, v12, v13
	v_add_f32_e32 v12, v21, v12
	s_wait_alu 0xf1ff
	s_delay_alu instid0(VALU_DEP_1) | instskip(SKIP_2) | instid1(VALU_DEP_1)
	v_cndmask_b32_e64 v12, 0x7f800000, v12, s15
	v_cmp_gt_f32_e64 s15, 0x33800000, |v14|
	s_wait_alu 0xf1ff
	v_cndmask_b32_e64 v12, v12, v14, s15
	s_delay_alu instid0(VALU_DEP_1) | instskip(NEXT) | instid1(VALU_DEP_1)
	v_add_f32_e32 v11, v11, v12
	v_cvt_f16_f32_e32 v17, v11
	s_delay_alu instid0(VALU_DEP_1)
	v_cvt_f32_f16_e32 v19, v17
	v_mov_b32_e32 v18, v17
.LBB411_28:
	s_or_b32 exec_lo, exec_lo, s16
	v_lshrrev_b32_e32 v2, 16, v2
	s_delay_alu instid0(VALU_DEP_3) | instskip(SKIP_1) | instid1(VALU_DEP_3)
	v_max_num_f32_e32 v12, v19, v19
	v_cmp_u_f16_e64 s15, v17, v17
	v_cvt_f32_f16_e32 v11, v2
	s_delay_alu instid0(VALU_DEP_1) | instskip(SKIP_2) | instid1(VALU_DEP_2)
	v_min_num_f32_e32 v13, v12, v11
	v_max_num_f32_e32 v12, v12, v11
	s_wait_alu 0xf1ff
	v_cndmask_b32_e64 v13, v13, v19, s15
	s_delay_alu instid0(VALU_DEP_2) | instskip(SKIP_2) | instid1(VALU_DEP_1)
	v_cndmask_b32_e64 v14, v12, v19, s15
	v_cmp_u_f16_e64 s15, v2, v2
	s_wait_alu 0xf1ff
	v_cndmask_b32_e64 v12, v13, v11, s15
	s_delay_alu instid0(VALU_DEP_3) | instskip(NEXT) | instid1(VALU_DEP_2)
	v_cndmask_b32_e64 v2, v14, v11, s15
	v_cmp_class_f32_e64 s17, v12, 0x1f8
	s_delay_alu instid0(VALU_DEP_2) | instskip(SKIP_1) | instid1(SALU_CYCLE_1)
	v_cmp_neq_f32_e64 s16, v12, v2
	s_or_b32 s16, s16, s17
	s_and_saveexec_b32 s17, s16
	s_cbranch_execz .LBB411_30
; %bb.29:
	v_sub_f32_e32 v12, v12, v2
	s_delay_alu instid0(VALU_DEP_1) | instskip(NEXT) | instid1(VALU_DEP_1)
	v_mul_f32_e32 v13, 0x3fb8aa3b, v12
	v_fma_f32 v14, 0x3fb8aa3b, v12, -v13
	v_rndne_f32_e32 v17, v13
	s_delay_alu instid0(VALU_DEP_1) | instskip(SKIP_1) | instid1(VALU_DEP_2)
	v_dual_sub_f32 v13, v13, v17 :: v_dual_fmamk_f32 v14, v12, 0x32a5705f, v14
	v_cmp_ngt_f32_e64 s16, 0xc2ce8ed0, v12
	v_add_f32_e32 v13, v13, v14
	v_cvt_i32_f32_e32 v14, v17
	s_delay_alu instid0(VALU_DEP_2) | instskip(NEXT) | instid1(TRANS32_DEP_1)
	v_exp_f32_e32 v13, v13
	v_ldexp_f32 v13, v13, v14
	s_delay_alu instid0(VALU_DEP_1) | instskip(SKIP_2) | instid1(VALU_DEP_1)
	v_cndmask_b32_e64 v13, 0, v13, s16
	v_cmp_nlt_f32_e64 s16, 0x42b17218, v12
	s_wait_alu 0xf1ff
	v_cndmask_b32_e64 v14, 0x7f800000, v13, s16
	s_delay_alu instid0(VALU_DEP_1) | instskip(NEXT) | instid1(VALU_DEP_1)
	v_add_f32_e32 v17, 1.0, v14
	v_cvt_f64_f32_e32 v[12:13], v17
	s_delay_alu instid0(VALU_DEP_1) | instskip(SKIP_1) | instid1(VALU_DEP_1)
	v_frexp_exp_i32_f64_e32 v12, v[12:13]
	v_frexp_mant_f32_e32 v13, v17
	v_cmp_gt_f32_e64 s16, 0x3f2aaaab, v13
	v_add_f32_e32 v13, -1.0, v17
	s_delay_alu instid0(VALU_DEP_1)
	v_sub_f32_e32 v19, v13, v17
	v_sub_f32_e32 v13, v14, v13
	s_wait_alu 0xf1ff
	v_subrev_co_ci_u32_e64 v12, null, 0, v12, s16
	s_mov_b32 s16, 0x3e9b6dac
	v_sub_nc_u32_e32 v18, 0, v12
	v_cvt_f32_i32_e32 v12, v12
	s_delay_alu instid0(VALU_DEP_2) | instskip(NEXT) | instid1(VALU_DEP_1)
	v_ldexp_f32 v17, v17, v18
	v_dual_add_f32 v20, 1.0, v17 :: v_dual_add_f32 v19, 1.0, v19
	s_delay_alu instid0(VALU_DEP_1) | instskip(NEXT) | instid1(VALU_DEP_2)
	v_add_f32_e32 v13, v13, v19
	v_add_f32_e32 v19, -1.0, v20
	s_delay_alu instid0(VALU_DEP_2) | instskip(NEXT) | instid1(VALU_DEP_2)
	v_ldexp_f32 v13, v13, v18
	v_dual_add_f32 v18, -1.0, v17 :: v_dual_sub_f32 v19, v17, v19
	s_delay_alu instid0(VALU_DEP_1) | instskip(NEXT) | instid1(VALU_DEP_2)
	v_add_f32_e32 v21, 1.0, v18
	v_add_f32_e32 v19, v13, v19
	s_delay_alu instid0(VALU_DEP_2) | instskip(NEXT) | instid1(VALU_DEP_2)
	v_sub_f32_e32 v17, v17, v21
	v_add_f32_e32 v21, v20, v19
	s_delay_alu instid0(VALU_DEP_2) | instskip(NEXT) | instid1(VALU_DEP_2)
	v_add_f32_e32 v13, v13, v17
	v_rcp_f32_e32 v17, v21
	v_sub_f32_e32 v20, v20, v21
	s_delay_alu instid0(VALU_DEP_1) | instskip(NEXT) | instid1(VALU_DEP_1)
	v_dual_add_f32 v22, v18, v13 :: v_dual_add_f32 v19, v19, v20
	v_sub_f32_e32 v18, v18, v22
	s_delay_alu instid0(TRANS32_DEP_1) | instskip(NEXT) | instid1(VALU_DEP_2)
	v_mul_f32_e32 v23, v22, v17
	v_add_f32_e32 v13, v13, v18
	s_delay_alu instid0(VALU_DEP_2) | instskip(NEXT) | instid1(VALU_DEP_1)
	v_mul_f32_e32 v24, v21, v23
	v_fma_f32 v20, v23, v21, -v24
	s_delay_alu instid0(VALU_DEP_1) | instskip(NEXT) | instid1(VALU_DEP_1)
	v_fmac_f32_e32 v20, v23, v19
	v_add_f32_e32 v25, v24, v20
	s_delay_alu instid0(VALU_DEP_1) | instskip(SKIP_1) | instid1(VALU_DEP_2)
	v_sub_f32_e32 v26, v22, v25
	v_sub_f32_e32 v18, v25, v24
	;; [unrolled: 1-line block ×3, first 2 shown]
	s_delay_alu instid0(VALU_DEP_2) | instskip(NEXT) | instid1(VALU_DEP_2)
	v_sub_f32_e32 v18, v18, v20
	v_sub_f32_e32 v22, v22, v25
	s_delay_alu instid0(VALU_DEP_1) | instskip(NEXT) | instid1(VALU_DEP_1)
	v_add_f32_e32 v13, v13, v22
	v_add_f32_e32 v13, v18, v13
	s_delay_alu instid0(VALU_DEP_1) | instskip(NEXT) | instid1(VALU_DEP_1)
	v_add_f32_e32 v18, v26, v13
	v_mul_f32_e32 v20, v17, v18
	s_delay_alu instid0(VALU_DEP_1) | instskip(NEXT) | instid1(VALU_DEP_1)
	v_dual_sub_f32 v25, v26, v18 :: v_dual_mul_f32 v22, v21, v20
	v_add_f32_e32 v13, v13, v25
	s_delay_alu instid0(VALU_DEP_2) | instskip(NEXT) | instid1(VALU_DEP_1)
	v_fma_f32 v21, v20, v21, -v22
	v_fmac_f32_e32 v21, v20, v19
	s_delay_alu instid0(VALU_DEP_1) | instskip(NEXT) | instid1(VALU_DEP_1)
	v_add_f32_e32 v19, v22, v21
	v_sub_f32_e32 v24, v18, v19
	v_sub_f32_e32 v22, v19, v22
	s_delay_alu instid0(VALU_DEP_2) | instskip(NEXT) | instid1(VALU_DEP_1)
	v_sub_f32_e32 v18, v18, v24
	v_sub_f32_e32 v18, v18, v19
	s_delay_alu instid0(VALU_DEP_3) | instskip(NEXT) | instid1(VALU_DEP_2)
	v_sub_f32_e32 v19, v22, v21
	v_dual_add_f32 v13, v13, v18 :: v_dual_add_f32 v18, v23, v20
	s_delay_alu instid0(VALU_DEP_1) | instskip(NEXT) | instid1(VALU_DEP_2)
	v_add_f32_e32 v13, v19, v13
	v_sub_f32_e32 v19, v18, v23
	s_delay_alu instid0(VALU_DEP_2) | instskip(NEXT) | instid1(VALU_DEP_2)
	v_add_f32_e32 v13, v24, v13
	v_sub_f32_e32 v19, v20, v19
	s_delay_alu instid0(VALU_DEP_2) | instskip(NEXT) | instid1(VALU_DEP_1)
	v_mul_f32_e32 v13, v17, v13
	v_add_f32_e32 v13, v19, v13
	s_delay_alu instid0(VALU_DEP_1) | instskip(NEXT) | instid1(VALU_DEP_1)
	v_add_f32_e32 v17, v18, v13
	v_mul_f32_e32 v19, v17, v17
	s_wait_alu 0xfffe
	s_delay_alu instid0(VALU_DEP_1) | instskip(SKIP_2) | instid1(VALU_DEP_3)
	v_fmaak_f32 v20, s16, v19, 0x3ecc95a3
	v_mul_f32_e32 v21, v17, v19
	v_cmp_neq_f32_e64 s16, 0x7f800000, v14
	v_fmaak_f32 v19, v19, v20, 0x3f2aaada
	v_ldexp_f32 v20, v17, 1
	v_sub_f32_e32 v17, v17, v18
	s_delay_alu instid0(VALU_DEP_3) | instskip(SKIP_1) | instid1(VALU_DEP_2)
	v_mul_f32_e32 v19, v21, v19
	v_mul_f32_e32 v21, 0x3f317218, v12
	v_dual_sub_f32 v13, v13, v17 :: v_dual_add_f32 v18, v20, v19
	s_delay_alu instid0(VALU_DEP_1) | instskip(NEXT) | instid1(VALU_DEP_2)
	v_ldexp_f32 v13, v13, 1
	v_sub_f32_e32 v17, v18, v20
	s_delay_alu instid0(VALU_DEP_4) | instskip(NEXT) | instid1(VALU_DEP_1)
	v_fma_f32 v20, 0x3f317218, v12, -v21
	v_dual_sub_f32 v17, v19, v17 :: v_dual_fmamk_f32 v12, v12, 0xb102e308, v20
	s_delay_alu instid0(VALU_DEP_1) | instskip(NEXT) | instid1(VALU_DEP_2)
	v_add_f32_e32 v13, v13, v17
	v_add_f32_e32 v17, v21, v12
	s_delay_alu instid0(VALU_DEP_2) | instskip(NEXT) | instid1(VALU_DEP_2)
	v_add_f32_e32 v19, v18, v13
	v_sub_f32_e32 v21, v17, v21
	s_delay_alu instid0(VALU_DEP_2) | instskip(SKIP_1) | instid1(VALU_DEP_3)
	v_add_f32_e32 v20, v17, v19
	v_sub_f32_e32 v18, v19, v18
	v_sub_f32_e32 v12, v12, v21
	s_delay_alu instid0(VALU_DEP_2) | instskip(NEXT) | instid1(VALU_DEP_1)
	v_dual_sub_f32 v22, v20, v17 :: v_dual_sub_f32 v13, v13, v18
	v_sub_f32_e32 v23, v20, v22
	s_delay_alu instid0(VALU_DEP_2) | instskip(NEXT) | instid1(VALU_DEP_2)
	v_dual_sub_f32 v18, v19, v22 :: v_dual_add_f32 v19, v12, v13
	v_sub_f32_e32 v17, v17, v23
	s_delay_alu instid0(VALU_DEP_1) | instskip(NEXT) | instid1(VALU_DEP_1)
	v_dual_add_f32 v17, v18, v17 :: v_dual_sub_f32 v18, v19, v12
	v_add_f32_e32 v17, v19, v17
	s_delay_alu instid0(VALU_DEP_2) | instskip(SKIP_1) | instid1(VALU_DEP_3)
	v_sub_f32_e32 v19, v19, v18
	v_sub_f32_e32 v13, v13, v18
	v_add_f32_e32 v21, v20, v17
	s_delay_alu instid0(VALU_DEP_3) | instskip(NEXT) | instid1(VALU_DEP_2)
	v_sub_f32_e32 v12, v12, v19
	v_sub_f32_e32 v18, v21, v20
	s_delay_alu instid0(VALU_DEP_2) | instskip(NEXT) | instid1(VALU_DEP_2)
	v_add_f32_e32 v12, v13, v12
	v_sub_f32_e32 v13, v17, v18
	s_delay_alu instid0(VALU_DEP_1) | instskip(NEXT) | instid1(VALU_DEP_1)
	v_add_f32_e32 v12, v12, v13
	v_add_f32_e32 v12, v21, v12
	s_wait_alu 0xf1ff
	s_delay_alu instid0(VALU_DEP_1) | instskip(SKIP_2) | instid1(VALU_DEP_1)
	v_cndmask_b32_e64 v12, 0x7f800000, v12, s16
	v_cmp_gt_f32_e64 s16, 0x33800000, |v14|
	s_wait_alu 0xf1ff
	v_cndmask_b32_e64 v12, v12, v14, s16
	s_delay_alu instid0(VALU_DEP_1) | instskip(NEXT) | instid1(VALU_DEP_1)
	v_add_f32_e32 v2, v2, v12
	v_cvt_f16_f32_e32 v17, v2
	s_delay_alu instid0(VALU_DEP_1)
	v_cvt_f32_f16_e32 v19, v17
	v_mov_b32_e32 v18, v17
.LBB411_30:
	s_or_b32 exec_lo, exec_lo, s17
	v_cvt_f32_f16_e32 v2, v3
	s_delay_alu instid0(VALU_DEP_3) | instskip(SKIP_1) | instid1(VALU_DEP_2)
	v_max_num_f32_e32 v12, v19, v19
	v_cmp_u_f16_e64 s16, v17, v17
	v_min_num_f32_e32 v13, v12, v2
	v_max_num_f32_e32 v12, v12, v2
	s_wait_alu 0xf1ff
	s_delay_alu instid0(VALU_DEP_2) | instskip(NEXT) | instid1(VALU_DEP_2)
	v_cndmask_b32_e64 v13, v13, v19, s16
	v_cndmask_b32_e64 v12, v12, v19, s16
	v_cmp_u_f16_e64 s16, v3, v3
	s_wait_alu 0xf1ff
	s_delay_alu instid0(VALU_DEP_1) | instskip(NEXT) | instid1(VALU_DEP_3)
	v_cndmask_b32_e64 v13, v13, v2, s16
	v_cndmask_b32_e64 v12, v12, v2, s16
	s_delay_alu instid0(VALU_DEP_2) | instskip(NEXT) | instid1(VALU_DEP_2)
	v_cmp_class_f32_e64 s18, v13, 0x1f8
	v_cmp_neq_f32_e64 s17, v13, v12
	s_or_b32 s17, s17, s18
	s_wait_alu 0xfffe
	s_and_saveexec_b32 s18, s17
	s_cbranch_execz .LBB411_32
; %bb.31:
	v_sub_f32_e32 v13, v13, v12
	s_delay_alu instid0(VALU_DEP_1) | instskip(NEXT) | instid1(VALU_DEP_1)
	v_mul_f32_e32 v14, 0x3fb8aa3b, v13
	v_fma_f32 v17, 0x3fb8aa3b, v13, -v14
	v_rndne_f32_e32 v18, v14
	s_delay_alu instid0(VALU_DEP_1) | instskip(SKIP_1) | instid1(VALU_DEP_2)
	v_dual_sub_f32 v14, v14, v18 :: v_dual_fmamk_f32 v17, v13, 0x32a5705f, v17
	v_cmp_ngt_f32_e64 s17, 0xc2ce8ed0, v13
	v_add_f32_e32 v14, v14, v17
	v_cvt_i32_f32_e32 v17, v18
	s_delay_alu instid0(VALU_DEP_2) | instskip(NEXT) | instid1(TRANS32_DEP_1)
	v_exp_f32_e32 v14, v14
	v_ldexp_f32 v14, v14, v17
	s_wait_alu 0xf1ff
	s_delay_alu instid0(VALU_DEP_1) | instskip(SKIP_2) | instid1(VALU_DEP_1)
	v_cndmask_b32_e64 v14, 0, v14, s17
	v_cmp_nlt_f32_e64 s17, 0x42b17218, v13
	s_wait_alu 0xf1ff
	v_cndmask_b32_e64 v17, 0x7f800000, v14, s17
	s_delay_alu instid0(VALU_DEP_1) | instskip(NEXT) | instid1(VALU_DEP_1)
	v_add_f32_e32 v18, 1.0, v17
	v_cvt_f64_f32_e32 v[13:14], v18
	s_delay_alu instid0(VALU_DEP_1) | instskip(SKIP_1) | instid1(VALU_DEP_1)
	v_frexp_exp_i32_f64_e32 v13, v[13:14]
	v_frexp_mant_f32_e32 v14, v18
	v_cmp_gt_f32_e64 s17, 0x3f2aaaab, v14
	v_add_f32_e32 v14, -1.0, v18
	s_delay_alu instid0(VALU_DEP_1)
	v_sub_f32_e32 v20, v14, v18
	v_sub_f32_e32 v14, v17, v14
	s_wait_alu 0xf1ff
	v_subrev_co_ci_u32_e64 v13, null, 0, v13, s17
	s_mov_b32 s17, 0x3e9b6dac
	v_sub_nc_u32_e32 v19, 0, v13
	v_cvt_f32_i32_e32 v13, v13
	s_delay_alu instid0(VALU_DEP_2) | instskip(NEXT) | instid1(VALU_DEP_1)
	v_ldexp_f32 v18, v18, v19
	v_dual_add_f32 v21, 1.0, v18 :: v_dual_add_f32 v20, 1.0, v20
	s_delay_alu instid0(VALU_DEP_1) | instskip(NEXT) | instid1(VALU_DEP_2)
	v_add_f32_e32 v14, v14, v20
	v_add_f32_e32 v20, -1.0, v21
	s_delay_alu instid0(VALU_DEP_2) | instskip(NEXT) | instid1(VALU_DEP_2)
	v_ldexp_f32 v14, v14, v19
	v_dual_add_f32 v19, -1.0, v18 :: v_dual_sub_f32 v20, v18, v20
	s_delay_alu instid0(VALU_DEP_1) | instskip(NEXT) | instid1(VALU_DEP_2)
	v_add_f32_e32 v22, 1.0, v19
	v_add_f32_e32 v20, v14, v20
	s_delay_alu instid0(VALU_DEP_2) | instskip(NEXT) | instid1(VALU_DEP_2)
	v_sub_f32_e32 v18, v18, v22
	v_add_f32_e32 v22, v21, v20
	s_delay_alu instid0(VALU_DEP_2) | instskip(NEXT) | instid1(VALU_DEP_2)
	v_add_f32_e32 v14, v14, v18
	v_rcp_f32_e32 v18, v22
	v_sub_f32_e32 v21, v21, v22
	s_delay_alu instid0(VALU_DEP_1) | instskip(NEXT) | instid1(VALU_DEP_1)
	v_dual_add_f32 v23, v19, v14 :: v_dual_add_f32 v20, v20, v21
	v_sub_f32_e32 v19, v19, v23
	s_delay_alu instid0(TRANS32_DEP_1) | instskip(NEXT) | instid1(VALU_DEP_2)
	v_mul_f32_e32 v24, v23, v18
	v_add_f32_e32 v14, v14, v19
	s_delay_alu instid0(VALU_DEP_2) | instskip(NEXT) | instid1(VALU_DEP_1)
	v_mul_f32_e32 v25, v22, v24
	v_fma_f32 v21, v24, v22, -v25
	s_delay_alu instid0(VALU_DEP_1) | instskip(NEXT) | instid1(VALU_DEP_1)
	v_fmac_f32_e32 v21, v24, v20
	v_add_f32_e32 v26, v25, v21
	s_delay_alu instid0(VALU_DEP_1) | instskip(SKIP_1) | instid1(VALU_DEP_2)
	v_sub_f32_e32 v27, v23, v26
	v_sub_f32_e32 v19, v26, v25
	;; [unrolled: 1-line block ×3, first 2 shown]
	s_delay_alu instid0(VALU_DEP_2) | instskip(NEXT) | instid1(VALU_DEP_2)
	v_sub_f32_e32 v19, v19, v21
	v_sub_f32_e32 v23, v23, v26
	s_delay_alu instid0(VALU_DEP_1) | instskip(NEXT) | instid1(VALU_DEP_1)
	v_add_f32_e32 v14, v14, v23
	v_add_f32_e32 v14, v19, v14
	s_delay_alu instid0(VALU_DEP_1) | instskip(NEXT) | instid1(VALU_DEP_1)
	v_add_f32_e32 v19, v27, v14
	v_mul_f32_e32 v21, v18, v19
	s_delay_alu instid0(VALU_DEP_1) | instskip(NEXT) | instid1(VALU_DEP_1)
	v_dual_sub_f32 v26, v27, v19 :: v_dual_mul_f32 v23, v22, v21
	v_add_f32_e32 v14, v14, v26
	s_delay_alu instid0(VALU_DEP_2) | instskip(NEXT) | instid1(VALU_DEP_1)
	v_fma_f32 v22, v21, v22, -v23
	v_fmac_f32_e32 v22, v21, v20
	s_delay_alu instid0(VALU_DEP_1) | instskip(NEXT) | instid1(VALU_DEP_1)
	v_add_f32_e32 v20, v23, v22
	v_sub_f32_e32 v25, v19, v20
	v_sub_f32_e32 v23, v20, v23
	s_delay_alu instid0(VALU_DEP_2) | instskip(NEXT) | instid1(VALU_DEP_1)
	v_sub_f32_e32 v19, v19, v25
	v_sub_f32_e32 v19, v19, v20
	s_delay_alu instid0(VALU_DEP_3) | instskip(NEXT) | instid1(VALU_DEP_2)
	v_sub_f32_e32 v20, v23, v22
	v_dual_add_f32 v14, v14, v19 :: v_dual_add_f32 v19, v24, v21
	s_delay_alu instid0(VALU_DEP_1) | instskip(NEXT) | instid1(VALU_DEP_2)
	v_add_f32_e32 v14, v20, v14
	v_sub_f32_e32 v20, v19, v24
	s_delay_alu instid0(VALU_DEP_2) | instskip(NEXT) | instid1(VALU_DEP_2)
	v_add_f32_e32 v14, v25, v14
	v_sub_f32_e32 v20, v21, v20
	s_delay_alu instid0(VALU_DEP_2) | instskip(NEXT) | instid1(VALU_DEP_1)
	v_mul_f32_e32 v14, v18, v14
	v_add_f32_e32 v14, v20, v14
	s_delay_alu instid0(VALU_DEP_1) | instskip(NEXT) | instid1(VALU_DEP_1)
	v_add_f32_e32 v18, v19, v14
	v_mul_f32_e32 v20, v18, v18
	s_wait_alu 0xfffe
	s_delay_alu instid0(VALU_DEP_1) | instskip(SKIP_2) | instid1(VALU_DEP_3)
	v_fmaak_f32 v21, s17, v20, 0x3ecc95a3
	v_mul_f32_e32 v22, v18, v20
	v_cmp_neq_f32_e64 s17, 0x7f800000, v17
	v_fmaak_f32 v20, v20, v21, 0x3f2aaada
	v_ldexp_f32 v21, v18, 1
	v_sub_f32_e32 v18, v18, v19
	s_delay_alu instid0(VALU_DEP_3) | instskip(SKIP_1) | instid1(VALU_DEP_2)
	v_mul_f32_e32 v20, v22, v20
	v_mul_f32_e32 v22, 0x3f317218, v13
	v_dual_sub_f32 v14, v14, v18 :: v_dual_add_f32 v19, v21, v20
	s_delay_alu instid0(VALU_DEP_1) | instskip(NEXT) | instid1(VALU_DEP_2)
	v_ldexp_f32 v14, v14, 1
	v_sub_f32_e32 v18, v19, v21
	s_delay_alu instid0(VALU_DEP_4) | instskip(NEXT) | instid1(VALU_DEP_1)
	v_fma_f32 v21, 0x3f317218, v13, -v22
	v_dual_sub_f32 v18, v20, v18 :: v_dual_fmamk_f32 v13, v13, 0xb102e308, v21
	s_delay_alu instid0(VALU_DEP_1) | instskip(NEXT) | instid1(VALU_DEP_2)
	v_add_f32_e32 v14, v14, v18
	v_add_f32_e32 v18, v22, v13
	s_delay_alu instid0(VALU_DEP_2) | instskip(NEXT) | instid1(VALU_DEP_2)
	v_add_f32_e32 v20, v19, v14
	v_sub_f32_e32 v22, v18, v22
	s_delay_alu instid0(VALU_DEP_2) | instskip(SKIP_1) | instid1(VALU_DEP_3)
	v_add_f32_e32 v21, v18, v20
	v_sub_f32_e32 v19, v20, v19
	v_sub_f32_e32 v13, v13, v22
	s_delay_alu instid0(VALU_DEP_2) | instskip(NEXT) | instid1(VALU_DEP_1)
	v_dual_sub_f32 v23, v21, v18 :: v_dual_sub_f32 v14, v14, v19
	v_sub_f32_e32 v24, v21, v23
	s_delay_alu instid0(VALU_DEP_2) | instskip(NEXT) | instid1(VALU_DEP_2)
	v_dual_sub_f32 v19, v20, v23 :: v_dual_add_f32 v20, v13, v14
	v_sub_f32_e32 v18, v18, v24
	s_delay_alu instid0(VALU_DEP_1) | instskip(NEXT) | instid1(VALU_DEP_1)
	v_dual_add_f32 v18, v19, v18 :: v_dual_sub_f32 v19, v20, v13
	v_add_f32_e32 v18, v20, v18
	s_delay_alu instid0(VALU_DEP_2) | instskip(SKIP_1) | instid1(VALU_DEP_3)
	v_sub_f32_e32 v20, v20, v19
	v_sub_f32_e32 v14, v14, v19
	v_add_f32_e32 v22, v21, v18
	s_delay_alu instid0(VALU_DEP_3) | instskip(NEXT) | instid1(VALU_DEP_2)
	v_sub_f32_e32 v13, v13, v20
	v_sub_f32_e32 v19, v22, v21
	s_delay_alu instid0(VALU_DEP_2) | instskip(NEXT) | instid1(VALU_DEP_2)
	v_add_f32_e32 v13, v14, v13
	v_sub_f32_e32 v14, v18, v19
	s_delay_alu instid0(VALU_DEP_1) | instskip(NEXT) | instid1(VALU_DEP_1)
	v_add_f32_e32 v13, v13, v14
	v_add_f32_e32 v13, v22, v13
	s_wait_alu 0xf1ff
	s_delay_alu instid0(VALU_DEP_1) | instskip(SKIP_2) | instid1(VALU_DEP_1)
	v_cndmask_b32_e64 v13, 0x7f800000, v13, s17
	v_cmp_gt_f32_e64 s17, 0x33800000, |v17|
	s_wait_alu 0xf1ff
	v_cndmask_b32_e64 v13, v13, v17, s17
	s_delay_alu instid0(VALU_DEP_1) | instskip(NEXT) | instid1(VALU_DEP_1)
	v_add_f32_e32 v12, v12, v13
	v_cvt_f16_f32_e32 v17, v12
	s_delay_alu instid0(VALU_DEP_1)
	v_cvt_f32_f16_e32 v19, v17
	v_mov_b32_e32 v18, v17
.LBB411_32:
	s_wait_alu 0xfffe
	s_or_b32 exec_lo, exec_lo, s18
	v_lshrrev_b32_e32 v3, 16, v3
	v_max_num_f32_e32 v13, v19, v19
	v_cmp_u_f16_e64 s17, v17, v17
	s_delay_alu instid0(VALU_DEP_3) | instskip(NEXT) | instid1(VALU_DEP_1)
	v_cvt_f32_f16_e32 v12, v3
	v_min_num_f32_e32 v14, v13, v12
	v_max_num_f32_e32 v13, v13, v12
	s_wait_alu 0xf1ff
	s_delay_alu instid0(VALU_DEP_2) | instskip(NEXT) | instid1(VALU_DEP_2)
	v_cndmask_b32_e64 v14, v14, v19, s17
	v_cndmask_b32_e64 v20, v13, v19, s17
	v_cmp_u_f16_e64 s17, v3, v3
	s_wait_alu 0xf1ff
	s_delay_alu instid0(VALU_DEP_1) | instskip(NEXT) | instid1(VALU_DEP_3)
	v_cndmask_b32_e64 v13, v14, v12, s17
	v_cndmask_b32_e64 v3, v20, v12, s17
	s_delay_alu instid0(VALU_DEP_2) | instskip(NEXT) | instid1(VALU_DEP_2)
	v_cmp_class_f32_e64 s19, v13, 0x1f8
	v_cmp_neq_f32_e64 s18, v13, v3
	s_or_b32 s18, s18, s19
	s_wait_alu 0xfffe
	s_and_saveexec_b32 s19, s18
	s_cbranch_execz .LBB411_34
; %bb.33:
	v_sub_f32_e32 v13, v13, v3
	s_delay_alu instid0(VALU_DEP_1) | instskip(NEXT) | instid1(VALU_DEP_1)
	v_mul_f32_e32 v14, 0x3fb8aa3b, v13
	v_fma_f32 v17, 0x3fb8aa3b, v13, -v14
	v_rndne_f32_e32 v18, v14
	s_delay_alu instid0(VALU_DEP_1) | instskip(SKIP_1) | instid1(VALU_DEP_2)
	v_dual_sub_f32 v14, v14, v18 :: v_dual_fmamk_f32 v17, v13, 0x32a5705f, v17
	v_cmp_ngt_f32_e64 s18, 0xc2ce8ed0, v13
	v_add_f32_e32 v14, v14, v17
	v_cvt_i32_f32_e32 v17, v18
	s_delay_alu instid0(VALU_DEP_2) | instskip(NEXT) | instid1(TRANS32_DEP_1)
	v_exp_f32_e32 v14, v14
	v_ldexp_f32 v14, v14, v17
	s_wait_alu 0xf1ff
	s_delay_alu instid0(VALU_DEP_1) | instskip(SKIP_2) | instid1(VALU_DEP_1)
	v_cndmask_b32_e64 v14, 0, v14, s18
	v_cmp_nlt_f32_e64 s18, 0x42b17218, v13
	s_wait_alu 0xf1ff
	v_cndmask_b32_e64 v17, 0x7f800000, v14, s18
	s_delay_alu instid0(VALU_DEP_1) | instskip(NEXT) | instid1(VALU_DEP_1)
	v_add_f32_e32 v18, 1.0, v17
	v_cvt_f64_f32_e32 v[13:14], v18
	s_delay_alu instid0(VALU_DEP_1) | instskip(SKIP_1) | instid1(VALU_DEP_1)
	v_frexp_exp_i32_f64_e32 v13, v[13:14]
	v_frexp_mant_f32_e32 v14, v18
	v_cmp_gt_f32_e64 s18, 0x3f2aaaab, v14
	v_add_f32_e32 v14, -1.0, v18
	s_delay_alu instid0(VALU_DEP_1)
	v_sub_f32_e32 v20, v14, v18
	v_sub_f32_e32 v14, v17, v14
	s_wait_alu 0xf1ff
	v_subrev_co_ci_u32_e64 v13, null, 0, v13, s18
	s_mov_b32 s18, 0x3e9b6dac
	v_sub_nc_u32_e32 v19, 0, v13
	v_cvt_f32_i32_e32 v13, v13
	s_delay_alu instid0(VALU_DEP_2) | instskip(NEXT) | instid1(VALU_DEP_1)
	v_ldexp_f32 v18, v18, v19
	v_dual_add_f32 v21, 1.0, v18 :: v_dual_add_f32 v20, 1.0, v20
	s_delay_alu instid0(VALU_DEP_1) | instskip(NEXT) | instid1(VALU_DEP_2)
	v_add_f32_e32 v14, v14, v20
	v_add_f32_e32 v20, -1.0, v21
	s_delay_alu instid0(VALU_DEP_2) | instskip(NEXT) | instid1(VALU_DEP_2)
	v_ldexp_f32 v14, v14, v19
	v_dual_add_f32 v19, -1.0, v18 :: v_dual_sub_f32 v20, v18, v20
	s_delay_alu instid0(VALU_DEP_1) | instskip(NEXT) | instid1(VALU_DEP_2)
	v_add_f32_e32 v22, 1.0, v19
	v_add_f32_e32 v20, v14, v20
	s_delay_alu instid0(VALU_DEP_2) | instskip(NEXT) | instid1(VALU_DEP_2)
	v_sub_f32_e32 v18, v18, v22
	v_add_f32_e32 v22, v21, v20
	s_delay_alu instid0(VALU_DEP_2) | instskip(NEXT) | instid1(VALU_DEP_2)
	v_add_f32_e32 v14, v14, v18
	v_rcp_f32_e32 v18, v22
	v_sub_f32_e32 v21, v21, v22
	s_delay_alu instid0(VALU_DEP_1) | instskip(NEXT) | instid1(VALU_DEP_1)
	v_dual_add_f32 v23, v19, v14 :: v_dual_add_f32 v20, v20, v21
	v_sub_f32_e32 v19, v19, v23
	s_delay_alu instid0(TRANS32_DEP_1) | instskip(NEXT) | instid1(VALU_DEP_2)
	v_mul_f32_e32 v24, v23, v18
	v_add_f32_e32 v14, v14, v19
	s_delay_alu instid0(VALU_DEP_2) | instskip(NEXT) | instid1(VALU_DEP_1)
	v_mul_f32_e32 v25, v22, v24
	v_fma_f32 v21, v24, v22, -v25
	s_delay_alu instid0(VALU_DEP_1) | instskip(NEXT) | instid1(VALU_DEP_1)
	v_fmac_f32_e32 v21, v24, v20
	v_add_f32_e32 v26, v25, v21
	s_delay_alu instid0(VALU_DEP_1) | instskip(SKIP_1) | instid1(VALU_DEP_2)
	v_sub_f32_e32 v27, v23, v26
	v_sub_f32_e32 v19, v26, v25
	;; [unrolled: 1-line block ×3, first 2 shown]
	s_delay_alu instid0(VALU_DEP_2) | instskip(NEXT) | instid1(VALU_DEP_2)
	v_sub_f32_e32 v19, v19, v21
	v_sub_f32_e32 v23, v23, v26
	s_delay_alu instid0(VALU_DEP_1) | instskip(NEXT) | instid1(VALU_DEP_1)
	v_add_f32_e32 v14, v14, v23
	v_add_f32_e32 v14, v19, v14
	s_delay_alu instid0(VALU_DEP_1) | instskip(NEXT) | instid1(VALU_DEP_1)
	v_add_f32_e32 v19, v27, v14
	v_mul_f32_e32 v21, v18, v19
	s_delay_alu instid0(VALU_DEP_1) | instskip(NEXT) | instid1(VALU_DEP_1)
	v_dual_sub_f32 v26, v27, v19 :: v_dual_mul_f32 v23, v22, v21
	v_add_f32_e32 v14, v14, v26
	s_delay_alu instid0(VALU_DEP_2) | instskip(NEXT) | instid1(VALU_DEP_1)
	v_fma_f32 v22, v21, v22, -v23
	v_fmac_f32_e32 v22, v21, v20
	s_delay_alu instid0(VALU_DEP_1) | instskip(NEXT) | instid1(VALU_DEP_1)
	v_add_f32_e32 v20, v23, v22
	v_sub_f32_e32 v25, v19, v20
	v_sub_f32_e32 v23, v20, v23
	s_delay_alu instid0(VALU_DEP_2) | instskip(NEXT) | instid1(VALU_DEP_1)
	v_sub_f32_e32 v19, v19, v25
	v_sub_f32_e32 v19, v19, v20
	s_delay_alu instid0(VALU_DEP_3) | instskip(NEXT) | instid1(VALU_DEP_2)
	v_sub_f32_e32 v20, v23, v22
	v_dual_add_f32 v14, v14, v19 :: v_dual_add_f32 v19, v24, v21
	s_delay_alu instid0(VALU_DEP_1) | instskip(NEXT) | instid1(VALU_DEP_2)
	v_add_f32_e32 v14, v20, v14
	v_sub_f32_e32 v20, v19, v24
	s_delay_alu instid0(VALU_DEP_2) | instskip(NEXT) | instid1(VALU_DEP_2)
	v_add_f32_e32 v14, v25, v14
	v_sub_f32_e32 v20, v21, v20
	s_delay_alu instid0(VALU_DEP_2) | instskip(NEXT) | instid1(VALU_DEP_1)
	v_mul_f32_e32 v14, v18, v14
	v_add_f32_e32 v14, v20, v14
	s_delay_alu instid0(VALU_DEP_1) | instskip(NEXT) | instid1(VALU_DEP_1)
	v_add_f32_e32 v18, v19, v14
	v_mul_f32_e32 v20, v18, v18
	s_wait_alu 0xfffe
	s_delay_alu instid0(VALU_DEP_1) | instskip(SKIP_2) | instid1(VALU_DEP_3)
	v_fmaak_f32 v21, s18, v20, 0x3ecc95a3
	v_mul_f32_e32 v22, v18, v20
	v_cmp_neq_f32_e64 s18, 0x7f800000, v17
	v_fmaak_f32 v20, v20, v21, 0x3f2aaada
	v_ldexp_f32 v21, v18, 1
	v_sub_f32_e32 v18, v18, v19
	s_delay_alu instid0(VALU_DEP_3) | instskip(SKIP_1) | instid1(VALU_DEP_2)
	v_mul_f32_e32 v20, v22, v20
	v_mul_f32_e32 v22, 0x3f317218, v13
	v_dual_sub_f32 v14, v14, v18 :: v_dual_add_f32 v19, v21, v20
	s_delay_alu instid0(VALU_DEP_1) | instskip(NEXT) | instid1(VALU_DEP_2)
	v_ldexp_f32 v14, v14, 1
	v_sub_f32_e32 v18, v19, v21
	s_delay_alu instid0(VALU_DEP_4) | instskip(NEXT) | instid1(VALU_DEP_1)
	v_fma_f32 v21, 0x3f317218, v13, -v22
	v_dual_sub_f32 v18, v20, v18 :: v_dual_fmamk_f32 v13, v13, 0xb102e308, v21
	s_delay_alu instid0(VALU_DEP_1) | instskip(NEXT) | instid1(VALU_DEP_2)
	v_add_f32_e32 v14, v14, v18
	v_add_f32_e32 v18, v22, v13
	s_delay_alu instid0(VALU_DEP_2) | instskip(NEXT) | instid1(VALU_DEP_2)
	v_add_f32_e32 v20, v19, v14
	v_sub_f32_e32 v22, v18, v22
	s_delay_alu instid0(VALU_DEP_2) | instskip(SKIP_1) | instid1(VALU_DEP_3)
	v_add_f32_e32 v21, v18, v20
	v_sub_f32_e32 v19, v20, v19
	v_sub_f32_e32 v13, v13, v22
	s_delay_alu instid0(VALU_DEP_2) | instskip(NEXT) | instid1(VALU_DEP_1)
	v_dual_sub_f32 v23, v21, v18 :: v_dual_sub_f32 v14, v14, v19
	v_sub_f32_e32 v24, v21, v23
	s_delay_alu instid0(VALU_DEP_2) | instskip(NEXT) | instid1(VALU_DEP_2)
	v_dual_sub_f32 v19, v20, v23 :: v_dual_add_f32 v20, v13, v14
	v_sub_f32_e32 v18, v18, v24
	s_delay_alu instid0(VALU_DEP_1) | instskip(NEXT) | instid1(VALU_DEP_1)
	v_dual_add_f32 v18, v19, v18 :: v_dual_sub_f32 v19, v20, v13
	v_add_f32_e32 v18, v20, v18
	s_delay_alu instid0(VALU_DEP_2) | instskip(SKIP_1) | instid1(VALU_DEP_3)
	v_sub_f32_e32 v20, v20, v19
	v_sub_f32_e32 v14, v14, v19
	v_add_f32_e32 v22, v21, v18
	s_delay_alu instid0(VALU_DEP_3) | instskip(NEXT) | instid1(VALU_DEP_2)
	v_sub_f32_e32 v13, v13, v20
	v_sub_f32_e32 v19, v22, v21
	s_delay_alu instid0(VALU_DEP_2) | instskip(NEXT) | instid1(VALU_DEP_2)
	v_add_f32_e32 v13, v14, v13
	v_sub_f32_e32 v14, v18, v19
	s_delay_alu instid0(VALU_DEP_1) | instskip(NEXT) | instid1(VALU_DEP_1)
	v_add_f32_e32 v13, v13, v14
	v_add_f32_e32 v13, v22, v13
	s_wait_alu 0xf1ff
	s_delay_alu instid0(VALU_DEP_1) | instskip(SKIP_2) | instid1(VALU_DEP_1)
	v_cndmask_b32_e64 v13, 0x7f800000, v13, s18
	v_cmp_gt_f32_e64 s18, 0x33800000, |v17|
	s_wait_alu 0xf1ff
	v_cndmask_b32_e64 v13, v13, v17, s18
	s_delay_alu instid0(VALU_DEP_1) | instskip(NEXT) | instid1(VALU_DEP_1)
	v_add_f32_e32 v3, v3, v13
	v_cvt_f16_f32_e32 v17, v3
	s_delay_alu instid0(VALU_DEP_1)
	v_cvt_f32_f16_e32 v19, v17
	v_mov_b32_e32 v18, v17
.LBB411_34:
	s_wait_alu 0xfffe
	s_or_b32 exec_lo, exec_lo, s19
	v_cvt_f32_f16_e32 v3, v4
	v_max_num_f32_e32 v13, v19, v19
	v_cmp_u_f16_e64 s18, v17, v17
	s_delay_alu instid0(VALU_DEP_2) | instskip(SKIP_2) | instid1(VALU_DEP_2)
	v_min_num_f32_e32 v14, v13, v3
	v_max_num_f32_e32 v13, v13, v3
	s_wait_alu 0xf1ff
	v_cndmask_b32_e64 v14, v14, v19, s18
	s_delay_alu instid0(VALU_DEP_2) | instskip(SKIP_2) | instid1(VALU_DEP_1)
	v_cndmask_b32_e64 v13, v13, v19, s18
	v_cmp_u_f16_e64 s18, v4, v4
	s_wait_alu 0xf1ff
	v_cndmask_b32_e64 v14, v14, v3, s18
	s_delay_alu instid0(VALU_DEP_3) | instskip(NEXT) | instid1(VALU_DEP_2)
	v_cndmask_b32_e64 v13, v13, v3, s18
	v_cmp_class_f32_e64 s20, v14, 0x1f8
	s_delay_alu instid0(VALU_DEP_2)
	v_cmp_neq_f32_e64 s19, v14, v13
	s_or_b32 s19, s19, s20
	s_wait_alu 0xfffe
	s_and_saveexec_b32 s20, s19
	s_cbranch_execz .LBB411_36
; %bb.35:
	v_sub_f32_e32 v14, v14, v13
	s_delay_alu instid0(VALU_DEP_1) | instskip(NEXT) | instid1(VALU_DEP_1)
	v_mul_f32_e32 v17, 0x3fb8aa3b, v14
	v_fma_f32 v18, 0x3fb8aa3b, v14, -v17
	v_rndne_f32_e32 v19, v17
	s_delay_alu instid0(VALU_DEP_1) | instskip(SKIP_1) | instid1(VALU_DEP_2)
	v_dual_sub_f32 v17, v17, v19 :: v_dual_fmamk_f32 v18, v14, 0x32a5705f, v18
	v_cmp_ngt_f32_e64 s19, 0xc2ce8ed0, v14
	v_add_f32_e32 v17, v17, v18
	v_cvt_i32_f32_e32 v18, v19
	s_delay_alu instid0(VALU_DEP_2) | instskip(NEXT) | instid1(TRANS32_DEP_1)
	v_exp_f32_e32 v17, v17
	v_ldexp_f32 v17, v17, v18
	s_wait_alu 0xf1ff
	s_delay_alu instid0(VALU_DEP_1) | instskip(SKIP_2) | instid1(VALU_DEP_1)
	v_cndmask_b32_e64 v17, 0, v17, s19
	v_cmp_nlt_f32_e64 s19, 0x42b17218, v14
	s_wait_alu 0xf1ff
	v_cndmask_b32_e64 v14, 0x7f800000, v17, s19
	s_delay_alu instid0(VALU_DEP_1) | instskip(NEXT) | instid1(VALU_DEP_1)
	v_add_f32_e32 v19, 1.0, v14
	v_cvt_f64_f32_e32 v[17:18], v19
	s_delay_alu instid0(VALU_DEP_1) | instskip(SKIP_1) | instid1(VALU_DEP_1)
	v_frexp_exp_i32_f64_e32 v17, v[17:18]
	v_frexp_mant_f32_e32 v18, v19
	v_cmp_gt_f32_e64 s19, 0x3f2aaaab, v18
	v_add_f32_e32 v18, -1.0, v19
	s_delay_alu instid0(VALU_DEP_1) | instskip(NEXT) | instid1(VALU_DEP_1)
	v_sub_f32_e32 v21, v18, v19
	v_dual_sub_f32 v18, v14, v18 :: v_dual_add_f32 v21, 1.0, v21
	s_wait_alu 0xf1ff
	v_subrev_co_ci_u32_e64 v17, null, 0, v17, s19
	s_mov_b32 s19, 0x3e9b6dac
	v_sub_nc_u32_e32 v20, 0, v17
	v_cvt_f32_i32_e32 v17, v17
	s_delay_alu instid0(VALU_DEP_2) | instskip(NEXT) | instid1(VALU_DEP_1)
	v_ldexp_f32 v19, v19, v20
	v_add_f32_e32 v22, 1.0, v19
	s_delay_alu instid0(VALU_DEP_1) | instskip(NEXT) | instid1(VALU_DEP_1)
	v_dual_add_f32 v18, v18, v21 :: v_dual_add_f32 v21, -1.0, v22
	v_ldexp_f32 v18, v18, v20
	s_delay_alu instid0(VALU_DEP_2) | instskip(NEXT) | instid1(VALU_DEP_1)
	v_dual_add_f32 v20, -1.0, v19 :: v_dual_sub_f32 v21, v19, v21
	v_add_f32_e32 v23, 1.0, v20
	s_delay_alu instid0(VALU_DEP_2) | instskip(NEXT) | instid1(VALU_DEP_2)
	v_add_f32_e32 v21, v18, v21
	v_sub_f32_e32 v19, v19, v23
	s_delay_alu instid0(VALU_DEP_1) | instskip(NEXT) | instid1(VALU_DEP_1)
	v_add_f32_e32 v18, v18, v19
	v_dual_add_f32 v24, v20, v18 :: v_dual_add_f32 v23, v22, v21
	s_delay_alu instid0(VALU_DEP_1) | instskip(NEXT) | instid1(VALU_DEP_2)
	v_sub_f32_e32 v20, v20, v24
	v_rcp_f32_e32 v19, v23
	v_sub_f32_e32 v22, v22, v23
	s_delay_alu instid0(VALU_DEP_1) | instskip(NEXT) | instid1(TRANS32_DEP_1)
	v_dual_add_f32 v18, v18, v20 :: v_dual_add_f32 v21, v21, v22
	v_mul_f32_e32 v25, v24, v19
	s_delay_alu instid0(VALU_DEP_1) | instskip(NEXT) | instid1(VALU_DEP_1)
	v_mul_f32_e32 v26, v23, v25
	v_fma_f32 v22, v25, v23, -v26
	s_delay_alu instid0(VALU_DEP_1) | instskip(NEXT) | instid1(VALU_DEP_1)
	v_fmac_f32_e32 v22, v25, v21
	v_add_f32_e32 v27, v26, v22
	s_delay_alu instid0(VALU_DEP_1) | instskip(NEXT) | instid1(VALU_DEP_1)
	v_sub_f32_e32 v28, v24, v27
	v_sub_f32_e32 v24, v24, v28
	;; [unrolled: 1-line block ×3, first 2 shown]
	s_delay_alu instid0(VALU_DEP_2) | instskip(NEXT) | instid1(VALU_DEP_2)
	v_sub_f32_e32 v24, v24, v27
	v_sub_f32_e32 v20, v20, v22
	s_delay_alu instid0(VALU_DEP_2) | instskip(NEXT) | instid1(VALU_DEP_1)
	v_add_f32_e32 v18, v18, v24
	v_add_f32_e32 v18, v20, v18
	s_delay_alu instid0(VALU_DEP_1) | instskip(NEXT) | instid1(VALU_DEP_1)
	v_add_f32_e32 v20, v28, v18
	v_mul_f32_e32 v22, v19, v20
	s_delay_alu instid0(VALU_DEP_1) | instskip(NEXT) | instid1(VALU_DEP_1)
	v_dual_sub_f32 v27, v28, v20 :: v_dual_mul_f32 v24, v23, v22
	v_add_f32_e32 v18, v18, v27
	s_delay_alu instid0(VALU_DEP_2) | instskip(NEXT) | instid1(VALU_DEP_1)
	v_fma_f32 v23, v22, v23, -v24
	v_fmac_f32_e32 v23, v22, v21
	s_delay_alu instid0(VALU_DEP_1) | instskip(NEXT) | instid1(VALU_DEP_1)
	v_add_f32_e32 v21, v24, v23
	v_sub_f32_e32 v26, v20, v21
	v_sub_f32_e32 v24, v21, v24
	s_delay_alu instid0(VALU_DEP_2) | instskip(NEXT) | instid1(VALU_DEP_1)
	v_sub_f32_e32 v20, v20, v26
	v_sub_f32_e32 v20, v20, v21
	s_delay_alu instid0(VALU_DEP_1) | instskip(SKIP_1) | instid1(VALU_DEP_1)
	v_dual_sub_f32 v21, v24, v23 :: v_dual_add_f32 v18, v18, v20
	v_add_f32_e32 v20, v25, v22
	v_dual_add_f32 v18, v21, v18 :: v_dual_sub_f32 v21, v20, v25
	s_delay_alu instid0(VALU_DEP_1) | instskip(NEXT) | instid1(VALU_DEP_1)
	v_add_f32_e32 v18, v26, v18
	v_dual_sub_f32 v21, v22, v21 :: v_dual_mul_f32 v18, v19, v18
	s_delay_alu instid0(VALU_DEP_1) | instskip(NEXT) | instid1(VALU_DEP_1)
	v_add_f32_e32 v18, v21, v18
	v_add_f32_e32 v19, v20, v18
	s_delay_alu instid0(VALU_DEP_1) | instskip(SKIP_1) | instid1(VALU_DEP_1)
	v_mul_f32_e32 v21, v19, v19
	s_wait_alu 0xfffe
	v_fmaak_f32 v22, s19, v21, 0x3ecc95a3
	v_mul_f32_e32 v23, v19, v21
	v_cmp_neq_f32_e64 s19, 0x7f800000, v14
	s_delay_alu instid0(VALU_DEP_3) | instskip(SKIP_2) | instid1(VALU_DEP_3)
	v_fmaak_f32 v21, v21, v22, 0x3f2aaada
	v_ldexp_f32 v22, v19, 1
	v_sub_f32_e32 v19, v19, v20
	v_mul_f32_e32 v21, v23, v21
	s_delay_alu instid0(VALU_DEP_2) | instskip(NEXT) | instid1(VALU_DEP_2)
	v_dual_mul_f32 v23, 0x3f317218, v17 :: v_dual_sub_f32 v18, v18, v19
	v_add_f32_e32 v20, v22, v21
	s_delay_alu instid0(VALU_DEP_2) | instskip(NEXT) | instid1(VALU_DEP_2)
	v_ldexp_f32 v18, v18, 1
	v_sub_f32_e32 v19, v20, v22
	s_delay_alu instid0(VALU_DEP_4) | instskip(NEXT) | instid1(VALU_DEP_2)
	v_fma_f32 v22, 0x3f317218, v17, -v23
	v_sub_f32_e32 v19, v21, v19
	s_delay_alu instid0(VALU_DEP_1) | instskip(NEXT) | instid1(VALU_DEP_1)
	v_dual_fmamk_f32 v17, v17, 0xb102e308, v22 :: v_dual_add_f32 v18, v18, v19
	v_add_f32_e32 v19, v23, v17
	s_delay_alu instid0(VALU_DEP_1) | instskip(NEXT) | instid1(VALU_DEP_1)
	v_sub_f32_e32 v23, v19, v23
	v_sub_f32_e32 v17, v17, v23
	s_delay_alu instid0(VALU_DEP_4) | instskip(NEXT) | instid1(VALU_DEP_1)
	v_add_f32_e32 v21, v20, v18
	v_sub_f32_e32 v20, v21, v20
	s_delay_alu instid0(VALU_DEP_1) | instskip(SKIP_1) | instid1(VALU_DEP_1)
	v_sub_f32_e32 v18, v18, v20
	v_add_f32_e32 v22, v19, v21
	v_sub_f32_e32 v24, v22, v19
	s_delay_alu instid0(VALU_DEP_1) | instskip(NEXT) | instid1(VALU_DEP_4)
	v_sub_f32_e32 v20, v21, v24
	v_add_f32_e32 v21, v17, v18
	v_sub_f32_e32 v25, v22, v24
	s_delay_alu instid0(VALU_DEP_1) | instskip(NEXT) | instid1(VALU_DEP_1)
	v_sub_f32_e32 v19, v19, v25
	v_dual_add_f32 v19, v20, v19 :: v_dual_sub_f32 v20, v21, v17
	s_delay_alu instid0(VALU_DEP_1) | instskip(SKIP_1) | instid1(VALU_DEP_2)
	v_dual_add_f32 v19, v21, v19 :: v_dual_sub_f32 v18, v18, v20
	v_sub_f32_e32 v21, v21, v20
	v_add_f32_e32 v23, v22, v19
	s_delay_alu instid0(VALU_DEP_1) | instskip(NEXT) | instid1(VALU_DEP_1)
	v_dual_sub_f32 v17, v17, v21 :: v_dual_sub_f32 v20, v23, v22
	v_dual_add_f32 v17, v18, v17 :: v_dual_sub_f32 v18, v19, v20
	s_delay_alu instid0(VALU_DEP_1) | instskip(NEXT) | instid1(VALU_DEP_1)
	v_add_f32_e32 v17, v17, v18
	v_add_f32_e32 v17, v23, v17
	s_wait_alu 0xf1ff
	s_delay_alu instid0(VALU_DEP_1) | instskip(SKIP_2) | instid1(VALU_DEP_1)
	v_cndmask_b32_e64 v17, 0x7f800000, v17, s19
	v_cmp_gt_f32_e64 s19, 0x33800000, |v14|
	s_wait_alu 0xf1ff
	v_cndmask_b32_e64 v14, v17, v14, s19
	s_delay_alu instid0(VALU_DEP_1) | instskip(NEXT) | instid1(VALU_DEP_1)
	v_add_f32_e32 v13, v13, v14
	v_cvt_f16_f32_e32 v17, v13
	s_delay_alu instid0(VALU_DEP_1)
	v_cvt_f32_f16_e32 v19, v17
	v_mov_b32_e32 v18, v17
.LBB411_36:
	s_or_b32 exec_lo, exec_lo, s20
	v_lshrrev_b32_e32 v4, 16, v4
	s_delay_alu instid0(VALU_DEP_3) | instskip(SKIP_1) | instid1(VALU_DEP_3)
	v_max_num_f32_e32 v14, v19, v19
	v_cmp_u_f16_e64 s19, v17, v17
	v_cvt_f32_f16_e32 v13, v4
	s_delay_alu instid0(VALU_DEP_1) | instskip(SKIP_2) | instid1(VALU_DEP_2)
	v_min_num_f32_e32 v20, v14, v13
	v_max_num_f32_e32 v14, v14, v13
	s_wait_alu 0xf1ff
	v_cndmask_b32_e64 v20, v20, v19, s19
	s_delay_alu instid0(VALU_DEP_2) | instskip(SKIP_2) | instid1(VALU_DEP_1)
	v_cndmask_b32_e64 v21, v14, v19, s19
	v_cmp_u_f16_e64 s19, v4, v4
	s_wait_alu 0xf1ff
	v_cndmask_b32_e64 v14, v20, v13, s19
	s_delay_alu instid0(VALU_DEP_3) | instskip(NEXT) | instid1(VALU_DEP_2)
	v_cndmask_b32_e64 v4, v21, v13, s19
	v_cmp_class_f32_e64 s21, v14, 0x1f8
	s_delay_alu instid0(VALU_DEP_2) | instskip(SKIP_1) | instid1(SALU_CYCLE_1)
	v_cmp_neq_f32_e64 s20, v14, v4
	s_or_b32 s20, s20, s21
	s_and_saveexec_b32 s21, s20
	s_cbranch_execz .LBB411_38
; %bb.37:
	v_sub_f32_e32 v14, v14, v4
	s_delay_alu instid0(VALU_DEP_1) | instskip(NEXT) | instid1(VALU_DEP_1)
	v_mul_f32_e32 v17, 0x3fb8aa3b, v14
	v_fma_f32 v18, 0x3fb8aa3b, v14, -v17
	v_rndne_f32_e32 v19, v17
	s_delay_alu instid0(VALU_DEP_1) | instskip(SKIP_1) | instid1(VALU_DEP_2)
	v_dual_sub_f32 v17, v17, v19 :: v_dual_fmamk_f32 v18, v14, 0x32a5705f, v18
	v_cmp_ngt_f32_e64 s20, 0xc2ce8ed0, v14
	v_add_f32_e32 v17, v17, v18
	v_cvt_i32_f32_e32 v18, v19
	s_delay_alu instid0(VALU_DEP_2) | instskip(NEXT) | instid1(TRANS32_DEP_1)
	v_exp_f32_e32 v17, v17
	v_ldexp_f32 v17, v17, v18
	s_delay_alu instid0(VALU_DEP_1) | instskip(SKIP_2) | instid1(VALU_DEP_1)
	v_cndmask_b32_e64 v17, 0, v17, s20
	v_cmp_nlt_f32_e64 s20, 0x42b17218, v14
	s_wait_alu 0xf1ff
	v_cndmask_b32_e64 v14, 0x7f800000, v17, s20
	s_delay_alu instid0(VALU_DEP_1) | instskip(NEXT) | instid1(VALU_DEP_1)
	v_add_f32_e32 v19, 1.0, v14
	v_cvt_f64_f32_e32 v[17:18], v19
	s_delay_alu instid0(VALU_DEP_1) | instskip(SKIP_1) | instid1(VALU_DEP_1)
	v_frexp_exp_i32_f64_e32 v17, v[17:18]
	v_frexp_mant_f32_e32 v18, v19
	v_cmp_gt_f32_e64 s20, 0x3f2aaaab, v18
	v_add_f32_e32 v18, -1.0, v19
	s_delay_alu instid0(VALU_DEP_1) | instskip(NEXT) | instid1(VALU_DEP_1)
	v_sub_f32_e32 v21, v18, v19
	v_dual_sub_f32 v18, v14, v18 :: v_dual_add_f32 v21, 1.0, v21
	s_wait_alu 0xf1ff
	v_subrev_co_ci_u32_e64 v17, null, 0, v17, s20
	s_mov_b32 s20, 0x3e9b6dac
	v_sub_nc_u32_e32 v20, 0, v17
	v_cvt_f32_i32_e32 v17, v17
	s_delay_alu instid0(VALU_DEP_2) | instskip(NEXT) | instid1(VALU_DEP_1)
	v_ldexp_f32 v19, v19, v20
	v_add_f32_e32 v22, 1.0, v19
	s_delay_alu instid0(VALU_DEP_1) | instskip(NEXT) | instid1(VALU_DEP_1)
	v_dual_add_f32 v18, v18, v21 :: v_dual_add_f32 v21, -1.0, v22
	v_ldexp_f32 v18, v18, v20
	s_delay_alu instid0(VALU_DEP_2) | instskip(NEXT) | instid1(VALU_DEP_1)
	v_dual_add_f32 v20, -1.0, v19 :: v_dual_sub_f32 v21, v19, v21
	v_add_f32_e32 v23, 1.0, v20
	s_delay_alu instid0(VALU_DEP_2) | instskip(NEXT) | instid1(VALU_DEP_2)
	v_add_f32_e32 v21, v18, v21
	v_sub_f32_e32 v19, v19, v23
	s_delay_alu instid0(VALU_DEP_1) | instskip(NEXT) | instid1(VALU_DEP_1)
	v_add_f32_e32 v18, v18, v19
	v_dual_add_f32 v24, v20, v18 :: v_dual_add_f32 v23, v22, v21
	s_delay_alu instid0(VALU_DEP_1) | instskip(NEXT) | instid1(VALU_DEP_2)
	v_sub_f32_e32 v20, v20, v24
	v_rcp_f32_e32 v19, v23
	v_sub_f32_e32 v22, v22, v23
	s_delay_alu instid0(VALU_DEP_1) | instskip(NEXT) | instid1(TRANS32_DEP_1)
	v_dual_add_f32 v18, v18, v20 :: v_dual_add_f32 v21, v21, v22
	v_mul_f32_e32 v25, v24, v19
	s_delay_alu instid0(VALU_DEP_1) | instskip(NEXT) | instid1(VALU_DEP_1)
	v_mul_f32_e32 v26, v23, v25
	v_fma_f32 v22, v25, v23, -v26
	s_delay_alu instid0(VALU_DEP_1) | instskip(NEXT) | instid1(VALU_DEP_1)
	v_fmac_f32_e32 v22, v25, v21
	v_add_f32_e32 v27, v26, v22
	s_delay_alu instid0(VALU_DEP_1) | instskip(NEXT) | instid1(VALU_DEP_1)
	v_sub_f32_e32 v28, v24, v27
	v_sub_f32_e32 v24, v24, v28
	;; [unrolled: 1-line block ×3, first 2 shown]
	s_delay_alu instid0(VALU_DEP_2) | instskip(NEXT) | instid1(VALU_DEP_2)
	v_sub_f32_e32 v24, v24, v27
	v_sub_f32_e32 v20, v20, v22
	s_delay_alu instid0(VALU_DEP_2) | instskip(NEXT) | instid1(VALU_DEP_1)
	v_add_f32_e32 v18, v18, v24
	v_add_f32_e32 v18, v20, v18
	s_delay_alu instid0(VALU_DEP_1) | instskip(NEXT) | instid1(VALU_DEP_1)
	v_add_f32_e32 v20, v28, v18
	v_mul_f32_e32 v22, v19, v20
	s_delay_alu instid0(VALU_DEP_1) | instskip(NEXT) | instid1(VALU_DEP_1)
	v_dual_sub_f32 v27, v28, v20 :: v_dual_mul_f32 v24, v23, v22
	v_add_f32_e32 v18, v18, v27
	s_delay_alu instid0(VALU_DEP_2) | instskip(NEXT) | instid1(VALU_DEP_1)
	v_fma_f32 v23, v22, v23, -v24
	v_fmac_f32_e32 v23, v22, v21
	s_delay_alu instid0(VALU_DEP_1) | instskip(NEXT) | instid1(VALU_DEP_1)
	v_add_f32_e32 v21, v24, v23
	v_sub_f32_e32 v26, v20, v21
	v_sub_f32_e32 v24, v21, v24
	s_delay_alu instid0(VALU_DEP_2) | instskip(NEXT) | instid1(VALU_DEP_1)
	v_sub_f32_e32 v20, v20, v26
	v_sub_f32_e32 v20, v20, v21
	s_delay_alu instid0(VALU_DEP_1) | instskip(SKIP_1) | instid1(VALU_DEP_1)
	v_dual_sub_f32 v21, v24, v23 :: v_dual_add_f32 v18, v18, v20
	v_add_f32_e32 v20, v25, v22
	v_dual_add_f32 v18, v21, v18 :: v_dual_sub_f32 v21, v20, v25
	s_delay_alu instid0(VALU_DEP_1) | instskip(NEXT) | instid1(VALU_DEP_1)
	v_add_f32_e32 v18, v26, v18
	v_dual_sub_f32 v21, v22, v21 :: v_dual_mul_f32 v18, v19, v18
	s_delay_alu instid0(VALU_DEP_1) | instskip(NEXT) | instid1(VALU_DEP_1)
	v_add_f32_e32 v18, v21, v18
	v_add_f32_e32 v19, v20, v18
	s_delay_alu instid0(VALU_DEP_1) | instskip(SKIP_1) | instid1(VALU_DEP_1)
	v_mul_f32_e32 v21, v19, v19
	s_wait_alu 0xfffe
	v_fmaak_f32 v22, s20, v21, 0x3ecc95a3
	v_mul_f32_e32 v23, v19, v21
	v_cmp_neq_f32_e64 s20, 0x7f800000, v14
	s_delay_alu instid0(VALU_DEP_3) | instskip(SKIP_2) | instid1(VALU_DEP_3)
	v_fmaak_f32 v21, v21, v22, 0x3f2aaada
	v_ldexp_f32 v22, v19, 1
	v_sub_f32_e32 v19, v19, v20
	v_mul_f32_e32 v21, v23, v21
	s_delay_alu instid0(VALU_DEP_2) | instskip(NEXT) | instid1(VALU_DEP_2)
	v_dual_mul_f32 v23, 0x3f317218, v17 :: v_dual_sub_f32 v18, v18, v19
	v_add_f32_e32 v20, v22, v21
	s_delay_alu instid0(VALU_DEP_2) | instskip(NEXT) | instid1(VALU_DEP_2)
	v_ldexp_f32 v18, v18, 1
	v_sub_f32_e32 v19, v20, v22
	s_delay_alu instid0(VALU_DEP_4) | instskip(NEXT) | instid1(VALU_DEP_2)
	v_fma_f32 v22, 0x3f317218, v17, -v23
	v_sub_f32_e32 v19, v21, v19
	s_delay_alu instid0(VALU_DEP_1) | instskip(NEXT) | instid1(VALU_DEP_1)
	v_dual_fmamk_f32 v17, v17, 0xb102e308, v22 :: v_dual_add_f32 v18, v18, v19
	v_add_f32_e32 v19, v23, v17
	s_delay_alu instid0(VALU_DEP_1) | instskip(NEXT) | instid1(VALU_DEP_1)
	v_sub_f32_e32 v23, v19, v23
	v_sub_f32_e32 v17, v17, v23
	s_delay_alu instid0(VALU_DEP_4) | instskip(NEXT) | instid1(VALU_DEP_1)
	v_add_f32_e32 v21, v20, v18
	v_sub_f32_e32 v20, v21, v20
	s_delay_alu instid0(VALU_DEP_1) | instskip(SKIP_1) | instid1(VALU_DEP_1)
	v_sub_f32_e32 v18, v18, v20
	v_add_f32_e32 v22, v19, v21
	v_sub_f32_e32 v24, v22, v19
	s_delay_alu instid0(VALU_DEP_1) | instskip(NEXT) | instid1(VALU_DEP_4)
	v_sub_f32_e32 v20, v21, v24
	v_add_f32_e32 v21, v17, v18
	v_sub_f32_e32 v25, v22, v24
	s_delay_alu instid0(VALU_DEP_1) | instskip(NEXT) | instid1(VALU_DEP_1)
	v_sub_f32_e32 v19, v19, v25
	v_dual_add_f32 v19, v20, v19 :: v_dual_sub_f32 v20, v21, v17
	s_delay_alu instid0(VALU_DEP_1) | instskip(SKIP_1) | instid1(VALU_DEP_2)
	v_dual_add_f32 v19, v21, v19 :: v_dual_sub_f32 v18, v18, v20
	v_sub_f32_e32 v21, v21, v20
	v_add_f32_e32 v23, v22, v19
	s_delay_alu instid0(VALU_DEP_1) | instskip(NEXT) | instid1(VALU_DEP_1)
	v_dual_sub_f32 v17, v17, v21 :: v_dual_sub_f32 v20, v23, v22
	v_dual_add_f32 v17, v18, v17 :: v_dual_sub_f32 v18, v19, v20
	s_delay_alu instid0(VALU_DEP_1) | instskip(NEXT) | instid1(VALU_DEP_1)
	v_add_f32_e32 v17, v17, v18
	v_add_f32_e32 v17, v23, v17
	s_wait_alu 0xf1ff
	s_delay_alu instid0(VALU_DEP_1) | instskip(SKIP_2) | instid1(VALU_DEP_1)
	v_cndmask_b32_e64 v17, 0x7f800000, v17, s20
	v_cmp_gt_f32_e64 s20, 0x33800000, |v14|
	s_wait_alu 0xf1ff
	v_cndmask_b32_e64 v14, v17, v14, s20
	s_delay_alu instid0(VALU_DEP_1) | instskip(NEXT) | instid1(VALU_DEP_1)
	v_add_f32_e32 v4, v4, v14
	v_cvt_f16_f32_e32 v17, v4
	s_delay_alu instid0(VALU_DEP_1)
	v_cvt_f32_f16_e32 v19, v17
	v_mov_b32_e32 v18, v17
.LBB411_38:
	s_or_b32 exec_lo, exec_lo, s21
	v_cvt_f32_f16_e32 v4, v5
	s_delay_alu instid0(VALU_DEP_3) | instskip(SKIP_1) | instid1(VALU_DEP_2)
	v_max_num_f32_e32 v14, v19, v19
	v_cmp_u_f16_e64 s20, v17, v17
	v_min_num_f32_e32 v20, v14, v4
	v_max_num_f32_e32 v14, v14, v4
	s_wait_alu 0xf1ff
	s_delay_alu instid0(VALU_DEP_2) | instskip(NEXT) | instid1(VALU_DEP_2)
	v_cndmask_b32_e64 v20, v20, v19, s20
	v_cndmask_b32_e64 v14, v14, v19, s20
	v_cmp_u_f16_e64 s20, v5, v5
	s_wait_alu 0xf1ff
	s_delay_alu instid0(VALU_DEP_1) | instskip(NEXT) | instid1(VALU_DEP_3)
	v_cndmask_b32_e64 v20, v20, v4, s20
	v_cndmask_b32_e64 v14, v14, v4, s20
	s_delay_alu instid0(VALU_DEP_2) | instskip(NEXT) | instid1(VALU_DEP_2)
	v_cmp_class_f32_e64 s22, v20, 0x1f8
	v_cmp_neq_f32_e64 s21, v20, v14
	s_or_b32 s21, s21, s22
	s_wait_alu 0xfffe
	s_and_saveexec_b32 s22, s21
	s_cbranch_execz .LBB411_40
; %bb.39:
	v_sub_f32_e32 v17, v20, v14
	s_delay_alu instid0(VALU_DEP_1) | instskip(NEXT) | instid1(VALU_DEP_1)
	v_mul_f32_e32 v18, 0x3fb8aa3b, v17
	v_fma_f32 v19, 0x3fb8aa3b, v17, -v18
	v_rndne_f32_e32 v20, v18
	s_delay_alu instid0(VALU_DEP_1) | instskip(SKIP_1) | instid1(VALU_DEP_2)
	v_dual_sub_f32 v18, v18, v20 :: v_dual_fmamk_f32 v19, v17, 0x32a5705f, v19
	v_cmp_ngt_f32_e64 s21, 0xc2ce8ed0, v17
	v_add_f32_e32 v18, v18, v19
	v_cvt_i32_f32_e32 v19, v20
	s_delay_alu instid0(VALU_DEP_2) | instskip(NEXT) | instid1(TRANS32_DEP_1)
	v_exp_f32_e32 v18, v18
	v_ldexp_f32 v18, v18, v19
	s_wait_alu 0xf1ff
	s_delay_alu instid0(VALU_DEP_1) | instskip(SKIP_2) | instid1(VALU_DEP_1)
	v_cndmask_b32_e64 v18, 0, v18, s21
	v_cmp_nlt_f32_e64 s21, 0x42b17218, v17
	s_wait_alu 0xf1ff
	v_cndmask_b32_e64 v19, 0x7f800000, v18, s21
	s_delay_alu instid0(VALU_DEP_1) | instskip(NEXT) | instid1(VALU_DEP_1)
	v_add_f32_e32 v20, 1.0, v19
	v_cvt_f64_f32_e32 v[17:18], v20
	s_delay_alu instid0(VALU_DEP_1) | instskip(SKIP_1) | instid1(VALU_DEP_1)
	v_frexp_exp_i32_f64_e32 v17, v[17:18]
	v_frexp_mant_f32_e32 v18, v20
	v_cmp_gt_f32_e64 s21, 0x3f2aaaab, v18
	v_add_f32_e32 v18, -1.0, v20
	s_delay_alu instid0(VALU_DEP_1)
	v_sub_f32_e32 v22, v18, v20
	v_sub_f32_e32 v18, v19, v18
	s_wait_alu 0xf1ff
	v_subrev_co_ci_u32_e64 v17, null, 0, v17, s21
	s_mov_b32 s21, 0x3e9b6dac
	v_sub_nc_u32_e32 v21, 0, v17
	v_cvt_f32_i32_e32 v17, v17
	s_delay_alu instid0(VALU_DEP_2) | instskip(NEXT) | instid1(VALU_DEP_1)
	v_ldexp_f32 v20, v20, v21
	v_dual_add_f32 v23, 1.0, v20 :: v_dual_add_f32 v22, 1.0, v22
	s_delay_alu instid0(VALU_DEP_1) | instskip(NEXT) | instid1(VALU_DEP_2)
	v_add_f32_e32 v18, v18, v22
	v_add_f32_e32 v22, -1.0, v23
	s_delay_alu instid0(VALU_DEP_2) | instskip(NEXT) | instid1(VALU_DEP_2)
	v_ldexp_f32 v18, v18, v21
	v_dual_add_f32 v21, -1.0, v20 :: v_dual_sub_f32 v22, v20, v22
	s_delay_alu instid0(VALU_DEP_1) | instskip(NEXT) | instid1(VALU_DEP_2)
	v_add_f32_e32 v24, 1.0, v21
	v_add_f32_e32 v22, v18, v22
	s_delay_alu instid0(VALU_DEP_2) | instskip(NEXT) | instid1(VALU_DEP_2)
	v_sub_f32_e32 v20, v20, v24
	v_add_f32_e32 v24, v23, v22
	s_delay_alu instid0(VALU_DEP_2) | instskip(NEXT) | instid1(VALU_DEP_2)
	v_add_f32_e32 v18, v18, v20
	v_rcp_f32_e32 v20, v24
	v_sub_f32_e32 v23, v23, v24
	s_delay_alu instid0(VALU_DEP_1) | instskip(NEXT) | instid1(VALU_DEP_1)
	v_dual_add_f32 v25, v21, v18 :: v_dual_add_f32 v22, v22, v23
	v_sub_f32_e32 v21, v21, v25
	s_delay_alu instid0(TRANS32_DEP_1) | instskip(NEXT) | instid1(VALU_DEP_1)
	v_mul_f32_e32 v26, v25, v20
	v_dual_add_f32 v18, v18, v21 :: v_dual_mul_f32 v27, v24, v26
	s_delay_alu instid0(VALU_DEP_1) | instskip(NEXT) | instid1(VALU_DEP_1)
	v_fma_f32 v23, v26, v24, -v27
	v_fmac_f32_e32 v23, v26, v22
	s_delay_alu instid0(VALU_DEP_1) | instskip(NEXT) | instid1(VALU_DEP_1)
	v_add_f32_e32 v28, v27, v23
	v_sub_f32_e32 v29, v25, v28
	v_sub_f32_e32 v21, v28, v27
	s_delay_alu instid0(VALU_DEP_2) | instskip(NEXT) | instid1(VALU_DEP_2)
	v_sub_f32_e32 v25, v25, v29
	v_sub_f32_e32 v21, v21, v23
	s_delay_alu instid0(VALU_DEP_2) | instskip(NEXT) | instid1(VALU_DEP_1)
	v_sub_f32_e32 v25, v25, v28
	v_add_f32_e32 v18, v18, v25
	s_delay_alu instid0(VALU_DEP_1) | instskip(NEXT) | instid1(VALU_DEP_1)
	v_add_f32_e32 v18, v21, v18
	v_add_f32_e32 v21, v29, v18
	s_delay_alu instid0(VALU_DEP_1) | instskip(NEXT) | instid1(VALU_DEP_1)
	v_mul_f32_e32 v23, v20, v21
	v_dual_sub_f32 v28, v29, v21 :: v_dual_mul_f32 v25, v24, v23
	s_delay_alu instid0(VALU_DEP_1) | instskip(NEXT) | instid1(VALU_DEP_2)
	v_add_f32_e32 v18, v18, v28
	v_fma_f32 v24, v23, v24, -v25
	s_delay_alu instid0(VALU_DEP_1) | instskip(NEXT) | instid1(VALU_DEP_1)
	v_fmac_f32_e32 v24, v23, v22
	v_add_f32_e32 v22, v25, v24
	s_delay_alu instid0(VALU_DEP_1) | instskip(SKIP_1) | instid1(VALU_DEP_2)
	v_sub_f32_e32 v27, v21, v22
	v_sub_f32_e32 v25, v22, v25
	;; [unrolled: 1-line block ×3, first 2 shown]
	s_delay_alu instid0(VALU_DEP_1) | instskip(NEXT) | instid1(VALU_DEP_3)
	v_sub_f32_e32 v21, v21, v22
	v_sub_f32_e32 v22, v25, v24
	s_delay_alu instid0(VALU_DEP_2) | instskip(SKIP_1) | instid1(VALU_DEP_2)
	v_add_f32_e32 v18, v18, v21
	v_add_f32_e32 v21, v26, v23
	;; [unrolled: 1-line block ×3, first 2 shown]
	s_delay_alu instid0(VALU_DEP_2) | instskip(NEXT) | instid1(VALU_DEP_2)
	v_sub_f32_e32 v22, v21, v26
	v_add_f32_e32 v18, v27, v18
	s_delay_alu instid0(VALU_DEP_2) | instskip(NEXT) | instid1(VALU_DEP_2)
	v_sub_f32_e32 v22, v23, v22
	v_mul_f32_e32 v18, v20, v18
	s_delay_alu instid0(VALU_DEP_1) | instskip(NEXT) | instid1(VALU_DEP_1)
	v_add_f32_e32 v18, v22, v18
	v_add_f32_e32 v20, v21, v18
	s_delay_alu instid0(VALU_DEP_1) | instskip(SKIP_1) | instid1(VALU_DEP_1)
	v_mul_f32_e32 v22, v20, v20
	s_wait_alu 0xfffe
	v_fmaak_f32 v23, s21, v22, 0x3ecc95a3
	v_mul_f32_e32 v24, v20, v22
	v_cmp_neq_f32_e64 s21, 0x7f800000, v19
	s_delay_alu instid0(VALU_DEP_3) | instskip(SKIP_2) | instid1(VALU_DEP_3)
	v_fmaak_f32 v22, v22, v23, 0x3f2aaada
	v_ldexp_f32 v23, v20, 1
	v_sub_f32_e32 v20, v20, v21
	v_mul_f32_e32 v22, v24, v22
	v_mul_f32_e32 v24, 0x3f317218, v17
	s_delay_alu instid0(VALU_DEP_2) | instskip(NEXT) | instid1(VALU_DEP_1)
	v_dual_sub_f32 v18, v18, v20 :: v_dual_add_f32 v21, v23, v22
	v_ldexp_f32 v18, v18, 1
	s_delay_alu instid0(VALU_DEP_2) | instskip(NEXT) | instid1(VALU_DEP_4)
	v_sub_f32_e32 v20, v21, v23
	v_fma_f32 v23, 0x3f317218, v17, -v24
	s_delay_alu instid0(VALU_DEP_1) | instskip(NEXT) | instid1(VALU_DEP_1)
	v_dual_sub_f32 v20, v22, v20 :: v_dual_fmamk_f32 v17, v17, 0xb102e308, v23
	v_add_f32_e32 v18, v18, v20
	s_delay_alu instid0(VALU_DEP_2) | instskip(NEXT) | instid1(VALU_DEP_2)
	v_add_f32_e32 v20, v24, v17
	v_add_f32_e32 v22, v21, v18
	s_delay_alu instid0(VALU_DEP_2) | instskip(NEXT) | instid1(VALU_DEP_2)
	v_sub_f32_e32 v24, v20, v24
	v_add_f32_e32 v23, v20, v22
	v_sub_f32_e32 v21, v22, v21
	s_delay_alu instid0(VALU_DEP_3) | instskip(NEXT) | instid1(VALU_DEP_2)
	v_sub_f32_e32 v17, v17, v24
	v_dual_sub_f32 v25, v23, v20 :: v_dual_sub_f32 v18, v18, v21
	s_delay_alu instid0(VALU_DEP_1) | instskip(NEXT) | instid1(VALU_DEP_2)
	v_sub_f32_e32 v26, v23, v25
	v_dual_sub_f32 v21, v22, v25 :: v_dual_add_f32 v22, v17, v18
	s_delay_alu instid0(VALU_DEP_2) | instskip(NEXT) | instid1(VALU_DEP_1)
	v_sub_f32_e32 v20, v20, v26
	v_dual_add_f32 v20, v21, v20 :: v_dual_sub_f32 v21, v22, v17
	s_delay_alu instid0(VALU_DEP_1) | instskip(NEXT) | instid1(VALU_DEP_2)
	v_add_f32_e32 v20, v22, v20
	v_sub_f32_e32 v22, v22, v21
	v_sub_f32_e32 v18, v18, v21
	s_delay_alu instid0(VALU_DEP_2) | instskip(NEXT) | instid1(VALU_DEP_1)
	v_dual_add_f32 v24, v23, v20 :: v_dual_sub_f32 v17, v17, v22
	v_sub_f32_e32 v21, v24, v23
	s_delay_alu instid0(VALU_DEP_2) | instskip(NEXT) | instid1(VALU_DEP_2)
	v_add_f32_e32 v17, v18, v17
	v_sub_f32_e32 v18, v20, v21
	s_delay_alu instid0(VALU_DEP_1) | instskip(NEXT) | instid1(VALU_DEP_1)
	v_add_f32_e32 v17, v17, v18
	v_add_f32_e32 v17, v24, v17
	s_wait_alu 0xf1ff
	s_delay_alu instid0(VALU_DEP_1) | instskip(SKIP_2) | instid1(VALU_DEP_1)
	v_cndmask_b32_e64 v17, 0x7f800000, v17, s21
	v_cmp_gt_f32_e64 s21, 0x33800000, |v19|
	s_wait_alu 0xf1ff
	v_cndmask_b32_e64 v17, v17, v19, s21
	s_delay_alu instid0(VALU_DEP_1) | instskip(NEXT) | instid1(VALU_DEP_1)
	v_add_f32_e32 v14, v14, v17
	v_cvt_f16_f32_e32 v17, v14
	s_delay_alu instid0(VALU_DEP_1)
	v_cvt_f32_f16_e32 v19, v17
	v_mov_b32_e32 v18, v17
.LBB411_40:
	s_or_b32 exec_lo, exec_lo, s22
	v_lshrrev_b32_e32 v5, 16, v5
	s_delay_alu instid0(VALU_DEP_3) | instskip(SKIP_1) | instid1(VALU_DEP_3)
	v_max_num_f32_e32 v20, v19, v19
	v_cmp_u_f16_e64 s21, v17, v17
	v_cvt_f32_f16_e32 v14, v5
	s_delay_alu instid0(VALU_DEP_1) | instskip(SKIP_2) | instid1(VALU_DEP_2)
	v_min_num_f32_e32 v21, v20, v14
	v_max_num_f32_e32 v20, v20, v14
	s_wait_alu 0xf1ff
	v_cndmask_b32_e64 v21, v21, v19, s21
	s_delay_alu instid0(VALU_DEP_2) | instskip(SKIP_2) | instid1(VALU_DEP_1)
	v_cndmask_b32_e64 v22, v20, v19, s21
	v_cmp_u_f16_e64 s21, v5, v5
	s_wait_alu 0xf1ff
	v_cndmask_b32_e64 v20, v21, v14, s21
	s_delay_alu instid0(VALU_DEP_3) | instskip(NEXT) | instid1(VALU_DEP_2)
	v_cndmask_b32_e64 v5, v22, v14, s21
	v_cmp_class_f32_e64 s23, v20, 0x1f8
	s_delay_alu instid0(VALU_DEP_2) | instskip(SKIP_1) | instid1(SALU_CYCLE_1)
	v_cmp_neq_f32_e64 s22, v20, v5
	s_or_b32 s22, s22, s23
	s_and_saveexec_b32 s23, s22
	s_cbranch_execz .LBB411_42
; %bb.41:
	v_sub_f32_e32 v17, v20, v5
	s_delay_alu instid0(VALU_DEP_1) | instskip(NEXT) | instid1(VALU_DEP_1)
	v_mul_f32_e32 v18, 0x3fb8aa3b, v17
	v_fma_f32 v19, 0x3fb8aa3b, v17, -v18
	v_rndne_f32_e32 v20, v18
	s_delay_alu instid0(VALU_DEP_1) | instskip(SKIP_1) | instid1(VALU_DEP_2)
	v_dual_sub_f32 v18, v18, v20 :: v_dual_fmamk_f32 v19, v17, 0x32a5705f, v19
	v_cmp_ngt_f32_e64 s22, 0xc2ce8ed0, v17
	v_add_f32_e32 v18, v18, v19
	v_cvt_i32_f32_e32 v19, v20
	s_delay_alu instid0(VALU_DEP_2) | instskip(NEXT) | instid1(TRANS32_DEP_1)
	v_exp_f32_e32 v18, v18
	v_ldexp_f32 v18, v18, v19
	s_delay_alu instid0(VALU_DEP_1) | instskip(SKIP_2) | instid1(VALU_DEP_1)
	v_cndmask_b32_e64 v18, 0, v18, s22
	v_cmp_nlt_f32_e64 s22, 0x42b17218, v17
	s_wait_alu 0xf1ff
	v_cndmask_b32_e64 v19, 0x7f800000, v18, s22
	s_delay_alu instid0(VALU_DEP_1) | instskip(NEXT) | instid1(VALU_DEP_1)
	v_add_f32_e32 v20, 1.0, v19
	v_cvt_f64_f32_e32 v[17:18], v20
	s_delay_alu instid0(VALU_DEP_1) | instskip(SKIP_1) | instid1(VALU_DEP_1)
	v_frexp_exp_i32_f64_e32 v17, v[17:18]
	v_frexp_mant_f32_e32 v18, v20
	v_cmp_gt_f32_e64 s22, 0x3f2aaaab, v18
	v_add_f32_e32 v18, -1.0, v20
	s_delay_alu instid0(VALU_DEP_1)
	v_sub_f32_e32 v22, v18, v20
	v_sub_f32_e32 v18, v19, v18
	s_wait_alu 0xf1ff
	v_subrev_co_ci_u32_e64 v17, null, 0, v17, s22
	s_mov_b32 s22, 0x3e9b6dac
	v_sub_nc_u32_e32 v21, 0, v17
	v_cvt_f32_i32_e32 v17, v17
	s_delay_alu instid0(VALU_DEP_2) | instskip(NEXT) | instid1(VALU_DEP_1)
	v_ldexp_f32 v20, v20, v21
	v_dual_add_f32 v23, 1.0, v20 :: v_dual_add_f32 v22, 1.0, v22
	s_delay_alu instid0(VALU_DEP_1) | instskip(NEXT) | instid1(VALU_DEP_2)
	v_add_f32_e32 v18, v18, v22
	v_add_f32_e32 v22, -1.0, v23
	s_delay_alu instid0(VALU_DEP_2) | instskip(NEXT) | instid1(VALU_DEP_2)
	v_ldexp_f32 v18, v18, v21
	v_dual_add_f32 v21, -1.0, v20 :: v_dual_sub_f32 v22, v20, v22
	s_delay_alu instid0(VALU_DEP_1) | instskip(NEXT) | instid1(VALU_DEP_2)
	v_add_f32_e32 v24, 1.0, v21
	v_add_f32_e32 v22, v18, v22
	s_delay_alu instid0(VALU_DEP_2) | instskip(NEXT) | instid1(VALU_DEP_2)
	v_sub_f32_e32 v20, v20, v24
	v_add_f32_e32 v24, v23, v22
	s_delay_alu instid0(VALU_DEP_2) | instskip(NEXT) | instid1(VALU_DEP_2)
	v_add_f32_e32 v18, v18, v20
	v_rcp_f32_e32 v20, v24
	v_sub_f32_e32 v23, v23, v24
	s_delay_alu instid0(VALU_DEP_1) | instskip(NEXT) | instid1(VALU_DEP_1)
	v_dual_add_f32 v25, v21, v18 :: v_dual_add_f32 v22, v22, v23
	v_sub_f32_e32 v21, v21, v25
	s_delay_alu instid0(TRANS32_DEP_1) | instskip(NEXT) | instid1(VALU_DEP_1)
	v_mul_f32_e32 v26, v25, v20
	v_dual_add_f32 v18, v18, v21 :: v_dual_mul_f32 v27, v24, v26
	s_delay_alu instid0(VALU_DEP_1) | instskip(NEXT) | instid1(VALU_DEP_1)
	v_fma_f32 v23, v26, v24, -v27
	v_fmac_f32_e32 v23, v26, v22
	s_delay_alu instid0(VALU_DEP_1) | instskip(NEXT) | instid1(VALU_DEP_1)
	v_add_f32_e32 v28, v27, v23
	v_sub_f32_e32 v29, v25, v28
	v_sub_f32_e32 v21, v28, v27
	s_delay_alu instid0(VALU_DEP_2) | instskip(NEXT) | instid1(VALU_DEP_2)
	v_sub_f32_e32 v25, v25, v29
	v_sub_f32_e32 v21, v21, v23
	s_delay_alu instid0(VALU_DEP_2) | instskip(NEXT) | instid1(VALU_DEP_1)
	v_sub_f32_e32 v25, v25, v28
	v_add_f32_e32 v18, v18, v25
	s_delay_alu instid0(VALU_DEP_1) | instskip(NEXT) | instid1(VALU_DEP_1)
	v_add_f32_e32 v18, v21, v18
	v_add_f32_e32 v21, v29, v18
	s_delay_alu instid0(VALU_DEP_1) | instskip(NEXT) | instid1(VALU_DEP_1)
	v_mul_f32_e32 v23, v20, v21
	v_dual_sub_f32 v28, v29, v21 :: v_dual_mul_f32 v25, v24, v23
	s_delay_alu instid0(VALU_DEP_1) | instskip(NEXT) | instid1(VALU_DEP_2)
	v_add_f32_e32 v18, v18, v28
	v_fma_f32 v24, v23, v24, -v25
	s_delay_alu instid0(VALU_DEP_1) | instskip(NEXT) | instid1(VALU_DEP_1)
	v_fmac_f32_e32 v24, v23, v22
	v_add_f32_e32 v22, v25, v24
	s_delay_alu instid0(VALU_DEP_1) | instskip(SKIP_1) | instid1(VALU_DEP_2)
	v_sub_f32_e32 v27, v21, v22
	v_sub_f32_e32 v25, v22, v25
	;; [unrolled: 1-line block ×3, first 2 shown]
	s_delay_alu instid0(VALU_DEP_1) | instskip(NEXT) | instid1(VALU_DEP_3)
	v_sub_f32_e32 v21, v21, v22
	v_sub_f32_e32 v22, v25, v24
	s_delay_alu instid0(VALU_DEP_2) | instskip(SKIP_1) | instid1(VALU_DEP_2)
	v_add_f32_e32 v18, v18, v21
	v_add_f32_e32 v21, v26, v23
	;; [unrolled: 1-line block ×3, first 2 shown]
	s_delay_alu instid0(VALU_DEP_2) | instskip(NEXT) | instid1(VALU_DEP_2)
	v_sub_f32_e32 v22, v21, v26
	v_add_f32_e32 v18, v27, v18
	s_delay_alu instid0(VALU_DEP_2) | instskip(NEXT) | instid1(VALU_DEP_2)
	v_sub_f32_e32 v22, v23, v22
	v_mul_f32_e32 v18, v20, v18
	s_delay_alu instid0(VALU_DEP_1) | instskip(NEXT) | instid1(VALU_DEP_1)
	v_add_f32_e32 v18, v22, v18
	v_add_f32_e32 v20, v21, v18
	s_delay_alu instid0(VALU_DEP_1) | instskip(SKIP_1) | instid1(VALU_DEP_1)
	v_mul_f32_e32 v22, v20, v20
	s_wait_alu 0xfffe
	v_fmaak_f32 v23, s22, v22, 0x3ecc95a3
	v_mul_f32_e32 v24, v20, v22
	v_cmp_neq_f32_e64 s22, 0x7f800000, v19
	s_delay_alu instid0(VALU_DEP_3) | instskip(SKIP_2) | instid1(VALU_DEP_3)
	v_fmaak_f32 v22, v22, v23, 0x3f2aaada
	v_ldexp_f32 v23, v20, 1
	v_sub_f32_e32 v20, v20, v21
	v_mul_f32_e32 v22, v24, v22
	v_mul_f32_e32 v24, 0x3f317218, v17
	s_delay_alu instid0(VALU_DEP_2) | instskip(NEXT) | instid1(VALU_DEP_1)
	v_dual_sub_f32 v18, v18, v20 :: v_dual_add_f32 v21, v23, v22
	v_ldexp_f32 v18, v18, 1
	s_delay_alu instid0(VALU_DEP_2) | instskip(NEXT) | instid1(VALU_DEP_4)
	v_sub_f32_e32 v20, v21, v23
	v_fma_f32 v23, 0x3f317218, v17, -v24
	s_delay_alu instid0(VALU_DEP_1) | instskip(NEXT) | instid1(VALU_DEP_1)
	v_dual_sub_f32 v20, v22, v20 :: v_dual_fmamk_f32 v17, v17, 0xb102e308, v23
	v_add_f32_e32 v18, v18, v20
	s_delay_alu instid0(VALU_DEP_2) | instskip(NEXT) | instid1(VALU_DEP_2)
	v_add_f32_e32 v20, v24, v17
	v_add_f32_e32 v22, v21, v18
	s_delay_alu instid0(VALU_DEP_2) | instskip(NEXT) | instid1(VALU_DEP_2)
	v_sub_f32_e32 v24, v20, v24
	v_add_f32_e32 v23, v20, v22
	v_sub_f32_e32 v21, v22, v21
	s_delay_alu instid0(VALU_DEP_3) | instskip(NEXT) | instid1(VALU_DEP_2)
	v_sub_f32_e32 v17, v17, v24
	v_dual_sub_f32 v25, v23, v20 :: v_dual_sub_f32 v18, v18, v21
	s_delay_alu instid0(VALU_DEP_1) | instskip(NEXT) | instid1(VALU_DEP_2)
	v_sub_f32_e32 v26, v23, v25
	v_dual_sub_f32 v21, v22, v25 :: v_dual_add_f32 v22, v17, v18
	s_delay_alu instid0(VALU_DEP_2) | instskip(NEXT) | instid1(VALU_DEP_1)
	v_sub_f32_e32 v20, v20, v26
	v_dual_add_f32 v20, v21, v20 :: v_dual_sub_f32 v21, v22, v17
	s_delay_alu instid0(VALU_DEP_1) | instskip(NEXT) | instid1(VALU_DEP_2)
	v_add_f32_e32 v20, v22, v20
	v_sub_f32_e32 v22, v22, v21
	v_sub_f32_e32 v18, v18, v21
	s_delay_alu instid0(VALU_DEP_2) | instskip(NEXT) | instid1(VALU_DEP_1)
	v_dual_add_f32 v24, v23, v20 :: v_dual_sub_f32 v17, v17, v22
	v_sub_f32_e32 v21, v24, v23
	s_delay_alu instid0(VALU_DEP_2) | instskip(NEXT) | instid1(VALU_DEP_2)
	v_add_f32_e32 v17, v18, v17
	v_sub_f32_e32 v18, v20, v21
	s_delay_alu instid0(VALU_DEP_1) | instskip(NEXT) | instid1(VALU_DEP_1)
	v_add_f32_e32 v17, v17, v18
	v_add_f32_e32 v17, v24, v17
	s_wait_alu 0xf1ff
	s_delay_alu instid0(VALU_DEP_1) | instskip(SKIP_2) | instid1(VALU_DEP_1)
	v_cndmask_b32_e64 v17, 0x7f800000, v17, s22
	v_cmp_gt_f32_e64 s22, 0x33800000, |v19|
	s_wait_alu 0xf1ff
	v_cndmask_b32_e64 v17, v17, v19, s22
	s_delay_alu instid0(VALU_DEP_1) | instskip(NEXT) | instid1(VALU_DEP_1)
	v_add_f32_e32 v5, v5, v17
	v_cvt_f16_f32_e32 v17, v5
	s_delay_alu instid0(VALU_DEP_1)
	v_cvt_f32_f16_e32 v19, v17
	v_mov_b32_e32 v18, v17
.LBB411_42:
	s_or_b32 exec_lo, exec_lo, s23
	v_cvt_f32_f16_e32 v5, v6
	s_delay_alu instid0(VALU_DEP_3) | instskip(SKIP_1) | instid1(VALU_DEP_2)
	v_max_num_f32_e32 v20, v19, v19
	v_cmp_u_f16_e64 s22, v17, v17
	v_min_num_f32_e32 v21, v20, v5
	v_max_num_f32_e32 v20, v20, v5
	s_wait_alu 0xf1ff
	s_delay_alu instid0(VALU_DEP_2) | instskip(NEXT) | instid1(VALU_DEP_2)
	v_cndmask_b32_e64 v21, v21, v19, s22
	v_cndmask_b32_e64 v20, v20, v19, s22
	v_cmp_u_f16_e64 s22, v6, v6
	s_wait_alu 0xf1ff
	s_delay_alu instid0(VALU_DEP_1) | instskip(NEXT) | instid1(VALU_DEP_3)
	v_cndmask_b32_e64 v21, v21, v5, s22
	v_cndmask_b32_e64 v20, v20, v5, s22
	s_delay_alu instid0(VALU_DEP_2) | instskip(NEXT) | instid1(VALU_DEP_2)
	v_cmp_class_f32_e64 s25, v21, 0x1f8
	v_cmp_neq_f32_e64 s23, v21, v20
	s_or_b32 s23, s23, s25
	s_wait_alu 0xfffe
	s_and_saveexec_b32 s25, s23
	s_cbranch_execz .LBB411_44
; %bb.43:
	v_sub_f32_e32 v17, v21, v20
	s_delay_alu instid0(VALU_DEP_1) | instskip(NEXT) | instid1(VALU_DEP_1)
	v_mul_f32_e32 v18, 0x3fb8aa3b, v17
	v_fma_f32 v19, 0x3fb8aa3b, v17, -v18
	v_rndne_f32_e32 v21, v18
	s_delay_alu instid0(VALU_DEP_1) | instskip(SKIP_1) | instid1(VALU_DEP_2)
	v_dual_sub_f32 v18, v18, v21 :: v_dual_fmamk_f32 v19, v17, 0x32a5705f, v19
	v_cmp_ngt_f32_e64 s23, 0xc2ce8ed0, v17
	v_add_f32_e32 v18, v18, v19
	v_cvt_i32_f32_e32 v19, v21
	s_delay_alu instid0(VALU_DEP_2) | instskip(NEXT) | instid1(TRANS32_DEP_1)
	v_exp_f32_e32 v18, v18
	v_ldexp_f32 v18, v18, v19
	s_wait_alu 0xf1ff
	s_delay_alu instid0(VALU_DEP_1) | instskip(SKIP_2) | instid1(VALU_DEP_1)
	v_cndmask_b32_e64 v18, 0, v18, s23
	v_cmp_nlt_f32_e64 s23, 0x42b17218, v17
	s_wait_alu 0xf1ff
	v_cndmask_b32_e64 v19, 0x7f800000, v18, s23
	s_delay_alu instid0(VALU_DEP_1) | instskip(NEXT) | instid1(VALU_DEP_1)
	v_add_f32_e32 v21, 1.0, v19
	v_cvt_f64_f32_e32 v[17:18], v21
	s_delay_alu instid0(VALU_DEP_1) | instskip(SKIP_1) | instid1(VALU_DEP_1)
	v_frexp_exp_i32_f64_e32 v17, v[17:18]
	v_frexp_mant_f32_e32 v18, v21
	v_cmp_gt_f32_e64 s23, 0x3f2aaaab, v18
	v_add_f32_e32 v18, -1.0, v21
	s_delay_alu instid0(VALU_DEP_1) | instskip(SKIP_1) | instid1(VALU_DEP_3)
	v_dual_sub_f32 v23, v18, v21 :: v_dual_sub_f32 v18, v19, v18
	s_wait_alu 0xf1ff
	v_subrev_co_ci_u32_e64 v17, null, 0, v17, s23
	s_mov_b32 s23, 0x3e9b6dac
	v_sub_nc_u32_e32 v22, 0, v17
	v_cvt_f32_i32_e32 v17, v17
	s_delay_alu instid0(VALU_DEP_2) | instskip(NEXT) | instid1(VALU_DEP_1)
	v_ldexp_f32 v21, v21, v22
	v_dual_add_f32 v23, 1.0, v23 :: v_dual_add_f32 v24, 1.0, v21
	s_delay_alu instid0(VALU_DEP_1) | instskip(NEXT) | instid1(VALU_DEP_1)
	v_dual_add_f32 v18, v18, v23 :: v_dual_add_f32 v23, -1.0, v24
	v_ldexp_f32 v18, v18, v22
	s_delay_alu instid0(VALU_DEP_2) | instskip(NEXT) | instid1(VALU_DEP_1)
	v_dual_add_f32 v22, -1.0, v21 :: v_dual_sub_f32 v23, v21, v23
	v_add_f32_e32 v25, 1.0, v22
	s_delay_alu instid0(VALU_DEP_2) | instskip(NEXT) | instid1(VALU_DEP_2)
	v_add_f32_e32 v23, v18, v23
	v_sub_f32_e32 v21, v21, v25
	s_delay_alu instid0(VALU_DEP_1) | instskip(NEXT) | instid1(VALU_DEP_1)
	v_dual_add_f32 v25, v24, v23 :: v_dual_add_f32 v18, v18, v21
	v_rcp_f32_e32 v21, v25
	v_sub_f32_e32 v24, v24, v25
	s_delay_alu instid0(VALU_DEP_1) | instskip(NEXT) | instid1(VALU_DEP_1)
	v_dual_add_f32 v26, v22, v18 :: v_dual_add_f32 v23, v23, v24
	v_sub_f32_e32 v22, v22, v26
	s_delay_alu instid0(TRANS32_DEP_1) | instskip(NEXT) | instid1(VALU_DEP_2)
	v_mul_f32_e32 v27, v26, v21
	v_add_f32_e32 v18, v18, v22
	s_delay_alu instid0(VALU_DEP_2) | instskip(NEXT) | instid1(VALU_DEP_1)
	v_mul_f32_e32 v28, v25, v27
	v_fma_f32 v24, v27, v25, -v28
	s_delay_alu instid0(VALU_DEP_1) | instskip(NEXT) | instid1(VALU_DEP_1)
	v_fmac_f32_e32 v24, v27, v23
	v_add_f32_e32 v29, v28, v24
	s_delay_alu instid0(VALU_DEP_1) | instskip(SKIP_1) | instid1(VALU_DEP_2)
	v_sub_f32_e32 v30, v26, v29
	v_sub_f32_e32 v22, v29, v28
	;; [unrolled: 1-line block ×3, first 2 shown]
	s_delay_alu instid0(VALU_DEP_2) | instskip(NEXT) | instid1(VALU_DEP_2)
	v_sub_f32_e32 v22, v22, v24
	v_sub_f32_e32 v26, v26, v29
	s_delay_alu instid0(VALU_DEP_1) | instskip(NEXT) | instid1(VALU_DEP_1)
	v_add_f32_e32 v18, v18, v26
	v_add_f32_e32 v18, v22, v18
	s_delay_alu instid0(VALU_DEP_1) | instskip(NEXT) | instid1(VALU_DEP_1)
	v_add_f32_e32 v22, v30, v18
	v_mul_f32_e32 v24, v21, v22
	s_delay_alu instid0(VALU_DEP_1) | instskip(NEXT) | instid1(VALU_DEP_1)
	v_mul_f32_e32 v26, v25, v24
	v_fma_f32 v25, v24, v25, -v26
	s_delay_alu instid0(VALU_DEP_1) | instskip(SKIP_1) | instid1(VALU_DEP_2)
	v_fmac_f32_e32 v25, v24, v23
	v_sub_f32_e32 v29, v30, v22
	v_add_f32_e32 v23, v26, v25
	s_delay_alu instid0(VALU_DEP_2) | instskip(NEXT) | instid1(VALU_DEP_2)
	v_add_f32_e32 v18, v18, v29
	v_sub_f32_e32 v28, v22, v23
	v_sub_f32_e32 v26, v23, v26
	s_delay_alu instid0(VALU_DEP_2) | instskip(NEXT) | instid1(VALU_DEP_1)
	v_sub_f32_e32 v22, v22, v28
	v_sub_f32_e32 v22, v22, v23
	s_delay_alu instid0(VALU_DEP_3) | instskip(NEXT) | instid1(VALU_DEP_2)
	v_sub_f32_e32 v23, v26, v25
	v_add_f32_e32 v18, v18, v22
	v_add_f32_e32 v22, v27, v24
	s_delay_alu instid0(VALU_DEP_1) | instskip(NEXT) | instid1(VALU_DEP_1)
	v_dual_add_f32 v18, v23, v18 :: v_dual_sub_f32 v23, v22, v27
	v_add_f32_e32 v18, v28, v18
	s_delay_alu instid0(VALU_DEP_1) | instskip(NEXT) | instid1(VALU_DEP_1)
	v_dual_sub_f32 v23, v24, v23 :: v_dual_mul_f32 v18, v21, v18
	v_add_f32_e32 v18, v23, v18
	s_delay_alu instid0(VALU_DEP_1) | instskip(NEXT) | instid1(VALU_DEP_1)
	v_add_f32_e32 v21, v22, v18
	v_mul_f32_e32 v23, v21, v21
	s_wait_alu 0xfffe
	s_delay_alu instid0(VALU_DEP_1) | instskip(SKIP_2) | instid1(VALU_DEP_3)
	v_fmaak_f32 v24, s23, v23, 0x3ecc95a3
	v_mul_f32_e32 v25, v21, v23
	v_cmp_neq_f32_e64 s23, 0x7f800000, v19
	v_fmaak_f32 v23, v23, v24, 0x3f2aaada
	v_ldexp_f32 v24, v21, 1
	v_sub_f32_e32 v21, v21, v22
	s_delay_alu instid0(VALU_DEP_3) | instskip(SKIP_1) | instid1(VALU_DEP_3)
	v_mul_f32_e32 v23, v25, v23
	v_mul_f32_e32 v25, 0x3f317218, v17
	v_sub_f32_e32 v18, v18, v21
	s_delay_alu instid0(VALU_DEP_3) | instskip(NEXT) | instid1(VALU_DEP_2)
	v_add_f32_e32 v22, v24, v23
	v_ldexp_f32 v18, v18, 1
	s_delay_alu instid0(VALU_DEP_2) | instskip(SKIP_1) | instid1(VALU_DEP_2)
	v_sub_f32_e32 v21, v22, v24
	v_fma_f32 v24, 0x3f317218, v17, -v25
	v_sub_f32_e32 v21, v23, v21
	s_delay_alu instid0(VALU_DEP_1) | instskip(NEXT) | instid1(VALU_DEP_1)
	v_dual_fmamk_f32 v17, v17, 0xb102e308, v24 :: v_dual_add_f32 v18, v18, v21
	v_add_f32_e32 v21, v25, v17
	s_delay_alu instid0(VALU_DEP_2) | instskip(NEXT) | instid1(VALU_DEP_2)
	v_add_f32_e32 v23, v22, v18
	v_sub_f32_e32 v25, v21, v25
	s_delay_alu instid0(VALU_DEP_2) | instskip(NEXT) | instid1(VALU_DEP_2)
	v_add_f32_e32 v24, v21, v23
	v_sub_f32_e32 v17, v17, v25
	s_delay_alu instid0(VALU_DEP_2) | instskip(SKIP_1) | instid1(VALU_DEP_2)
	v_sub_f32_e32 v26, v24, v21
	v_sub_f32_e32 v22, v23, v22
	;; [unrolled: 1-line block ×3, first 2 shown]
	s_delay_alu instid0(VALU_DEP_2) | instskip(NEXT) | instid1(VALU_DEP_2)
	v_sub_f32_e32 v18, v18, v22
	v_dual_sub_f32 v22, v23, v26 :: v_dual_sub_f32 v21, v21, v27
	s_delay_alu instid0(VALU_DEP_2) | instskip(NEXT) | instid1(VALU_DEP_2)
	v_add_f32_e32 v23, v17, v18
	v_add_f32_e32 v21, v22, v21
	s_delay_alu instid0(VALU_DEP_2) | instskip(NEXT) | instid1(VALU_DEP_2)
	v_sub_f32_e32 v22, v23, v17
	v_add_f32_e32 v21, v23, v21
	s_delay_alu instid0(VALU_DEP_2) | instskip(NEXT) | instid1(VALU_DEP_2)
	v_sub_f32_e32 v23, v23, v22
	v_dual_sub_f32 v18, v18, v22 :: v_dual_add_f32 v25, v24, v21
	s_delay_alu instid0(VALU_DEP_2) | instskip(NEXT) | instid1(VALU_DEP_1)
	v_sub_f32_e32 v17, v17, v23
	v_dual_sub_f32 v22, v25, v24 :: v_dual_add_f32 v17, v18, v17
	s_delay_alu instid0(VALU_DEP_1) | instskip(NEXT) | instid1(VALU_DEP_1)
	v_sub_f32_e32 v18, v21, v22
	v_add_f32_e32 v17, v17, v18
	s_delay_alu instid0(VALU_DEP_1) | instskip(SKIP_1) | instid1(VALU_DEP_1)
	v_add_f32_e32 v17, v25, v17
	s_wait_alu 0xf1ff
	v_cndmask_b32_e64 v17, 0x7f800000, v17, s23
	v_cmp_gt_f32_e64 s23, 0x33800000, |v19|
	s_wait_alu 0xf1ff
	s_delay_alu instid0(VALU_DEP_1) | instskip(NEXT) | instid1(VALU_DEP_1)
	v_cndmask_b32_e64 v17, v17, v19, s23
	v_add_f32_e32 v17, v20, v17
	s_delay_alu instid0(VALU_DEP_1) | instskip(NEXT) | instid1(VALU_DEP_1)
	v_cvt_f16_f32_e32 v17, v17
	v_cvt_f32_f16_e32 v19, v17
	v_mov_b32_e32 v18, v17
.LBB411_44:
	s_wait_alu 0xfffe
	s_or_b32 exec_lo, exec_lo, s25
	v_lshrrev_b32_e32 v20, 16, v6
	v_max_num_f32_e32 v21, v19, v19
	v_cmp_u_f16_e64 s23, v17, v17
	s_delay_alu instid0(VALU_DEP_3) | instskip(NEXT) | instid1(VALU_DEP_1)
	v_cvt_f32_f16_e32 v6, v20
	v_min_num_f32_e32 v22, v21, v6
	v_max_num_f32_e32 v21, v21, v6
	s_wait_alu 0xf1ff
	s_delay_alu instid0(VALU_DEP_2) | instskip(NEXT) | instid1(VALU_DEP_2)
	v_cndmask_b32_e64 v17, v22, v19, s23
	v_cndmask_b32_e64 v21, v21, v19, s23
	v_cmp_u_f16_e64 s23, v20, v20
	s_wait_alu 0xf1ff
	s_delay_alu instid0(VALU_DEP_1) | instskip(NEXT) | instid1(VALU_DEP_3)
	v_cndmask_b32_e64 v19, v17, v6, s23
	v_cndmask_b32_e64 v17, v21, v6, s23
	s_delay_alu instid0(VALU_DEP_2) | instskip(NEXT) | instid1(VALU_DEP_2)
	v_cmp_class_f32_e64 s26, v19, 0x1f8
	v_cmp_neq_f32_e64 s25, v19, v17
	s_or_b32 s25, s25, s26
	s_wait_alu 0xfffe
	s_and_saveexec_b32 s26, s25
	s_cbranch_execz .LBB411_46
; %bb.45:
	v_sub_f32_e32 v18, v19, v17
	s_delay_alu instid0(VALU_DEP_1) | instskip(SKIP_1) | instid1(VALU_DEP_2)
	v_mul_f32_e32 v19, 0x3fb8aa3b, v18
	v_cmp_ngt_f32_e64 s25, 0xc2ce8ed0, v18
	v_fma_f32 v20, 0x3fb8aa3b, v18, -v19
	v_rndne_f32_e32 v21, v19
	s_delay_alu instid0(VALU_DEP_1) | instskip(NEXT) | instid1(VALU_DEP_1)
	v_dual_fmamk_f32 v20, v18, 0x32a5705f, v20 :: v_dual_sub_f32 v19, v19, v21
	v_add_f32_e32 v19, v19, v20
	v_cvt_i32_f32_e32 v20, v21
	s_delay_alu instid0(VALU_DEP_2) | instskip(NEXT) | instid1(TRANS32_DEP_1)
	v_exp_f32_e32 v19, v19
	v_ldexp_f32 v19, v19, v20
	s_wait_alu 0xf1ff
	s_delay_alu instid0(VALU_DEP_1) | instskip(SKIP_2) | instid1(VALU_DEP_1)
	v_cndmask_b32_e64 v19, 0, v19, s25
	v_cmp_nlt_f32_e64 s25, 0x42b17218, v18
	s_wait_alu 0xf1ff
	v_cndmask_b32_e64 v20, 0x7f800000, v19, s25
	s_delay_alu instid0(VALU_DEP_1) | instskip(NEXT) | instid1(VALU_DEP_1)
	v_add_f32_e32 v21, 1.0, v20
	v_cvt_f64_f32_e32 v[18:19], v21
	s_delay_alu instid0(VALU_DEP_1) | instskip(SKIP_1) | instid1(VALU_DEP_1)
	v_frexp_exp_i32_f64_e32 v18, v[18:19]
	v_frexp_mant_f32_e32 v19, v21
	v_cmp_gt_f32_e64 s25, 0x3f2aaaab, v19
	v_add_f32_e32 v19, -1.0, v21
	s_delay_alu instid0(VALU_DEP_1)
	v_sub_f32_e32 v23, v19, v21
	v_sub_f32_e32 v19, v20, v19
	s_wait_alu 0xf1ff
	v_subrev_co_ci_u32_e64 v18, null, 0, v18, s25
	s_mov_b32 s25, 0x3e9b6dac
	v_sub_nc_u32_e32 v22, 0, v18
	v_cvt_f32_i32_e32 v18, v18
	s_delay_alu instid0(VALU_DEP_2) | instskip(NEXT) | instid1(VALU_DEP_1)
	v_ldexp_f32 v21, v21, v22
	v_dual_add_f32 v24, 1.0, v21 :: v_dual_add_f32 v23, 1.0, v23
	s_delay_alu instid0(VALU_DEP_1) | instskip(NEXT) | instid1(VALU_DEP_2)
	v_add_f32_e32 v19, v19, v23
	v_add_f32_e32 v23, -1.0, v24
	s_delay_alu instid0(VALU_DEP_2) | instskip(NEXT) | instid1(VALU_DEP_2)
	v_ldexp_f32 v19, v19, v22
	v_dual_add_f32 v22, -1.0, v21 :: v_dual_sub_f32 v23, v21, v23
	s_delay_alu instid0(VALU_DEP_1) | instskip(NEXT) | instid1(VALU_DEP_2)
	v_add_f32_e32 v25, 1.0, v22
	v_add_f32_e32 v23, v19, v23
	s_delay_alu instid0(VALU_DEP_2) | instskip(NEXT) | instid1(VALU_DEP_2)
	v_sub_f32_e32 v21, v21, v25
	v_add_f32_e32 v25, v24, v23
	s_delay_alu instid0(VALU_DEP_2) | instskip(NEXT) | instid1(VALU_DEP_2)
	v_add_f32_e32 v19, v19, v21
	v_rcp_f32_e32 v21, v25
	v_sub_f32_e32 v24, v24, v25
	s_delay_alu instid0(VALU_DEP_1) | instskip(NEXT) | instid1(VALU_DEP_1)
	v_dual_add_f32 v26, v22, v19 :: v_dual_add_f32 v23, v23, v24
	v_sub_f32_e32 v22, v22, v26
	s_delay_alu instid0(TRANS32_DEP_1) | instskip(NEXT) | instid1(VALU_DEP_1)
	v_mul_f32_e32 v27, v26, v21
	v_dual_add_f32 v19, v19, v22 :: v_dual_mul_f32 v28, v25, v27
	s_delay_alu instid0(VALU_DEP_1) | instskip(NEXT) | instid1(VALU_DEP_1)
	v_fma_f32 v24, v27, v25, -v28
	v_fmac_f32_e32 v24, v27, v23
	s_delay_alu instid0(VALU_DEP_1) | instskip(NEXT) | instid1(VALU_DEP_1)
	v_add_f32_e32 v29, v28, v24
	v_sub_f32_e32 v30, v26, v29
	v_sub_f32_e32 v22, v29, v28
	s_delay_alu instid0(VALU_DEP_2) | instskip(NEXT) | instid1(VALU_DEP_2)
	v_sub_f32_e32 v26, v26, v30
	v_sub_f32_e32 v22, v22, v24
	s_delay_alu instid0(VALU_DEP_2) | instskip(NEXT) | instid1(VALU_DEP_1)
	v_sub_f32_e32 v26, v26, v29
	v_add_f32_e32 v19, v19, v26
	s_delay_alu instid0(VALU_DEP_1) | instskip(NEXT) | instid1(VALU_DEP_1)
	v_add_f32_e32 v19, v22, v19
	v_add_f32_e32 v22, v30, v19
	s_delay_alu instid0(VALU_DEP_1) | instskip(NEXT) | instid1(VALU_DEP_1)
	v_mul_f32_e32 v24, v21, v22
	v_dual_sub_f32 v29, v30, v22 :: v_dual_mul_f32 v26, v25, v24
	s_delay_alu instid0(VALU_DEP_1) | instskip(NEXT) | instid1(VALU_DEP_2)
	v_add_f32_e32 v19, v19, v29
	v_fma_f32 v25, v24, v25, -v26
	s_delay_alu instid0(VALU_DEP_1) | instskip(NEXT) | instid1(VALU_DEP_1)
	v_fmac_f32_e32 v25, v24, v23
	v_add_f32_e32 v23, v26, v25
	s_delay_alu instid0(VALU_DEP_1) | instskip(SKIP_1) | instid1(VALU_DEP_2)
	v_sub_f32_e32 v28, v22, v23
	v_sub_f32_e32 v26, v23, v26
	;; [unrolled: 1-line block ×3, first 2 shown]
	s_delay_alu instid0(VALU_DEP_1) | instskip(NEXT) | instid1(VALU_DEP_3)
	v_sub_f32_e32 v22, v22, v23
	v_sub_f32_e32 v23, v26, v25
	s_delay_alu instid0(VALU_DEP_2) | instskip(SKIP_1) | instid1(VALU_DEP_2)
	v_add_f32_e32 v19, v19, v22
	v_add_f32_e32 v22, v27, v24
	;; [unrolled: 1-line block ×3, first 2 shown]
	s_delay_alu instid0(VALU_DEP_2) | instskip(NEXT) | instid1(VALU_DEP_2)
	v_sub_f32_e32 v23, v22, v27
	v_add_f32_e32 v19, v28, v19
	s_delay_alu instid0(VALU_DEP_2) | instskip(NEXT) | instid1(VALU_DEP_2)
	v_sub_f32_e32 v23, v24, v23
	v_mul_f32_e32 v19, v21, v19
	s_delay_alu instid0(VALU_DEP_1) | instskip(NEXT) | instid1(VALU_DEP_1)
	v_add_f32_e32 v19, v23, v19
	v_add_f32_e32 v21, v22, v19
	s_delay_alu instid0(VALU_DEP_1) | instskip(SKIP_1) | instid1(VALU_DEP_1)
	v_mul_f32_e32 v23, v21, v21
	s_wait_alu 0xfffe
	v_fmaak_f32 v24, s25, v23, 0x3ecc95a3
	v_mul_f32_e32 v25, v21, v23
	v_cmp_neq_f32_e64 s25, 0x7f800000, v20
	s_delay_alu instid0(VALU_DEP_3) | instskip(SKIP_2) | instid1(VALU_DEP_3)
	v_fmaak_f32 v23, v23, v24, 0x3f2aaada
	v_ldexp_f32 v24, v21, 1
	v_sub_f32_e32 v21, v21, v22
	v_mul_f32_e32 v23, v25, v23
	v_mul_f32_e32 v25, 0x3f317218, v18
	s_delay_alu instid0(VALU_DEP_2) | instskip(NEXT) | instid1(VALU_DEP_1)
	v_dual_sub_f32 v19, v19, v21 :: v_dual_add_f32 v22, v24, v23
	v_ldexp_f32 v19, v19, 1
	s_delay_alu instid0(VALU_DEP_2) | instskip(NEXT) | instid1(VALU_DEP_4)
	v_sub_f32_e32 v21, v22, v24
	v_fma_f32 v24, 0x3f317218, v18, -v25
	s_delay_alu instid0(VALU_DEP_1) | instskip(NEXT) | instid1(VALU_DEP_1)
	v_dual_sub_f32 v21, v23, v21 :: v_dual_fmamk_f32 v18, v18, 0xb102e308, v24
	v_add_f32_e32 v19, v19, v21
	s_delay_alu instid0(VALU_DEP_2) | instskip(NEXT) | instid1(VALU_DEP_2)
	v_add_f32_e32 v21, v25, v18
	v_add_f32_e32 v23, v22, v19
	s_delay_alu instid0(VALU_DEP_2) | instskip(NEXT) | instid1(VALU_DEP_2)
	v_sub_f32_e32 v25, v21, v25
	v_add_f32_e32 v24, v21, v23
	v_sub_f32_e32 v22, v23, v22
	s_delay_alu instid0(VALU_DEP_3) | instskip(NEXT) | instid1(VALU_DEP_2)
	v_sub_f32_e32 v18, v18, v25
	v_dual_sub_f32 v26, v24, v21 :: v_dual_sub_f32 v19, v19, v22
	s_delay_alu instid0(VALU_DEP_1) | instskip(NEXT) | instid1(VALU_DEP_2)
	v_sub_f32_e32 v27, v24, v26
	v_dual_sub_f32 v22, v23, v26 :: v_dual_add_f32 v23, v18, v19
	s_delay_alu instid0(VALU_DEP_2) | instskip(NEXT) | instid1(VALU_DEP_1)
	v_sub_f32_e32 v21, v21, v27
	v_dual_add_f32 v21, v22, v21 :: v_dual_sub_f32 v22, v23, v18
	s_delay_alu instid0(VALU_DEP_1) | instskip(NEXT) | instid1(VALU_DEP_2)
	v_add_f32_e32 v21, v23, v21
	v_sub_f32_e32 v23, v23, v22
	v_sub_f32_e32 v19, v19, v22
	s_delay_alu instid0(VALU_DEP_2) | instskip(NEXT) | instid1(VALU_DEP_1)
	v_dual_add_f32 v25, v24, v21 :: v_dual_sub_f32 v18, v18, v23
	v_sub_f32_e32 v22, v25, v24
	s_delay_alu instid0(VALU_DEP_2) | instskip(NEXT) | instid1(VALU_DEP_2)
	v_add_f32_e32 v18, v19, v18
	v_sub_f32_e32 v19, v21, v22
	s_delay_alu instid0(VALU_DEP_1) | instskip(NEXT) | instid1(VALU_DEP_1)
	v_add_f32_e32 v18, v18, v19
	v_add_f32_e32 v18, v25, v18
	s_wait_alu 0xf1ff
	s_delay_alu instid0(VALU_DEP_1) | instskip(SKIP_2) | instid1(VALU_DEP_1)
	v_cndmask_b32_e64 v18, 0x7f800000, v18, s25
	v_cmp_gt_f32_e64 s25, 0x33800000, |v20|
	s_wait_alu 0xf1ff
	v_cndmask_b32_e64 v18, v18, v20, s25
	s_delay_alu instid0(VALU_DEP_1) | instskip(NEXT) | instid1(VALU_DEP_1)
	v_add_f32_e32 v17, v17, v18
	v_cvt_f16_f32_e32 v18, v17
.LBB411_46:
	s_or_b32 exec_lo, exec_lo, s26
	s_load_b64 s[26:27], s[0:1], 0x18
	v_lshrrev_b32_e32 v17, 4, v0
	s_mov_b32 s25, exec_lo
	s_delay_alu instid0(VALU_DEP_1) | instskip(NEXT) | instid1(VALU_DEP_1)
	v_and_b32_e32 v17, 14, v17
	v_lshl_add_u32 v17, v0, 1, v17
	ds_store_b16 v17, v18
	s_wait_loadcnt_dscnt 0x0
	s_barrier_signal -1
	s_barrier_wait -1
	global_inv scope:SCOPE_SE
	v_cmpx_gt_u32_e32 32, v0
	s_cbranch_execz .LBB411_98
; %bb.47:
	v_lshrrev_b32_e32 v17, 1, v0
	v_lshlrev_b32_e32 v19, 4, v0
	s_delay_alu instid0(VALU_DEP_2) | instskip(NEXT) | instid1(VALU_DEP_1)
	v_and_b32_e32 v17, 0x7e, v17
	v_add_nc_u32_e32 v17, v17, v19
	ds_load_u16 v22, v17
	ds_load_u16 v20, v17 offset:2
	s_wait_dscnt 0x1
	v_cvt_f32_f16_e32 v19, v22
	s_wait_dscnt 0x0
	v_cvt_f32_f16_e32 v21, v20
	v_cmp_u_f16_e64 s0, v22, v22
	v_cmp_u_f16_e64 s1, v20, v20
	v_mov_b32_e32 v20, v19
	s_delay_alu instid0(VALU_DEP_4) | instskip(SKIP_1) | instid1(VALU_DEP_2)
	v_min_num_f32_e32 v23, v19, v21
	v_max_num_f32_e32 v24, v19, v21
	v_cndmask_b32_e64 v23, v23, v19, s0
	s_delay_alu instid0(VALU_DEP_2) | instskip(NEXT) | instid1(VALU_DEP_2)
	v_cndmask_b32_e64 v24, v24, v19, s0
	v_cndmask_b32_e64 v23, v23, v21, s1
	s_delay_alu instid0(VALU_DEP_2) | instskip(NEXT) | instid1(VALU_DEP_2)
	v_cndmask_b32_e64 v21, v24, v21, s1
	v_cmp_class_f32_e64 s28, v23, 0x1f8
	s_delay_alu instid0(VALU_DEP_2)
	v_cmp_neq_f32_e64 s1, v23, v21
	s_or_b32 s1, s1, s28
	s_wait_alu 0xfffe
	s_and_saveexec_b32 s28, s1
	s_cbranch_execz .LBB411_49
; %bb.48:
	v_sub_f32_e32 v20, v23, v21
	s_delay_alu instid0(VALU_DEP_1) | instskip(SKIP_1) | instid1(VALU_DEP_2)
	v_mul_f32_e32 v22, 0x3fb8aa3b, v20
	v_cmp_ngt_f32_e64 s1, 0xc2ce8ed0, v20
	v_fma_f32 v23, 0x3fb8aa3b, v20, -v22
	v_rndne_f32_e32 v24, v22
	s_delay_alu instid0(VALU_DEP_1) | instskip(NEXT) | instid1(VALU_DEP_1)
	v_dual_fmamk_f32 v23, v20, 0x32a5705f, v23 :: v_dual_sub_f32 v22, v22, v24
	v_add_f32_e32 v22, v22, v23
	v_cvt_i32_f32_e32 v23, v24
	s_delay_alu instid0(VALU_DEP_2) | instskip(NEXT) | instid1(TRANS32_DEP_1)
	v_exp_f32_e32 v22, v22
	v_ldexp_f32 v22, v22, v23
	s_wait_alu 0xf1ff
	s_delay_alu instid0(VALU_DEP_1) | instskip(SKIP_2) | instid1(VALU_DEP_1)
	v_cndmask_b32_e64 v22, 0, v22, s1
	v_cmp_nlt_f32_e64 s1, 0x42b17218, v20
	s_wait_alu 0xf1ff
	v_cndmask_b32_e64 v20, 0x7f800000, v22, s1
	s_delay_alu instid0(VALU_DEP_1) | instskip(NEXT) | instid1(VALU_DEP_1)
	v_add_f32_e32 v24, 1.0, v20
	v_cvt_f64_f32_e32 v[22:23], v24
	s_delay_alu instid0(VALU_DEP_1) | instskip(SKIP_1) | instid1(VALU_DEP_1)
	v_frexp_exp_i32_f64_e32 v22, v[22:23]
	v_frexp_mant_f32_e32 v23, v24
	v_cmp_gt_f32_e64 s1, 0x3f2aaaab, v23
	v_add_f32_e32 v23, -1.0, v24
	s_delay_alu instid0(VALU_DEP_1) | instskip(NEXT) | instid1(VALU_DEP_1)
	v_dual_sub_f32 v26, v23, v24 :: v_dual_sub_f32 v23, v20, v23
	v_add_f32_e32 v26, 1.0, v26
	s_delay_alu instid0(VALU_DEP_1)
	v_add_f32_e32 v23, v23, v26
	s_wait_alu 0xf1ff
	v_subrev_co_ci_u32_e64 v22, null, 0, v22, s1
	s_mov_b32 s1, 0x3e9b6dac
	v_sub_nc_u32_e32 v25, 0, v22
	v_cvt_f32_i32_e32 v22, v22
	s_delay_alu instid0(VALU_DEP_2) | instskip(SKIP_1) | instid1(VALU_DEP_2)
	v_ldexp_f32 v24, v24, v25
	v_ldexp_f32 v23, v23, v25
	v_add_f32_e32 v27, 1.0, v24
	s_delay_alu instid0(VALU_DEP_1) | instskip(NEXT) | instid1(VALU_DEP_1)
	v_dual_add_f32 v25, -1.0, v24 :: v_dual_add_f32 v26, -1.0, v27
	v_add_f32_e32 v28, 1.0, v25
	s_delay_alu instid0(VALU_DEP_2) | instskip(NEXT) | instid1(VALU_DEP_2)
	v_sub_f32_e32 v26, v24, v26
	v_sub_f32_e32 v24, v24, v28
	s_delay_alu instid0(VALU_DEP_2) | instskip(NEXT) | instid1(VALU_DEP_2)
	v_add_f32_e32 v26, v23, v26
	v_add_f32_e32 v23, v23, v24
	s_delay_alu instid0(VALU_DEP_1) | instskip(NEXT) | instid1(VALU_DEP_1)
	v_dual_add_f32 v29, v25, v23 :: v_dual_add_f32 v28, v27, v26
	v_sub_f32_e32 v25, v25, v29
	s_delay_alu instid0(VALU_DEP_2) | instskip(SKIP_1) | instid1(VALU_DEP_1)
	v_rcp_f32_e32 v24, v28
	v_sub_f32_e32 v27, v27, v28
	v_dual_add_f32 v23, v23, v25 :: v_dual_add_f32 v26, v26, v27
	s_delay_alu instid0(TRANS32_DEP_1) | instskip(NEXT) | instid1(VALU_DEP_1)
	v_mul_f32_e32 v30, v29, v24
	v_mul_f32_e32 v31, v28, v30
	s_delay_alu instid0(VALU_DEP_1) | instskip(NEXT) | instid1(VALU_DEP_1)
	v_fma_f32 v27, v30, v28, -v31
	v_fmac_f32_e32 v27, v30, v26
	s_delay_alu instid0(VALU_DEP_1) | instskip(NEXT) | instid1(VALU_DEP_1)
	v_add_f32_e32 v32, v31, v27
	v_sub_f32_e32 v33, v29, v32
	v_sub_f32_e32 v25, v32, v31
	s_delay_alu instid0(VALU_DEP_2) | instskip(NEXT) | instid1(VALU_DEP_2)
	v_sub_f32_e32 v29, v29, v33
	v_sub_f32_e32 v25, v25, v27
	s_delay_alu instid0(VALU_DEP_2) | instskip(NEXT) | instid1(VALU_DEP_1)
	v_sub_f32_e32 v29, v29, v32
	v_add_f32_e32 v23, v23, v29
	s_delay_alu instid0(VALU_DEP_1) | instskip(NEXT) | instid1(VALU_DEP_1)
	v_add_f32_e32 v23, v25, v23
	v_add_f32_e32 v25, v33, v23
	s_delay_alu instid0(VALU_DEP_1) | instskip(NEXT) | instid1(VALU_DEP_1)
	v_mul_f32_e32 v27, v24, v25
	v_dual_sub_f32 v32, v33, v25 :: v_dual_mul_f32 v29, v28, v27
	s_delay_alu instid0(VALU_DEP_1) | instskip(NEXT) | instid1(VALU_DEP_2)
	v_add_f32_e32 v23, v23, v32
	v_fma_f32 v28, v27, v28, -v29
	s_delay_alu instid0(VALU_DEP_1) | instskip(NEXT) | instid1(VALU_DEP_1)
	v_fmac_f32_e32 v28, v27, v26
	v_add_f32_e32 v26, v29, v28
	s_delay_alu instid0(VALU_DEP_1) | instskip(NEXT) | instid1(VALU_DEP_1)
	v_sub_f32_e32 v31, v25, v26
	v_sub_f32_e32 v25, v25, v31
	s_delay_alu instid0(VALU_DEP_1) | instskip(NEXT) | instid1(VALU_DEP_1)
	v_sub_f32_e32 v25, v25, v26
	v_add_f32_e32 v23, v23, v25
	v_add_f32_e32 v25, v30, v27
	v_sub_f32_e32 v29, v26, v29
	s_delay_alu instid0(VALU_DEP_1) | instskip(NEXT) | instid1(VALU_DEP_1)
	v_sub_f32_e32 v26, v29, v28
	v_dual_add_f32 v23, v26, v23 :: v_dual_sub_f32 v26, v25, v30
	s_delay_alu instid0(VALU_DEP_1) | instskip(NEXT) | instid1(VALU_DEP_1)
	v_add_f32_e32 v23, v31, v23
	v_dual_sub_f32 v26, v27, v26 :: v_dual_mul_f32 v23, v24, v23
	s_delay_alu instid0(VALU_DEP_1) | instskip(NEXT) | instid1(VALU_DEP_1)
	v_add_f32_e32 v23, v26, v23
	v_add_f32_e32 v24, v25, v23
	s_delay_alu instid0(VALU_DEP_1) | instskip(SKIP_1) | instid1(VALU_DEP_1)
	v_mul_f32_e32 v26, v24, v24
	s_wait_alu 0xfffe
	v_fmaak_f32 v27, s1, v26, 0x3ecc95a3
	v_mul_f32_e32 v28, v24, v26
	v_cmp_neq_f32_e64 s1, 0x7f800000, v20
	s_delay_alu instid0(VALU_DEP_3) | instskip(SKIP_2) | instid1(VALU_DEP_3)
	v_fmaak_f32 v26, v26, v27, 0x3f2aaada
	v_ldexp_f32 v27, v24, 1
	v_sub_f32_e32 v24, v24, v25
	v_mul_f32_e32 v26, v28, v26
	s_delay_alu instid0(VALU_DEP_2) | instskip(NEXT) | instid1(VALU_DEP_2)
	v_dual_mul_f32 v28, 0x3f317218, v22 :: v_dual_sub_f32 v23, v23, v24
	v_add_f32_e32 v25, v27, v26
	s_delay_alu instid0(VALU_DEP_2) | instskip(NEXT) | instid1(VALU_DEP_2)
	v_ldexp_f32 v23, v23, 1
	v_sub_f32_e32 v24, v25, v27
	s_delay_alu instid0(VALU_DEP_4) | instskip(NEXT) | instid1(VALU_DEP_2)
	v_fma_f32 v27, 0x3f317218, v22, -v28
	v_sub_f32_e32 v24, v26, v24
	s_delay_alu instid0(VALU_DEP_1) | instskip(NEXT) | instid1(VALU_DEP_1)
	v_dual_fmamk_f32 v22, v22, 0xb102e308, v27 :: v_dual_add_f32 v23, v23, v24
	v_add_f32_e32 v24, v28, v22
	s_delay_alu instid0(VALU_DEP_1) | instskip(NEXT) | instid1(VALU_DEP_1)
	v_sub_f32_e32 v28, v24, v28
	v_sub_f32_e32 v22, v22, v28
	s_delay_alu instid0(VALU_DEP_4) | instskip(NEXT) | instid1(VALU_DEP_1)
	v_add_f32_e32 v26, v25, v23
	v_sub_f32_e32 v25, v26, v25
	s_delay_alu instid0(VALU_DEP_1) | instskip(SKIP_1) | instid1(VALU_DEP_1)
	v_sub_f32_e32 v23, v23, v25
	v_add_f32_e32 v27, v24, v26
	v_sub_f32_e32 v29, v27, v24
	s_delay_alu instid0(VALU_DEP_1) | instskip(NEXT) | instid1(VALU_DEP_4)
	v_sub_f32_e32 v25, v26, v29
	v_add_f32_e32 v26, v22, v23
	v_sub_f32_e32 v30, v27, v29
	s_delay_alu instid0(VALU_DEP_1) | instskip(NEXT) | instid1(VALU_DEP_1)
	v_sub_f32_e32 v24, v24, v30
	v_dual_add_f32 v24, v25, v24 :: v_dual_sub_f32 v25, v26, v22
	s_delay_alu instid0(VALU_DEP_1) | instskip(SKIP_1) | instid1(VALU_DEP_2)
	v_dual_add_f32 v24, v26, v24 :: v_dual_sub_f32 v23, v23, v25
	v_sub_f32_e32 v26, v26, v25
	v_add_f32_e32 v28, v27, v24
	s_delay_alu instid0(VALU_DEP_1) | instskip(NEXT) | instid1(VALU_DEP_1)
	v_dual_sub_f32 v22, v22, v26 :: v_dual_sub_f32 v25, v28, v27
	v_dual_add_f32 v22, v23, v22 :: v_dual_sub_f32 v23, v24, v25
	s_delay_alu instid0(VALU_DEP_1) | instskip(NEXT) | instid1(VALU_DEP_1)
	v_add_f32_e32 v22, v22, v23
	v_add_f32_e32 v22, v28, v22
	s_wait_alu 0xf1ff
	s_delay_alu instid0(VALU_DEP_1) | instskip(SKIP_2) | instid1(VALU_DEP_1)
	v_cndmask_b32_e64 v22, 0x7f800000, v22, s1
	v_cmp_gt_f32_e64 s1, 0x33800000, |v20|
	s_wait_alu 0xf1ff
	v_cndmask_b32_e64 v20, v22, v20, s1
	s_delay_alu instid0(VALU_DEP_1) | instskip(NEXT) | instid1(VALU_DEP_1)
	v_add_f32_e32 v20, v21, v20
	v_cvt_f16_f32_e32 v22, v20
	s_delay_alu instid0(VALU_DEP_1)
	v_cvt_f32_f16_e32 v20, v22
.LBB411_49:
	s_or_b32 exec_lo, exec_lo, s28
	ds_load_u16 v21, v17 offset:4
	v_max_num_f32_e32 v23, v20, v20
	v_cmp_u_f16_e64 s1, v22, v22
	s_wait_dscnt 0x0
	v_cvt_f32_f16_e32 v24, v21
	s_delay_alu instid0(VALU_DEP_1) | instskip(SKIP_2) | instid1(VALU_DEP_2)
	v_min_num_f32_e32 v25, v23, v24
	v_max_num_f32_e32 v23, v23, v24
	s_wait_alu 0xf1ff
	v_cndmask_b32_e64 v25, v25, v20, s1
	s_delay_alu instid0(VALU_DEP_2) | instskip(SKIP_2) | instid1(VALU_DEP_1)
	v_cndmask_b32_e64 v26, v23, v20, s1
	v_cmp_u_f16_e64 s1, v21, v21
	s_wait_alu 0xf1ff
	v_cndmask_b32_e64 v23, v25, v24, s1
	s_delay_alu instid0(VALU_DEP_3) | instskip(NEXT) | instid1(VALU_DEP_2)
	v_cndmask_b32_e64 v21, v26, v24, s1
	v_cmp_class_f32_e64 s28, v23, 0x1f8
	s_delay_alu instid0(VALU_DEP_2)
	v_cmp_neq_f32_e64 s1, v23, v21
	s_or_b32 s1, s1, s28
	s_wait_alu 0xfffe
	s_and_saveexec_b32 s28, s1
	s_cbranch_execz .LBB411_51
; %bb.50:
	v_sub_f32_e32 v20, v23, v21
	s_delay_alu instid0(VALU_DEP_1) | instskip(SKIP_1) | instid1(VALU_DEP_2)
	v_mul_f32_e32 v22, 0x3fb8aa3b, v20
	v_cmp_ngt_f32_e64 s1, 0xc2ce8ed0, v20
	v_fma_f32 v23, 0x3fb8aa3b, v20, -v22
	v_rndne_f32_e32 v24, v22
	s_delay_alu instid0(VALU_DEP_1) | instskip(NEXT) | instid1(VALU_DEP_1)
	v_dual_fmamk_f32 v23, v20, 0x32a5705f, v23 :: v_dual_sub_f32 v22, v22, v24
	v_add_f32_e32 v22, v22, v23
	v_cvt_i32_f32_e32 v23, v24
	s_delay_alu instid0(VALU_DEP_2) | instskip(NEXT) | instid1(TRANS32_DEP_1)
	v_exp_f32_e32 v22, v22
	v_ldexp_f32 v22, v22, v23
	s_wait_alu 0xf1ff
	s_delay_alu instid0(VALU_DEP_1) | instskip(SKIP_2) | instid1(VALU_DEP_1)
	v_cndmask_b32_e64 v22, 0, v22, s1
	v_cmp_nlt_f32_e64 s1, 0x42b17218, v20
	s_wait_alu 0xf1ff
	v_cndmask_b32_e64 v20, 0x7f800000, v22, s1
	s_delay_alu instid0(VALU_DEP_1) | instskip(NEXT) | instid1(VALU_DEP_1)
	v_add_f32_e32 v24, 1.0, v20
	v_cvt_f64_f32_e32 v[22:23], v24
	s_delay_alu instid0(VALU_DEP_1) | instskip(SKIP_1) | instid1(VALU_DEP_1)
	v_frexp_exp_i32_f64_e32 v22, v[22:23]
	v_frexp_mant_f32_e32 v23, v24
	v_cmp_gt_f32_e64 s1, 0x3f2aaaab, v23
	v_add_f32_e32 v23, -1.0, v24
	s_delay_alu instid0(VALU_DEP_1) | instskip(NEXT) | instid1(VALU_DEP_1)
	v_dual_sub_f32 v26, v23, v24 :: v_dual_sub_f32 v23, v20, v23
	v_add_f32_e32 v26, 1.0, v26
	s_delay_alu instid0(VALU_DEP_1)
	v_add_f32_e32 v23, v23, v26
	s_wait_alu 0xf1ff
	v_subrev_co_ci_u32_e64 v22, null, 0, v22, s1
	s_mov_b32 s1, 0x3e9b6dac
	v_sub_nc_u32_e32 v25, 0, v22
	v_cvt_f32_i32_e32 v22, v22
	s_delay_alu instid0(VALU_DEP_2) | instskip(SKIP_1) | instid1(VALU_DEP_2)
	v_ldexp_f32 v24, v24, v25
	v_ldexp_f32 v23, v23, v25
	v_add_f32_e32 v27, 1.0, v24
	s_delay_alu instid0(VALU_DEP_1) | instskip(NEXT) | instid1(VALU_DEP_1)
	v_dual_add_f32 v25, -1.0, v24 :: v_dual_add_f32 v26, -1.0, v27
	v_add_f32_e32 v28, 1.0, v25
	s_delay_alu instid0(VALU_DEP_2) | instskip(NEXT) | instid1(VALU_DEP_2)
	v_sub_f32_e32 v26, v24, v26
	v_sub_f32_e32 v24, v24, v28
	s_delay_alu instid0(VALU_DEP_2) | instskip(NEXT) | instid1(VALU_DEP_2)
	v_add_f32_e32 v26, v23, v26
	v_add_f32_e32 v23, v23, v24
	s_delay_alu instid0(VALU_DEP_1) | instskip(NEXT) | instid1(VALU_DEP_1)
	v_dual_add_f32 v29, v25, v23 :: v_dual_add_f32 v28, v27, v26
	v_sub_f32_e32 v25, v25, v29
	s_delay_alu instid0(VALU_DEP_2) | instskip(SKIP_1) | instid1(VALU_DEP_1)
	v_rcp_f32_e32 v24, v28
	v_sub_f32_e32 v27, v27, v28
	v_dual_add_f32 v23, v23, v25 :: v_dual_add_f32 v26, v26, v27
	s_delay_alu instid0(TRANS32_DEP_1) | instskip(NEXT) | instid1(VALU_DEP_1)
	v_mul_f32_e32 v30, v29, v24
	v_mul_f32_e32 v31, v28, v30
	s_delay_alu instid0(VALU_DEP_1) | instskip(NEXT) | instid1(VALU_DEP_1)
	v_fma_f32 v27, v30, v28, -v31
	v_fmac_f32_e32 v27, v30, v26
	s_delay_alu instid0(VALU_DEP_1) | instskip(NEXT) | instid1(VALU_DEP_1)
	v_add_f32_e32 v32, v31, v27
	v_sub_f32_e32 v33, v29, v32
	v_sub_f32_e32 v25, v32, v31
	s_delay_alu instid0(VALU_DEP_2) | instskip(NEXT) | instid1(VALU_DEP_2)
	v_sub_f32_e32 v29, v29, v33
	v_sub_f32_e32 v25, v25, v27
	s_delay_alu instid0(VALU_DEP_2) | instskip(NEXT) | instid1(VALU_DEP_1)
	v_sub_f32_e32 v29, v29, v32
	v_add_f32_e32 v23, v23, v29
	s_delay_alu instid0(VALU_DEP_1) | instskip(NEXT) | instid1(VALU_DEP_1)
	v_add_f32_e32 v23, v25, v23
	v_add_f32_e32 v25, v33, v23
	s_delay_alu instid0(VALU_DEP_1) | instskip(NEXT) | instid1(VALU_DEP_1)
	v_mul_f32_e32 v27, v24, v25
	v_dual_sub_f32 v32, v33, v25 :: v_dual_mul_f32 v29, v28, v27
	s_delay_alu instid0(VALU_DEP_1) | instskip(NEXT) | instid1(VALU_DEP_2)
	v_add_f32_e32 v23, v23, v32
	v_fma_f32 v28, v27, v28, -v29
	s_delay_alu instid0(VALU_DEP_1) | instskip(NEXT) | instid1(VALU_DEP_1)
	v_fmac_f32_e32 v28, v27, v26
	v_add_f32_e32 v26, v29, v28
	s_delay_alu instid0(VALU_DEP_1) | instskip(NEXT) | instid1(VALU_DEP_1)
	v_sub_f32_e32 v31, v25, v26
	v_sub_f32_e32 v25, v25, v31
	s_delay_alu instid0(VALU_DEP_1) | instskip(NEXT) | instid1(VALU_DEP_1)
	v_sub_f32_e32 v25, v25, v26
	v_add_f32_e32 v23, v23, v25
	v_add_f32_e32 v25, v30, v27
	v_sub_f32_e32 v29, v26, v29
	s_delay_alu instid0(VALU_DEP_1) | instskip(NEXT) | instid1(VALU_DEP_1)
	v_sub_f32_e32 v26, v29, v28
	v_dual_add_f32 v23, v26, v23 :: v_dual_sub_f32 v26, v25, v30
	s_delay_alu instid0(VALU_DEP_1) | instskip(NEXT) | instid1(VALU_DEP_1)
	v_add_f32_e32 v23, v31, v23
	v_dual_sub_f32 v26, v27, v26 :: v_dual_mul_f32 v23, v24, v23
	s_delay_alu instid0(VALU_DEP_1) | instskip(NEXT) | instid1(VALU_DEP_1)
	v_add_f32_e32 v23, v26, v23
	v_add_f32_e32 v24, v25, v23
	s_delay_alu instid0(VALU_DEP_1) | instskip(SKIP_1) | instid1(VALU_DEP_1)
	v_mul_f32_e32 v26, v24, v24
	s_wait_alu 0xfffe
	v_fmaak_f32 v27, s1, v26, 0x3ecc95a3
	v_mul_f32_e32 v28, v24, v26
	v_cmp_neq_f32_e64 s1, 0x7f800000, v20
	s_delay_alu instid0(VALU_DEP_3) | instskip(SKIP_2) | instid1(VALU_DEP_3)
	v_fmaak_f32 v26, v26, v27, 0x3f2aaada
	v_ldexp_f32 v27, v24, 1
	v_sub_f32_e32 v24, v24, v25
	v_mul_f32_e32 v26, v28, v26
	s_delay_alu instid0(VALU_DEP_2) | instskip(NEXT) | instid1(VALU_DEP_2)
	v_dual_mul_f32 v28, 0x3f317218, v22 :: v_dual_sub_f32 v23, v23, v24
	v_add_f32_e32 v25, v27, v26
	s_delay_alu instid0(VALU_DEP_2) | instskip(NEXT) | instid1(VALU_DEP_2)
	v_ldexp_f32 v23, v23, 1
	v_sub_f32_e32 v24, v25, v27
	s_delay_alu instid0(VALU_DEP_4) | instskip(NEXT) | instid1(VALU_DEP_2)
	v_fma_f32 v27, 0x3f317218, v22, -v28
	v_sub_f32_e32 v24, v26, v24
	s_delay_alu instid0(VALU_DEP_1) | instskip(NEXT) | instid1(VALU_DEP_1)
	v_dual_fmamk_f32 v22, v22, 0xb102e308, v27 :: v_dual_add_f32 v23, v23, v24
	v_add_f32_e32 v24, v28, v22
	s_delay_alu instid0(VALU_DEP_1) | instskip(NEXT) | instid1(VALU_DEP_1)
	v_sub_f32_e32 v28, v24, v28
	v_sub_f32_e32 v22, v22, v28
	s_delay_alu instid0(VALU_DEP_4) | instskip(NEXT) | instid1(VALU_DEP_1)
	v_add_f32_e32 v26, v25, v23
	v_sub_f32_e32 v25, v26, v25
	s_delay_alu instid0(VALU_DEP_1) | instskip(SKIP_1) | instid1(VALU_DEP_1)
	v_sub_f32_e32 v23, v23, v25
	v_add_f32_e32 v27, v24, v26
	v_sub_f32_e32 v29, v27, v24
	s_delay_alu instid0(VALU_DEP_1) | instskip(NEXT) | instid1(VALU_DEP_4)
	v_sub_f32_e32 v25, v26, v29
	v_add_f32_e32 v26, v22, v23
	v_sub_f32_e32 v30, v27, v29
	s_delay_alu instid0(VALU_DEP_1) | instskip(NEXT) | instid1(VALU_DEP_1)
	v_sub_f32_e32 v24, v24, v30
	v_dual_add_f32 v24, v25, v24 :: v_dual_sub_f32 v25, v26, v22
	s_delay_alu instid0(VALU_DEP_1) | instskip(SKIP_1) | instid1(VALU_DEP_2)
	v_dual_add_f32 v24, v26, v24 :: v_dual_sub_f32 v23, v23, v25
	v_sub_f32_e32 v26, v26, v25
	v_add_f32_e32 v28, v27, v24
	s_delay_alu instid0(VALU_DEP_1) | instskip(NEXT) | instid1(VALU_DEP_1)
	v_dual_sub_f32 v22, v22, v26 :: v_dual_sub_f32 v25, v28, v27
	v_dual_add_f32 v22, v23, v22 :: v_dual_sub_f32 v23, v24, v25
	s_delay_alu instid0(VALU_DEP_1) | instskip(NEXT) | instid1(VALU_DEP_1)
	v_add_f32_e32 v22, v22, v23
	v_add_f32_e32 v22, v28, v22
	s_wait_alu 0xf1ff
	s_delay_alu instid0(VALU_DEP_1) | instskip(SKIP_2) | instid1(VALU_DEP_1)
	v_cndmask_b32_e64 v22, 0x7f800000, v22, s1
	v_cmp_gt_f32_e64 s1, 0x33800000, |v20|
	s_wait_alu 0xf1ff
	v_cndmask_b32_e64 v20, v22, v20, s1
	s_delay_alu instid0(VALU_DEP_1) | instskip(NEXT) | instid1(VALU_DEP_1)
	v_add_f32_e32 v20, v21, v20
	v_cvt_f16_f32_e32 v22, v20
	s_delay_alu instid0(VALU_DEP_1)
	v_cvt_f32_f16_e32 v20, v22
.LBB411_51:
	s_or_b32 exec_lo, exec_lo, s28
	ds_load_u16 v21, v17 offset:6
	v_max_num_f32_e32 v23, v20, v20
	v_cmp_u_f16_e64 s1, v22, v22
	s_wait_dscnt 0x0
	v_cvt_f32_f16_e32 v24, v21
	s_delay_alu instid0(VALU_DEP_1) | instskip(SKIP_2) | instid1(VALU_DEP_2)
	v_min_num_f32_e32 v25, v23, v24
	v_max_num_f32_e32 v23, v23, v24
	s_wait_alu 0xf1ff
	v_cndmask_b32_e64 v25, v25, v20, s1
	s_delay_alu instid0(VALU_DEP_2) | instskip(SKIP_2) | instid1(VALU_DEP_1)
	v_cndmask_b32_e64 v26, v23, v20, s1
	v_cmp_u_f16_e64 s1, v21, v21
	s_wait_alu 0xf1ff
	v_cndmask_b32_e64 v23, v25, v24, s1
	s_delay_alu instid0(VALU_DEP_3) | instskip(NEXT) | instid1(VALU_DEP_2)
	v_cndmask_b32_e64 v21, v26, v24, s1
	v_cmp_class_f32_e64 s28, v23, 0x1f8
	s_delay_alu instid0(VALU_DEP_2)
	v_cmp_neq_f32_e64 s1, v23, v21
	s_or_b32 s1, s1, s28
	s_wait_alu 0xfffe
	s_and_saveexec_b32 s28, s1
	s_cbranch_execz .LBB411_53
; %bb.52:
	v_sub_f32_e32 v20, v23, v21
	s_delay_alu instid0(VALU_DEP_1) | instskip(SKIP_1) | instid1(VALU_DEP_2)
	v_mul_f32_e32 v22, 0x3fb8aa3b, v20
	v_cmp_ngt_f32_e64 s1, 0xc2ce8ed0, v20
	v_fma_f32 v23, 0x3fb8aa3b, v20, -v22
	v_rndne_f32_e32 v24, v22
	s_delay_alu instid0(VALU_DEP_1) | instskip(NEXT) | instid1(VALU_DEP_1)
	v_dual_fmamk_f32 v23, v20, 0x32a5705f, v23 :: v_dual_sub_f32 v22, v22, v24
	v_add_f32_e32 v22, v22, v23
	v_cvt_i32_f32_e32 v23, v24
	s_delay_alu instid0(VALU_DEP_2) | instskip(NEXT) | instid1(TRANS32_DEP_1)
	v_exp_f32_e32 v22, v22
	v_ldexp_f32 v22, v22, v23
	s_wait_alu 0xf1ff
	s_delay_alu instid0(VALU_DEP_1) | instskip(SKIP_2) | instid1(VALU_DEP_1)
	v_cndmask_b32_e64 v22, 0, v22, s1
	v_cmp_nlt_f32_e64 s1, 0x42b17218, v20
	s_wait_alu 0xf1ff
	v_cndmask_b32_e64 v20, 0x7f800000, v22, s1
	s_delay_alu instid0(VALU_DEP_1) | instskip(NEXT) | instid1(VALU_DEP_1)
	v_add_f32_e32 v24, 1.0, v20
	v_cvt_f64_f32_e32 v[22:23], v24
	s_delay_alu instid0(VALU_DEP_1) | instskip(SKIP_1) | instid1(VALU_DEP_1)
	v_frexp_exp_i32_f64_e32 v22, v[22:23]
	v_frexp_mant_f32_e32 v23, v24
	v_cmp_gt_f32_e64 s1, 0x3f2aaaab, v23
	v_add_f32_e32 v23, -1.0, v24
	s_delay_alu instid0(VALU_DEP_1) | instskip(NEXT) | instid1(VALU_DEP_1)
	v_dual_sub_f32 v26, v23, v24 :: v_dual_sub_f32 v23, v20, v23
	v_add_f32_e32 v26, 1.0, v26
	s_delay_alu instid0(VALU_DEP_1)
	v_add_f32_e32 v23, v23, v26
	s_wait_alu 0xf1ff
	v_subrev_co_ci_u32_e64 v22, null, 0, v22, s1
	s_mov_b32 s1, 0x3e9b6dac
	v_sub_nc_u32_e32 v25, 0, v22
	v_cvt_f32_i32_e32 v22, v22
	s_delay_alu instid0(VALU_DEP_2) | instskip(SKIP_1) | instid1(VALU_DEP_2)
	v_ldexp_f32 v24, v24, v25
	v_ldexp_f32 v23, v23, v25
	v_add_f32_e32 v27, 1.0, v24
	s_delay_alu instid0(VALU_DEP_1) | instskip(NEXT) | instid1(VALU_DEP_1)
	v_dual_add_f32 v25, -1.0, v24 :: v_dual_add_f32 v26, -1.0, v27
	v_add_f32_e32 v28, 1.0, v25
	s_delay_alu instid0(VALU_DEP_2) | instskip(NEXT) | instid1(VALU_DEP_2)
	v_sub_f32_e32 v26, v24, v26
	v_sub_f32_e32 v24, v24, v28
	s_delay_alu instid0(VALU_DEP_2) | instskip(NEXT) | instid1(VALU_DEP_2)
	v_add_f32_e32 v26, v23, v26
	v_add_f32_e32 v23, v23, v24
	s_delay_alu instid0(VALU_DEP_1) | instskip(NEXT) | instid1(VALU_DEP_1)
	v_dual_add_f32 v29, v25, v23 :: v_dual_add_f32 v28, v27, v26
	v_sub_f32_e32 v25, v25, v29
	s_delay_alu instid0(VALU_DEP_2) | instskip(SKIP_1) | instid1(VALU_DEP_1)
	v_rcp_f32_e32 v24, v28
	v_sub_f32_e32 v27, v27, v28
	v_dual_add_f32 v23, v23, v25 :: v_dual_add_f32 v26, v26, v27
	s_delay_alu instid0(TRANS32_DEP_1) | instskip(NEXT) | instid1(VALU_DEP_1)
	v_mul_f32_e32 v30, v29, v24
	v_mul_f32_e32 v31, v28, v30
	s_delay_alu instid0(VALU_DEP_1) | instskip(NEXT) | instid1(VALU_DEP_1)
	v_fma_f32 v27, v30, v28, -v31
	v_fmac_f32_e32 v27, v30, v26
	s_delay_alu instid0(VALU_DEP_1) | instskip(NEXT) | instid1(VALU_DEP_1)
	v_add_f32_e32 v32, v31, v27
	v_sub_f32_e32 v33, v29, v32
	v_sub_f32_e32 v25, v32, v31
	s_delay_alu instid0(VALU_DEP_2) | instskip(NEXT) | instid1(VALU_DEP_2)
	v_sub_f32_e32 v29, v29, v33
	v_sub_f32_e32 v25, v25, v27
	s_delay_alu instid0(VALU_DEP_2) | instskip(NEXT) | instid1(VALU_DEP_1)
	v_sub_f32_e32 v29, v29, v32
	v_add_f32_e32 v23, v23, v29
	s_delay_alu instid0(VALU_DEP_1) | instskip(NEXT) | instid1(VALU_DEP_1)
	v_add_f32_e32 v23, v25, v23
	v_add_f32_e32 v25, v33, v23
	s_delay_alu instid0(VALU_DEP_1) | instskip(NEXT) | instid1(VALU_DEP_1)
	v_mul_f32_e32 v27, v24, v25
	v_dual_sub_f32 v32, v33, v25 :: v_dual_mul_f32 v29, v28, v27
	s_delay_alu instid0(VALU_DEP_1) | instskip(NEXT) | instid1(VALU_DEP_2)
	v_add_f32_e32 v23, v23, v32
	v_fma_f32 v28, v27, v28, -v29
	s_delay_alu instid0(VALU_DEP_1) | instskip(NEXT) | instid1(VALU_DEP_1)
	v_fmac_f32_e32 v28, v27, v26
	v_add_f32_e32 v26, v29, v28
	s_delay_alu instid0(VALU_DEP_1) | instskip(NEXT) | instid1(VALU_DEP_1)
	v_sub_f32_e32 v31, v25, v26
	v_sub_f32_e32 v25, v25, v31
	s_delay_alu instid0(VALU_DEP_1) | instskip(NEXT) | instid1(VALU_DEP_1)
	v_sub_f32_e32 v25, v25, v26
	v_add_f32_e32 v23, v23, v25
	v_add_f32_e32 v25, v30, v27
	v_sub_f32_e32 v29, v26, v29
	s_delay_alu instid0(VALU_DEP_1) | instskip(NEXT) | instid1(VALU_DEP_1)
	v_sub_f32_e32 v26, v29, v28
	v_dual_add_f32 v23, v26, v23 :: v_dual_sub_f32 v26, v25, v30
	s_delay_alu instid0(VALU_DEP_1) | instskip(NEXT) | instid1(VALU_DEP_1)
	v_add_f32_e32 v23, v31, v23
	v_dual_sub_f32 v26, v27, v26 :: v_dual_mul_f32 v23, v24, v23
	s_delay_alu instid0(VALU_DEP_1) | instskip(NEXT) | instid1(VALU_DEP_1)
	v_add_f32_e32 v23, v26, v23
	v_add_f32_e32 v24, v25, v23
	s_delay_alu instid0(VALU_DEP_1) | instskip(SKIP_1) | instid1(VALU_DEP_1)
	v_mul_f32_e32 v26, v24, v24
	s_wait_alu 0xfffe
	v_fmaak_f32 v27, s1, v26, 0x3ecc95a3
	v_mul_f32_e32 v28, v24, v26
	v_cmp_neq_f32_e64 s1, 0x7f800000, v20
	s_delay_alu instid0(VALU_DEP_3) | instskip(SKIP_2) | instid1(VALU_DEP_3)
	v_fmaak_f32 v26, v26, v27, 0x3f2aaada
	v_ldexp_f32 v27, v24, 1
	v_sub_f32_e32 v24, v24, v25
	v_mul_f32_e32 v26, v28, v26
	s_delay_alu instid0(VALU_DEP_2) | instskip(NEXT) | instid1(VALU_DEP_2)
	v_dual_mul_f32 v28, 0x3f317218, v22 :: v_dual_sub_f32 v23, v23, v24
	v_add_f32_e32 v25, v27, v26
	s_delay_alu instid0(VALU_DEP_2) | instskip(NEXT) | instid1(VALU_DEP_2)
	v_ldexp_f32 v23, v23, 1
	v_sub_f32_e32 v24, v25, v27
	s_delay_alu instid0(VALU_DEP_4) | instskip(NEXT) | instid1(VALU_DEP_2)
	v_fma_f32 v27, 0x3f317218, v22, -v28
	v_sub_f32_e32 v24, v26, v24
	s_delay_alu instid0(VALU_DEP_1) | instskip(NEXT) | instid1(VALU_DEP_1)
	v_dual_fmamk_f32 v22, v22, 0xb102e308, v27 :: v_dual_add_f32 v23, v23, v24
	v_add_f32_e32 v24, v28, v22
	s_delay_alu instid0(VALU_DEP_1) | instskip(NEXT) | instid1(VALU_DEP_1)
	v_sub_f32_e32 v28, v24, v28
	v_sub_f32_e32 v22, v22, v28
	s_delay_alu instid0(VALU_DEP_4) | instskip(NEXT) | instid1(VALU_DEP_1)
	v_add_f32_e32 v26, v25, v23
	v_sub_f32_e32 v25, v26, v25
	s_delay_alu instid0(VALU_DEP_1) | instskip(SKIP_1) | instid1(VALU_DEP_1)
	v_sub_f32_e32 v23, v23, v25
	v_add_f32_e32 v27, v24, v26
	v_sub_f32_e32 v29, v27, v24
	s_delay_alu instid0(VALU_DEP_1) | instskip(NEXT) | instid1(VALU_DEP_4)
	v_sub_f32_e32 v25, v26, v29
	v_add_f32_e32 v26, v22, v23
	v_sub_f32_e32 v30, v27, v29
	s_delay_alu instid0(VALU_DEP_1) | instskip(NEXT) | instid1(VALU_DEP_1)
	v_sub_f32_e32 v24, v24, v30
	v_dual_add_f32 v24, v25, v24 :: v_dual_sub_f32 v25, v26, v22
	s_delay_alu instid0(VALU_DEP_1) | instskip(SKIP_1) | instid1(VALU_DEP_2)
	v_dual_add_f32 v24, v26, v24 :: v_dual_sub_f32 v23, v23, v25
	v_sub_f32_e32 v26, v26, v25
	v_add_f32_e32 v28, v27, v24
	s_delay_alu instid0(VALU_DEP_1) | instskip(NEXT) | instid1(VALU_DEP_1)
	v_dual_sub_f32 v22, v22, v26 :: v_dual_sub_f32 v25, v28, v27
	v_dual_add_f32 v22, v23, v22 :: v_dual_sub_f32 v23, v24, v25
	s_delay_alu instid0(VALU_DEP_1) | instskip(NEXT) | instid1(VALU_DEP_1)
	v_add_f32_e32 v22, v22, v23
	v_add_f32_e32 v22, v28, v22
	s_wait_alu 0xf1ff
	s_delay_alu instid0(VALU_DEP_1) | instskip(SKIP_2) | instid1(VALU_DEP_1)
	v_cndmask_b32_e64 v22, 0x7f800000, v22, s1
	v_cmp_gt_f32_e64 s1, 0x33800000, |v20|
	s_wait_alu 0xf1ff
	v_cndmask_b32_e64 v20, v22, v20, s1
	s_delay_alu instid0(VALU_DEP_1) | instskip(NEXT) | instid1(VALU_DEP_1)
	v_add_f32_e32 v20, v21, v20
	v_cvt_f16_f32_e32 v22, v20
	s_delay_alu instid0(VALU_DEP_1)
	v_cvt_f32_f16_e32 v20, v22
.LBB411_53:
	s_or_b32 exec_lo, exec_lo, s28
	ds_load_u16 v21, v17 offset:8
	v_max_num_f32_e32 v23, v20, v20
	v_cmp_u_f16_e64 s1, v22, v22
	s_wait_dscnt 0x0
	v_cvt_f32_f16_e32 v24, v21
	s_delay_alu instid0(VALU_DEP_1) | instskip(SKIP_2) | instid1(VALU_DEP_2)
	v_min_num_f32_e32 v25, v23, v24
	v_max_num_f32_e32 v23, v23, v24
	s_wait_alu 0xf1ff
	v_cndmask_b32_e64 v25, v25, v20, s1
	s_delay_alu instid0(VALU_DEP_2) | instskip(SKIP_2) | instid1(VALU_DEP_1)
	v_cndmask_b32_e64 v26, v23, v20, s1
	v_cmp_u_f16_e64 s1, v21, v21
	s_wait_alu 0xf1ff
	v_cndmask_b32_e64 v23, v25, v24, s1
	s_delay_alu instid0(VALU_DEP_3) | instskip(NEXT) | instid1(VALU_DEP_2)
	v_cndmask_b32_e64 v21, v26, v24, s1
	v_cmp_class_f32_e64 s28, v23, 0x1f8
	s_delay_alu instid0(VALU_DEP_2)
	v_cmp_neq_f32_e64 s1, v23, v21
	s_or_b32 s1, s1, s28
	s_wait_alu 0xfffe
	s_and_saveexec_b32 s28, s1
	s_cbranch_execz .LBB411_55
; %bb.54:
	v_sub_f32_e32 v20, v23, v21
	s_delay_alu instid0(VALU_DEP_1) | instskip(SKIP_1) | instid1(VALU_DEP_2)
	v_mul_f32_e32 v22, 0x3fb8aa3b, v20
	v_cmp_ngt_f32_e64 s1, 0xc2ce8ed0, v20
	v_fma_f32 v23, 0x3fb8aa3b, v20, -v22
	v_rndne_f32_e32 v24, v22
	s_delay_alu instid0(VALU_DEP_1) | instskip(NEXT) | instid1(VALU_DEP_1)
	v_dual_fmamk_f32 v23, v20, 0x32a5705f, v23 :: v_dual_sub_f32 v22, v22, v24
	v_add_f32_e32 v22, v22, v23
	v_cvt_i32_f32_e32 v23, v24
	s_delay_alu instid0(VALU_DEP_2) | instskip(NEXT) | instid1(TRANS32_DEP_1)
	v_exp_f32_e32 v22, v22
	v_ldexp_f32 v22, v22, v23
	s_wait_alu 0xf1ff
	s_delay_alu instid0(VALU_DEP_1) | instskip(SKIP_2) | instid1(VALU_DEP_1)
	v_cndmask_b32_e64 v22, 0, v22, s1
	v_cmp_nlt_f32_e64 s1, 0x42b17218, v20
	s_wait_alu 0xf1ff
	v_cndmask_b32_e64 v20, 0x7f800000, v22, s1
	s_delay_alu instid0(VALU_DEP_1) | instskip(NEXT) | instid1(VALU_DEP_1)
	v_add_f32_e32 v24, 1.0, v20
	v_cvt_f64_f32_e32 v[22:23], v24
	s_delay_alu instid0(VALU_DEP_1) | instskip(SKIP_1) | instid1(VALU_DEP_1)
	v_frexp_exp_i32_f64_e32 v22, v[22:23]
	v_frexp_mant_f32_e32 v23, v24
	v_cmp_gt_f32_e64 s1, 0x3f2aaaab, v23
	v_add_f32_e32 v23, -1.0, v24
	s_delay_alu instid0(VALU_DEP_1) | instskip(NEXT) | instid1(VALU_DEP_1)
	v_dual_sub_f32 v26, v23, v24 :: v_dual_sub_f32 v23, v20, v23
	v_add_f32_e32 v26, 1.0, v26
	s_delay_alu instid0(VALU_DEP_1)
	v_add_f32_e32 v23, v23, v26
	s_wait_alu 0xf1ff
	v_subrev_co_ci_u32_e64 v22, null, 0, v22, s1
	s_mov_b32 s1, 0x3e9b6dac
	v_sub_nc_u32_e32 v25, 0, v22
	v_cvt_f32_i32_e32 v22, v22
	s_delay_alu instid0(VALU_DEP_2) | instskip(SKIP_1) | instid1(VALU_DEP_2)
	v_ldexp_f32 v24, v24, v25
	v_ldexp_f32 v23, v23, v25
	v_add_f32_e32 v27, 1.0, v24
	s_delay_alu instid0(VALU_DEP_1) | instskip(NEXT) | instid1(VALU_DEP_1)
	v_dual_add_f32 v25, -1.0, v24 :: v_dual_add_f32 v26, -1.0, v27
	v_add_f32_e32 v28, 1.0, v25
	s_delay_alu instid0(VALU_DEP_2) | instskip(NEXT) | instid1(VALU_DEP_2)
	v_sub_f32_e32 v26, v24, v26
	v_sub_f32_e32 v24, v24, v28
	s_delay_alu instid0(VALU_DEP_2) | instskip(NEXT) | instid1(VALU_DEP_2)
	v_add_f32_e32 v26, v23, v26
	v_add_f32_e32 v23, v23, v24
	s_delay_alu instid0(VALU_DEP_1) | instskip(NEXT) | instid1(VALU_DEP_1)
	v_dual_add_f32 v29, v25, v23 :: v_dual_add_f32 v28, v27, v26
	v_sub_f32_e32 v25, v25, v29
	s_delay_alu instid0(VALU_DEP_2) | instskip(SKIP_1) | instid1(VALU_DEP_1)
	v_rcp_f32_e32 v24, v28
	v_sub_f32_e32 v27, v27, v28
	v_dual_add_f32 v23, v23, v25 :: v_dual_add_f32 v26, v26, v27
	s_delay_alu instid0(TRANS32_DEP_1) | instskip(NEXT) | instid1(VALU_DEP_1)
	v_mul_f32_e32 v30, v29, v24
	v_mul_f32_e32 v31, v28, v30
	s_delay_alu instid0(VALU_DEP_1) | instskip(NEXT) | instid1(VALU_DEP_1)
	v_fma_f32 v27, v30, v28, -v31
	v_fmac_f32_e32 v27, v30, v26
	s_delay_alu instid0(VALU_DEP_1) | instskip(NEXT) | instid1(VALU_DEP_1)
	v_add_f32_e32 v32, v31, v27
	v_sub_f32_e32 v33, v29, v32
	v_sub_f32_e32 v25, v32, v31
	s_delay_alu instid0(VALU_DEP_2) | instskip(NEXT) | instid1(VALU_DEP_2)
	v_sub_f32_e32 v29, v29, v33
	v_sub_f32_e32 v25, v25, v27
	s_delay_alu instid0(VALU_DEP_2) | instskip(NEXT) | instid1(VALU_DEP_1)
	v_sub_f32_e32 v29, v29, v32
	v_add_f32_e32 v23, v23, v29
	s_delay_alu instid0(VALU_DEP_1) | instskip(NEXT) | instid1(VALU_DEP_1)
	v_add_f32_e32 v23, v25, v23
	v_add_f32_e32 v25, v33, v23
	s_delay_alu instid0(VALU_DEP_1) | instskip(NEXT) | instid1(VALU_DEP_1)
	v_mul_f32_e32 v27, v24, v25
	v_dual_sub_f32 v32, v33, v25 :: v_dual_mul_f32 v29, v28, v27
	s_delay_alu instid0(VALU_DEP_1) | instskip(NEXT) | instid1(VALU_DEP_2)
	v_add_f32_e32 v23, v23, v32
	v_fma_f32 v28, v27, v28, -v29
	s_delay_alu instid0(VALU_DEP_1) | instskip(NEXT) | instid1(VALU_DEP_1)
	v_fmac_f32_e32 v28, v27, v26
	v_add_f32_e32 v26, v29, v28
	s_delay_alu instid0(VALU_DEP_1) | instskip(NEXT) | instid1(VALU_DEP_1)
	v_sub_f32_e32 v31, v25, v26
	v_sub_f32_e32 v25, v25, v31
	s_delay_alu instid0(VALU_DEP_1) | instskip(NEXT) | instid1(VALU_DEP_1)
	v_sub_f32_e32 v25, v25, v26
	v_add_f32_e32 v23, v23, v25
	v_add_f32_e32 v25, v30, v27
	v_sub_f32_e32 v29, v26, v29
	s_delay_alu instid0(VALU_DEP_1) | instskip(NEXT) | instid1(VALU_DEP_1)
	v_sub_f32_e32 v26, v29, v28
	v_dual_add_f32 v23, v26, v23 :: v_dual_sub_f32 v26, v25, v30
	s_delay_alu instid0(VALU_DEP_1) | instskip(NEXT) | instid1(VALU_DEP_1)
	v_add_f32_e32 v23, v31, v23
	v_dual_sub_f32 v26, v27, v26 :: v_dual_mul_f32 v23, v24, v23
	s_delay_alu instid0(VALU_DEP_1) | instskip(NEXT) | instid1(VALU_DEP_1)
	v_add_f32_e32 v23, v26, v23
	v_add_f32_e32 v24, v25, v23
	s_delay_alu instid0(VALU_DEP_1) | instskip(SKIP_1) | instid1(VALU_DEP_1)
	v_mul_f32_e32 v26, v24, v24
	s_wait_alu 0xfffe
	v_fmaak_f32 v27, s1, v26, 0x3ecc95a3
	v_mul_f32_e32 v28, v24, v26
	v_cmp_neq_f32_e64 s1, 0x7f800000, v20
	s_delay_alu instid0(VALU_DEP_3) | instskip(SKIP_2) | instid1(VALU_DEP_3)
	v_fmaak_f32 v26, v26, v27, 0x3f2aaada
	v_ldexp_f32 v27, v24, 1
	v_sub_f32_e32 v24, v24, v25
	v_mul_f32_e32 v26, v28, v26
	s_delay_alu instid0(VALU_DEP_2) | instskip(NEXT) | instid1(VALU_DEP_2)
	v_dual_mul_f32 v28, 0x3f317218, v22 :: v_dual_sub_f32 v23, v23, v24
	v_add_f32_e32 v25, v27, v26
	s_delay_alu instid0(VALU_DEP_2) | instskip(NEXT) | instid1(VALU_DEP_2)
	v_ldexp_f32 v23, v23, 1
	v_sub_f32_e32 v24, v25, v27
	s_delay_alu instid0(VALU_DEP_4) | instskip(NEXT) | instid1(VALU_DEP_2)
	v_fma_f32 v27, 0x3f317218, v22, -v28
	v_sub_f32_e32 v24, v26, v24
	s_delay_alu instid0(VALU_DEP_1) | instskip(NEXT) | instid1(VALU_DEP_1)
	v_dual_fmamk_f32 v22, v22, 0xb102e308, v27 :: v_dual_add_f32 v23, v23, v24
	v_add_f32_e32 v24, v28, v22
	s_delay_alu instid0(VALU_DEP_1) | instskip(NEXT) | instid1(VALU_DEP_1)
	v_sub_f32_e32 v28, v24, v28
	v_sub_f32_e32 v22, v22, v28
	s_delay_alu instid0(VALU_DEP_4) | instskip(NEXT) | instid1(VALU_DEP_1)
	v_add_f32_e32 v26, v25, v23
	v_sub_f32_e32 v25, v26, v25
	s_delay_alu instid0(VALU_DEP_1) | instskip(SKIP_1) | instid1(VALU_DEP_1)
	v_sub_f32_e32 v23, v23, v25
	v_add_f32_e32 v27, v24, v26
	v_sub_f32_e32 v29, v27, v24
	s_delay_alu instid0(VALU_DEP_1) | instskip(NEXT) | instid1(VALU_DEP_4)
	v_sub_f32_e32 v25, v26, v29
	v_add_f32_e32 v26, v22, v23
	v_sub_f32_e32 v30, v27, v29
	s_delay_alu instid0(VALU_DEP_1) | instskip(NEXT) | instid1(VALU_DEP_1)
	v_sub_f32_e32 v24, v24, v30
	v_dual_add_f32 v24, v25, v24 :: v_dual_sub_f32 v25, v26, v22
	s_delay_alu instid0(VALU_DEP_1) | instskip(SKIP_1) | instid1(VALU_DEP_2)
	v_dual_add_f32 v24, v26, v24 :: v_dual_sub_f32 v23, v23, v25
	v_sub_f32_e32 v26, v26, v25
	v_add_f32_e32 v28, v27, v24
	s_delay_alu instid0(VALU_DEP_1) | instskip(NEXT) | instid1(VALU_DEP_1)
	v_dual_sub_f32 v22, v22, v26 :: v_dual_sub_f32 v25, v28, v27
	v_dual_add_f32 v22, v23, v22 :: v_dual_sub_f32 v23, v24, v25
	s_delay_alu instid0(VALU_DEP_1) | instskip(NEXT) | instid1(VALU_DEP_1)
	v_add_f32_e32 v22, v22, v23
	v_add_f32_e32 v22, v28, v22
	s_wait_alu 0xf1ff
	s_delay_alu instid0(VALU_DEP_1) | instskip(SKIP_2) | instid1(VALU_DEP_1)
	v_cndmask_b32_e64 v22, 0x7f800000, v22, s1
	v_cmp_gt_f32_e64 s1, 0x33800000, |v20|
	s_wait_alu 0xf1ff
	v_cndmask_b32_e64 v20, v22, v20, s1
	s_delay_alu instid0(VALU_DEP_1) | instskip(NEXT) | instid1(VALU_DEP_1)
	v_add_f32_e32 v20, v21, v20
	v_cvt_f16_f32_e32 v22, v20
	s_delay_alu instid0(VALU_DEP_1)
	v_cvt_f32_f16_e32 v20, v22
.LBB411_55:
	s_or_b32 exec_lo, exec_lo, s28
	ds_load_u16 v21, v17 offset:10
	v_max_num_f32_e32 v23, v20, v20
	v_cmp_u_f16_e64 s1, v22, v22
	s_wait_dscnt 0x0
	v_cvt_f32_f16_e32 v24, v21
	s_delay_alu instid0(VALU_DEP_1) | instskip(SKIP_2) | instid1(VALU_DEP_2)
	v_min_num_f32_e32 v25, v23, v24
	v_max_num_f32_e32 v23, v23, v24
	s_wait_alu 0xf1ff
	v_cndmask_b32_e64 v25, v25, v20, s1
	s_delay_alu instid0(VALU_DEP_2) | instskip(SKIP_2) | instid1(VALU_DEP_1)
	v_cndmask_b32_e64 v26, v23, v20, s1
	v_cmp_u_f16_e64 s1, v21, v21
	s_wait_alu 0xf1ff
	v_cndmask_b32_e64 v23, v25, v24, s1
	s_delay_alu instid0(VALU_DEP_3) | instskip(NEXT) | instid1(VALU_DEP_2)
	v_cndmask_b32_e64 v21, v26, v24, s1
	v_cmp_class_f32_e64 s28, v23, 0x1f8
	s_delay_alu instid0(VALU_DEP_2)
	v_cmp_neq_f32_e64 s1, v23, v21
	s_or_b32 s1, s1, s28
	s_wait_alu 0xfffe
	s_and_saveexec_b32 s28, s1
	s_cbranch_execz .LBB411_57
; %bb.56:
	v_sub_f32_e32 v20, v23, v21
	s_delay_alu instid0(VALU_DEP_1) | instskip(SKIP_1) | instid1(VALU_DEP_2)
	v_mul_f32_e32 v22, 0x3fb8aa3b, v20
	v_cmp_ngt_f32_e64 s1, 0xc2ce8ed0, v20
	v_fma_f32 v23, 0x3fb8aa3b, v20, -v22
	v_rndne_f32_e32 v24, v22
	s_delay_alu instid0(VALU_DEP_1) | instskip(NEXT) | instid1(VALU_DEP_1)
	v_dual_fmamk_f32 v23, v20, 0x32a5705f, v23 :: v_dual_sub_f32 v22, v22, v24
	v_add_f32_e32 v22, v22, v23
	v_cvt_i32_f32_e32 v23, v24
	s_delay_alu instid0(VALU_DEP_2) | instskip(NEXT) | instid1(TRANS32_DEP_1)
	v_exp_f32_e32 v22, v22
	v_ldexp_f32 v22, v22, v23
	s_wait_alu 0xf1ff
	s_delay_alu instid0(VALU_DEP_1) | instskip(SKIP_2) | instid1(VALU_DEP_1)
	v_cndmask_b32_e64 v22, 0, v22, s1
	v_cmp_nlt_f32_e64 s1, 0x42b17218, v20
	s_wait_alu 0xf1ff
	v_cndmask_b32_e64 v20, 0x7f800000, v22, s1
	s_delay_alu instid0(VALU_DEP_1) | instskip(NEXT) | instid1(VALU_DEP_1)
	v_add_f32_e32 v24, 1.0, v20
	v_cvt_f64_f32_e32 v[22:23], v24
	s_delay_alu instid0(VALU_DEP_1) | instskip(SKIP_1) | instid1(VALU_DEP_1)
	v_frexp_exp_i32_f64_e32 v22, v[22:23]
	v_frexp_mant_f32_e32 v23, v24
	v_cmp_gt_f32_e64 s1, 0x3f2aaaab, v23
	v_add_f32_e32 v23, -1.0, v24
	s_delay_alu instid0(VALU_DEP_1) | instskip(NEXT) | instid1(VALU_DEP_1)
	v_dual_sub_f32 v26, v23, v24 :: v_dual_sub_f32 v23, v20, v23
	v_add_f32_e32 v26, 1.0, v26
	s_delay_alu instid0(VALU_DEP_1)
	v_add_f32_e32 v23, v23, v26
	s_wait_alu 0xf1ff
	v_subrev_co_ci_u32_e64 v22, null, 0, v22, s1
	s_mov_b32 s1, 0x3e9b6dac
	v_sub_nc_u32_e32 v25, 0, v22
	v_cvt_f32_i32_e32 v22, v22
	s_delay_alu instid0(VALU_DEP_2) | instskip(SKIP_1) | instid1(VALU_DEP_2)
	v_ldexp_f32 v24, v24, v25
	v_ldexp_f32 v23, v23, v25
	v_add_f32_e32 v27, 1.0, v24
	s_delay_alu instid0(VALU_DEP_1) | instskip(NEXT) | instid1(VALU_DEP_1)
	v_dual_add_f32 v25, -1.0, v24 :: v_dual_add_f32 v26, -1.0, v27
	v_add_f32_e32 v28, 1.0, v25
	s_delay_alu instid0(VALU_DEP_2) | instskip(NEXT) | instid1(VALU_DEP_2)
	v_sub_f32_e32 v26, v24, v26
	v_sub_f32_e32 v24, v24, v28
	s_delay_alu instid0(VALU_DEP_2) | instskip(NEXT) | instid1(VALU_DEP_2)
	v_add_f32_e32 v26, v23, v26
	v_add_f32_e32 v23, v23, v24
	s_delay_alu instid0(VALU_DEP_1) | instskip(NEXT) | instid1(VALU_DEP_1)
	v_dual_add_f32 v29, v25, v23 :: v_dual_add_f32 v28, v27, v26
	v_sub_f32_e32 v25, v25, v29
	s_delay_alu instid0(VALU_DEP_2) | instskip(SKIP_1) | instid1(VALU_DEP_1)
	v_rcp_f32_e32 v24, v28
	v_sub_f32_e32 v27, v27, v28
	v_dual_add_f32 v23, v23, v25 :: v_dual_add_f32 v26, v26, v27
	s_delay_alu instid0(TRANS32_DEP_1) | instskip(NEXT) | instid1(VALU_DEP_1)
	v_mul_f32_e32 v30, v29, v24
	v_mul_f32_e32 v31, v28, v30
	s_delay_alu instid0(VALU_DEP_1) | instskip(NEXT) | instid1(VALU_DEP_1)
	v_fma_f32 v27, v30, v28, -v31
	v_fmac_f32_e32 v27, v30, v26
	s_delay_alu instid0(VALU_DEP_1) | instskip(NEXT) | instid1(VALU_DEP_1)
	v_add_f32_e32 v32, v31, v27
	v_sub_f32_e32 v33, v29, v32
	v_sub_f32_e32 v25, v32, v31
	s_delay_alu instid0(VALU_DEP_2) | instskip(NEXT) | instid1(VALU_DEP_2)
	v_sub_f32_e32 v29, v29, v33
	v_sub_f32_e32 v25, v25, v27
	s_delay_alu instid0(VALU_DEP_2) | instskip(NEXT) | instid1(VALU_DEP_1)
	v_sub_f32_e32 v29, v29, v32
	v_add_f32_e32 v23, v23, v29
	s_delay_alu instid0(VALU_DEP_1) | instskip(NEXT) | instid1(VALU_DEP_1)
	v_add_f32_e32 v23, v25, v23
	v_add_f32_e32 v25, v33, v23
	s_delay_alu instid0(VALU_DEP_1) | instskip(NEXT) | instid1(VALU_DEP_1)
	v_mul_f32_e32 v27, v24, v25
	v_dual_sub_f32 v32, v33, v25 :: v_dual_mul_f32 v29, v28, v27
	s_delay_alu instid0(VALU_DEP_1) | instskip(NEXT) | instid1(VALU_DEP_2)
	v_add_f32_e32 v23, v23, v32
	v_fma_f32 v28, v27, v28, -v29
	s_delay_alu instid0(VALU_DEP_1) | instskip(NEXT) | instid1(VALU_DEP_1)
	v_fmac_f32_e32 v28, v27, v26
	v_add_f32_e32 v26, v29, v28
	s_delay_alu instid0(VALU_DEP_1) | instskip(NEXT) | instid1(VALU_DEP_1)
	v_sub_f32_e32 v31, v25, v26
	v_sub_f32_e32 v25, v25, v31
	s_delay_alu instid0(VALU_DEP_1) | instskip(NEXT) | instid1(VALU_DEP_1)
	v_sub_f32_e32 v25, v25, v26
	v_add_f32_e32 v23, v23, v25
	v_add_f32_e32 v25, v30, v27
	v_sub_f32_e32 v29, v26, v29
	s_delay_alu instid0(VALU_DEP_1) | instskip(NEXT) | instid1(VALU_DEP_1)
	v_sub_f32_e32 v26, v29, v28
	v_dual_add_f32 v23, v26, v23 :: v_dual_sub_f32 v26, v25, v30
	s_delay_alu instid0(VALU_DEP_1) | instskip(NEXT) | instid1(VALU_DEP_1)
	v_add_f32_e32 v23, v31, v23
	v_dual_sub_f32 v26, v27, v26 :: v_dual_mul_f32 v23, v24, v23
	s_delay_alu instid0(VALU_DEP_1) | instskip(NEXT) | instid1(VALU_DEP_1)
	v_add_f32_e32 v23, v26, v23
	v_add_f32_e32 v24, v25, v23
	s_delay_alu instid0(VALU_DEP_1) | instskip(SKIP_1) | instid1(VALU_DEP_1)
	v_mul_f32_e32 v26, v24, v24
	s_wait_alu 0xfffe
	v_fmaak_f32 v27, s1, v26, 0x3ecc95a3
	v_mul_f32_e32 v28, v24, v26
	v_cmp_neq_f32_e64 s1, 0x7f800000, v20
	s_delay_alu instid0(VALU_DEP_3) | instskip(SKIP_2) | instid1(VALU_DEP_3)
	v_fmaak_f32 v26, v26, v27, 0x3f2aaada
	v_ldexp_f32 v27, v24, 1
	v_sub_f32_e32 v24, v24, v25
	v_mul_f32_e32 v26, v28, v26
	s_delay_alu instid0(VALU_DEP_2) | instskip(NEXT) | instid1(VALU_DEP_2)
	v_dual_mul_f32 v28, 0x3f317218, v22 :: v_dual_sub_f32 v23, v23, v24
	v_add_f32_e32 v25, v27, v26
	s_delay_alu instid0(VALU_DEP_2) | instskip(NEXT) | instid1(VALU_DEP_2)
	v_ldexp_f32 v23, v23, 1
	v_sub_f32_e32 v24, v25, v27
	s_delay_alu instid0(VALU_DEP_4) | instskip(NEXT) | instid1(VALU_DEP_2)
	v_fma_f32 v27, 0x3f317218, v22, -v28
	v_sub_f32_e32 v24, v26, v24
	s_delay_alu instid0(VALU_DEP_1) | instskip(NEXT) | instid1(VALU_DEP_1)
	v_dual_fmamk_f32 v22, v22, 0xb102e308, v27 :: v_dual_add_f32 v23, v23, v24
	v_add_f32_e32 v24, v28, v22
	s_delay_alu instid0(VALU_DEP_1) | instskip(NEXT) | instid1(VALU_DEP_1)
	v_sub_f32_e32 v28, v24, v28
	v_sub_f32_e32 v22, v22, v28
	s_delay_alu instid0(VALU_DEP_4) | instskip(NEXT) | instid1(VALU_DEP_1)
	v_add_f32_e32 v26, v25, v23
	v_sub_f32_e32 v25, v26, v25
	s_delay_alu instid0(VALU_DEP_1) | instskip(SKIP_1) | instid1(VALU_DEP_1)
	v_sub_f32_e32 v23, v23, v25
	v_add_f32_e32 v27, v24, v26
	v_sub_f32_e32 v29, v27, v24
	s_delay_alu instid0(VALU_DEP_1) | instskip(NEXT) | instid1(VALU_DEP_4)
	v_sub_f32_e32 v25, v26, v29
	v_add_f32_e32 v26, v22, v23
	v_sub_f32_e32 v30, v27, v29
	s_delay_alu instid0(VALU_DEP_1) | instskip(NEXT) | instid1(VALU_DEP_1)
	v_sub_f32_e32 v24, v24, v30
	v_dual_add_f32 v24, v25, v24 :: v_dual_sub_f32 v25, v26, v22
	s_delay_alu instid0(VALU_DEP_1) | instskip(SKIP_1) | instid1(VALU_DEP_2)
	v_dual_add_f32 v24, v26, v24 :: v_dual_sub_f32 v23, v23, v25
	v_sub_f32_e32 v26, v26, v25
	v_add_f32_e32 v28, v27, v24
	s_delay_alu instid0(VALU_DEP_1) | instskip(NEXT) | instid1(VALU_DEP_1)
	v_dual_sub_f32 v22, v22, v26 :: v_dual_sub_f32 v25, v28, v27
	v_dual_add_f32 v22, v23, v22 :: v_dual_sub_f32 v23, v24, v25
	s_delay_alu instid0(VALU_DEP_1) | instskip(NEXT) | instid1(VALU_DEP_1)
	v_add_f32_e32 v22, v22, v23
	v_add_f32_e32 v22, v28, v22
	s_wait_alu 0xf1ff
	s_delay_alu instid0(VALU_DEP_1) | instskip(SKIP_2) | instid1(VALU_DEP_1)
	v_cndmask_b32_e64 v22, 0x7f800000, v22, s1
	v_cmp_gt_f32_e64 s1, 0x33800000, |v20|
	s_wait_alu 0xf1ff
	v_cndmask_b32_e64 v20, v22, v20, s1
	s_delay_alu instid0(VALU_DEP_1) | instskip(NEXT) | instid1(VALU_DEP_1)
	v_add_f32_e32 v20, v21, v20
	v_cvt_f16_f32_e32 v22, v20
	s_delay_alu instid0(VALU_DEP_1)
	v_cvt_f32_f16_e32 v20, v22
.LBB411_57:
	s_or_b32 exec_lo, exec_lo, s28
	ds_load_u16 v21, v17 offset:12
	v_max_num_f32_e32 v23, v20, v20
	v_cmp_u_f16_e64 s1, v22, v22
	s_wait_dscnt 0x0
	v_cvt_f32_f16_e32 v24, v21
	s_delay_alu instid0(VALU_DEP_1) | instskip(SKIP_2) | instid1(VALU_DEP_2)
	v_min_num_f32_e32 v25, v23, v24
	v_max_num_f32_e32 v23, v23, v24
	s_wait_alu 0xf1ff
	v_cndmask_b32_e64 v25, v25, v20, s1
	s_delay_alu instid0(VALU_DEP_2) | instskip(SKIP_2) | instid1(VALU_DEP_1)
	v_cndmask_b32_e64 v26, v23, v20, s1
	v_cmp_u_f16_e64 s1, v21, v21
	s_wait_alu 0xf1ff
	v_cndmask_b32_e64 v23, v25, v24, s1
	s_delay_alu instid0(VALU_DEP_3) | instskip(NEXT) | instid1(VALU_DEP_2)
	v_cndmask_b32_e64 v21, v26, v24, s1
	v_cmp_class_f32_e64 s28, v23, 0x1f8
	s_delay_alu instid0(VALU_DEP_2)
	v_cmp_neq_f32_e64 s1, v23, v21
	s_or_b32 s1, s1, s28
	s_wait_alu 0xfffe
	s_and_saveexec_b32 s28, s1
	s_cbranch_execz .LBB411_59
; %bb.58:
	v_sub_f32_e32 v20, v23, v21
	s_delay_alu instid0(VALU_DEP_1) | instskip(SKIP_1) | instid1(VALU_DEP_2)
	v_mul_f32_e32 v22, 0x3fb8aa3b, v20
	v_cmp_ngt_f32_e64 s1, 0xc2ce8ed0, v20
	v_fma_f32 v23, 0x3fb8aa3b, v20, -v22
	v_rndne_f32_e32 v24, v22
	s_delay_alu instid0(VALU_DEP_1) | instskip(NEXT) | instid1(VALU_DEP_1)
	v_dual_fmamk_f32 v23, v20, 0x32a5705f, v23 :: v_dual_sub_f32 v22, v22, v24
	v_add_f32_e32 v22, v22, v23
	v_cvt_i32_f32_e32 v23, v24
	s_delay_alu instid0(VALU_DEP_2) | instskip(NEXT) | instid1(TRANS32_DEP_1)
	v_exp_f32_e32 v22, v22
	v_ldexp_f32 v22, v22, v23
	s_wait_alu 0xf1ff
	s_delay_alu instid0(VALU_DEP_1) | instskip(SKIP_2) | instid1(VALU_DEP_1)
	v_cndmask_b32_e64 v22, 0, v22, s1
	v_cmp_nlt_f32_e64 s1, 0x42b17218, v20
	s_wait_alu 0xf1ff
	v_cndmask_b32_e64 v20, 0x7f800000, v22, s1
	s_delay_alu instid0(VALU_DEP_1) | instskip(NEXT) | instid1(VALU_DEP_1)
	v_add_f32_e32 v24, 1.0, v20
	v_cvt_f64_f32_e32 v[22:23], v24
	s_delay_alu instid0(VALU_DEP_1) | instskip(SKIP_1) | instid1(VALU_DEP_1)
	v_frexp_exp_i32_f64_e32 v22, v[22:23]
	v_frexp_mant_f32_e32 v23, v24
	v_cmp_gt_f32_e64 s1, 0x3f2aaaab, v23
	v_add_f32_e32 v23, -1.0, v24
	s_delay_alu instid0(VALU_DEP_1) | instskip(NEXT) | instid1(VALU_DEP_1)
	v_dual_sub_f32 v26, v23, v24 :: v_dual_sub_f32 v23, v20, v23
	v_add_f32_e32 v26, 1.0, v26
	s_delay_alu instid0(VALU_DEP_1)
	v_add_f32_e32 v23, v23, v26
	s_wait_alu 0xf1ff
	v_subrev_co_ci_u32_e64 v22, null, 0, v22, s1
	s_mov_b32 s1, 0x3e9b6dac
	v_sub_nc_u32_e32 v25, 0, v22
	v_cvt_f32_i32_e32 v22, v22
	s_delay_alu instid0(VALU_DEP_2) | instskip(SKIP_1) | instid1(VALU_DEP_2)
	v_ldexp_f32 v24, v24, v25
	v_ldexp_f32 v23, v23, v25
	v_add_f32_e32 v27, 1.0, v24
	s_delay_alu instid0(VALU_DEP_1) | instskip(NEXT) | instid1(VALU_DEP_1)
	v_dual_add_f32 v25, -1.0, v24 :: v_dual_add_f32 v26, -1.0, v27
	v_add_f32_e32 v28, 1.0, v25
	s_delay_alu instid0(VALU_DEP_2) | instskip(NEXT) | instid1(VALU_DEP_2)
	v_sub_f32_e32 v26, v24, v26
	v_sub_f32_e32 v24, v24, v28
	s_delay_alu instid0(VALU_DEP_2) | instskip(NEXT) | instid1(VALU_DEP_2)
	v_add_f32_e32 v26, v23, v26
	v_add_f32_e32 v23, v23, v24
	s_delay_alu instid0(VALU_DEP_1) | instskip(NEXT) | instid1(VALU_DEP_1)
	v_dual_add_f32 v29, v25, v23 :: v_dual_add_f32 v28, v27, v26
	v_sub_f32_e32 v25, v25, v29
	s_delay_alu instid0(VALU_DEP_2) | instskip(SKIP_1) | instid1(VALU_DEP_1)
	v_rcp_f32_e32 v24, v28
	v_sub_f32_e32 v27, v27, v28
	v_dual_add_f32 v23, v23, v25 :: v_dual_add_f32 v26, v26, v27
	s_delay_alu instid0(TRANS32_DEP_1) | instskip(NEXT) | instid1(VALU_DEP_1)
	v_mul_f32_e32 v30, v29, v24
	v_mul_f32_e32 v31, v28, v30
	s_delay_alu instid0(VALU_DEP_1) | instskip(NEXT) | instid1(VALU_DEP_1)
	v_fma_f32 v27, v30, v28, -v31
	v_fmac_f32_e32 v27, v30, v26
	s_delay_alu instid0(VALU_DEP_1) | instskip(NEXT) | instid1(VALU_DEP_1)
	v_add_f32_e32 v32, v31, v27
	v_sub_f32_e32 v33, v29, v32
	v_sub_f32_e32 v25, v32, v31
	s_delay_alu instid0(VALU_DEP_2) | instskip(NEXT) | instid1(VALU_DEP_2)
	v_sub_f32_e32 v29, v29, v33
	v_sub_f32_e32 v25, v25, v27
	s_delay_alu instid0(VALU_DEP_2) | instskip(NEXT) | instid1(VALU_DEP_1)
	v_sub_f32_e32 v29, v29, v32
	v_add_f32_e32 v23, v23, v29
	s_delay_alu instid0(VALU_DEP_1) | instskip(NEXT) | instid1(VALU_DEP_1)
	v_add_f32_e32 v23, v25, v23
	v_add_f32_e32 v25, v33, v23
	s_delay_alu instid0(VALU_DEP_1) | instskip(NEXT) | instid1(VALU_DEP_1)
	v_mul_f32_e32 v27, v24, v25
	v_dual_sub_f32 v32, v33, v25 :: v_dual_mul_f32 v29, v28, v27
	s_delay_alu instid0(VALU_DEP_1) | instskip(NEXT) | instid1(VALU_DEP_2)
	v_add_f32_e32 v23, v23, v32
	v_fma_f32 v28, v27, v28, -v29
	s_delay_alu instid0(VALU_DEP_1) | instskip(NEXT) | instid1(VALU_DEP_1)
	v_fmac_f32_e32 v28, v27, v26
	v_add_f32_e32 v26, v29, v28
	s_delay_alu instid0(VALU_DEP_1) | instskip(NEXT) | instid1(VALU_DEP_1)
	v_sub_f32_e32 v31, v25, v26
	v_sub_f32_e32 v25, v25, v31
	s_delay_alu instid0(VALU_DEP_1) | instskip(NEXT) | instid1(VALU_DEP_1)
	v_sub_f32_e32 v25, v25, v26
	v_add_f32_e32 v23, v23, v25
	v_add_f32_e32 v25, v30, v27
	v_sub_f32_e32 v29, v26, v29
	s_delay_alu instid0(VALU_DEP_1) | instskip(NEXT) | instid1(VALU_DEP_1)
	v_sub_f32_e32 v26, v29, v28
	v_dual_add_f32 v23, v26, v23 :: v_dual_sub_f32 v26, v25, v30
	s_delay_alu instid0(VALU_DEP_1) | instskip(NEXT) | instid1(VALU_DEP_1)
	v_add_f32_e32 v23, v31, v23
	v_dual_sub_f32 v26, v27, v26 :: v_dual_mul_f32 v23, v24, v23
	s_delay_alu instid0(VALU_DEP_1) | instskip(NEXT) | instid1(VALU_DEP_1)
	v_add_f32_e32 v23, v26, v23
	v_add_f32_e32 v24, v25, v23
	s_delay_alu instid0(VALU_DEP_1) | instskip(SKIP_1) | instid1(VALU_DEP_1)
	v_mul_f32_e32 v26, v24, v24
	s_wait_alu 0xfffe
	v_fmaak_f32 v27, s1, v26, 0x3ecc95a3
	v_mul_f32_e32 v28, v24, v26
	v_cmp_neq_f32_e64 s1, 0x7f800000, v20
	s_delay_alu instid0(VALU_DEP_3) | instskip(SKIP_2) | instid1(VALU_DEP_3)
	v_fmaak_f32 v26, v26, v27, 0x3f2aaada
	v_ldexp_f32 v27, v24, 1
	v_sub_f32_e32 v24, v24, v25
	v_mul_f32_e32 v26, v28, v26
	s_delay_alu instid0(VALU_DEP_2) | instskip(NEXT) | instid1(VALU_DEP_2)
	v_dual_mul_f32 v28, 0x3f317218, v22 :: v_dual_sub_f32 v23, v23, v24
	v_add_f32_e32 v25, v27, v26
	s_delay_alu instid0(VALU_DEP_2) | instskip(NEXT) | instid1(VALU_DEP_2)
	v_ldexp_f32 v23, v23, 1
	v_sub_f32_e32 v24, v25, v27
	s_delay_alu instid0(VALU_DEP_4) | instskip(NEXT) | instid1(VALU_DEP_2)
	v_fma_f32 v27, 0x3f317218, v22, -v28
	v_sub_f32_e32 v24, v26, v24
	s_delay_alu instid0(VALU_DEP_1) | instskip(NEXT) | instid1(VALU_DEP_1)
	v_dual_fmamk_f32 v22, v22, 0xb102e308, v27 :: v_dual_add_f32 v23, v23, v24
	v_add_f32_e32 v24, v28, v22
	s_delay_alu instid0(VALU_DEP_1) | instskip(NEXT) | instid1(VALU_DEP_1)
	v_sub_f32_e32 v28, v24, v28
	v_sub_f32_e32 v22, v22, v28
	s_delay_alu instid0(VALU_DEP_4) | instskip(NEXT) | instid1(VALU_DEP_1)
	v_add_f32_e32 v26, v25, v23
	v_sub_f32_e32 v25, v26, v25
	s_delay_alu instid0(VALU_DEP_1) | instskip(SKIP_1) | instid1(VALU_DEP_1)
	v_sub_f32_e32 v23, v23, v25
	v_add_f32_e32 v27, v24, v26
	v_sub_f32_e32 v29, v27, v24
	s_delay_alu instid0(VALU_DEP_1) | instskip(NEXT) | instid1(VALU_DEP_4)
	v_sub_f32_e32 v25, v26, v29
	v_add_f32_e32 v26, v22, v23
	v_sub_f32_e32 v30, v27, v29
	s_delay_alu instid0(VALU_DEP_1) | instskip(NEXT) | instid1(VALU_DEP_1)
	v_sub_f32_e32 v24, v24, v30
	v_dual_add_f32 v24, v25, v24 :: v_dual_sub_f32 v25, v26, v22
	s_delay_alu instid0(VALU_DEP_1) | instskip(SKIP_1) | instid1(VALU_DEP_2)
	v_dual_add_f32 v24, v26, v24 :: v_dual_sub_f32 v23, v23, v25
	v_sub_f32_e32 v26, v26, v25
	v_add_f32_e32 v28, v27, v24
	s_delay_alu instid0(VALU_DEP_1) | instskip(NEXT) | instid1(VALU_DEP_1)
	v_dual_sub_f32 v22, v22, v26 :: v_dual_sub_f32 v25, v28, v27
	v_dual_add_f32 v22, v23, v22 :: v_dual_sub_f32 v23, v24, v25
	s_delay_alu instid0(VALU_DEP_1) | instskip(NEXT) | instid1(VALU_DEP_1)
	v_add_f32_e32 v22, v22, v23
	v_add_f32_e32 v22, v28, v22
	s_wait_alu 0xf1ff
	s_delay_alu instid0(VALU_DEP_1) | instskip(SKIP_2) | instid1(VALU_DEP_1)
	v_cndmask_b32_e64 v22, 0x7f800000, v22, s1
	v_cmp_gt_f32_e64 s1, 0x33800000, |v20|
	s_wait_alu 0xf1ff
	v_cndmask_b32_e64 v20, v22, v20, s1
	s_delay_alu instid0(VALU_DEP_1) | instskip(NEXT) | instid1(VALU_DEP_1)
	v_add_f32_e32 v20, v21, v20
	v_cvt_f16_f32_e32 v22, v20
	s_delay_alu instid0(VALU_DEP_1)
	v_cvt_f32_f16_e32 v20, v22
.LBB411_59:
	s_or_b32 exec_lo, exec_lo, s28
	ds_load_u16 v21, v17 offset:14
	v_max_num_f32_e32 v23, v20, v20
	v_cmp_u_f16_e64 s1, v22, v22
	s_wait_dscnt 0x0
	v_cvt_f32_f16_e32 v24, v21
	s_delay_alu instid0(VALU_DEP_1) | instskip(SKIP_2) | instid1(VALU_DEP_2)
	v_min_num_f32_e32 v25, v23, v24
	v_max_num_f32_e32 v23, v23, v24
	s_wait_alu 0xf1ff
	v_cndmask_b32_e64 v25, v25, v20, s1
	s_delay_alu instid0(VALU_DEP_2) | instskip(SKIP_2) | instid1(VALU_DEP_1)
	v_cndmask_b32_e64 v20, v23, v20, s1
	v_cmp_u_f16_e64 s1, v21, v21
	s_wait_alu 0xf1ff
	v_cndmask_b32_e64 v21, v25, v24, s1
	s_delay_alu instid0(VALU_DEP_3) | instskip(NEXT) | instid1(VALU_DEP_2)
	v_cndmask_b32_e64 v20, v20, v24, s1
	v_cmp_class_f32_e64 s28, v21, 0x1f8
	s_delay_alu instid0(VALU_DEP_2)
	v_cmp_neq_f32_e64 s1, v21, v20
	s_or_b32 s1, s1, s28
	s_wait_alu 0xfffe
	s_and_saveexec_b32 s28, s1
	s_cbranch_execz .LBB411_61
; %bb.60:
	v_sub_f32_e32 v21, v21, v20
	s_delay_alu instid0(VALU_DEP_1) | instskip(NEXT) | instid1(VALU_DEP_1)
	v_mul_f32_e32 v22, 0x3fb8aa3b, v21
	v_fma_f32 v23, 0x3fb8aa3b, v21, -v22
	v_rndne_f32_e32 v24, v22
	s_delay_alu instid0(VALU_DEP_1) | instskip(NEXT) | instid1(VALU_DEP_1)
	v_dual_fmamk_f32 v23, v21, 0x32a5705f, v23 :: v_dual_sub_f32 v22, v22, v24
	v_add_f32_e32 v22, v22, v23
	v_cvt_i32_f32_e32 v23, v24
	v_cmp_ngt_f32_e64 s1, 0xc2ce8ed0, v21
	s_delay_alu instid0(VALU_DEP_3) | instskip(NEXT) | instid1(TRANS32_DEP_1)
	v_exp_f32_e32 v22, v22
	v_ldexp_f32 v22, v22, v23
	s_wait_alu 0xf1ff
	s_delay_alu instid0(VALU_DEP_1) | instskip(SKIP_2) | instid1(VALU_DEP_1)
	v_cndmask_b32_e64 v22, 0, v22, s1
	v_cmp_nlt_f32_e64 s1, 0x42b17218, v21
	s_wait_alu 0xf1ff
	v_cndmask_b32_e64 v23, 0x7f800000, v22, s1
	s_delay_alu instid0(VALU_DEP_1) | instskip(NEXT) | instid1(VALU_DEP_1)
	v_add_f32_e32 v24, 1.0, v23
	v_cvt_f64_f32_e32 v[21:22], v24
	s_delay_alu instid0(VALU_DEP_1) | instskip(SKIP_1) | instid1(VALU_DEP_1)
	v_frexp_exp_i32_f64_e32 v21, v[21:22]
	v_frexp_mant_f32_e32 v22, v24
	v_cmp_gt_f32_e64 s1, 0x3f2aaaab, v22
	v_add_f32_e32 v22, -1.0, v24
	s_delay_alu instid0(VALU_DEP_1) | instskip(SKIP_1) | instid1(VALU_DEP_3)
	v_sub_f32_e32 v26, v22, v24
	s_wait_alu 0xf1ff
	v_subrev_co_ci_u32_e64 v21, null, 0, v21, s1
	s_mov_b32 s1, 0x3e9b6dac
	v_sub_nc_u32_e32 v25, 0, v21
	v_cvt_f32_i32_e32 v21, v21
	s_delay_alu instid0(VALU_DEP_2) | instskip(NEXT) | instid1(VALU_DEP_1)
	v_ldexp_f32 v24, v24, v25
	v_dual_sub_f32 v22, v23, v22 :: v_dual_add_f32 v27, 1.0, v24
	v_add_f32_e32 v26, 1.0, v26
	s_delay_alu instid0(VALU_DEP_1) | instskip(NEXT) | instid1(VALU_DEP_3)
	v_add_f32_e32 v22, v22, v26
	v_add_f32_e32 v26, -1.0, v27
	s_delay_alu instid0(VALU_DEP_2) | instskip(NEXT) | instid1(VALU_DEP_2)
	v_ldexp_f32 v22, v22, v25
	v_dual_add_f32 v25, -1.0, v24 :: v_dual_sub_f32 v26, v24, v26
	s_delay_alu instid0(VALU_DEP_1) | instskip(NEXT) | instid1(VALU_DEP_2)
	v_add_f32_e32 v28, 1.0, v25
	v_add_f32_e32 v26, v22, v26
	s_delay_alu instid0(VALU_DEP_2) | instskip(NEXT) | instid1(VALU_DEP_2)
	v_sub_f32_e32 v24, v24, v28
	v_add_f32_e32 v28, v27, v26
	s_delay_alu instid0(VALU_DEP_2) | instskip(NEXT) | instid1(VALU_DEP_2)
	v_add_f32_e32 v22, v22, v24
	v_rcp_f32_e32 v24, v28
	v_sub_f32_e32 v27, v27, v28
	s_delay_alu instid0(VALU_DEP_1) | instskip(NEXT) | instid1(VALU_DEP_1)
	v_dual_add_f32 v29, v25, v22 :: v_dual_add_f32 v26, v26, v27
	v_sub_f32_e32 v25, v25, v29
	s_delay_alu instid0(TRANS32_DEP_1) | instskip(NEXT) | instid1(VALU_DEP_1)
	v_mul_f32_e32 v30, v29, v24
	v_dual_add_f32 v22, v22, v25 :: v_dual_mul_f32 v31, v28, v30
	s_delay_alu instid0(VALU_DEP_1) | instskip(NEXT) | instid1(VALU_DEP_1)
	v_fma_f32 v27, v30, v28, -v31
	v_fmac_f32_e32 v27, v30, v26
	s_delay_alu instid0(VALU_DEP_1) | instskip(NEXT) | instid1(VALU_DEP_1)
	v_add_f32_e32 v32, v31, v27
	v_sub_f32_e32 v33, v29, v32
	v_sub_f32_e32 v25, v32, v31
	s_delay_alu instid0(VALU_DEP_2) | instskip(NEXT) | instid1(VALU_DEP_2)
	v_sub_f32_e32 v29, v29, v33
	v_sub_f32_e32 v25, v25, v27
	s_delay_alu instid0(VALU_DEP_2) | instskip(NEXT) | instid1(VALU_DEP_1)
	v_sub_f32_e32 v29, v29, v32
	v_add_f32_e32 v22, v22, v29
	s_delay_alu instid0(VALU_DEP_1) | instskip(NEXT) | instid1(VALU_DEP_1)
	v_add_f32_e32 v22, v25, v22
	v_add_f32_e32 v25, v33, v22
	s_delay_alu instid0(VALU_DEP_1) | instskip(NEXT) | instid1(VALU_DEP_1)
	v_mul_f32_e32 v27, v24, v25
	v_dual_sub_f32 v32, v33, v25 :: v_dual_mul_f32 v29, v28, v27
	s_delay_alu instid0(VALU_DEP_1) | instskip(NEXT) | instid1(VALU_DEP_2)
	v_add_f32_e32 v22, v22, v32
	v_fma_f32 v28, v27, v28, -v29
	s_delay_alu instid0(VALU_DEP_1) | instskip(NEXT) | instid1(VALU_DEP_1)
	v_fmac_f32_e32 v28, v27, v26
	v_add_f32_e32 v26, v29, v28
	s_delay_alu instid0(VALU_DEP_1) | instskip(SKIP_1) | instid1(VALU_DEP_2)
	v_sub_f32_e32 v31, v25, v26
	v_sub_f32_e32 v29, v26, v29
	;; [unrolled: 1-line block ×3, first 2 shown]
	s_delay_alu instid0(VALU_DEP_1) | instskip(NEXT) | instid1(VALU_DEP_3)
	v_sub_f32_e32 v25, v25, v26
	v_sub_f32_e32 v26, v29, v28
	s_delay_alu instid0(VALU_DEP_2) | instskip(SKIP_1) | instid1(VALU_DEP_2)
	v_add_f32_e32 v22, v22, v25
	v_add_f32_e32 v25, v30, v27
	;; [unrolled: 1-line block ×3, first 2 shown]
	s_delay_alu instid0(VALU_DEP_2) | instskip(NEXT) | instid1(VALU_DEP_2)
	v_sub_f32_e32 v26, v25, v30
	v_add_f32_e32 v22, v31, v22
	s_delay_alu instid0(VALU_DEP_2) | instskip(NEXT) | instid1(VALU_DEP_2)
	v_sub_f32_e32 v26, v27, v26
	v_mul_f32_e32 v22, v24, v22
	s_delay_alu instid0(VALU_DEP_1) | instskip(NEXT) | instid1(VALU_DEP_1)
	v_add_f32_e32 v22, v26, v22
	v_add_f32_e32 v24, v25, v22
	s_delay_alu instid0(VALU_DEP_1) | instskip(SKIP_1) | instid1(VALU_DEP_1)
	v_mul_f32_e32 v26, v24, v24
	s_wait_alu 0xfffe
	v_fmaak_f32 v27, s1, v26, 0x3ecc95a3
	v_mul_f32_e32 v28, v24, v26
	v_cmp_neq_f32_e64 s1, 0x7f800000, v23
	s_delay_alu instid0(VALU_DEP_3) | instskip(SKIP_2) | instid1(VALU_DEP_3)
	v_fmaak_f32 v26, v26, v27, 0x3f2aaada
	v_ldexp_f32 v27, v24, 1
	v_sub_f32_e32 v24, v24, v25
	v_mul_f32_e32 v26, v28, v26
	v_mul_f32_e32 v28, 0x3f317218, v21
	s_delay_alu instid0(VALU_DEP_2) | instskip(NEXT) | instid1(VALU_DEP_1)
	v_dual_sub_f32 v22, v22, v24 :: v_dual_add_f32 v25, v27, v26
	v_ldexp_f32 v22, v22, 1
	s_delay_alu instid0(VALU_DEP_2) | instskip(NEXT) | instid1(VALU_DEP_4)
	v_sub_f32_e32 v24, v25, v27
	v_fma_f32 v27, 0x3f317218, v21, -v28
	s_delay_alu instid0(VALU_DEP_1) | instskip(NEXT) | instid1(VALU_DEP_1)
	v_dual_sub_f32 v24, v26, v24 :: v_dual_fmamk_f32 v21, v21, 0xb102e308, v27
	v_add_f32_e32 v22, v22, v24
	s_delay_alu instid0(VALU_DEP_2) | instskip(NEXT) | instid1(VALU_DEP_2)
	v_add_f32_e32 v24, v28, v21
	v_add_f32_e32 v26, v25, v22
	s_delay_alu instid0(VALU_DEP_2) | instskip(NEXT) | instid1(VALU_DEP_2)
	v_sub_f32_e32 v28, v24, v28
	v_add_f32_e32 v27, v24, v26
	v_sub_f32_e32 v25, v26, v25
	s_delay_alu instid0(VALU_DEP_3) | instskip(NEXT) | instid1(VALU_DEP_2)
	v_sub_f32_e32 v21, v21, v28
	v_dual_sub_f32 v29, v27, v24 :: v_dual_sub_f32 v22, v22, v25
	s_delay_alu instid0(VALU_DEP_1) | instskip(NEXT) | instid1(VALU_DEP_2)
	v_sub_f32_e32 v30, v27, v29
	v_dual_sub_f32 v25, v26, v29 :: v_dual_add_f32 v26, v21, v22
	s_delay_alu instid0(VALU_DEP_2) | instskip(NEXT) | instid1(VALU_DEP_1)
	v_sub_f32_e32 v24, v24, v30
	v_dual_add_f32 v24, v25, v24 :: v_dual_sub_f32 v25, v26, v21
	s_delay_alu instid0(VALU_DEP_1) | instskip(NEXT) | instid1(VALU_DEP_2)
	v_add_f32_e32 v24, v26, v24
	v_sub_f32_e32 v26, v26, v25
	v_sub_f32_e32 v22, v22, v25
	s_delay_alu instid0(VALU_DEP_2) | instskip(NEXT) | instid1(VALU_DEP_1)
	v_dual_add_f32 v28, v27, v24 :: v_dual_sub_f32 v21, v21, v26
	v_sub_f32_e32 v25, v28, v27
	s_delay_alu instid0(VALU_DEP_2) | instskip(NEXT) | instid1(VALU_DEP_2)
	v_add_f32_e32 v21, v22, v21
	v_sub_f32_e32 v22, v24, v25
	s_delay_alu instid0(VALU_DEP_1) | instskip(NEXT) | instid1(VALU_DEP_1)
	v_add_f32_e32 v21, v21, v22
	v_add_f32_e32 v21, v28, v21
	s_wait_alu 0xf1ff
	s_delay_alu instid0(VALU_DEP_1) | instskip(SKIP_2) | instid1(VALU_DEP_1)
	v_cndmask_b32_e64 v21, 0x7f800000, v21, s1
	v_cmp_gt_f32_e64 s1, 0x33800000, |v23|
	s_wait_alu 0xf1ff
	v_cndmask_b32_e64 v21, v21, v23, s1
	s_delay_alu instid0(VALU_DEP_1) | instskip(NEXT) | instid1(VALU_DEP_1)
	v_add_f32_e32 v20, v20, v21
	v_cvt_f16_f32_e32 v22, v20
.LBB411_61:
	s_or_b32 exec_lo, exec_lo, s28
	v_mbcnt_lo_u32_b32 v20, -1, 0
	s_delay_alu instid0(VALU_DEP_2) | instskip(SKIP_1) | instid1(VALU_DEP_2)
	v_and_b32_e32 v23, 0xffff, v22
	s_mov_b32 s28, exec_lo
	v_and_b32_e32 v21, 15, v20
	s_delay_alu instid0(VALU_DEP_2) | instskip(NEXT) | instid1(VALU_DEP_2)
	v_mov_b32_dpp v24, v23 row_shr:1 row_mask:0xf bank_mask:0xf
	v_cmpx_ne_u32_e32 0, v21
	s_xor_b32 s28, exec_lo, s28
	s_cbranch_execz .LBB411_65
; %bb.62:
	s_delay_alu instid0(VALU_DEP_2) | instskip(SKIP_2) | instid1(VALU_DEP_2)
	v_cvt_f32_f16_e32 v23, v24
	v_cvt_f32_f16_e32 v25, v22
	v_cmp_u_f16_e64 s1, v24, v24
	v_min_num_f32_e32 v26, v23, v25
	v_max_num_f32_e32 v27, v23, v25
	s_wait_alu 0xf1ff
	s_delay_alu instid0(VALU_DEP_2) | instskip(NEXT) | instid1(VALU_DEP_2)
	v_cndmask_b32_e64 v26, v26, v23, s1
	v_cndmask_b32_e64 v27, v27, v23, s1
	v_cmp_u_f16_e64 s1, v22, v22
	s_wait_alu 0xf1ff
	s_delay_alu instid0(VALU_DEP_1) | instskip(NEXT) | instid1(VALU_DEP_3)
	v_cndmask_b32_e64 v23, v26, v25, s1
	v_cndmask_b32_e64 v22, v27, v25, s1
	s_delay_alu instid0(VALU_DEP_2) | instskip(NEXT) | instid1(VALU_DEP_2)
	v_cmp_class_f32_e64 s29, v23, 0x1f8
	v_cmp_neq_f32_e64 s1, v23, v22
	s_or_b32 s1, s1, s29
	s_wait_alu 0xfffe
	s_and_saveexec_b32 s29, s1
	s_cbranch_execz .LBB411_64
; %bb.63:
	v_sub_f32_e32 v23, v23, v22
	s_delay_alu instid0(VALU_DEP_1) | instskip(NEXT) | instid1(VALU_DEP_1)
	v_mul_f32_e32 v24, 0x3fb8aa3b, v23
	v_fma_f32 v25, 0x3fb8aa3b, v23, -v24
	v_rndne_f32_e32 v26, v24
	s_delay_alu instid0(VALU_DEP_1) | instskip(NEXT) | instid1(VALU_DEP_1)
	v_dual_fmamk_f32 v25, v23, 0x32a5705f, v25 :: v_dual_sub_f32 v24, v24, v26
	v_add_f32_e32 v24, v24, v25
	v_cvt_i32_f32_e32 v25, v26
	v_cmp_ngt_f32_e64 s1, 0xc2ce8ed0, v23
	s_delay_alu instid0(VALU_DEP_3) | instskip(NEXT) | instid1(TRANS32_DEP_1)
	v_exp_f32_e32 v24, v24
	v_ldexp_f32 v24, v24, v25
	s_wait_alu 0xf1ff
	s_delay_alu instid0(VALU_DEP_1) | instskip(SKIP_2) | instid1(VALU_DEP_1)
	v_cndmask_b32_e64 v24, 0, v24, s1
	v_cmp_nlt_f32_e64 s1, 0x42b17218, v23
	s_wait_alu 0xf1ff
	v_cndmask_b32_e64 v25, 0x7f800000, v24, s1
	s_delay_alu instid0(VALU_DEP_1) | instskip(NEXT) | instid1(VALU_DEP_1)
	v_add_f32_e32 v26, 1.0, v25
	v_cvt_f64_f32_e32 v[23:24], v26
	s_delay_alu instid0(VALU_DEP_1) | instskip(SKIP_1) | instid1(VALU_DEP_1)
	v_frexp_exp_i32_f64_e32 v23, v[23:24]
	v_frexp_mant_f32_e32 v24, v26
	v_cmp_gt_f32_e64 s1, 0x3f2aaaab, v24
	v_add_f32_e32 v24, -1.0, v26
	s_delay_alu instid0(VALU_DEP_1) | instskip(SKIP_1) | instid1(VALU_DEP_3)
	v_sub_f32_e32 v28, v24, v26
	s_wait_alu 0xf1ff
	v_subrev_co_ci_u32_e64 v23, null, 0, v23, s1
	s_mov_b32 s1, 0x3e9b6dac
	v_sub_nc_u32_e32 v27, 0, v23
	v_cvt_f32_i32_e32 v23, v23
	s_delay_alu instid0(VALU_DEP_2) | instskip(NEXT) | instid1(VALU_DEP_1)
	v_ldexp_f32 v26, v26, v27
	v_dual_sub_f32 v24, v25, v24 :: v_dual_add_f32 v29, 1.0, v26
	v_add_f32_e32 v28, 1.0, v28
	s_delay_alu instid0(VALU_DEP_1) | instskip(NEXT) | instid1(VALU_DEP_3)
	v_add_f32_e32 v24, v24, v28
	v_add_f32_e32 v28, -1.0, v29
	s_delay_alu instid0(VALU_DEP_2) | instskip(NEXT) | instid1(VALU_DEP_2)
	v_ldexp_f32 v24, v24, v27
	v_dual_add_f32 v27, -1.0, v26 :: v_dual_sub_f32 v28, v26, v28
	s_delay_alu instid0(VALU_DEP_1) | instskip(NEXT) | instid1(VALU_DEP_2)
	v_add_f32_e32 v30, 1.0, v27
	v_add_f32_e32 v28, v24, v28
	s_delay_alu instid0(VALU_DEP_2) | instskip(NEXT) | instid1(VALU_DEP_2)
	v_sub_f32_e32 v26, v26, v30
	v_add_f32_e32 v30, v29, v28
	s_delay_alu instid0(VALU_DEP_2) | instskip(NEXT) | instid1(VALU_DEP_2)
	v_add_f32_e32 v24, v24, v26
	v_rcp_f32_e32 v26, v30
	v_sub_f32_e32 v29, v29, v30
	s_delay_alu instid0(VALU_DEP_1) | instskip(NEXT) | instid1(VALU_DEP_1)
	v_dual_add_f32 v31, v27, v24 :: v_dual_add_f32 v28, v28, v29
	v_sub_f32_e32 v27, v27, v31
	s_delay_alu instid0(TRANS32_DEP_1) | instskip(NEXT) | instid1(VALU_DEP_1)
	v_mul_f32_e32 v32, v31, v26
	v_dual_add_f32 v24, v24, v27 :: v_dual_mul_f32 v33, v30, v32
	s_delay_alu instid0(VALU_DEP_1) | instskip(NEXT) | instid1(VALU_DEP_1)
	v_fma_f32 v29, v32, v30, -v33
	v_fmac_f32_e32 v29, v32, v28
	s_delay_alu instid0(VALU_DEP_1) | instskip(NEXT) | instid1(VALU_DEP_1)
	v_add_f32_e32 v34, v33, v29
	v_sub_f32_e32 v35, v31, v34
	v_sub_f32_e32 v27, v34, v33
	s_delay_alu instid0(VALU_DEP_2) | instskip(NEXT) | instid1(VALU_DEP_2)
	v_sub_f32_e32 v31, v31, v35
	v_sub_f32_e32 v27, v27, v29
	s_delay_alu instid0(VALU_DEP_2) | instskip(NEXT) | instid1(VALU_DEP_1)
	v_sub_f32_e32 v31, v31, v34
	v_add_f32_e32 v24, v24, v31
	s_delay_alu instid0(VALU_DEP_1) | instskip(NEXT) | instid1(VALU_DEP_1)
	v_add_f32_e32 v24, v27, v24
	v_add_f32_e32 v27, v35, v24
	s_delay_alu instid0(VALU_DEP_1) | instskip(NEXT) | instid1(VALU_DEP_1)
	v_mul_f32_e32 v29, v26, v27
	v_dual_sub_f32 v34, v35, v27 :: v_dual_mul_f32 v31, v30, v29
	s_delay_alu instid0(VALU_DEP_1) | instskip(NEXT) | instid1(VALU_DEP_2)
	v_add_f32_e32 v24, v24, v34
	v_fma_f32 v30, v29, v30, -v31
	s_delay_alu instid0(VALU_DEP_1) | instskip(NEXT) | instid1(VALU_DEP_1)
	v_fmac_f32_e32 v30, v29, v28
	v_add_f32_e32 v28, v31, v30
	s_delay_alu instid0(VALU_DEP_1) | instskip(SKIP_1) | instid1(VALU_DEP_2)
	v_sub_f32_e32 v33, v27, v28
	v_sub_f32_e32 v31, v28, v31
	;; [unrolled: 1-line block ×3, first 2 shown]
	s_delay_alu instid0(VALU_DEP_1) | instskip(NEXT) | instid1(VALU_DEP_3)
	v_sub_f32_e32 v27, v27, v28
	v_sub_f32_e32 v28, v31, v30
	s_delay_alu instid0(VALU_DEP_2) | instskip(SKIP_1) | instid1(VALU_DEP_2)
	v_add_f32_e32 v24, v24, v27
	v_add_f32_e32 v27, v32, v29
	;; [unrolled: 1-line block ×3, first 2 shown]
	s_delay_alu instid0(VALU_DEP_2) | instskip(NEXT) | instid1(VALU_DEP_2)
	v_sub_f32_e32 v28, v27, v32
	v_add_f32_e32 v24, v33, v24
	s_delay_alu instid0(VALU_DEP_2) | instskip(NEXT) | instid1(VALU_DEP_2)
	v_sub_f32_e32 v28, v29, v28
	v_mul_f32_e32 v24, v26, v24
	s_delay_alu instid0(VALU_DEP_1) | instskip(NEXT) | instid1(VALU_DEP_1)
	v_add_f32_e32 v24, v28, v24
	v_add_f32_e32 v26, v27, v24
	s_delay_alu instid0(VALU_DEP_1) | instskip(SKIP_1) | instid1(VALU_DEP_1)
	v_mul_f32_e32 v28, v26, v26
	s_wait_alu 0xfffe
	v_fmaak_f32 v29, s1, v28, 0x3ecc95a3
	v_mul_f32_e32 v30, v26, v28
	v_cmp_neq_f32_e64 s1, 0x7f800000, v25
	s_delay_alu instid0(VALU_DEP_3) | instskip(SKIP_2) | instid1(VALU_DEP_3)
	v_fmaak_f32 v28, v28, v29, 0x3f2aaada
	v_ldexp_f32 v29, v26, 1
	v_sub_f32_e32 v26, v26, v27
	v_mul_f32_e32 v28, v30, v28
	v_mul_f32_e32 v30, 0x3f317218, v23
	s_delay_alu instid0(VALU_DEP_2) | instskip(NEXT) | instid1(VALU_DEP_1)
	v_dual_sub_f32 v24, v24, v26 :: v_dual_add_f32 v27, v29, v28
	v_ldexp_f32 v24, v24, 1
	s_delay_alu instid0(VALU_DEP_2) | instskip(NEXT) | instid1(VALU_DEP_4)
	v_sub_f32_e32 v26, v27, v29
	v_fma_f32 v29, 0x3f317218, v23, -v30
	s_delay_alu instid0(VALU_DEP_1) | instskip(NEXT) | instid1(VALU_DEP_1)
	v_dual_sub_f32 v26, v28, v26 :: v_dual_fmamk_f32 v23, v23, 0xb102e308, v29
	v_add_f32_e32 v24, v24, v26
	s_delay_alu instid0(VALU_DEP_2) | instskip(NEXT) | instid1(VALU_DEP_2)
	v_add_f32_e32 v26, v30, v23
	v_add_f32_e32 v28, v27, v24
	s_delay_alu instid0(VALU_DEP_2) | instskip(NEXT) | instid1(VALU_DEP_2)
	v_sub_f32_e32 v30, v26, v30
	v_add_f32_e32 v29, v26, v28
	v_sub_f32_e32 v27, v28, v27
	s_delay_alu instid0(VALU_DEP_3) | instskip(NEXT) | instid1(VALU_DEP_2)
	v_sub_f32_e32 v23, v23, v30
	v_dual_sub_f32 v31, v29, v26 :: v_dual_sub_f32 v24, v24, v27
	s_delay_alu instid0(VALU_DEP_1) | instskip(NEXT) | instid1(VALU_DEP_2)
	v_sub_f32_e32 v32, v29, v31
	v_dual_sub_f32 v27, v28, v31 :: v_dual_add_f32 v28, v23, v24
	s_delay_alu instid0(VALU_DEP_2) | instskip(NEXT) | instid1(VALU_DEP_1)
	v_sub_f32_e32 v26, v26, v32
	v_dual_add_f32 v26, v27, v26 :: v_dual_sub_f32 v27, v28, v23
	s_delay_alu instid0(VALU_DEP_1) | instskip(NEXT) | instid1(VALU_DEP_2)
	v_add_f32_e32 v26, v28, v26
	v_sub_f32_e32 v28, v28, v27
	v_sub_f32_e32 v24, v24, v27
	s_delay_alu instid0(VALU_DEP_2) | instskip(NEXT) | instid1(VALU_DEP_1)
	v_dual_add_f32 v30, v29, v26 :: v_dual_sub_f32 v23, v23, v28
	v_sub_f32_e32 v27, v30, v29
	s_delay_alu instid0(VALU_DEP_2) | instskip(NEXT) | instid1(VALU_DEP_2)
	v_add_f32_e32 v23, v24, v23
	v_sub_f32_e32 v24, v26, v27
	s_delay_alu instid0(VALU_DEP_1) | instskip(NEXT) | instid1(VALU_DEP_1)
	v_add_f32_e32 v23, v23, v24
	v_add_f32_e32 v23, v30, v23
	s_wait_alu 0xf1ff
	s_delay_alu instid0(VALU_DEP_1) | instskip(SKIP_2) | instid1(VALU_DEP_1)
	v_cndmask_b32_e64 v23, 0x7f800000, v23, s1
	v_cmp_gt_f32_e64 s1, 0x33800000, |v25|
	s_wait_alu 0xf1ff
	v_cndmask_b32_e64 v23, v23, v25, s1
	s_delay_alu instid0(VALU_DEP_1) | instskip(NEXT) | instid1(VALU_DEP_1)
	v_add_f32_e32 v22, v22, v23
	v_cvt_f16_f32_e32 v24, v22
.LBB411_64:
	s_or_b32 exec_lo, exec_lo, s29
	s_delay_alu instid0(VALU_DEP_1)
	v_dual_mov_b32 v22, v24 :: v_dual_and_b32 v23, 0xffff, v24
.LBB411_65:
	s_or_b32 exec_lo, exec_lo, s28
	s_delay_alu instid0(VALU_DEP_1)
	v_mov_b32_dpp v24, v23 row_shr:2 row_mask:0xf bank_mask:0xf
	s_mov_b32 s28, exec_lo
	v_cmpx_lt_u32_e32 1, v21
	s_cbranch_execz .LBB411_69
; %bb.66:
	s_delay_alu instid0(VALU_DEP_2) | instskip(SKIP_2) | instid1(VALU_DEP_2)
	v_cvt_f32_f16_e32 v23, v24
	v_cvt_f32_f16_e32 v25, v22
	v_cmp_u_f16_e64 s1, v24, v24
	v_min_num_f32_e32 v26, v23, v25
	v_max_num_f32_e32 v27, v23, v25
	s_wait_alu 0xf1ff
	s_delay_alu instid0(VALU_DEP_2) | instskip(NEXT) | instid1(VALU_DEP_2)
	v_cndmask_b32_e64 v26, v26, v23, s1
	v_cndmask_b32_e64 v27, v27, v23, s1
	v_cmp_u_f16_e64 s1, v22, v22
	s_wait_alu 0xf1ff
	s_delay_alu instid0(VALU_DEP_1) | instskip(NEXT) | instid1(VALU_DEP_3)
	v_cndmask_b32_e64 v23, v26, v25, s1
	v_cndmask_b32_e64 v22, v27, v25, s1
	s_delay_alu instid0(VALU_DEP_2) | instskip(NEXT) | instid1(VALU_DEP_2)
	v_cmp_class_f32_e64 s29, v23, 0x1f8
	v_cmp_neq_f32_e64 s1, v23, v22
	s_or_b32 s1, s1, s29
	s_wait_alu 0xfffe
	s_and_saveexec_b32 s29, s1
	s_cbranch_execz .LBB411_68
; %bb.67:
	v_sub_f32_e32 v23, v23, v22
	s_delay_alu instid0(VALU_DEP_1) | instskip(NEXT) | instid1(VALU_DEP_1)
	v_mul_f32_e32 v24, 0x3fb8aa3b, v23
	v_fma_f32 v25, 0x3fb8aa3b, v23, -v24
	v_rndne_f32_e32 v26, v24
	s_delay_alu instid0(VALU_DEP_1) | instskip(NEXT) | instid1(VALU_DEP_1)
	v_dual_fmamk_f32 v25, v23, 0x32a5705f, v25 :: v_dual_sub_f32 v24, v24, v26
	v_add_f32_e32 v24, v24, v25
	v_cvt_i32_f32_e32 v25, v26
	v_cmp_ngt_f32_e64 s1, 0xc2ce8ed0, v23
	s_delay_alu instid0(VALU_DEP_3) | instskip(NEXT) | instid1(TRANS32_DEP_1)
	v_exp_f32_e32 v24, v24
	v_ldexp_f32 v24, v24, v25
	s_wait_alu 0xf1ff
	s_delay_alu instid0(VALU_DEP_1) | instskip(SKIP_2) | instid1(VALU_DEP_1)
	v_cndmask_b32_e64 v24, 0, v24, s1
	v_cmp_nlt_f32_e64 s1, 0x42b17218, v23
	s_wait_alu 0xf1ff
	v_cndmask_b32_e64 v25, 0x7f800000, v24, s1
	s_delay_alu instid0(VALU_DEP_1) | instskip(NEXT) | instid1(VALU_DEP_1)
	v_add_f32_e32 v26, 1.0, v25
	v_cvt_f64_f32_e32 v[23:24], v26
	s_delay_alu instid0(VALU_DEP_1) | instskip(SKIP_1) | instid1(VALU_DEP_1)
	v_frexp_exp_i32_f64_e32 v23, v[23:24]
	v_frexp_mant_f32_e32 v24, v26
	v_cmp_gt_f32_e64 s1, 0x3f2aaaab, v24
	v_add_f32_e32 v24, -1.0, v26
	s_delay_alu instid0(VALU_DEP_1) | instskip(SKIP_1) | instid1(VALU_DEP_3)
	v_sub_f32_e32 v28, v24, v26
	s_wait_alu 0xf1ff
	v_subrev_co_ci_u32_e64 v23, null, 0, v23, s1
	s_mov_b32 s1, 0x3e9b6dac
	v_sub_nc_u32_e32 v27, 0, v23
	v_cvt_f32_i32_e32 v23, v23
	s_delay_alu instid0(VALU_DEP_2) | instskip(NEXT) | instid1(VALU_DEP_1)
	v_ldexp_f32 v26, v26, v27
	v_dual_sub_f32 v24, v25, v24 :: v_dual_add_f32 v29, 1.0, v26
	v_add_f32_e32 v28, 1.0, v28
	s_delay_alu instid0(VALU_DEP_1) | instskip(NEXT) | instid1(VALU_DEP_3)
	v_add_f32_e32 v24, v24, v28
	v_add_f32_e32 v28, -1.0, v29
	s_delay_alu instid0(VALU_DEP_2) | instskip(NEXT) | instid1(VALU_DEP_2)
	v_ldexp_f32 v24, v24, v27
	v_dual_add_f32 v27, -1.0, v26 :: v_dual_sub_f32 v28, v26, v28
	s_delay_alu instid0(VALU_DEP_1) | instskip(NEXT) | instid1(VALU_DEP_2)
	v_add_f32_e32 v30, 1.0, v27
	v_add_f32_e32 v28, v24, v28
	s_delay_alu instid0(VALU_DEP_2) | instskip(NEXT) | instid1(VALU_DEP_2)
	v_sub_f32_e32 v26, v26, v30
	v_add_f32_e32 v30, v29, v28
	s_delay_alu instid0(VALU_DEP_2) | instskip(NEXT) | instid1(VALU_DEP_2)
	v_add_f32_e32 v24, v24, v26
	v_rcp_f32_e32 v26, v30
	v_sub_f32_e32 v29, v29, v30
	s_delay_alu instid0(VALU_DEP_1) | instskip(NEXT) | instid1(VALU_DEP_1)
	v_dual_add_f32 v31, v27, v24 :: v_dual_add_f32 v28, v28, v29
	v_sub_f32_e32 v27, v27, v31
	s_delay_alu instid0(TRANS32_DEP_1) | instskip(NEXT) | instid1(VALU_DEP_1)
	v_mul_f32_e32 v32, v31, v26
	v_dual_add_f32 v24, v24, v27 :: v_dual_mul_f32 v33, v30, v32
	s_delay_alu instid0(VALU_DEP_1) | instskip(NEXT) | instid1(VALU_DEP_1)
	v_fma_f32 v29, v32, v30, -v33
	v_fmac_f32_e32 v29, v32, v28
	s_delay_alu instid0(VALU_DEP_1) | instskip(NEXT) | instid1(VALU_DEP_1)
	v_add_f32_e32 v34, v33, v29
	v_sub_f32_e32 v35, v31, v34
	v_sub_f32_e32 v27, v34, v33
	s_delay_alu instid0(VALU_DEP_2) | instskip(NEXT) | instid1(VALU_DEP_2)
	v_sub_f32_e32 v31, v31, v35
	v_sub_f32_e32 v27, v27, v29
	s_delay_alu instid0(VALU_DEP_2) | instskip(NEXT) | instid1(VALU_DEP_1)
	v_sub_f32_e32 v31, v31, v34
	v_add_f32_e32 v24, v24, v31
	s_delay_alu instid0(VALU_DEP_1) | instskip(NEXT) | instid1(VALU_DEP_1)
	v_add_f32_e32 v24, v27, v24
	v_add_f32_e32 v27, v35, v24
	s_delay_alu instid0(VALU_DEP_1) | instskip(NEXT) | instid1(VALU_DEP_1)
	v_mul_f32_e32 v29, v26, v27
	v_dual_sub_f32 v34, v35, v27 :: v_dual_mul_f32 v31, v30, v29
	s_delay_alu instid0(VALU_DEP_1) | instskip(NEXT) | instid1(VALU_DEP_2)
	v_add_f32_e32 v24, v24, v34
	v_fma_f32 v30, v29, v30, -v31
	s_delay_alu instid0(VALU_DEP_1) | instskip(NEXT) | instid1(VALU_DEP_1)
	v_fmac_f32_e32 v30, v29, v28
	v_add_f32_e32 v28, v31, v30
	s_delay_alu instid0(VALU_DEP_1) | instskip(SKIP_1) | instid1(VALU_DEP_2)
	v_sub_f32_e32 v33, v27, v28
	v_sub_f32_e32 v31, v28, v31
	;; [unrolled: 1-line block ×3, first 2 shown]
	s_delay_alu instid0(VALU_DEP_1) | instskip(NEXT) | instid1(VALU_DEP_3)
	v_sub_f32_e32 v27, v27, v28
	v_sub_f32_e32 v28, v31, v30
	s_delay_alu instid0(VALU_DEP_2) | instskip(SKIP_1) | instid1(VALU_DEP_2)
	v_add_f32_e32 v24, v24, v27
	v_add_f32_e32 v27, v32, v29
	;; [unrolled: 1-line block ×3, first 2 shown]
	s_delay_alu instid0(VALU_DEP_2) | instskip(NEXT) | instid1(VALU_DEP_2)
	v_sub_f32_e32 v28, v27, v32
	v_add_f32_e32 v24, v33, v24
	s_delay_alu instid0(VALU_DEP_2) | instskip(NEXT) | instid1(VALU_DEP_2)
	v_sub_f32_e32 v28, v29, v28
	v_mul_f32_e32 v24, v26, v24
	s_delay_alu instid0(VALU_DEP_1) | instskip(NEXT) | instid1(VALU_DEP_1)
	v_add_f32_e32 v24, v28, v24
	v_add_f32_e32 v26, v27, v24
	s_delay_alu instid0(VALU_DEP_1) | instskip(SKIP_1) | instid1(VALU_DEP_1)
	v_mul_f32_e32 v28, v26, v26
	s_wait_alu 0xfffe
	v_fmaak_f32 v29, s1, v28, 0x3ecc95a3
	v_mul_f32_e32 v30, v26, v28
	v_cmp_neq_f32_e64 s1, 0x7f800000, v25
	s_delay_alu instid0(VALU_DEP_3) | instskip(SKIP_2) | instid1(VALU_DEP_3)
	v_fmaak_f32 v28, v28, v29, 0x3f2aaada
	v_ldexp_f32 v29, v26, 1
	v_sub_f32_e32 v26, v26, v27
	v_mul_f32_e32 v28, v30, v28
	v_mul_f32_e32 v30, 0x3f317218, v23
	s_delay_alu instid0(VALU_DEP_2) | instskip(NEXT) | instid1(VALU_DEP_1)
	v_dual_sub_f32 v24, v24, v26 :: v_dual_add_f32 v27, v29, v28
	v_ldexp_f32 v24, v24, 1
	s_delay_alu instid0(VALU_DEP_2) | instskip(NEXT) | instid1(VALU_DEP_4)
	v_sub_f32_e32 v26, v27, v29
	v_fma_f32 v29, 0x3f317218, v23, -v30
	s_delay_alu instid0(VALU_DEP_1) | instskip(NEXT) | instid1(VALU_DEP_1)
	v_dual_sub_f32 v26, v28, v26 :: v_dual_fmamk_f32 v23, v23, 0xb102e308, v29
	v_add_f32_e32 v24, v24, v26
	s_delay_alu instid0(VALU_DEP_2) | instskip(NEXT) | instid1(VALU_DEP_2)
	v_add_f32_e32 v26, v30, v23
	v_add_f32_e32 v28, v27, v24
	s_delay_alu instid0(VALU_DEP_2) | instskip(NEXT) | instid1(VALU_DEP_2)
	v_sub_f32_e32 v30, v26, v30
	v_add_f32_e32 v29, v26, v28
	v_sub_f32_e32 v27, v28, v27
	s_delay_alu instid0(VALU_DEP_3) | instskip(NEXT) | instid1(VALU_DEP_2)
	v_sub_f32_e32 v23, v23, v30
	v_dual_sub_f32 v31, v29, v26 :: v_dual_sub_f32 v24, v24, v27
	s_delay_alu instid0(VALU_DEP_1) | instskip(NEXT) | instid1(VALU_DEP_2)
	v_sub_f32_e32 v32, v29, v31
	v_dual_sub_f32 v27, v28, v31 :: v_dual_add_f32 v28, v23, v24
	s_delay_alu instid0(VALU_DEP_2) | instskip(NEXT) | instid1(VALU_DEP_1)
	v_sub_f32_e32 v26, v26, v32
	v_dual_add_f32 v26, v27, v26 :: v_dual_sub_f32 v27, v28, v23
	s_delay_alu instid0(VALU_DEP_1) | instskip(NEXT) | instid1(VALU_DEP_2)
	v_add_f32_e32 v26, v28, v26
	v_sub_f32_e32 v28, v28, v27
	v_sub_f32_e32 v24, v24, v27
	s_delay_alu instid0(VALU_DEP_2) | instskip(NEXT) | instid1(VALU_DEP_1)
	v_dual_add_f32 v30, v29, v26 :: v_dual_sub_f32 v23, v23, v28
	v_sub_f32_e32 v27, v30, v29
	s_delay_alu instid0(VALU_DEP_2) | instskip(NEXT) | instid1(VALU_DEP_2)
	v_add_f32_e32 v23, v24, v23
	v_sub_f32_e32 v24, v26, v27
	s_delay_alu instid0(VALU_DEP_1) | instskip(NEXT) | instid1(VALU_DEP_1)
	v_add_f32_e32 v23, v23, v24
	v_add_f32_e32 v23, v30, v23
	s_wait_alu 0xf1ff
	s_delay_alu instid0(VALU_DEP_1) | instskip(SKIP_2) | instid1(VALU_DEP_1)
	v_cndmask_b32_e64 v23, 0x7f800000, v23, s1
	v_cmp_gt_f32_e64 s1, 0x33800000, |v25|
	s_wait_alu 0xf1ff
	v_cndmask_b32_e64 v23, v23, v25, s1
	s_delay_alu instid0(VALU_DEP_1) | instskip(NEXT) | instid1(VALU_DEP_1)
	v_add_f32_e32 v22, v22, v23
	v_cvt_f16_f32_e32 v24, v22
.LBB411_68:
	s_or_b32 exec_lo, exec_lo, s29
	s_delay_alu instid0(VALU_DEP_1)
	v_dual_mov_b32 v22, v24 :: v_dual_and_b32 v23, 0xffff, v24
.LBB411_69:
	s_or_b32 exec_lo, exec_lo, s28
	s_delay_alu instid0(VALU_DEP_1)
	v_mov_b32_dpp v24, v23 row_shr:4 row_mask:0xf bank_mask:0xf
	s_mov_b32 s28, exec_lo
	v_cmpx_lt_u32_e32 3, v21
	s_cbranch_execz .LBB411_73
; %bb.70:
	s_delay_alu instid0(VALU_DEP_2) | instskip(SKIP_2) | instid1(VALU_DEP_2)
	v_cvt_f32_f16_e32 v23, v24
	v_cvt_f32_f16_e32 v25, v22
	v_cmp_u_f16_e64 s1, v24, v24
	v_min_num_f32_e32 v26, v23, v25
	v_max_num_f32_e32 v27, v23, v25
	s_wait_alu 0xf1ff
	s_delay_alu instid0(VALU_DEP_2) | instskip(NEXT) | instid1(VALU_DEP_2)
	v_cndmask_b32_e64 v26, v26, v23, s1
	v_cndmask_b32_e64 v27, v27, v23, s1
	v_cmp_u_f16_e64 s1, v22, v22
	s_wait_alu 0xf1ff
	s_delay_alu instid0(VALU_DEP_1) | instskip(NEXT) | instid1(VALU_DEP_3)
	v_cndmask_b32_e64 v23, v26, v25, s1
	v_cndmask_b32_e64 v22, v27, v25, s1
	s_delay_alu instid0(VALU_DEP_2) | instskip(NEXT) | instid1(VALU_DEP_2)
	v_cmp_class_f32_e64 s29, v23, 0x1f8
	v_cmp_neq_f32_e64 s1, v23, v22
	s_or_b32 s1, s1, s29
	s_wait_alu 0xfffe
	s_and_saveexec_b32 s29, s1
	s_cbranch_execz .LBB411_72
; %bb.71:
	v_sub_f32_e32 v23, v23, v22
	s_delay_alu instid0(VALU_DEP_1) | instskip(NEXT) | instid1(VALU_DEP_1)
	v_mul_f32_e32 v24, 0x3fb8aa3b, v23
	v_fma_f32 v25, 0x3fb8aa3b, v23, -v24
	v_rndne_f32_e32 v26, v24
	s_delay_alu instid0(VALU_DEP_1) | instskip(NEXT) | instid1(VALU_DEP_1)
	v_dual_fmamk_f32 v25, v23, 0x32a5705f, v25 :: v_dual_sub_f32 v24, v24, v26
	v_add_f32_e32 v24, v24, v25
	v_cvt_i32_f32_e32 v25, v26
	v_cmp_ngt_f32_e64 s1, 0xc2ce8ed0, v23
	s_delay_alu instid0(VALU_DEP_3) | instskip(NEXT) | instid1(TRANS32_DEP_1)
	v_exp_f32_e32 v24, v24
	v_ldexp_f32 v24, v24, v25
	s_wait_alu 0xf1ff
	s_delay_alu instid0(VALU_DEP_1) | instskip(SKIP_2) | instid1(VALU_DEP_1)
	v_cndmask_b32_e64 v24, 0, v24, s1
	v_cmp_nlt_f32_e64 s1, 0x42b17218, v23
	s_wait_alu 0xf1ff
	v_cndmask_b32_e64 v25, 0x7f800000, v24, s1
	s_delay_alu instid0(VALU_DEP_1) | instskip(NEXT) | instid1(VALU_DEP_1)
	v_add_f32_e32 v26, 1.0, v25
	v_cvt_f64_f32_e32 v[23:24], v26
	s_delay_alu instid0(VALU_DEP_1) | instskip(SKIP_1) | instid1(VALU_DEP_1)
	v_frexp_exp_i32_f64_e32 v23, v[23:24]
	v_frexp_mant_f32_e32 v24, v26
	v_cmp_gt_f32_e64 s1, 0x3f2aaaab, v24
	v_add_f32_e32 v24, -1.0, v26
	s_delay_alu instid0(VALU_DEP_1) | instskip(SKIP_1) | instid1(VALU_DEP_3)
	v_sub_f32_e32 v28, v24, v26
	s_wait_alu 0xf1ff
	v_subrev_co_ci_u32_e64 v23, null, 0, v23, s1
	s_mov_b32 s1, 0x3e9b6dac
	v_sub_nc_u32_e32 v27, 0, v23
	v_cvt_f32_i32_e32 v23, v23
	s_delay_alu instid0(VALU_DEP_2) | instskip(NEXT) | instid1(VALU_DEP_1)
	v_ldexp_f32 v26, v26, v27
	v_dual_sub_f32 v24, v25, v24 :: v_dual_add_f32 v29, 1.0, v26
	v_add_f32_e32 v28, 1.0, v28
	s_delay_alu instid0(VALU_DEP_1) | instskip(NEXT) | instid1(VALU_DEP_3)
	v_add_f32_e32 v24, v24, v28
	v_add_f32_e32 v28, -1.0, v29
	s_delay_alu instid0(VALU_DEP_2) | instskip(NEXT) | instid1(VALU_DEP_2)
	v_ldexp_f32 v24, v24, v27
	v_dual_add_f32 v27, -1.0, v26 :: v_dual_sub_f32 v28, v26, v28
	s_delay_alu instid0(VALU_DEP_1) | instskip(NEXT) | instid1(VALU_DEP_2)
	v_add_f32_e32 v30, 1.0, v27
	v_add_f32_e32 v28, v24, v28
	s_delay_alu instid0(VALU_DEP_2) | instskip(NEXT) | instid1(VALU_DEP_2)
	v_sub_f32_e32 v26, v26, v30
	v_add_f32_e32 v30, v29, v28
	s_delay_alu instid0(VALU_DEP_2) | instskip(NEXT) | instid1(VALU_DEP_2)
	v_add_f32_e32 v24, v24, v26
	v_rcp_f32_e32 v26, v30
	v_sub_f32_e32 v29, v29, v30
	s_delay_alu instid0(VALU_DEP_1) | instskip(NEXT) | instid1(VALU_DEP_1)
	v_dual_add_f32 v31, v27, v24 :: v_dual_add_f32 v28, v28, v29
	v_sub_f32_e32 v27, v27, v31
	s_delay_alu instid0(TRANS32_DEP_1) | instskip(NEXT) | instid1(VALU_DEP_1)
	v_mul_f32_e32 v32, v31, v26
	v_dual_add_f32 v24, v24, v27 :: v_dual_mul_f32 v33, v30, v32
	s_delay_alu instid0(VALU_DEP_1) | instskip(NEXT) | instid1(VALU_DEP_1)
	v_fma_f32 v29, v32, v30, -v33
	v_fmac_f32_e32 v29, v32, v28
	s_delay_alu instid0(VALU_DEP_1) | instskip(NEXT) | instid1(VALU_DEP_1)
	v_add_f32_e32 v34, v33, v29
	v_sub_f32_e32 v35, v31, v34
	v_sub_f32_e32 v27, v34, v33
	s_delay_alu instid0(VALU_DEP_2) | instskip(NEXT) | instid1(VALU_DEP_2)
	v_sub_f32_e32 v31, v31, v35
	v_sub_f32_e32 v27, v27, v29
	s_delay_alu instid0(VALU_DEP_2) | instskip(NEXT) | instid1(VALU_DEP_1)
	v_sub_f32_e32 v31, v31, v34
	v_add_f32_e32 v24, v24, v31
	s_delay_alu instid0(VALU_DEP_1) | instskip(NEXT) | instid1(VALU_DEP_1)
	v_add_f32_e32 v24, v27, v24
	v_add_f32_e32 v27, v35, v24
	s_delay_alu instid0(VALU_DEP_1) | instskip(NEXT) | instid1(VALU_DEP_1)
	v_mul_f32_e32 v29, v26, v27
	v_dual_sub_f32 v34, v35, v27 :: v_dual_mul_f32 v31, v30, v29
	s_delay_alu instid0(VALU_DEP_1) | instskip(NEXT) | instid1(VALU_DEP_2)
	v_add_f32_e32 v24, v24, v34
	v_fma_f32 v30, v29, v30, -v31
	s_delay_alu instid0(VALU_DEP_1) | instskip(NEXT) | instid1(VALU_DEP_1)
	v_fmac_f32_e32 v30, v29, v28
	v_add_f32_e32 v28, v31, v30
	s_delay_alu instid0(VALU_DEP_1) | instskip(SKIP_1) | instid1(VALU_DEP_2)
	v_sub_f32_e32 v33, v27, v28
	v_sub_f32_e32 v31, v28, v31
	;; [unrolled: 1-line block ×3, first 2 shown]
	s_delay_alu instid0(VALU_DEP_1) | instskip(NEXT) | instid1(VALU_DEP_3)
	v_sub_f32_e32 v27, v27, v28
	v_sub_f32_e32 v28, v31, v30
	s_delay_alu instid0(VALU_DEP_2) | instskip(SKIP_1) | instid1(VALU_DEP_2)
	v_add_f32_e32 v24, v24, v27
	v_add_f32_e32 v27, v32, v29
	;; [unrolled: 1-line block ×3, first 2 shown]
	s_delay_alu instid0(VALU_DEP_2) | instskip(NEXT) | instid1(VALU_DEP_2)
	v_sub_f32_e32 v28, v27, v32
	v_add_f32_e32 v24, v33, v24
	s_delay_alu instid0(VALU_DEP_2) | instskip(NEXT) | instid1(VALU_DEP_2)
	v_sub_f32_e32 v28, v29, v28
	v_mul_f32_e32 v24, v26, v24
	s_delay_alu instid0(VALU_DEP_1) | instskip(NEXT) | instid1(VALU_DEP_1)
	v_add_f32_e32 v24, v28, v24
	v_add_f32_e32 v26, v27, v24
	s_delay_alu instid0(VALU_DEP_1) | instskip(SKIP_1) | instid1(VALU_DEP_1)
	v_mul_f32_e32 v28, v26, v26
	s_wait_alu 0xfffe
	v_fmaak_f32 v29, s1, v28, 0x3ecc95a3
	v_mul_f32_e32 v30, v26, v28
	v_cmp_neq_f32_e64 s1, 0x7f800000, v25
	s_delay_alu instid0(VALU_DEP_3) | instskip(SKIP_2) | instid1(VALU_DEP_3)
	v_fmaak_f32 v28, v28, v29, 0x3f2aaada
	v_ldexp_f32 v29, v26, 1
	v_sub_f32_e32 v26, v26, v27
	v_mul_f32_e32 v28, v30, v28
	v_mul_f32_e32 v30, 0x3f317218, v23
	s_delay_alu instid0(VALU_DEP_2) | instskip(NEXT) | instid1(VALU_DEP_1)
	v_dual_sub_f32 v24, v24, v26 :: v_dual_add_f32 v27, v29, v28
	v_ldexp_f32 v24, v24, 1
	s_delay_alu instid0(VALU_DEP_2) | instskip(NEXT) | instid1(VALU_DEP_4)
	v_sub_f32_e32 v26, v27, v29
	v_fma_f32 v29, 0x3f317218, v23, -v30
	s_delay_alu instid0(VALU_DEP_1) | instskip(NEXT) | instid1(VALU_DEP_1)
	v_dual_sub_f32 v26, v28, v26 :: v_dual_fmamk_f32 v23, v23, 0xb102e308, v29
	v_add_f32_e32 v24, v24, v26
	s_delay_alu instid0(VALU_DEP_2) | instskip(NEXT) | instid1(VALU_DEP_2)
	v_add_f32_e32 v26, v30, v23
	v_add_f32_e32 v28, v27, v24
	s_delay_alu instid0(VALU_DEP_2) | instskip(NEXT) | instid1(VALU_DEP_2)
	v_sub_f32_e32 v30, v26, v30
	v_add_f32_e32 v29, v26, v28
	v_sub_f32_e32 v27, v28, v27
	s_delay_alu instid0(VALU_DEP_3) | instskip(NEXT) | instid1(VALU_DEP_2)
	v_sub_f32_e32 v23, v23, v30
	v_dual_sub_f32 v31, v29, v26 :: v_dual_sub_f32 v24, v24, v27
	s_delay_alu instid0(VALU_DEP_1) | instskip(NEXT) | instid1(VALU_DEP_2)
	v_sub_f32_e32 v32, v29, v31
	v_dual_sub_f32 v27, v28, v31 :: v_dual_add_f32 v28, v23, v24
	s_delay_alu instid0(VALU_DEP_2) | instskip(NEXT) | instid1(VALU_DEP_1)
	v_sub_f32_e32 v26, v26, v32
	v_dual_add_f32 v26, v27, v26 :: v_dual_sub_f32 v27, v28, v23
	s_delay_alu instid0(VALU_DEP_1) | instskip(NEXT) | instid1(VALU_DEP_2)
	v_add_f32_e32 v26, v28, v26
	v_sub_f32_e32 v28, v28, v27
	v_sub_f32_e32 v24, v24, v27
	s_delay_alu instid0(VALU_DEP_2) | instskip(NEXT) | instid1(VALU_DEP_1)
	v_dual_add_f32 v30, v29, v26 :: v_dual_sub_f32 v23, v23, v28
	v_sub_f32_e32 v27, v30, v29
	s_delay_alu instid0(VALU_DEP_2) | instskip(NEXT) | instid1(VALU_DEP_2)
	v_add_f32_e32 v23, v24, v23
	v_sub_f32_e32 v24, v26, v27
	s_delay_alu instid0(VALU_DEP_1) | instskip(NEXT) | instid1(VALU_DEP_1)
	v_add_f32_e32 v23, v23, v24
	v_add_f32_e32 v23, v30, v23
	s_wait_alu 0xf1ff
	s_delay_alu instid0(VALU_DEP_1) | instskip(SKIP_2) | instid1(VALU_DEP_1)
	v_cndmask_b32_e64 v23, 0x7f800000, v23, s1
	v_cmp_gt_f32_e64 s1, 0x33800000, |v25|
	s_wait_alu 0xf1ff
	v_cndmask_b32_e64 v23, v23, v25, s1
	s_delay_alu instid0(VALU_DEP_1) | instskip(NEXT) | instid1(VALU_DEP_1)
	v_add_f32_e32 v22, v22, v23
	v_cvt_f16_f32_e32 v24, v22
.LBB411_72:
	s_or_b32 exec_lo, exec_lo, s29
	s_delay_alu instid0(VALU_DEP_1)
	v_dual_mov_b32 v22, v24 :: v_dual_and_b32 v23, 0xffff, v24
.LBB411_73:
	s_or_b32 exec_lo, exec_lo, s28
	s_delay_alu instid0(VALU_DEP_1)
	v_mov_b32_dpp v24, v23 row_shr:8 row_mask:0xf bank_mask:0xf
	s_mov_b32 s28, exec_lo
	v_cmpx_lt_u32_e32 7, v21
	s_cbranch_execz .LBB411_77
; %bb.74:
	s_delay_alu instid0(VALU_DEP_2) | instskip(SKIP_2) | instid1(VALU_DEP_2)
	v_cvt_f32_f16_e32 v21, v24
	v_cvt_f32_f16_e32 v23, v22
	v_cmp_u_f16_e64 s1, v24, v24
	v_min_num_f32_e32 v25, v21, v23
	v_max_num_f32_e32 v26, v21, v23
	s_wait_alu 0xf1ff
	s_delay_alu instid0(VALU_DEP_2) | instskip(NEXT) | instid1(VALU_DEP_2)
	v_cndmask_b32_e64 v25, v25, v21, s1
	v_cndmask_b32_e64 v21, v26, v21, s1
	v_cmp_u_f16_e64 s1, v22, v22
	s_wait_alu 0xf1ff
	s_delay_alu instid0(VALU_DEP_1) | instskip(NEXT) | instid1(VALU_DEP_3)
	v_cndmask_b32_e64 v22, v25, v23, s1
	v_cndmask_b32_e64 v21, v21, v23, s1
	s_delay_alu instid0(VALU_DEP_2) | instskip(NEXT) | instid1(VALU_DEP_2)
	v_cmp_class_f32_e64 s29, v22, 0x1f8
	v_cmp_neq_f32_e64 s1, v22, v21
	s_or_b32 s1, s1, s29
	s_wait_alu 0xfffe
	s_and_saveexec_b32 s29, s1
	s_cbranch_execz .LBB411_76
; %bb.75:
	v_sub_f32_e32 v22, v22, v21
	s_delay_alu instid0(VALU_DEP_1) | instskip(NEXT) | instid1(VALU_DEP_1)
	v_mul_f32_e32 v23, 0x3fb8aa3b, v22
	v_fma_f32 v24, 0x3fb8aa3b, v22, -v23
	v_rndne_f32_e32 v25, v23
	s_delay_alu instid0(VALU_DEP_1) | instskip(NEXT) | instid1(VALU_DEP_1)
	v_dual_fmamk_f32 v24, v22, 0x32a5705f, v24 :: v_dual_sub_f32 v23, v23, v25
	v_add_f32_e32 v23, v23, v24
	v_cvt_i32_f32_e32 v24, v25
	v_cmp_ngt_f32_e64 s1, 0xc2ce8ed0, v22
	s_delay_alu instid0(VALU_DEP_3) | instskip(NEXT) | instid1(TRANS32_DEP_1)
	v_exp_f32_e32 v23, v23
	v_ldexp_f32 v23, v23, v24
	s_wait_alu 0xf1ff
	s_delay_alu instid0(VALU_DEP_1) | instskip(SKIP_2) | instid1(VALU_DEP_1)
	v_cndmask_b32_e64 v23, 0, v23, s1
	v_cmp_nlt_f32_e64 s1, 0x42b17218, v22
	s_wait_alu 0xf1ff
	v_cndmask_b32_e64 v24, 0x7f800000, v23, s1
	s_delay_alu instid0(VALU_DEP_1) | instskip(NEXT) | instid1(VALU_DEP_1)
	v_add_f32_e32 v25, 1.0, v24
	v_cvt_f64_f32_e32 v[22:23], v25
	s_delay_alu instid0(VALU_DEP_1) | instskip(SKIP_1) | instid1(VALU_DEP_1)
	v_frexp_exp_i32_f64_e32 v22, v[22:23]
	v_frexp_mant_f32_e32 v23, v25
	v_cmp_gt_f32_e64 s1, 0x3f2aaaab, v23
	v_add_f32_e32 v23, -1.0, v25
	s_delay_alu instid0(VALU_DEP_1) | instskip(SKIP_1) | instid1(VALU_DEP_3)
	v_sub_f32_e32 v27, v23, v25
	s_wait_alu 0xf1ff
	v_subrev_co_ci_u32_e64 v22, null, 0, v22, s1
	s_mov_b32 s1, 0x3e9b6dac
	v_sub_nc_u32_e32 v26, 0, v22
	v_cvt_f32_i32_e32 v22, v22
	s_delay_alu instid0(VALU_DEP_2) | instskip(NEXT) | instid1(VALU_DEP_1)
	v_ldexp_f32 v25, v25, v26
	v_dual_sub_f32 v23, v24, v23 :: v_dual_add_f32 v28, 1.0, v25
	v_add_f32_e32 v27, 1.0, v27
	s_delay_alu instid0(VALU_DEP_1) | instskip(NEXT) | instid1(VALU_DEP_3)
	v_add_f32_e32 v23, v23, v27
	v_add_f32_e32 v27, -1.0, v28
	s_delay_alu instid0(VALU_DEP_2) | instskip(NEXT) | instid1(VALU_DEP_2)
	v_ldexp_f32 v23, v23, v26
	v_dual_add_f32 v26, -1.0, v25 :: v_dual_sub_f32 v27, v25, v27
	s_delay_alu instid0(VALU_DEP_1) | instskip(NEXT) | instid1(VALU_DEP_2)
	v_add_f32_e32 v29, 1.0, v26
	v_add_f32_e32 v27, v23, v27
	s_delay_alu instid0(VALU_DEP_2) | instskip(NEXT) | instid1(VALU_DEP_2)
	v_sub_f32_e32 v25, v25, v29
	v_add_f32_e32 v29, v28, v27
	s_delay_alu instid0(VALU_DEP_2) | instskip(NEXT) | instid1(VALU_DEP_2)
	v_add_f32_e32 v23, v23, v25
	v_rcp_f32_e32 v25, v29
	v_sub_f32_e32 v28, v28, v29
	s_delay_alu instid0(VALU_DEP_1) | instskip(NEXT) | instid1(VALU_DEP_1)
	v_dual_add_f32 v30, v26, v23 :: v_dual_add_f32 v27, v27, v28
	v_sub_f32_e32 v26, v26, v30
	s_delay_alu instid0(TRANS32_DEP_1) | instskip(NEXT) | instid1(VALU_DEP_1)
	v_mul_f32_e32 v31, v30, v25
	v_dual_add_f32 v23, v23, v26 :: v_dual_mul_f32 v32, v29, v31
	s_delay_alu instid0(VALU_DEP_1) | instskip(NEXT) | instid1(VALU_DEP_1)
	v_fma_f32 v28, v31, v29, -v32
	v_fmac_f32_e32 v28, v31, v27
	s_delay_alu instid0(VALU_DEP_1) | instskip(NEXT) | instid1(VALU_DEP_1)
	v_add_f32_e32 v33, v32, v28
	v_sub_f32_e32 v34, v30, v33
	v_sub_f32_e32 v26, v33, v32
	s_delay_alu instid0(VALU_DEP_2) | instskip(NEXT) | instid1(VALU_DEP_2)
	v_sub_f32_e32 v30, v30, v34
	v_sub_f32_e32 v26, v26, v28
	s_delay_alu instid0(VALU_DEP_2) | instskip(NEXT) | instid1(VALU_DEP_1)
	v_sub_f32_e32 v30, v30, v33
	v_add_f32_e32 v23, v23, v30
	s_delay_alu instid0(VALU_DEP_1) | instskip(NEXT) | instid1(VALU_DEP_1)
	v_add_f32_e32 v23, v26, v23
	v_add_f32_e32 v26, v34, v23
	s_delay_alu instid0(VALU_DEP_1) | instskip(NEXT) | instid1(VALU_DEP_1)
	v_mul_f32_e32 v28, v25, v26
	v_dual_sub_f32 v33, v34, v26 :: v_dual_mul_f32 v30, v29, v28
	s_delay_alu instid0(VALU_DEP_1) | instskip(NEXT) | instid1(VALU_DEP_2)
	v_add_f32_e32 v23, v23, v33
	v_fma_f32 v29, v28, v29, -v30
	s_delay_alu instid0(VALU_DEP_1) | instskip(NEXT) | instid1(VALU_DEP_1)
	v_fmac_f32_e32 v29, v28, v27
	v_add_f32_e32 v27, v30, v29
	s_delay_alu instid0(VALU_DEP_1) | instskip(SKIP_1) | instid1(VALU_DEP_2)
	v_sub_f32_e32 v32, v26, v27
	v_sub_f32_e32 v30, v27, v30
	;; [unrolled: 1-line block ×3, first 2 shown]
	s_delay_alu instid0(VALU_DEP_1) | instskip(NEXT) | instid1(VALU_DEP_3)
	v_sub_f32_e32 v26, v26, v27
	v_sub_f32_e32 v27, v30, v29
	s_delay_alu instid0(VALU_DEP_2) | instskip(SKIP_1) | instid1(VALU_DEP_2)
	v_add_f32_e32 v23, v23, v26
	v_add_f32_e32 v26, v31, v28
	;; [unrolled: 1-line block ×3, first 2 shown]
	s_delay_alu instid0(VALU_DEP_2) | instskip(NEXT) | instid1(VALU_DEP_2)
	v_sub_f32_e32 v27, v26, v31
	v_add_f32_e32 v23, v32, v23
	s_delay_alu instid0(VALU_DEP_2) | instskip(NEXT) | instid1(VALU_DEP_2)
	v_sub_f32_e32 v27, v28, v27
	v_mul_f32_e32 v23, v25, v23
	s_delay_alu instid0(VALU_DEP_1) | instskip(NEXT) | instid1(VALU_DEP_1)
	v_add_f32_e32 v23, v27, v23
	v_add_f32_e32 v25, v26, v23
	s_delay_alu instid0(VALU_DEP_1) | instskip(SKIP_1) | instid1(VALU_DEP_1)
	v_mul_f32_e32 v27, v25, v25
	s_wait_alu 0xfffe
	v_fmaak_f32 v28, s1, v27, 0x3ecc95a3
	v_mul_f32_e32 v29, v25, v27
	v_cmp_neq_f32_e64 s1, 0x7f800000, v24
	s_delay_alu instid0(VALU_DEP_3) | instskip(SKIP_2) | instid1(VALU_DEP_3)
	v_fmaak_f32 v27, v27, v28, 0x3f2aaada
	v_ldexp_f32 v28, v25, 1
	v_sub_f32_e32 v25, v25, v26
	v_mul_f32_e32 v27, v29, v27
	v_mul_f32_e32 v29, 0x3f317218, v22
	s_delay_alu instid0(VALU_DEP_2) | instskip(NEXT) | instid1(VALU_DEP_1)
	v_dual_sub_f32 v23, v23, v25 :: v_dual_add_f32 v26, v28, v27
	v_ldexp_f32 v23, v23, 1
	s_delay_alu instid0(VALU_DEP_2) | instskip(NEXT) | instid1(VALU_DEP_4)
	v_sub_f32_e32 v25, v26, v28
	v_fma_f32 v28, 0x3f317218, v22, -v29
	s_delay_alu instid0(VALU_DEP_1) | instskip(NEXT) | instid1(VALU_DEP_1)
	v_dual_sub_f32 v25, v27, v25 :: v_dual_fmamk_f32 v22, v22, 0xb102e308, v28
	v_add_f32_e32 v23, v23, v25
	s_delay_alu instid0(VALU_DEP_2) | instskip(NEXT) | instid1(VALU_DEP_2)
	v_add_f32_e32 v25, v29, v22
	v_add_f32_e32 v27, v26, v23
	s_delay_alu instid0(VALU_DEP_2) | instskip(NEXT) | instid1(VALU_DEP_2)
	v_sub_f32_e32 v29, v25, v29
	v_add_f32_e32 v28, v25, v27
	v_sub_f32_e32 v26, v27, v26
	s_delay_alu instid0(VALU_DEP_3) | instskip(NEXT) | instid1(VALU_DEP_2)
	v_sub_f32_e32 v22, v22, v29
	v_dual_sub_f32 v30, v28, v25 :: v_dual_sub_f32 v23, v23, v26
	s_delay_alu instid0(VALU_DEP_1) | instskip(NEXT) | instid1(VALU_DEP_2)
	v_sub_f32_e32 v31, v28, v30
	v_dual_sub_f32 v26, v27, v30 :: v_dual_add_f32 v27, v22, v23
	s_delay_alu instid0(VALU_DEP_2) | instskip(NEXT) | instid1(VALU_DEP_1)
	v_sub_f32_e32 v25, v25, v31
	v_dual_add_f32 v25, v26, v25 :: v_dual_sub_f32 v26, v27, v22
	s_delay_alu instid0(VALU_DEP_1) | instskip(NEXT) | instid1(VALU_DEP_2)
	v_add_f32_e32 v25, v27, v25
	v_sub_f32_e32 v27, v27, v26
	v_sub_f32_e32 v23, v23, v26
	s_delay_alu instid0(VALU_DEP_2) | instskip(NEXT) | instid1(VALU_DEP_1)
	v_dual_add_f32 v29, v28, v25 :: v_dual_sub_f32 v22, v22, v27
	v_sub_f32_e32 v26, v29, v28
	s_delay_alu instid0(VALU_DEP_2) | instskip(NEXT) | instid1(VALU_DEP_2)
	v_add_f32_e32 v22, v23, v22
	v_sub_f32_e32 v23, v25, v26
	s_delay_alu instid0(VALU_DEP_1) | instskip(NEXT) | instid1(VALU_DEP_1)
	v_add_f32_e32 v22, v22, v23
	v_add_f32_e32 v22, v29, v22
	s_wait_alu 0xf1ff
	s_delay_alu instid0(VALU_DEP_1) | instskip(SKIP_2) | instid1(VALU_DEP_1)
	v_cndmask_b32_e64 v22, 0x7f800000, v22, s1
	v_cmp_gt_f32_e64 s1, 0x33800000, |v24|
	s_wait_alu 0xf1ff
	v_cndmask_b32_e64 v22, v22, v24, s1
	s_delay_alu instid0(VALU_DEP_1) | instskip(NEXT) | instid1(VALU_DEP_1)
	v_add_f32_e32 v21, v21, v22
	v_cvt_f16_f32_e32 v24, v21
.LBB411_76:
	s_or_b32 exec_lo, exec_lo, s29
	s_delay_alu instid0(VALU_DEP_1)
	v_dual_mov_b32 v22, v24 :: v_dual_and_b32 v23, 0xffff, v24
.LBB411_77:
	s_or_b32 exec_lo, exec_lo, s28
	ds_swizzle_b32 v23, v23 offset:swizzle(BROADCAST,32,15)
	v_and_b32_e32 v21, 16, v20
	s_mov_b32 s28, exec_lo
	s_delay_alu instid0(VALU_DEP_1)
	v_cmpx_ne_u32_e32 0, v21
	s_cbranch_execz .LBB411_81
; %bb.78:
	s_wait_dscnt 0x0
	v_cvt_f32_f16_e32 v21, v23
	v_cvt_f32_f16_e32 v24, v22
	v_cmp_u_f16_e64 s1, v23, v23
	s_delay_alu instid0(VALU_DEP_2) | instskip(SKIP_2) | instid1(VALU_DEP_2)
	v_min_num_f32_e32 v25, v21, v24
	v_max_num_f32_e32 v26, v21, v24
	s_wait_alu 0xf1ff
	v_cndmask_b32_e64 v25, v25, v21, s1
	s_delay_alu instid0(VALU_DEP_2) | instskip(SKIP_2) | instid1(VALU_DEP_1)
	v_cndmask_b32_e64 v21, v26, v21, s1
	v_cmp_u_f16_e64 s1, v22, v22
	s_wait_alu 0xf1ff
	v_cndmask_b32_e64 v22, v25, v24, s1
	s_delay_alu instid0(VALU_DEP_3) | instskip(NEXT) | instid1(VALU_DEP_2)
	v_cndmask_b32_e64 v21, v21, v24, s1
	v_cmp_class_f32_e64 s29, v22, 0x1f8
	s_delay_alu instid0(VALU_DEP_2)
	v_cmp_neq_f32_e64 s1, v22, v21
	s_or_b32 s1, s1, s29
	s_wait_alu 0xfffe
	s_and_saveexec_b32 s29, s1
	s_cbranch_execz .LBB411_80
; %bb.79:
	v_sub_f32_e32 v22, v22, v21
	s_delay_alu instid0(VALU_DEP_1) | instskip(NEXT) | instid1(VALU_DEP_1)
	v_mul_f32_e32 v23, 0x3fb8aa3b, v22
	v_fma_f32 v24, 0x3fb8aa3b, v22, -v23
	v_rndne_f32_e32 v25, v23
	s_delay_alu instid0(VALU_DEP_1) | instskip(NEXT) | instid1(VALU_DEP_1)
	v_dual_fmamk_f32 v24, v22, 0x32a5705f, v24 :: v_dual_sub_f32 v23, v23, v25
	v_add_f32_e32 v23, v23, v24
	v_cvt_i32_f32_e32 v24, v25
	v_cmp_ngt_f32_e64 s1, 0xc2ce8ed0, v22
	s_delay_alu instid0(VALU_DEP_3) | instskip(NEXT) | instid1(TRANS32_DEP_1)
	v_exp_f32_e32 v23, v23
	v_ldexp_f32 v23, v23, v24
	s_wait_alu 0xf1ff
	s_delay_alu instid0(VALU_DEP_1) | instskip(SKIP_2) | instid1(VALU_DEP_1)
	v_cndmask_b32_e64 v23, 0, v23, s1
	v_cmp_nlt_f32_e64 s1, 0x42b17218, v22
	s_wait_alu 0xf1ff
	v_cndmask_b32_e64 v24, 0x7f800000, v23, s1
	s_delay_alu instid0(VALU_DEP_1) | instskip(NEXT) | instid1(VALU_DEP_1)
	v_add_f32_e32 v25, 1.0, v24
	v_cvt_f64_f32_e32 v[22:23], v25
	s_delay_alu instid0(VALU_DEP_1) | instskip(SKIP_1) | instid1(VALU_DEP_1)
	v_frexp_exp_i32_f64_e32 v22, v[22:23]
	v_frexp_mant_f32_e32 v23, v25
	v_cmp_gt_f32_e64 s1, 0x3f2aaaab, v23
	v_add_f32_e32 v23, -1.0, v25
	s_delay_alu instid0(VALU_DEP_1) | instskip(SKIP_1) | instid1(VALU_DEP_3)
	v_sub_f32_e32 v27, v23, v25
	s_wait_alu 0xf1ff
	v_subrev_co_ci_u32_e64 v22, null, 0, v22, s1
	s_mov_b32 s1, 0x3e9b6dac
	v_sub_nc_u32_e32 v26, 0, v22
	v_cvt_f32_i32_e32 v22, v22
	s_delay_alu instid0(VALU_DEP_2) | instskip(NEXT) | instid1(VALU_DEP_1)
	v_ldexp_f32 v25, v25, v26
	v_dual_sub_f32 v23, v24, v23 :: v_dual_add_f32 v28, 1.0, v25
	v_add_f32_e32 v27, 1.0, v27
	s_delay_alu instid0(VALU_DEP_1) | instskip(NEXT) | instid1(VALU_DEP_3)
	v_add_f32_e32 v23, v23, v27
	v_add_f32_e32 v27, -1.0, v28
	s_delay_alu instid0(VALU_DEP_2) | instskip(NEXT) | instid1(VALU_DEP_2)
	v_ldexp_f32 v23, v23, v26
	v_dual_add_f32 v26, -1.0, v25 :: v_dual_sub_f32 v27, v25, v27
	s_delay_alu instid0(VALU_DEP_1) | instskip(NEXT) | instid1(VALU_DEP_2)
	v_add_f32_e32 v29, 1.0, v26
	v_add_f32_e32 v27, v23, v27
	s_delay_alu instid0(VALU_DEP_2) | instskip(NEXT) | instid1(VALU_DEP_2)
	v_sub_f32_e32 v25, v25, v29
	v_add_f32_e32 v29, v28, v27
	s_delay_alu instid0(VALU_DEP_2) | instskip(NEXT) | instid1(VALU_DEP_2)
	v_add_f32_e32 v23, v23, v25
	v_rcp_f32_e32 v25, v29
	v_sub_f32_e32 v28, v28, v29
	s_delay_alu instid0(VALU_DEP_1) | instskip(NEXT) | instid1(VALU_DEP_1)
	v_dual_add_f32 v30, v26, v23 :: v_dual_add_f32 v27, v27, v28
	v_sub_f32_e32 v26, v26, v30
	s_delay_alu instid0(TRANS32_DEP_1) | instskip(NEXT) | instid1(VALU_DEP_1)
	v_mul_f32_e32 v31, v30, v25
	v_dual_add_f32 v23, v23, v26 :: v_dual_mul_f32 v32, v29, v31
	s_delay_alu instid0(VALU_DEP_1) | instskip(NEXT) | instid1(VALU_DEP_1)
	v_fma_f32 v28, v31, v29, -v32
	v_fmac_f32_e32 v28, v31, v27
	s_delay_alu instid0(VALU_DEP_1) | instskip(NEXT) | instid1(VALU_DEP_1)
	v_add_f32_e32 v33, v32, v28
	v_sub_f32_e32 v34, v30, v33
	v_sub_f32_e32 v26, v33, v32
	s_delay_alu instid0(VALU_DEP_2) | instskip(NEXT) | instid1(VALU_DEP_2)
	v_sub_f32_e32 v30, v30, v34
	v_sub_f32_e32 v26, v26, v28
	s_delay_alu instid0(VALU_DEP_2) | instskip(NEXT) | instid1(VALU_DEP_1)
	v_sub_f32_e32 v30, v30, v33
	v_add_f32_e32 v23, v23, v30
	s_delay_alu instid0(VALU_DEP_1) | instskip(NEXT) | instid1(VALU_DEP_1)
	v_add_f32_e32 v23, v26, v23
	v_add_f32_e32 v26, v34, v23
	s_delay_alu instid0(VALU_DEP_1) | instskip(NEXT) | instid1(VALU_DEP_1)
	v_mul_f32_e32 v28, v25, v26
	v_dual_sub_f32 v33, v34, v26 :: v_dual_mul_f32 v30, v29, v28
	s_delay_alu instid0(VALU_DEP_1) | instskip(NEXT) | instid1(VALU_DEP_2)
	v_add_f32_e32 v23, v23, v33
	v_fma_f32 v29, v28, v29, -v30
	s_delay_alu instid0(VALU_DEP_1) | instskip(NEXT) | instid1(VALU_DEP_1)
	v_fmac_f32_e32 v29, v28, v27
	v_add_f32_e32 v27, v30, v29
	s_delay_alu instid0(VALU_DEP_1) | instskip(SKIP_1) | instid1(VALU_DEP_2)
	v_sub_f32_e32 v32, v26, v27
	v_sub_f32_e32 v30, v27, v30
	;; [unrolled: 1-line block ×3, first 2 shown]
	s_delay_alu instid0(VALU_DEP_1) | instskip(NEXT) | instid1(VALU_DEP_3)
	v_sub_f32_e32 v26, v26, v27
	v_sub_f32_e32 v27, v30, v29
	s_delay_alu instid0(VALU_DEP_2) | instskip(SKIP_1) | instid1(VALU_DEP_2)
	v_add_f32_e32 v23, v23, v26
	v_add_f32_e32 v26, v31, v28
	;; [unrolled: 1-line block ×3, first 2 shown]
	s_delay_alu instid0(VALU_DEP_2) | instskip(NEXT) | instid1(VALU_DEP_2)
	v_sub_f32_e32 v27, v26, v31
	v_add_f32_e32 v23, v32, v23
	s_delay_alu instid0(VALU_DEP_2) | instskip(NEXT) | instid1(VALU_DEP_2)
	v_sub_f32_e32 v27, v28, v27
	v_mul_f32_e32 v23, v25, v23
	s_delay_alu instid0(VALU_DEP_1) | instskip(NEXT) | instid1(VALU_DEP_1)
	v_add_f32_e32 v23, v27, v23
	v_add_f32_e32 v25, v26, v23
	s_delay_alu instid0(VALU_DEP_1) | instskip(SKIP_1) | instid1(VALU_DEP_1)
	v_mul_f32_e32 v27, v25, v25
	s_wait_alu 0xfffe
	v_fmaak_f32 v28, s1, v27, 0x3ecc95a3
	v_mul_f32_e32 v29, v25, v27
	v_cmp_neq_f32_e64 s1, 0x7f800000, v24
	s_delay_alu instid0(VALU_DEP_3) | instskip(SKIP_2) | instid1(VALU_DEP_3)
	v_fmaak_f32 v27, v27, v28, 0x3f2aaada
	v_ldexp_f32 v28, v25, 1
	v_sub_f32_e32 v25, v25, v26
	v_mul_f32_e32 v27, v29, v27
	v_mul_f32_e32 v29, 0x3f317218, v22
	s_delay_alu instid0(VALU_DEP_2) | instskip(NEXT) | instid1(VALU_DEP_1)
	v_dual_sub_f32 v23, v23, v25 :: v_dual_add_f32 v26, v28, v27
	v_ldexp_f32 v23, v23, 1
	s_delay_alu instid0(VALU_DEP_2) | instskip(NEXT) | instid1(VALU_DEP_4)
	v_sub_f32_e32 v25, v26, v28
	v_fma_f32 v28, 0x3f317218, v22, -v29
	s_delay_alu instid0(VALU_DEP_1) | instskip(NEXT) | instid1(VALU_DEP_1)
	v_dual_sub_f32 v25, v27, v25 :: v_dual_fmamk_f32 v22, v22, 0xb102e308, v28
	v_add_f32_e32 v23, v23, v25
	s_delay_alu instid0(VALU_DEP_2) | instskip(NEXT) | instid1(VALU_DEP_2)
	v_add_f32_e32 v25, v29, v22
	v_add_f32_e32 v27, v26, v23
	s_delay_alu instid0(VALU_DEP_2) | instskip(NEXT) | instid1(VALU_DEP_2)
	v_sub_f32_e32 v29, v25, v29
	v_add_f32_e32 v28, v25, v27
	v_sub_f32_e32 v26, v27, v26
	s_delay_alu instid0(VALU_DEP_3) | instskip(NEXT) | instid1(VALU_DEP_2)
	v_sub_f32_e32 v22, v22, v29
	v_dual_sub_f32 v30, v28, v25 :: v_dual_sub_f32 v23, v23, v26
	s_delay_alu instid0(VALU_DEP_1) | instskip(NEXT) | instid1(VALU_DEP_2)
	v_sub_f32_e32 v31, v28, v30
	v_dual_sub_f32 v26, v27, v30 :: v_dual_add_f32 v27, v22, v23
	s_delay_alu instid0(VALU_DEP_2) | instskip(NEXT) | instid1(VALU_DEP_1)
	v_sub_f32_e32 v25, v25, v31
	v_dual_add_f32 v25, v26, v25 :: v_dual_sub_f32 v26, v27, v22
	s_delay_alu instid0(VALU_DEP_1) | instskip(NEXT) | instid1(VALU_DEP_2)
	v_add_f32_e32 v25, v27, v25
	v_sub_f32_e32 v27, v27, v26
	v_sub_f32_e32 v23, v23, v26
	s_delay_alu instid0(VALU_DEP_2) | instskip(NEXT) | instid1(VALU_DEP_1)
	v_dual_add_f32 v29, v28, v25 :: v_dual_sub_f32 v22, v22, v27
	v_sub_f32_e32 v26, v29, v28
	s_delay_alu instid0(VALU_DEP_2) | instskip(NEXT) | instid1(VALU_DEP_2)
	v_add_f32_e32 v22, v23, v22
	v_sub_f32_e32 v23, v25, v26
	s_delay_alu instid0(VALU_DEP_1) | instskip(NEXT) | instid1(VALU_DEP_1)
	v_add_f32_e32 v22, v22, v23
	v_add_f32_e32 v22, v29, v22
	s_wait_alu 0xf1ff
	s_delay_alu instid0(VALU_DEP_1) | instskip(SKIP_2) | instid1(VALU_DEP_1)
	v_cndmask_b32_e64 v22, 0x7f800000, v22, s1
	v_cmp_gt_f32_e64 s1, 0x33800000, |v24|
	s_wait_alu 0xf1ff
	v_cndmask_b32_e64 v22, v22, v24, s1
	s_delay_alu instid0(VALU_DEP_1) | instskip(NEXT) | instid1(VALU_DEP_1)
	v_add_f32_e32 v21, v21, v22
	v_cvt_f16_f32_e32 v23, v21
.LBB411_80:
	s_or_b32 exec_lo, exec_lo, s29
	s_delay_alu instid0(VALU_DEP_1)
	v_mov_b32_e32 v22, v23
.LBB411_81:
	s_or_b32 exec_lo, exec_lo, s28
	v_add_nc_u32_e32 v21, -1, v20
	s_delay_alu instid0(VALU_DEP_1) | instskip(SKIP_1) | instid1(VALU_DEP_1)
	v_cmp_gt_i32_e64 s1, 0, v21
	s_wait_alu 0xf1ff
	v_cndmask_b32_e64 v20, v21, v20, s1
	v_and_b32_e32 v21, 0xffff, v22
	s_delay_alu instid0(VALU_DEP_2)
	v_lshlrev_b32_e32 v20, 2, v20
	ds_bpermute_b32 v20, v20, v21
	v_max_num_f32_e32 v21, v19, v19
	s_wait_dscnt 0x0
	v_cvt_f32_f16_e32 v22, v20
	v_cmp_u_f16_e64 s1, v20, v20
	s_delay_alu instid0(VALU_DEP_2) | instskip(SKIP_2) | instid1(VALU_DEP_2)
	v_min_num_f32_e32 v23, v22, v21
	v_max_num_f32_e32 v21, v22, v21
	s_wait_alu 0xf1ff
	v_cndmask_b32_e64 v23, v23, v22, s1
	s_delay_alu instid0(VALU_DEP_2) | instskip(NEXT) | instid1(VALU_DEP_2)
	v_cndmask_b32_e64 v22, v21, v22, s1
	v_cndmask_b32_e64 v21, v23, v19, s0
	s_delay_alu instid0(VALU_DEP_2) | instskip(NEXT) | instid1(VALU_DEP_2)
	v_cndmask_b32_e64 v19, v22, v19, s0
	v_cmp_class_f32_e64 s1, v21, 0x1f8
	s_delay_alu instid0(VALU_DEP_2)
	v_cmp_neq_f32_e64 s0, v21, v19
	s_or_b32 s0, s0, s1
	s_wait_alu 0xfffe
	s_and_saveexec_b32 s1, s0
	s_cbranch_execz .LBB411_83
; %bb.82:
	v_sub_f32_e32 v20, v21, v19
	s_delay_alu instid0(VALU_DEP_1) | instskip(SKIP_1) | instid1(VALU_DEP_2)
	v_mul_f32_e32 v21, 0x3fb8aa3b, v20
	v_cmp_ngt_f32_e64 s0, 0xc2ce8ed0, v20
	v_fma_f32 v22, 0x3fb8aa3b, v20, -v21
	v_rndne_f32_e32 v23, v21
	s_delay_alu instid0(VALU_DEP_1) | instskip(NEXT) | instid1(VALU_DEP_1)
	v_dual_fmamk_f32 v22, v20, 0x32a5705f, v22 :: v_dual_sub_f32 v21, v21, v23
	v_add_f32_e32 v21, v21, v22
	v_cvt_i32_f32_e32 v22, v23
	s_delay_alu instid0(VALU_DEP_2) | instskip(NEXT) | instid1(TRANS32_DEP_1)
	v_exp_f32_e32 v21, v21
	v_ldexp_f32 v21, v21, v22
	s_wait_alu 0xf1ff
	s_delay_alu instid0(VALU_DEP_1) | instskip(SKIP_2) | instid1(VALU_DEP_1)
	v_cndmask_b32_e64 v21, 0, v21, s0
	v_cmp_nlt_f32_e64 s0, 0x42b17218, v20
	s_wait_alu 0xf1ff
	v_cndmask_b32_e64 v22, 0x7f800000, v21, s0
	s_delay_alu instid0(VALU_DEP_1) | instskip(NEXT) | instid1(VALU_DEP_1)
	v_add_f32_e32 v23, 1.0, v22
	v_cvt_f64_f32_e32 v[20:21], v23
	s_delay_alu instid0(VALU_DEP_1) | instskip(SKIP_1) | instid1(VALU_DEP_1)
	v_frexp_exp_i32_f64_e32 v20, v[20:21]
	v_frexp_mant_f32_e32 v21, v23
	v_cmp_gt_f32_e64 s0, 0x3f2aaaab, v21
	v_add_f32_e32 v21, -1.0, v23
	s_delay_alu instid0(VALU_DEP_1)
	v_sub_f32_e32 v25, v21, v23
	v_sub_f32_e32 v21, v22, v21
	s_wait_alu 0xf1ff
	v_subrev_co_ci_u32_e64 v20, null, 0, v20, s0
	s_mov_b32 s0, 0x3e9b6dac
	v_sub_nc_u32_e32 v24, 0, v20
	v_cvt_f32_i32_e32 v20, v20
	s_delay_alu instid0(VALU_DEP_2) | instskip(NEXT) | instid1(VALU_DEP_1)
	v_ldexp_f32 v23, v23, v24
	v_dual_add_f32 v26, 1.0, v23 :: v_dual_add_f32 v25, 1.0, v25
	s_delay_alu instid0(VALU_DEP_1) | instskip(NEXT) | instid1(VALU_DEP_2)
	v_add_f32_e32 v21, v21, v25
	v_add_f32_e32 v25, -1.0, v26
	s_delay_alu instid0(VALU_DEP_2) | instskip(NEXT) | instid1(VALU_DEP_2)
	v_ldexp_f32 v21, v21, v24
	v_dual_add_f32 v24, -1.0, v23 :: v_dual_sub_f32 v25, v23, v25
	s_delay_alu instid0(VALU_DEP_1) | instskip(NEXT) | instid1(VALU_DEP_2)
	v_add_f32_e32 v27, 1.0, v24
	v_add_f32_e32 v25, v21, v25
	s_delay_alu instid0(VALU_DEP_2) | instskip(NEXT) | instid1(VALU_DEP_2)
	v_sub_f32_e32 v23, v23, v27
	v_add_f32_e32 v27, v26, v25
	s_delay_alu instid0(VALU_DEP_2) | instskip(NEXT) | instid1(VALU_DEP_2)
	v_add_f32_e32 v21, v21, v23
	v_rcp_f32_e32 v23, v27
	v_sub_f32_e32 v26, v26, v27
	s_delay_alu instid0(VALU_DEP_1) | instskip(NEXT) | instid1(VALU_DEP_1)
	v_dual_add_f32 v28, v24, v21 :: v_dual_add_f32 v25, v25, v26
	v_sub_f32_e32 v24, v24, v28
	s_delay_alu instid0(TRANS32_DEP_1) | instskip(NEXT) | instid1(VALU_DEP_1)
	v_mul_f32_e32 v29, v28, v23
	v_dual_add_f32 v21, v21, v24 :: v_dual_mul_f32 v30, v27, v29
	s_delay_alu instid0(VALU_DEP_1) | instskip(NEXT) | instid1(VALU_DEP_1)
	v_fma_f32 v26, v29, v27, -v30
	v_fmac_f32_e32 v26, v29, v25
	s_delay_alu instid0(VALU_DEP_1) | instskip(NEXT) | instid1(VALU_DEP_1)
	v_add_f32_e32 v31, v30, v26
	v_sub_f32_e32 v32, v28, v31
	v_sub_f32_e32 v24, v31, v30
	s_delay_alu instid0(VALU_DEP_2) | instskip(NEXT) | instid1(VALU_DEP_2)
	v_sub_f32_e32 v28, v28, v32
	v_sub_f32_e32 v24, v24, v26
	s_delay_alu instid0(VALU_DEP_2) | instskip(NEXT) | instid1(VALU_DEP_1)
	v_sub_f32_e32 v28, v28, v31
	v_add_f32_e32 v21, v21, v28
	s_delay_alu instid0(VALU_DEP_1) | instskip(NEXT) | instid1(VALU_DEP_1)
	v_add_f32_e32 v21, v24, v21
	v_add_f32_e32 v24, v32, v21
	s_delay_alu instid0(VALU_DEP_1) | instskip(NEXT) | instid1(VALU_DEP_1)
	v_mul_f32_e32 v26, v23, v24
	v_dual_sub_f32 v31, v32, v24 :: v_dual_mul_f32 v28, v27, v26
	s_delay_alu instid0(VALU_DEP_1) | instskip(NEXT) | instid1(VALU_DEP_2)
	v_add_f32_e32 v21, v21, v31
	v_fma_f32 v27, v26, v27, -v28
	s_delay_alu instid0(VALU_DEP_1) | instskip(NEXT) | instid1(VALU_DEP_1)
	v_fmac_f32_e32 v27, v26, v25
	v_add_f32_e32 v25, v28, v27
	s_delay_alu instid0(VALU_DEP_1) | instskip(SKIP_1) | instid1(VALU_DEP_2)
	v_sub_f32_e32 v30, v24, v25
	v_sub_f32_e32 v28, v25, v28
	;; [unrolled: 1-line block ×3, first 2 shown]
	s_delay_alu instid0(VALU_DEP_1) | instskip(NEXT) | instid1(VALU_DEP_3)
	v_sub_f32_e32 v24, v24, v25
	v_sub_f32_e32 v25, v28, v27
	s_delay_alu instid0(VALU_DEP_2) | instskip(SKIP_1) | instid1(VALU_DEP_2)
	v_add_f32_e32 v21, v21, v24
	v_add_f32_e32 v24, v29, v26
	;; [unrolled: 1-line block ×3, first 2 shown]
	s_delay_alu instid0(VALU_DEP_2) | instskip(NEXT) | instid1(VALU_DEP_2)
	v_sub_f32_e32 v25, v24, v29
	v_add_f32_e32 v21, v30, v21
	s_delay_alu instid0(VALU_DEP_2) | instskip(NEXT) | instid1(VALU_DEP_2)
	v_sub_f32_e32 v25, v26, v25
	v_mul_f32_e32 v21, v23, v21
	s_delay_alu instid0(VALU_DEP_1) | instskip(NEXT) | instid1(VALU_DEP_1)
	v_add_f32_e32 v21, v25, v21
	v_add_f32_e32 v23, v24, v21
	s_delay_alu instid0(VALU_DEP_1) | instskip(SKIP_1) | instid1(VALU_DEP_1)
	v_mul_f32_e32 v25, v23, v23
	s_wait_alu 0xfffe
	v_fmaak_f32 v26, s0, v25, 0x3ecc95a3
	v_mul_f32_e32 v27, v23, v25
	v_cmp_neq_f32_e64 s0, 0x7f800000, v22
	s_delay_alu instid0(VALU_DEP_3) | instskip(SKIP_2) | instid1(VALU_DEP_3)
	v_fmaak_f32 v25, v25, v26, 0x3f2aaada
	v_ldexp_f32 v26, v23, 1
	v_sub_f32_e32 v23, v23, v24
	v_mul_f32_e32 v25, v27, v25
	v_mul_f32_e32 v27, 0x3f317218, v20
	s_delay_alu instid0(VALU_DEP_2) | instskip(NEXT) | instid1(VALU_DEP_1)
	v_dual_sub_f32 v21, v21, v23 :: v_dual_add_f32 v24, v26, v25
	v_ldexp_f32 v21, v21, 1
	s_delay_alu instid0(VALU_DEP_2) | instskip(NEXT) | instid1(VALU_DEP_4)
	v_sub_f32_e32 v23, v24, v26
	v_fma_f32 v26, 0x3f317218, v20, -v27
	s_delay_alu instid0(VALU_DEP_1) | instskip(NEXT) | instid1(VALU_DEP_1)
	v_dual_sub_f32 v23, v25, v23 :: v_dual_fmamk_f32 v20, v20, 0xb102e308, v26
	v_add_f32_e32 v21, v21, v23
	s_delay_alu instid0(VALU_DEP_2) | instskip(NEXT) | instid1(VALU_DEP_2)
	v_add_f32_e32 v23, v27, v20
	v_add_f32_e32 v25, v24, v21
	s_delay_alu instid0(VALU_DEP_2) | instskip(NEXT) | instid1(VALU_DEP_2)
	v_sub_f32_e32 v27, v23, v27
	v_add_f32_e32 v26, v23, v25
	v_sub_f32_e32 v24, v25, v24
	s_delay_alu instid0(VALU_DEP_3) | instskip(NEXT) | instid1(VALU_DEP_2)
	v_sub_f32_e32 v20, v20, v27
	v_dual_sub_f32 v28, v26, v23 :: v_dual_sub_f32 v21, v21, v24
	s_delay_alu instid0(VALU_DEP_1) | instskip(NEXT) | instid1(VALU_DEP_2)
	v_sub_f32_e32 v29, v26, v28
	v_dual_sub_f32 v24, v25, v28 :: v_dual_add_f32 v25, v20, v21
	s_delay_alu instid0(VALU_DEP_2) | instskip(NEXT) | instid1(VALU_DEP_1)
	v_sub_f32_e32 v23, v23, v29
	v_dual_add_f32 v23, v24, v23 :: v_dual_sub_f32 v24, v25, v20
	s_delay_alu instid0(VALU_DEP_1) | instskip(NEXT) | instid1(VALU_DEP_2)
	v_add_f32_e32 v23, v25, v23
	v_sub_f32_e32 v25, v25, v24
	v_sub_f32_e32 v21, v21, v24
	s_delay_alu instid0(VALU_DEP_2) | instskip(NEXT) | instid1(VALU_DEP_1)
	v_dual_add_f32 v27, v26, v23 :: v_dual_sub_f32 v20, v20, v25
	v_sub_f32_e32 v24, v27, v26
	s_delay_alu instid0(VALU_DEP_2) | instskip(NEXT) | instid1(VALU_DEP_2)
	v_add_f32_e32 v20, v21, v20
	v_sub_f32_e32 v21, v23, v24
	s_delay_alu instid0(VALU_DEP_1) | instskip(NEXT) | instid1(VALU_DEP_1)
	v_add_f32_e32 v20, v20, v21
	v_add_f32_e32 v20, v27, v20
	s_wait_alu 0xf1ff
	s_delay_alu instid0(VALU_DEP_1) | instskip(SKIP_2) | instid1(VALU_DEP_1)
	v_cndmask_b32_e64 v20, 0x7f800000, v20, s0
	v_cmp_gt_f32_e64 s0, 0x33800000, |v22|
	s_wait_alu 0xf1ff
	v_cndmask_b32_e64 v20, v20, v22, s0
	s_delay_alu instid0(VALU_DEP_1) | instskip(NEXT) | instid1(VALU_DEP_1)
	v_add_f32_e32 v19, v19, v20
	v_cvt_f16_f32_e32 v20, v19
.LBB411_83:
	s_wait_alu 0xfffe
	s_or_b32 exec_lo, exec_lo, s1
	v_cmp_eq_u32_e64 s0, 0, v0
	; wave barrier
	s_wait_alu 0xf1ff
	s_delay_alu instid0(VALU_DEP_1)
	v_cndmask_b32_e64 v18, v20, v18, s0
	ds_store_b16 v17, v18
	; wave barrier
	ds_load_u16 v20, v17 offset:2
	v_cvt_f32_f16_e32 v19, v18
	v_cmp_u_f16_e64 s0, v18, v18
	s_wait_dscnt 0x0
	v_cvt_f32_f16_e32 v22, v20
	s_delay_alu instid0(VALU_DEP_1) | instskip(SKIP_2) | instid1(VALU_DEP_2)
	v_min_num_f32_e32 v21, v19, v22
	v_max_num_f32_e32 v23, v19, v22
	s_wait_alu 0xf1ff
	v_cndmask_b32_e64 v21, v21, v19, s0
	s_delay_alu instid0(VALU_DEP_2) | instskip(SKIP_2) | instid1(VALU_DEP_1)
	v_cndmask_b32_e64 v23, v23, v19, s0
	v_cmp_u_f16_e64 s0, v20, v20
	s_wait_alu 0xf1ff
	v_cndmask_b32_e64 v21, v21, v22, s0
	s_delay_alu instid0(VALU_DEP_3) | instskip(NEXT) | instid1(VALU_DEP_2)
	v_cndmask_b32_e64 v20, v23, v22, s0
	v_cmp_class_f32_e64 s1, v21, 0x1f8
	s_delay_alu instid0(VALU_DEP_2)
	v_cmp_neq_f32_e64 s0, v21, v20
	s_or_b32 s0, s0, s1
	s_wait_alu 0xfffe
	s_and_saveexec_b32 s1, s0
	s_cbranch_execz .LBB411_85
; %bb.84:
	v_sub_f32_e32 v18, v21, v20
	s_delay_alu instid0(VALU_DEP_1) | instskip(NEXT) | instid1(VALU_DEP_1)
	v_mul_f32_e32 v19, 0x3fb8aa3b, v18
	v_fma_f32 v21, 0x3fb8aa3b, v18, -v19
	v_rndne_f32_e32 v22, v19
	s_delay_alu instid0(VALU_DEP_1) | instskip(NEXT) | instid1(VALU_DEP_3)
	v_sub_f32_e32 v19, v19, v22
	v_fmamk_f32 v21, v18, 0x32a5705f, v21
	v_cmp_ngt_f32_e64 s0, 0xc2ce8ed0, v18
	s_delay_alu instid0(VALU_DEP_2) | instskip(SKIP_1) | instid1(VALU_DEP_2)
	v_add_f32_e32 v19, v19, v21
	v_cvt_i32_f32_e32 v21, v22
	v_exp_f32_e32 v19, v19
	s_delay_alu instid0(TRANS32_DEP_1) | instskip(SKIP_1) | instid1(VALU_DEP_1)
	v_ldexp_f32 v19, v19, v21
	s_wait_alu 0xf1ff
	v_cndmask_b32_e64 v19, 0, v19, s0
	v_cmp_nlt_f32_e64 s0, 0x42b17218, v18
	s_wait_alu 0xf1ff
	s_delay_alu instid0(VALU_DEP_1) | instskip(NEXT) | instid1(VALU_DEP_1)
	v_cndmask_b32_e64 v21, 0x7f800000, v19, s0
	v_add_f32_e32 v22, 1.0, v21
	s_delay_alu instid0(VALU_DEP_1) | instskip(NEXT) | instid1(VALU_DEP_1)
	v_cvt_f64_f32_e32 v[18:19], v22
	v_frexp_exp_i32_f64_e32 v18, v[18:19]
	v_frexp_mant_f32_e32 v19, v22
	s_delay_alu instid0(VALU_DEP_1) | instskip(SKIP_1) | instid1(VALU_DEP_1)
	v_cmp_gt_f32_e64 s0, 0x3f2aaaab, v19
	v_add_f32_e32 v19, -1.0, v22
	v_sub_f32_e32 v24, v19, v22
	s_delay_alu instid0(VALU_DEP_1)
	v_add_f32_e32 v24, 1.0, v24
	s_wait_alu 0xf1ff
	v_subrev_co_ci_u32_e64 v18, null, 0, v18, s0
	s_mov_b32 s0, 0x3e9b6dac
	v_sub_nc_u32_e32 v23, 0, v18
	v_cvt_f32_i32_e32 v18, v18
	s_delay_alu instid0(VALU_DEP_2) | instskip(SKIP_1) | instid1(VALU_DEP_1)
	v_ldexp_f32 v22, v22, v23
	v_sub_f32_e32 v19, v21, v19
	v_add_f32_e32 v19, v19, v24
	s_delay_alu instid0(VALU_DEP_1) | instskip(NEXT) | instid1(VALU_DEP_4)
	v_ldexp_f32 v19, v19, v23
	v_add_f32_e32 v23, -1.0, v22
	s_delay_alu instid0(VALU_DEP_1) | instskip(NEXT) | instid1(VALU_DEP_1)
	v_dual_add_f32 v25, 1.0, v22 :: v_dual_add_f32 v26, 1.0, v23
	v_add_f32_e32 v24, -1.0, v25
	s_delay_alu instid0(VALU_DEP_1) | instskip(NEXT) | instid1(VALU_DEP_3)
	v_sub_f32_e32 v24, v22, v24
	v_sub_f32_e32 v22, v22, v26
	s_delay_alu instid0(VALU_DEP_2) | instskip(NEXT) | instid1(VALU_DEP_1)
	v_add_f32_e32 v24, v19, v24
	v_dual_add_f32 v19, v19, v22 :: v_dual_add_f32 v26, v25, v24
	s_delay_alu instid0(VALU_DEP_1) | instskip(SKIP_1) | instid1(VALU_DEP_1)
	v_rcp_f32_e32 v22, v26
	v_sub_f32_e32 v25, v25, v26
	v_dual_add_f32 v27, v23, v19 :: v_dual_add_f32 v24, v24, v25
	s_delay_alu instid0(VALU_DEP_1) | instskip(NEXT) | instid1(TRANS32_DEP_1)
	v_sub_f32_e32 v23, v23, v27
	v_mul_f32_e32 v28, v27, v22
	s_delay_alu instid0(VALU_DEP_2) | instskip(NEXT) | instid1(VALU_DEP_2)
	v_add_f32_e32 v19, v19, v23
	v_mul_f32_e32 v29, v26, v28
	s_delay_alu instid0(VALU_DEP_1) | instskip(NEXT) | instid1(VALU_DEP_1)
	v_fma_f32 v25, v28, v26, -v29
	v_fmac_f32_e32 v25, v28, v24
	s_delay_alu instid0(VALU_DEP_1) | instskip(NEXT) | instid1(VALU_DEP_1)
	v_add_f32_e32 v30, v29, v25
	v_sub_f32_e32 v31, v27, v30
	v_sub_f32_e32 v23, v30, v29
	s_delay_alu instid0(VALU_DEP_2) | instskip(NEXT) | instid1(VALU_DEP_2)
	v_sub_f32_e32 v27, v27, v31
	v_sub_f32_e32 v23, v23, v25
	s_delay_alu instid0(VALU_DEP_2) | instskip(NEXT) | instid1(VALU_DEP_1)
	v_sub_f32_e32 v27, v27, v30
	v_add_f32_e32 v19, v19, v27
	s_delay_alu instid0(VALU_DEP_1) | instskip(NEXT) | instid1(VALU_DEP_1)
	v_add_f32_e32 v19, v23, v19
	v_add_f32_e32 v23, v31, v19
	s_delay_alu instid0(VALU_DEP_1) | instskip(NEXT) | instid1(VALU_DEP_1)
	v_mul_f32_e32 v25, v22, v23
	v_mul_f32_e32 v27, v26, v25
	s_delay_alu instid0(VALU_DEP_1) | instskip(NEXT) | instid1(VALU_DEP_1)
	v_fma_f32 v26, v25, v26, -v27
	v_fmac_f32_e32 v26, v25, v24
	v_sub_f32_e32 v30, v31, v23
	s_delay_alu instid0(VALU_DEP_2) | instskip(NEXT) | instid1(VALU_DEP_2)
	v_add_f32_e32 v24, v27, v26
	v_add_f32_e32 v19, v19, v30
	s_delay_alu instid0(VALU_DEP_2) | instskip(SKIP_1) | instid1(VALU_DEP_2)
	v_sub_f32_e32 v29, v23, v24
	v_sub_f32_e32 v27, v24, v27
	;; [unrolled: 1-line block ×3, first 2 shown]
	s_delay_alu instid0(VALU_DEP_1) | instskip(NEXT) | instid1(VALU_DEP_3)
	v_sub_f32_e32 v23, v23, v24
	v_sub_f32_e32 v24, v27, v26
	s_delay_alu instid0(VALU_DEP_2) | instskip(SKIP_1) | instid1(VALU_DEP_1)
	v_add_f32_e32 v19, v19, v23
	v_add_f32_e32 v23, v28, v25
	v_dual_add_f32 v19, v24, v19 :: v_dual_sub_f32 v24, v23, v28
	s_delay_alu instid0(VALU_DEP_1) | instskip(NEXT) | instid1(VALU_DEP_1)
	v_add_f32_e32 v19, v29, v19
	v_dual_sub_f32 v24, v25, v24 :: v_dual_mul_f32 v19, v22, v19
	s_delay_alu instid0(VALU_DEP_1) | instskip(NEXT) | instid1(VALU_DEP_1)
	v_add_f32_e32 v19, v24, v19
	v_add_f32_e32 v22, v23, v19
	s_delay_alu instid0(VALU_DEP_1) | instskip(SKIP_1) | instid1(VALU_DEP_1)
	v_mul_f32_e32 v24, v22, v22
	s_wait_alu 0xfffe
	v_fmaak_f32 v25, s0, v24, 0x3ecc95a3
	v_mul_f32_e32 v26, v22, v24
	v_cmp_neq_f32_e64 s0, 0x7f800000, v21
	s_delay_alu instid0(VALU_DEP_3) | instskip(SKIP_2) | instid1(VALU_DEP_3)
	v_fmaak_f32 v24, v24, v25, 0x3f2aaada
	v_ldexp_f32 v25, v22, 1
	v_sub_f32_e32 v22, v22, v23
	v_mul_f32_e32 v24, v26, v24
	v_mul_f32_e32 v26, 0x3f317218, v18
	s_delay_alu instid0(VALU_DEP_3) | instskip(NEXT) | instid1(VALU_DEP_3)
	v_sub_f32_e32 v19, v19, v22
	v_add_f32_e32 v23, v25, v24
	s_delay_alu instid0(VALU_DEP_2) | instskip(NEXT) | instid1(VALU_DEP_2)
	v_ldexp_f32 v19, v19, 1
	v_sub_f32_e32 v22, v23, v25
	v_fma_f32 v25, 0x3f317218, v18, -v26
	s_delay_alu instid0(VALU_DEP_2) | instskip(NEXT) | instid1(VALU_DEP_1)
	v_sub_f32_e32 v22, v24, v22
	v_dual_fmamk_f32 v18, v18, 0xb102e308, v25 :: v_dual_add_f32 v19, v19, v22
	s_delay_alu instid0(VALU_DEP_1) | instskip(NEXT) | instid1(VALU_DEP_2)
	v_add_f32_e32 v22, v26, v18
	v_add_f32_e32 v24, v23, v19
	s_delay_alu instid0(VALU_DEP_2) | instskip(NEXT) | instid1(VALU_DEP_2)
	v_sub_f32_e32 v26, v22, v26
	v_add_f32_e32 v25, v22, v24
	s_delay_alu instid0(VALU_DEP_2) | instskip(NEXT) | instid1(VALU_DEP_2)
	v_dual_sub_f32 v23, v24, v23 :: v_dual_sub_f32 v18, v18, v26
	v_sub_f32_e32 v27, v25, v22
	s_delay_alu instid0(VALU_DEP_2) | instskip(NEXT) | instid1(VALU_DEP_2)
	v_sub_f32_e32 v19, v19, v23
	v_sub_f32_e32 v28, v25, v27
	;; [unrolled: 1-line block ×3, first 2 shown]
	s_delay_alu instid0(VALU_DEP_3) | instskip(NEXT) | instid1(VALU_DEP_3)
	v_add_f32_e32 v24, v18, v19
	v_sub_f32_e32 v22, v22, v28
	s_delay_alu instid0(VALU_DEP_1) | instskip(NEXT) | instid1(VALU_DEP_3)
	v_add_f32_e32 v22, v23, v22
	v_sub_f32_e32 v23, v24, v18
	s_delay_alu instid0(VALU_DEP_2) | instskip(NEXT) | instid1(VALU_DEP_2)
	v_add_f32_e32 v22, v24, v22
	v_sub_f32_e32 v24, v24, v23
	s_delay_alu instid0(VALU_DEP_1) | instskip(NEXT) | instid1(VALU_DEP_1)
	v_dual_sub_f32 v19, v19, v23 :: v_dual_sub_f32 v18, v18, v24
	v_add_f32_e32 v18, v19, v18
	s_delay_alu instid0(VALU_DEP_4) | instskip(NEXT) | instid1(VALU_DEP_1)
	v_add_f32_e32 v26, v25, v22
	v_sub_f32_e32 v23, v26, v25
	s_delay_alu instid0(VALU_DEP_1) | instskip(NEXT) | instid1(VALU_DEP_1)
	v_sub_f32_e32 v19, v22, v23
	v_add_f32_e32 v18, v18, v19
	s_delay_alu instid0(VALU_DEP_1) | instskip(SKIP_1) | instid1(VALU_DEP_1)
	v_add_f32_e32 v18, v26, v18
	s_wait_alu 0xf1ff
	v_cndmask_b32_e64 v18, 0x7f800000, v18, s0
	v_cmp_gt_f32_e64 s0, 0x33800000, |v21|
	s_wait_alu 0xf1ff
	s_delay_alu instid0(VALU_DEP_1) | instskip(NEXT) | instid1(VALU_DEP_1)
	v_cndmask_b32_e64 v18, v18, v21, s0
	v_add_f32_e32 v18, v20, v18
	s_delay_alu instid0(VALU_DEP_1) | instskip(NEXT) | instid1(VALU_DEP_1)
	v_cvt_f16_f32_e32 v18, v18
	v_cvt_f32_f16_e32 v19, v18
.LBB411_85:
	s_wait_alu 0xfffe
	s_or_b32 exec_lo, exec_lo, s1
	ds_load_u16 v20, v17 offset:4
	v_max_num_f32_e32 v21, v19, v19
	v_cmp_u_f16_e64 s0, v18, v18
	ds_store_b16 v17, v18 offset:2
	s_wait_dscnt 0x1
	v_cvt_f32_f16_e32 v22, v20
	s_delay_alu instid0(VALU_DEP_1) | instskip(SKIP_2) | instid1(VALU_DEP_2)
	v_min_num_f32_e32 v23, v21, v22
	v_max_num_f32_e32 v21, v21, v22
	s_wait_alu 0xf1ff
	v_cndmask_b32_e64 v23, v23, v19, s0
	s_delay_alu instid0(VALU_DEP_2) | instskip(SKIP_2) | instid1(VALU_DEP_1)
	v_cndmask_b32_e64 v24, v21, v19, s0
	v_cmp_u_f16_e64 s0, v20, v20
	s_wait_alu 0xf1ff
	v_cndmask_b32_e64 v21, v23, v22, s0
	s_delay_alu instid0(VALU_DEP_3) | instskip(NEXT) | instid1(VALU_DEP_2)
	v_cndmask_b32_e64 v20, v24, v22, s0
	v_cmp_class_f32_e64 s1, v21, 0x1f8
	s_delay_alu instid0(VALU_DEP_2)
	v_cmp_neq_f32_e64 s0, v21, v20
	s_or_b32 s0, s0, s1
	s_wait_alu 0xfffe
	s_and_saveexec_b32 s1, s0
	s_cbranch_execz .LBB411_87
; %bb.86:
	v_sub_f32_e32 v18, v21, v20
	s_delay_alu instid0(VALU_DEP_1) | instskip(NEXT) | instid1(VALU_DEP_1)
	v_mul_f32_e32 v19, 0x3fb8aa3b, v18
	v_fma_f32 v21, 0x3fb8aa3b, v18, -v19
	v_rndne_f32_e32 v22, v19
	s_delay_alu instid0(VALU_DEP_1) | instskip(NEXT) | instid1(VALU_DEP_3)
	v_sub_f32_e32 v19, v19, v22
	v_fmamk_f32 v21, v18, 0x32a5705f, v21
	v_cmp_ngt_f32_e64 s0, 0xc2ce8ed0, v18
	s_delay_alu instid0(VALU_DEP_2) | instskip(SKIP_1) | instid1(VALU_DEP_2)
	v_add_f32_e32 v19, v19, v21
	v_cvt_i32_f32_e32 v21, v22
	v_exp_f32_e32 v19, v19
	s_delay_alu instid0(TRANS32_DEP_1) | instskip(SKIP_1) | instid1(VALU_DEP_1)
	v_ldexp_f32 v19, v19, v21
	s_wait_alu 0xf1ff
	v_cndmask_b32_e64 v19, 0, v19, s0
	v_cmp_nlt_f32_e64 s0, 0x42b17218, v18
	s_wait_alu 0xf1ff
	s_delay_alu instid0(VALU_DEP_1) | instskip(NEXT) | instid1(VALU_DEP_1)
	v_cndmask_b32_e64 v21, 0x7f800000, v19, s0
	v_add_f32_e32 v22, 1.0, v21
	s_delay_alu instid0(VALU_DEP_1) | instskip(NEXT) | instid1(VALU_DEP_1)
	v_cvt_f64_f32_e32 v[18:19], v22
	v_frexp_exp_i32_f64_e32 v18, v[18:19]
	v_frexp_mant_f32_e32 v19, v22
	s_delay_alu instid0(VALU_DEP_1) | instskip(SKIP_1) | instid1(VALU_DEP_1)
	v_cmp_gt_f32_e64 s0, 0x3f2aaaab, v19
	v_add_f32_e32 v19, -1.0, v22
	v_sub_f32_e32 v24, v19, v22
	s_delay_alu instid0(VALU_DEP_1)
	v_add_f32_e32 v24, 1.0, v24
	s_wait_alu 0xf1ff
	v_subrev_co_ci_u32_e64 v18, null, 0, v18, s0
	s_mov_b32 s0, 0x3e9b6dac
	v_sub_nc_u32_e32 v23, 0, v18
	v_cvt_f32_i32_e32 v18, v18
	s_delay_alu instid0(VALU_DEP_2) | instskip(SKIP_1) | instid1(VALU_DEP_1)
	v_ldexp_f32 v22, v22, v23
	v_sub_f32_e32 v19, v21, v19
	v_add_f32_e32 v19, v19, v24
	s_delay_alu instid0(VALU_DEP_1) | instskip(NEXT) | instid1(VALU_DEP_4)
	v_ldexp_f32 v19, v19, v23
	v_add_f32_e32 v23, -1.0, v22
	s_delay_alu instid0(VALU_DEP_1) | instskip(NEXT) | instid1(VALU_DEP_1)
	v_dual_add_f32 v25, 1.0, v22 :: v_dual_add_f32 v26, 1.0, v23
	v_add_f32_e32 v24, -1.0, v25
	s_delay_alu instid0(VALU_DEP_1) | instskip(NEXT) | instid1(VALU_DEP_3)
	v_sub_f32_e32 v24, v22, v24
	v_sub_f32_e32 v22, v22, v26
	s_delay_alu instid0(VALU_DEP_2) | instskip(NEXT) | instid1(VALU_DEP_1)
	v_add_f32_e32 v24, v19, v24
	v_dual_add_f32 v19, v19, v22 :: v_dual_add_f32 v26, v25, v24
	s_delay_alu instid0(VALU_DEP_1) | instskip(SKIP_1) | instid1(VALU_DEP_1)
	v_rcp_f32_e32 v22, v26
	v_sub_f32_e32 v25, v25, v26
	v_dual_add_f32 v27, v23, v19 :: v_dual_add_f32 v24, v24, v25
	s_delay_alu instid0(VALU_DEP_1) | instskip(NEXT) | instid1(TRANS32_DEP_1)
	v_sub_f32_e32 v23, v23, v27
	v_mul_f32_e32 v28, v27, v22
	s_delay_alu instid0(VALU_DEP_2) | instskip(NEXT) | instid1(VALU_DEP_2)
	v_add_f32_e32 v19, v19, v23
	v_mul_f32_e32 v29, v26, v28
	s_delay_alu instid0(VALU_DEP_1) | instskip(NEXT) | instid1(VALU_DEP_1)
	v_fma_f32 v25, v28, v26, -v29
	v_fmac_f32_e32 v25, v28, v24
	s_delay_alu instid0(VALU_DEP_1) | instskip(NEXT) | instid1(VALU_DEP_1)
	v_add_f32_e32 v30, v29, v25
	v_sub_f32_e32 v31, v27, v30
	v_sub_f32_e32 v23, v30, v29
	s_delay_alu instid0(VALU_DEP_2) | instskip(NEXT) | instid1(VALU_DEP_2)
	v_sub_f32_e32 v27, v27, v31
	v_sub_f32_e32 v23, v23, v25
	s_delay_alu instid0(VALU_DEP_2) | instskip(NEXT) | instid1(VALU_DEP_1)
	v_sub_f32_e32 v27, v27, v30
	v_add_f32_e32 v19, v19, v27
	s_delay_alu instid0(VALU_DEP_1) | instskip(NEXT) | instid1(VALU_DEP_1)
	v_add_f32_e32 v19, v23, v19
	v_add_f32_e32 v23, v31, v19
	s_delay_alu instid0(VALU_DEP_1) | instskip(NEXT) | instid1(VALU_DEP_1)
	v_mul_f32_e32 v25, v22, v23
	v_mul_f32_e32 v27, v26, v25
	s_delay_alu instid0(VALU_DEP_1) | instskip(NEXT) | instid1(VALU_DEP_1)
	v_fma_f32 v26, v25, v26, -v27
	v_fmac_f32_e32 v26, v25, v24
	v_sub_f32_e32 v30, v31, v23
	s_delay_alu instid0(VALU_DEP_2) | instskip(NEXT) | instid1(VALU_DEP_2)
	v_add_f32_e32 v24, v27, v26
	v_add_f32_e32 v19, v19, v30
	s_delay_alu instid0(VALU_DEP_2) | instskip(SKIP_1) | instid1(VALU_DEP_2)
	v_sub_f32_e32 v29, v23, v24
	v_sub_f32_e32 v27, v24, v27
	;; [unrolled: 1-line block ×3, first 2 shown]
	s_delay_alu instid0(VALU_DEP_1) | instskip(NEXT) | instid1(VALU_DEP_3)
	v_sub_f32_e32 v23, v23, v24
	v_sub_f32_e32 v24, v27, v26
	s_delay_alu instid0(VALU_DEP_2) | instskip(SKIP_1) | instid1(VALU_DEP_1)
	v_add_f32_e32 v19, v19, v23
	v_add_f32_e32 v23, v28, v25
	v_dual_add_f32 v19, v24, v19 :: v_dual_sub_f32 v24, v23, v28
	s_delay_alu instid0(VALU_DEP_1) | instskip(NEXT) | instid1(VALU_DEP_1)
	v_add_f32_e32 v19, v29, v19
	v_dual_sub_f32 v24, v25, v24 :: v_dual_mul_f32 v19, v22, v19
	s_delay_alu instid0(VALU_DEP_1) | instskip(NEXT) | instid1(VALU_DEP_1)
	v_add_f32_e32 v19, v24, v19
	v_add_f32_e32 v22, v23, v19
	s_delay_alu instid0(VALU_DEP_1) | instskip(SKIP_1) | instid1(VALU_DEP_1)
	v_mul_f32_e32 v24, v22, v22
	s_wait_alu 0xfffe
	v_fmaak_f32 v25, s0, v24, 0x3ecc95a3
	v_mul_f32_e32 v26, v22, v24
	v_cmp_neq_f32_e64 s0, 0x7f800000, v21
	s_delay_alu instid0(VALU_DEP_3) | instskip(SKIP_2) | instid1(VALU_DEP_3)
	v_fmaak_f32 v24, v24, v25, 0x3f2aaada
	v_ldexp_f32 v25, v22, 1
	v_sub_f32_e32 v22, v22, v23
	v_mul_f32_e32 v24, v26, v24
	v_mul_f32_e32 v26, 0x3f317218, v18
	s_delay_alu instid0(VALU_DEP_3) | instskip(NEXT) | instid1(VALU_DEP_3)
	v_sub_f32_e32 v19, v19, v22
	v_add_f32_e32 v23, v25, v24
	s_delay_alu instid0(VALU_DEP_2) | instskip(NEXT) | instid1(VALU_DEP_2)
	v_ldexp_f32 v19, v19, 1
	v_sub_f32_e32 v22, v23, v25
	v_fma_f32 v25, 0x3f317218, v18, -v26
	s_delay_alu instid0(VALU_DEP_2) | instskip(NEXT) | instid1(VALU_DEP_1)
	v_sub_f32_e32 v22, v24, v22
	v_dual_fmamk_f32 v18, v18, 0xb102e308, v25 :: v_dual_add_f32 v19, v19, v22
	s_delay_alu instid0(VALU_DEP_1) | instskip(NEXT) | instid1(VALU_DEP_2)
	v_add_f32_e32 v22, v26, v18
	v_add_f32_e32 v24, v23, v19
	s_delay_alu instid0(VALU_DEP_2) | instskip(NEXT) | instid1(VALU_DEP_2)
	v_sub_f32_e32 v26, v22, v26
	v_add_f32_e32 v25, v22, v24
	s_delay_alu instid0(VALU_DEP_2) | instskip(NEXT) | instid1(VALU_DEP_2)
	v_dual_sub_f32 v23, v24, v23 :: v_dual_sub_f32 v18, v18, v26
	v_sub_f32_e32 v27, v25, v22
	s_delay_alu instid0(VALU_DEP_2) | instskip(NEXT) | instid1(VALU_DEP_2)
	v_sub_f32_e32 v19, v19, v23
	v_sub_f32_e32 v28, v25, v27
	;; [unrolled: 1-line block ×3, first 2 shown]
	s_delay_alu instid0(VALU_DEP_3) | instskip(NEXT) | instid1(VALU_DEP_3)
	v_add_f32_e32 v24, v18, v19
	v_sub_f32_e32 v22, v22, v28
	s_delay_alu instid0(VALU_DEP_1) | instskip(NEXT) | instid1(VALU_DEP_3)
	v_add_f32_e32 v22, v23, v22
	v_sub_f32_e32 v23, v24, v18
	s_delay_alu instid0(VALU_DEP_2) | instskip(NEXT) | instid1(VALU_DEP_2)
	v_add_f32_e32 v22, v24, v22
	v_sub_f32_e32 v24, v24, v23
	s_delay_alu instid0(VALU_DEP_1) | instskip(NEXT) | instid1(VALU_DEP_1)
	v_dual_sub_f32 v19, v19, v23 :: v_dual_sub_f32 v18, v18, v24
	v_add_f32_e32 v18, v19, v18
	s_delay_alu instid0(VALU_DEP_4) | instskip(NEXT) | instid1(VALU_DEP_1)
	v_add_f32_e32 v26, v25, v22
	v_sub_f32_e32 v23, v26, v25
	s_delay_alu instid0(VALU_DEP_1) | instskip(NEXT) | instid1(VALU_DEP_1)
	v_sub_f32_e32 v19, v22, v23
	v_add_f32_e32 v18, v18, v19
	s_delay_alu instid0(VALU_DEP_1) | instskip(SKIP_1) | instid1(VALU_DEP_1)
	v_add_f32_e32 v18, v26, v18
	s_wait_alu 0xf1ff
	v_cndmask_b32_e64 v18, 0x7f800000, v18, s0
	v_cmp_gt_f32_e64 s0, 0x33800000, |v21|
	s_wait_alu 0xf1ff
	s_delay_alu instid0(VALU_DEP_1) | instskip(NEXT) | instid1(VALU_DEP_1)
	v_cndmask_b32_e64 v18, v18, v21, s0
	v_add_f32_e32 v18, v20, v18
	s_delay_alu instid0(VALU_DEP_1) | instskip(NEXT) | instid1(VALU_DEP_1)
	v_cvt_f16_f32_e32 v18, v18
	v_cvt_f32_f16_e32 v19, v18
.LBB411_87:
	s_wait_alu 0xfffe
	s_or_b32 exec_lo, exec_lo, s1
	ds_load_u16 v20, v17 offset:6
	v_max_num_f32_e32 v21, v19, v19
	v_cmp_u_f16_e64 s0, v18, v18
	ds_store_b16 v17, v18 offset:4
	s_wait_dscnt 0x1
	v_cvt_f32_f16_e32 v22, v20
	s_delay_alu instid0(VALU_DEP_1) | instskip(SKIP_2) | instid1(VALU_DEP_2)
	v_min_num_f32_e32 v23, v21, v22
	v_max_num_f32_e32 v21, v21, v22
	s_wait_alu 0xf1ff
	v_cndmask_b32_e64 v23, v23, v19, s0
	s_delay_alu instid0(VALU_DEP_2) | instskip(SKIP_2) | instid1(VALU_DEP_1)
	v_cndmask_b32_e64 v24, v21, v19, s0
	v_cmp_u_f16_e64 s0, v20, v20
	s_wait_alu 0xf1ff
	v_cndmask_b32_e64 v21, v23, v22, s0
	s_delay_alu instid0(VALU_DEP_3) | instskip(NEXT) | instid1(VALU_DEP_2)
	v_cndmask_b32_e64 v20, v24, v22, s0
	v_cmp_class_f32_e64 s1, v21, 0x1f8
	s_delay_alu instid0(VALU_DEP_2)
	v_cmp_neq_f32_e64 s0, v21, v20
	s_or_b32 s0, s0, s1
	s_wait_alu 0xfffe
	s_and_saveexec_b32 s1, s0
	s_cbranch_execz .LBB411_89
; %bb.88:
	v_sub_f32_e32 v18, v21, v20
	s_delay_alu instid0(VALU_DEP_1) | instskip(NEXT) | instid1(VALU_DEP_1)
	v_mul_f32_e32 v19, 0x3fb8aa3b, v18
	v_fma_f32 v21, 0x3fb8aa3b, v18, -v19
	v_rndne_f32_e32 v22, v19
	s_delay_alu instid0(VALU_DEP_1) | instskip(NEXT) | instid1(VALU_DEP_3)
	v_sub_f32_e32 v19, v19, v22
	v_fmamk_f32 v21, v18, 0x32a5705f, v21
	v_cmp_ngt_f32_e64 s0, 0xc2ce8ed0, v18
	s_delay_alu instid0(VALU_DEP_2) | instskip(SKIP_1) | instid1(VALU_DEP_2)
	v_add_f32_e32 v19, v19, v21
	v_cvt_i32_f32_e32 v21, v22
	v_exp_f32_e32 v19, v19
	s_delay_alu instid0(TRANS32_DEP_1) | instskip(SKIP_1) | instid1(VALU_DEP_1)
	v_ldexp_f32 v19, v19, v21
	s_wait_alu 0xf1ff
	v_cndmask_b32_e64 v19, 0, v19, s0
	v_cmp_nlt_f32_e64 s0, 0x42b17218, v18
	s_wait_alu 0xf1ff
	s_delay_alu instid0(VALU_DEP_1) | instskip(NEXT) | instid1(VALU_DEP_1)
	v_cndmask_b32_e64 v21, 0x7f800000, v19, s0
	v_add_f32_e32 v22, 1.0, v21
	s_delay_alu instid0(VALU_DEP_1) | instskip(NEXT) | instid1(VALU_DEP_1)
	v_cvt_f64_f32_e32 v[18:19], v22
	v_frexp_exp_i32_f64_e32 v18, v[18:19]
	v_frexp_mant_f32_e32 v19, v22
	s_delay_alu instid0(VALU_DEP_1) | instskip(SKIP_1) | instid1(VALU_DEP_1)
	v_cmp_gt_f32_e64 s0, 0x3f2aaaab, v19
	v_add_f32_e32 v19, -1.0, v22
	v_sub_f32_e32 v24, v19, v22
	s_delay_alu instid0(VALU_DEP_1)
	v_add_f32_e32 v24, 1.0, v24
	s_wait_alu 0xf1ff
	v_subrev_co_ci_u32_e64 v18, null, 0, v18, s0
	s_mov_b32 s0, 0x3e9b6dac
	v_sub_nc_u32_e32 v23, 0, v18
	v_cvt_f32_i32_e32 v18, v18
	s_delay_alu instid0(VALU_DEP_2) | instskip(SKIP_1) | instid1(VALU_DEP_1)
	v_ldexp_f32 v22, v22, v23
	v_sub_f32_e32 v19, v21, v19
	v_add_f32_e32 v19, v19, v24
	s_delay_alu instid0(VALU_DEP_1) | instskip(NEXT) | instid1(VALU_DEP_4)
	v_ldexp_f32 v19, v19, v23
	v_add_f32_e32 v23, -1.0, v22
	s_delay_alu instid0(VALU_DEP_1) | instskip(NEXT) | instid1(VALU_DEP_1)
	v_dual_add_f32 v25, 1.0, v22 :: v_dual_add_f32 v26, 1.0, v23
	v_add_f32_e32 v24, -1.0, v25
	s_delay_alu instid0(VALU_DEP_1) | instskip(NEXT) | instid1(VALU_DEP_3)
	v_sub_f32_e32 v24, v22, v24
	v_sub_f32_e32 v22, v22, v26
	s_delay_alu instid0(VALU_DEP_2) | instskip(NEXT) | instid1(VALU_DEP_1)
	v_add_f32_e32 v24, v19, v24
	v_dual_add_f32 v19, v19, v22 :: v_dual_add_f32 v26, v25, v24
	s_delay_alu instid0(VALU_DEP_1) | instskip(SKIP_1) | instid1(VALU_DEP_1)
	v_rcp_f32_e32 v22, v26
	v_sub_f32_e32 v25, v25, v26
	v_dual_add_f32 v27, v23, v19 :: v_dual_add_f32 v24, v24, v25
	s_delay_alu instid0(VALU_DEP_1) | instskip(NEXT) | instid1(TRANS32_DEP_1)
	v_sub_f32_e32 v23, v23, v27
	v_mul_f32_e32 v28, v27, v22
	s_delay_alu instid0(VALU_DEP_2) | instskip(NEXT) | instid1(VALU_DEP_2)
	v_add_f32_e32 v19, v19, v23
	v_mul_f32_e32 v29, v26, v28
	s_delay_alu instid0(VALU_DEP_1) | instskip(NEXT) | instid1(VALU_DEP_1)
	v_fma_f32 v25, v28, v26, -v29
	v_fmac_f32_e32 v25, v28, v24
	s_delay_alu instid0(VALU_DEP_1) | instskip(NEXT) | instid1(VALU_DEP_1)
	v_add_f32_e32 v30, v29, v25
	v_sub_f32_e32 v31, v27, v30
	v_sub_f32_e32 v23, v30, v29
	s_delay_alu instid0(VALU_DEP_2) | instskip(NEXT) | instid1(VALU_DEP_2)
	v_sub_f32_e32 v27, v27, v31
	v_sub_f32_e32 v23, v23, v25
	s_delay_alu instid0(VALU_DEP_2) | instskip(NEXT) | instid1(VALU_DEP_1)
	v_sub_f32_e32 v27, v27, v30
	v_add_f32_e32 v19, v19, v27
	s_delay_alu instid0(VALU_DEP_1) | instskip(NEXT) | instid1(VALU_DEP_1)
	v_add_f32_e32 v19, v23, v19
	v_add_f32_e32 v23, v31, v19
	s_delay_alu instid0(VALU_DEP_1) | instskip(NEXT) | instid1(VALU_DEP_1)
	v_mul_f32_e32 v25, v22, v23
	v_mul_f32_e32 v27, v26, v25
	s_delay_alu instid0(VALU_DEP_1) | instskip(NEXT) | instid1(VALU_DEP_1)
	v_fma_f32 v26, v25, v26, -v27
	v_fmac_f32_e32 v26, v25, v24
	v_sub_f32_e32 v30, v31, v23
	s_delay_alu instid0(VALU_DEP_2) | instskip(NEXT) | instid1(VALU_DEP_2)
	v_add_f32_e32 v24, v27, v26
	v_add_f32_e32 v19, v19, v30
	s_delay_alu instid0(VALU_DEP_2) | instskip(SKIP_1) | instid1(VALU_DEP_2)
	v_sub_f32_e32 v29, v23, v24
	v_sub_f32_e32 v27, v24, v27
	;; [unrolled: 1-line block ×3, first 2 shown]
	s_delay_alu instid0(VALU_DEP_1) | instskip(NEXT) | instid1(VALU_DEP_3)
	v_sub_f32_e32 v23, v23, v24
	v_sub_f32_e32 v24, v27, v26
	s_delay_alu instid0(VALU_DEP_2) | instskip(SKIP_1) | instid1(VALU_DEP_1)
	v_add_f32_e32 v19, v19, v23
	v_add_f32_e32 v23, v28, v25
	v_dual_add_f32 v19, v24, v19 :: v_dual_sub_f32 v24, v23, v28
	s_delay_alu instid0(VALU_DEP_1) | instskip(NEXT) | instid1(VALU_DEP_1)
	v_add_f32_e32 v19, v29, v19
	v_dual_sub_f32 v24, v25, v24 :: v_dual_mul_f32 v19, v22, v19
	s_delay_alu instid0(VALU_DEP_1) | instskip(NEXT) | instid1(VALU_DEP_1)
	v_add_f32_e32 v19, v24, v19
	v_add_f32_e32 v22, v23, v19
	s_delay_alu instid0(VALU_DEP_1) | instskip(SKIP_1) | instid1(VALU_DEP_1)
	v_mul_f32_e32 v24, v22, v22
	s_wait_alu 0xfffe
	v_fmaak_f32 v25, s0, v24, 0x3ecc95a3
	v_mul_f32_e32 v26, v22, v24
	v_cmp_neq_f32_e64 s0, 0x7f800000, v21
	s_delay_alu instid0(VALU_DEP_3) | instskip(SKIP_2) | instid1(VALU_DEP_3)
	v_fmaak_f32 v24, v24, v25, 0x3f2aaada
	v_ldexp_f32 v25, v22, 1
	v_sub_f32_e32 v22, v22, v23
	v_mul_f32_e32 v24, v26, v24
	v_mul_f32_e32 v26, 0x3f317218, v18
	s_delay_alu instid0(VALU_DEP_3) | instskip(NEXT) | instid1(VALU_DEP_3)
	v_sub_f32_e32 v19, v19, v22
	v_add_f32_e32 v23, v25, v24
	s_delay_alu instid0(VALU_DEP_2) | instskip(NEXT) | instid1(VALU_DEP_2)
	v_ldexp_f32 v19, v19, 1
	v_sub_f32_e32 v22, v23, v25
	v_fma_f32 v25, 0x3f317218, v18, -v26
	s_delay_alu instid0(VALU_DEP_2) | instskip(NEXT) | instid1(VALU_DEP_1)
	v_sub_f32_e32 v22, v24, v22
	v_dual_fmamk_f32 v18, v18, 0xb102e308, v25 :: v_dual_add_f32 v19, v19, v22
	s_delay_alu instid0(VALU_DEP_1) | instskip(NEXT) | instid1(VALU_DEP_2)
	v_add_f32_e32 v22, v26, v18
	v_add_f32_e32 v24, v23, v19
	s_delay_alu instid0(VALU_DEP_2) | instskip(NEXT) | instid1(VALU_DEP_2)
	v_sub_f32_e32 v26, v22, v26
	v_add_f32_e32 v25, v22, v24
	s_delay_alu instid0(VALU_DEP_2) | instskip(NEXT) | instid1(VALU_DEP_2)
	v_dual_sub_f32 v23, v24, v23 :: v_dual_sub_f32 v18, v18, v26
	v_sub_f32_e32 v27, v25, v22
	s_delay_alu instid0(VALU_DEP_2) | instskip(NEXT) | instid1(VALU_DEP_2)
	v_sub_f32_e32 v19, v19, v23
	v_sub_f32_e32 v28, v25, v27
	v_sub_f32_e32 v23, v24, v27
	s_delay_alu instid0(VALU_DEP_3) | instskip(NEXT) | instid1(VALU_DEP_3)
	v_add_f32_e32 v24, v18, v19
	v_sub_f32_e32 v22, v22, v28
	s_delay_alu instid0(VALU_DEP_1) | instskip(NEXT) | instid1(VALU_DEP_3)
	v_add_f32_e32 v22, v23, v22
	v_sub_f32_e32 v23, v24, v18
	s_delay_alu instid0(VALU_DEP_2) | instskip(NEXT) | instid1(VALU_DEP_2)
	v_add_f32_e32 v22, v24, v22
	v_sub_f32_e32 v24, v24, v23
	s_delay_alu instid0(VALU_DEP_1) | instskip(NEXT) | instid1(VALU_DEP_1)
	v_dual_sub_f32 v19, v19, v23 :: v_dual_sub_f32 v18, v18, v24
	v_add_f32_e32 v18, v19, v18
	s_delay_alu instid0(VALU_DEP_4) | instskip(NEXT) | instid1(VALU_DEP_1)
	v_add_f32_e32 v26, v25, v22
	v_sub_f32_e32 v23, v26, v25
	s_delay_alu instid0(VALU_DEP_1) | instskip(NEXT) | instid1(VALU_DEP_1)
	v_sub_f32_e32 v19, v22, v23
	v_add_f32_e32 v18, v18, v19
	s_delay_alu instid0(VALU_DEP_1) | instskip(SKIP_1) | instid1(VALU_DEP_1)
	v_add_f32_e32 v18, v26, v18
	s_wait_alu 0xf1ff
	v_cndmask_b32_e64 v18, 0x7f800000, v18, s0
	v_cmp_gt_f32_e64 s0, 0x33800000, |v21|
	s_wait_alu 0xf1ff
	s_delay_alu instid0(VALU_DEP_1) | instskip(NEXT) | instid1(VALU_DEP_1)
	v_cndmask_b32_e64 v18, v18, v21, s0
	v_add_f32_e32 v18, v20, v18
	s_delay_alu instid0(VALU_DEP_1) | instskip(NEXT) | instid1(VALU_DEP_1)
	v_cvt_f16_f32_e32 v18, v18
	v_cvt_f32_f16_e32 v19, v18
.LBB411_89:
	s_wait_alu 0xfffe
	s_or_b32 exec_lo, exec_lo, s1
	ds_load_u16 v20, v17 offset:8
	v_max_num_f32_e32 v21, v19, v19
	v_cmp_u_f16_e64 s0, v18, v18
	ds_store_b16 v17, v18 offset:6
	s_wait_dscnt 0x1
	v_cvt_f32_f16_e32 v22, v20
	s_delay_alu instid0(VALU_DEP_1) | instskip(SKIP_2) | instid1(VALU_DEP_2)
	v_min_num_f32_e32 v23, v21, v22
	v_max_num_f32_e32 v21, v21, v22
	s_wait_alu 0xf1ff
	v_cndmask_b32_e64 v23, v23, v19, s0
	s_delay_alu instid0(VALU_DEP_2) | instskip(SKIP_2) | instid1(VALU_DEP_1)
	v_cndmask_b32_e64 v24, v21, v19, s0
	v_cmp_u_f16_e64 s0, v20, v20
	s_wait_alu 0xf1ff
	v_cndmask_b32_e64 v21, v23, v22, s0
	s_delay_alu instid0(VALU_DEP_3) | instskip(NEXT) | instid1(VALU_DEP_2)
	v_cndmask_b32_e64 v20, v24, v22, s0
	v_cmp_class_f32_e64 s1, v21, 0x1f8
	s_delay_alu instid0(VALU_DEP_2)
	v_cmp_neq_f32_e64 s0, v21, v20
	s_or_b32 s0, s0, s1
	s_wait_alu 0xfffe
	s_and_saveexec_b32 s1, s0
	s_cbranch_execz .LBB411_91
; %bb.90:
	v_sub_f32_e32 v18, v21, v20
	s_delay_alu instid0(VALU_DEP_1) | instskip(NEXT) | instid1(VALU_DEP_1)
	v_mul_f32_e32 v19, 0x3fb8aa3b, v18
	v_fma_f32 v21, 0x3fb8aa3b, v18, -v19
	v_rndne_f32_e32 v22, v19
	s_delay_alu instid0(VALU_DEP_1) | instskip(NEXT) | instid1(VALU_DEP_3)
	v_sub_f32_e32 v19, v19, v22
	v_fmamk_f32 v21, v18, 0x32a5705f, v21
	v_cmp_ngt_f32_e64 s0, 0xc2ce8ed0, v18
	s_delay_alu instid0(VALU_DEP_2) | instskip(SKIP_1) | instid1(VALU_DEP_2)
	v_add_f32_e32 v19, v19, v21
	v_cvt_i32_f32_e32 v21, v22
	v_exp_f32_e32 v19, v19
	s_delay_alu instid0(TRANS32_DEP_1) | instskip(SKIP_1) | instid1(VALU_DEP_1)
	v_ldexp_f32 v19, v19, v21
	s_wait_alu 0xf1ff
	v_cndmask_b32_e64 v19, 0, v19, s0
	v_cmp_nlt_f32_e64 s0, 0x42b17218, v18
	s_wait_alu 0xf1ff
	s_delay_alu instid0(VALU_DEP_1) | instskip(NEXT) | instid1(VALU_DEP_1)
	v_cndmask_b32_e64 v21, 0x7f800000, v19, s0
	v_add_f32_e32 v22, 1.0, v21
	s_delay_alu instid0(VALU_DEP_1) | instskip(NEXT) | instid1(VALU_DEP_1)
	v_cvt_f64_f32_e32 v[18:19], v22
	v_frexp_exp_i32_f64_e32 v18, v[18:19]
	v_frexp_mant_f32_e32 v19, v22
	s_delay_alu instid0(VALU_DEP_1) | instskip(SKIP_1) | instid1(VALU_DEP_1)
	v_cmp_gt_f32_e64 s0, 0x3f2aaaab, v19
	v_add_f32_e32 v19, -1.0, v22
	v_sub_f32_e32 v24, v19, v22
	s_delay_alu instid0(VALU_DEP_1)
	v_add_f32_e32 v24, 1.0, v24
	s_wait_alu 0xf1ff
	v_subrev_co_ci_u32_e64 v18, null, 0, v18, s0
	s_mov_b32 s0, 0x3e9b6dac
	v_sub_nc_u32_e32 v23, 0, v18
	v_cvt_f32_i32_e32 v18, v18
	s_delay_alu instid0(VALU_DEP_2) | instskip(SKIP_1) | instid1(VALU_DEP_1)
	v_ldexp_f32 v22, v22, v23
	v_sub_f32_e32 v19, v21, v19
	v_add_f32_e32 v19, v19, v24
	s_delay_alu instid0(VALU_DEP_1) | instskip(NEXT) | instid1(VALU_DEP_4)
	v_ldexp_f32 v19, v19, v23
	v_add_f32_e32 v23, -1.0, v22
	s_delay_alu instid0(VALU_DEP_1) | instskip(NEXT) | instid1(VALU_DEP_1)
	v_dual_add_f32 v25, 1.0, v22 :: v_dual_add_f32 v26, 1.0, v23
	v_add_f32_e32 v24, -1.0, v25
	s_delay_alu instid0(VALU_DEP_1) | instskip(NEXT) | instid1(VALU_DEP_3)
	v_sub_f32_e32 v24, v22, v24
	v_sub_f32_e32 v22, v22, v26
	s_delay_alu instid0(VALU_DEP_2) | instskip(NEXT) | instid1(VALU_DEP_1)
	v_add_f32_e32 v24, v19, v24
	v_dual_add_f32 v19, v19, v22 :: v_dual_add_f32 v26, v25, v24
	s_delay_alu instid0(VALU_DEP_1) | instskip(SKIP_1) | instid1(VALU_DEP_1)
	v_rcp_f32_e32 v22, v26
	v_sub_f32_e32 v25, v25, v26
	v_dual_add_f32 v27, v23, v19 :: v_dual_add_f32 v24, v24, v25
	s_delay_alu instid0(VALU_DEP_1) | instskip(NEXT) | instid1(TRANS32_DEP_1)
	v_sub_f32_e32 v23, v23, v27
	v_mul_f32_e32 v28, v27, v22
	s_delay_alu instid0(VALU_DEP_2) | instskip(NEXT) | instid1(VALU_DEP_2)
	v_add_f32_e32 v19, v19, v23
	v_mul_f32_e32 v29, v26, v28
	s_delay_alu instid0(VALU_DEP_1) | instskip(NEXT) | instid1(VALU_DEP_1)
	v_fma_f32 v25, v28, v26, -v29
	v_fmac_f32_e32 v25, v28, v24
	s_delay_alu instid0(VALU_DEP_1) | instskip(NEXT) | instid1(VALU_DEP_1)
	v_add_f32_e32 v30, v29, v25
	v_sub_f32_e32 v31, v27, v30
	v_sub_f32_e32 v23, v30, v29
	s_delay_alu instid0(VALU_DEP_2) | instskip(NEXT) | instid1(VALU_DEP_2)
	v_sub_f32_e32 v27, v27, v31
	v_sub_f32_e32 v23, v23, v25
	s_delay_alu instid0(VALU_DEP_2) | instskip(NEXT) | instid1(VALU_DEP_1)
	v_sub_f32_e32 v27, v27, v30
	v_add_f32_e32 v19, v19, v27
	s_delay_alu instid0(VALU_DEP_1) | instskip(NEXT) | instid1(VALU_DEP_1)
	v_add_f32_e32 v19, v23, v19
	v_add_f32_e32 v23, v31, v19
	s_delay_alu instid0(VALU_DEP_1) | instskip(NEXT) | instid1(VALU_DEP_1)
	v_mul_f32_e32 v25, v22, v23
	v_mul_f32_e32 v27, v26, v25
	s_delay_alu instid0(VALU_DEP_1) | instskip(NEXT) | instid1(VALU_DEP_1)
	v_fma_f32 v26, v25, v26, -v27
	v_fmac_f32_e32 v26, v25, v24
	v_sub_f32_e32 v30, v31, v23
	s_delay_alu instid0(VALU_DEP_2) | instskip(NEXT) | instid1(VALU_DEP_2)
	v_add_f32_e32 v24, v27, v26
	v_add_f32_e32 v19, v19, v30
	s_delay_alu instid0(VALU_DEP_2) | instskip(SKIP_1) | instid1(VALU_DEP_2)
	v_sub_f32_e32 v29, v23, v24
	v_sub_f32_e32 v27, v24, v27
	;; [unrolled: 1-line block ×3, first 2 shown]
	s_delay_alu instid0(VALU_DEP_1) | instskip(NEXT) | instid1(VALU_DEP_3)
	v_sub_f32_e32 v23, v23, v24
	v_sub_f32_e32 v24, v27, v26
	s_delay_alu instid0(VALU_DEP_2) | instskip(SKIP_1) | instid1(VALU_DEP_1)
	v_add_f32_e32 v19, v19, v23
	v_add_f32_e32 v23, v28, v25
	v_dual_add_f32 v19, v24, v19 :: v_dual_sub_f32 v24, v23, v28
	s_delay_alu instid0(VALU_DEP_1) | instskip(NEXT) | instid1(VALU_DEP_1)
	v_add_f32_e32 v19, v29, v19
	v_dual_sub_f32 v24, v25, v24 :: v_dual_mul_f32 v19, v22, v19
	s_delay_alu instid0(VALU_DEP_1) | instskip(NEXT) | instid1(VALU_DEP_1)
	v_add_f32_e32 v19, v24, v19
	v_add_f32_e32 v22, v23, v19
	s_delay_alu instid0(VALU_DEP_1) | instskip(SKIP_1) | instid1(VALU_DEP_1)
	v_mul_f32_e32 v24, v22, v22
	s_wait_alu 0xfffe
	v_fmaak_f32 v25, s0, v24, 0x3ecc95a3
	v_mul_f32_e32 v26, v22, v24
	v_cmp_neq_f32_e64 s0, 0x7f800000, v21
	s_delay_alu instid0(VALU_DEP_3) | instskip(SKIP_2) | instid1(VALU_DEP_3)
	v_fmaak_f32 v24, v24, v25, 0x3f2aaada
	v_ldexp_f32 v25, v22, 1
	v_sub_f32_e32 v22, v22, v23
	v_mul_f32_e32 v24, v26, v24
	v_mul_f32_e32 v26, 0x3f317218, v18
	s_delay_alu instid0(VALU_DEP_3) | instskip(NEXT) | instid1(VALU_DEP_3)
	v_sub_f32_e32 v19, v19, v22
	v_add_f32_e32 v23, v25, v24
	s_delay_alu instid0(VALU_DEP_2) | instskip(NEXT) | instid1(VALU_DEP_2)
	v_ldexp_f32 v19, v19, 1
	v_sub_f32_e32 v22, v23, v25
	v_fma_f32 v25, 0x3f317218, v18, -v26
	s_delay_alu instid0(VALU_DEP_2) | instskip(NEXT) | instid1(VALU_DEP_1)
	v_sub_f32_e32 v22, v24, v22
	v_dual_fmamk_f32 v18, v18, 0xb102e308, v25 :: v_dual_add_f32 v19, v19, v22
	s_delay_alu instid0(VALU_DEP_1) | instskip(NEXT) | instid1(VALU_DEP_2)
	v_add_f32_e32 v22, v26, v18
	v_add_f32_e32 v24, v23, v19
	s_delay_alu instid0(VALU_DEP_2) | instskip(NEXT) | instid1(VALU_DEP_2)
	v_sub_f32_e32 v26, v22, v26
	v_add_f32_e32 v25, v22, v24
	s_delay_alu instid0(VALU_DEP_2) | instskip(NEXT) | instid1(VALU_DEP_2)
	v_dual_sub_f32 v23, v24, v23 :: v_dual_sub_f32 v18, v18, v26
	v_sub_f32_e32 v27, v25, v22
	s_delay_alu instid0(VALU_DEP_2) | instskip(NEXT) | instid1(VALU_DEP_2)
	v_sub_f32_e32 v19, v19, v23
	v_sub_f32_e32 v28, v25, v27
	;; [unrolled: 1-line block ×3, first 2 shown]
	s_delay_alu instid0(VALU_DEP_3) | instskip(NEXT) | instid1(VALU_DEP_3)
	v_add_f32_e32 v24, v18, v19
	v_sub_f32_e32 v22, v22, v28
	s_delay_alu instid0(VALU_DEP_1) | instskip(NEXT) | instid1(VALU_DEP_3)
	v_add_f32_e32 v22, v23, v22
	v_sub_f32_e32 v23, v24, v18
	s_delay_alu instid0(VALU_DEP_2) | instskip(NEXT) | instid1(VALU_DEP_2)
	v_add_f32_e32 v22, v24, v22
	v_sub_f32_e32 v24, v24, v23
	s_delay_alu instid0(VALU_DEP_1) | instskip(NEXT) | instid1(VALU_DEP_1)
	v_dual_sub_f32 v19, v19, v23 :: v_dual_sub_f32 v18, v18, v24
	v_add_f32_e32 v18, v19, v18
	s_delay_alu instid0(VALU_DEP_4) | instskip(NEXT) | instid1(VALU_DEP_1)
	v_add_f32_e32 v26, v25, v22
	v_sub_f32_e32 v23, v26, v25
	s_delay_alu instid0(VALU_DEP_1) | instskip(NEXT) | instid1(VALU_DEP_1)
	v_sub_f32_e32 v19, v22, v23
	v_add_f32_e32 v18, v18, v19
	s_delay_alu instid0(VALU_DEP_1) | instskip(SKIP_1) | instid1(VALU_DEP_1)
	v_add_f32_e32 v18, v26, v18
	s_wait_alu 0xf1ff
	v_cndmask_b32_e64 v18, 0x7f800000, v18, s0
	v_cmp_gt_f32_e64 s0, 0x33800000, |v21|
	s_wait_alu 0xf1ff
	s_delay_alu instid0(VALU_DEP_1) | instskip(NEXT) | instid1(VALU_DEP_1)
	v_cndmask_b32_e64 v18, v18, v21, s0
	v_add_f32_e32 v18, v20, v18
	s_delay_alu instid0(VALU_DEP_1) | instskip(NEXT) | instid1(VALU_DEP_1)
	v_cvt_f16_f32_e32 v18, v18
	v_cvt_f32_f16_e32 v19, v18
.LBB411_91:
	s_wait_alu 0xfffe
	s_or_b32 exec_lo, exec_lo, s1
	ds_load_u16 v20, v17 offset:10
	v_max_num_f32_e32 v21, v19, v19
	v_cmp_u_f16_e64 s0, v18, v18
	ds_store_b16 v17, v18 offset:8
	s_wait_dscnt 0x1
	v_cvt_f32_f16_e32 v22, v20
	s_delay_alu instid0(VALU_DEP_1) | instskip(SKIP_2) | instid1(VALU_DEP_2)
	v_min_num_f32_e32 v23, v21, v22
	v_max_num_f32_e32 v21, v21, v22
	s_wait_alu 0xf1ff
	v_cndmask_b32_e64 v23, v23, v19, s0
	s_delay_alu instid0(VALU_DEP_2) | instskip(SKIP_2) | instid1(VALU_DEP_1)
	v_cndmask_b32_e64 v24, v21, v19, s0
	v_cmp_u_f16_e64 s0, v20, v20
	s_wait_alu 0xf1ff
	v_cndmask_b32_e64 v21, v23, v22, s0
	s_delay_alu instid0(VALU_DEP_3) | instskip(NEXT) | instid1(VALU_DEP_2)
	v_cndmask_b32_e64 v20, v24, v22, s0
	v_cmp_class_f32_e64 s1, v21, 0x1f8
	s_delay_alu instid0(VALU_DEP_2)
	v_cmp_neq_f32_e64 s0, v21, v20
	s_or_b32 s0, s0, s1
	s_wait_alu 0xfffe
	s_and_saveexec_b32 s1, s0
	s_cbranch_execz .LBB411_93
; %bb.92:
	v_sub_f32_e32 v18, v21, v20
	s_delay_alu instid0(VALU_DEP_1) | instskip(NEXT) | instid1(VALU_DEP_1)
	v_mul_f32_e32 v19, 0x3fb8aa3b, v18
	v_fma_f32 v21, 0x3fb8aa3b, v18, -v19
	v_rndne_f32_e32 v22, v19
	s_delay_alu instid0(VALU_DEP_1) | instskip(NEXT) | instid1(VALU_DEP_3)
	v_sub_f32_e32 v19, v19, v22
	v_fmamk_f32 v21, v18, 0x32a5705f, v21
	v_cmp_ngt_f32_e64 s0, 0xc2ce8ed0, v18
	s_delay_alu instid0(VALU_DEP_2) | instskip(SKIP_1) | instid1(VALU_DEP_2)
	v_add_f32_e32 v19, v19, v21
	v_cvt_i32_f32_e32 v21, v22
	v_exp_f32_e32 v19, v19
	s_delay_alu instid0(TRANS32_DEP_1) | instskip(SKIP_1) | instid1(VALU_DEP_1)
	v_ldexp_f32 v19, v19, v21
	s_wait_alu 0xf1ff
	v_cndmask_b32_e64 v19, 0, v19, s0
	v_cmp_nlt_f32_e64 s0, 0x42b17218, v18
	s_wait_alu 0xf1ff
	s_delay_alu instid0(VALU_DEP_1) | instskip(NEXT) | instid1(VALU_DEP_1)
	v_cndmask_b32_e64 v21, 0x7f800000, v19, s0
	v_add_f32_e32 v22, 1.0, v21
	s_delay_alu instid0(VALU_DEP_1) | instskip(NEXT) | instid1(VALU_DEP_1)
	v_cvt_f64_f32_e32 v[18:19], v22
	v_frexp_exp_i32_f64_e32 v18, v[18:19]
	v_frexp_mant_f32_e32 v19, v22
	s_delay_alu instid0(VALU_DEP_1) | instskip(SKIP_1) | instid1(VALU_DEP_1)
	v_cmp_gt_f32_e64 s0, 0x3f2aaaab, v19
	v_add_f32_e32 v19, -1.0, v22
	v_sub_f32_e32 v24, v19, v22
	s_delay_alu instid0(VALU_DEP_1)
	v_add_f32_e32 v24, 1.0, v24
	s_wait_alu 0xf1ff
	v_subrev_co_ci_u32_e64 v18, null, 0, v18, s0
	s_mov_b32 s0, 0x3e9b6dac
	v_sub_nc_u32_e32 v23, 0, v18
	v_cvt_f32_i32_e32 v18, v18
	s_delay_alu instid0(VALU_DEP_2) | instskip(SKIP_1) | instid1(VALU_DEP_1)
	v_ldexp_f32 v22, v22, v23
	v_sub_f32_e32 v19, v21, v19
	v_add_f32_e32 v19, v19, v24
	s_delay_alu instid0(VALU_DEP_1) | instskip(NEXT) | instid1(VALU_DEP_4)
	v_ldexp_f32 v19, v19, v23
	v_add_f32_e32 v23, -1.0, v22
	s_delay_alu instid0(VALU_DEP_1) | instskip(NEXT) | instid1(VALU_DEP_1)
	v_dual_add_f32 v25, 1.0, v22 :: v_dual_add_f32 v26, 1.0, v23
	v_add_f32_e32 v24, -1.0, v25
	s_delay_alu instid0(VALU_DEP_1) | instskip(NEXT) | instid1(VALU_DEP_3)
	v_sub_f32_e32 v24, v22, v24
	v_sub_f32_e32 v22, v22, v26
	s_delay_alu instid0(VALU_DEP_2) | instskip(NEXT) | instid1(VALU_DEP_1)
	v_add_f32_e32 v24, v19, v24
	v_dual_add_f32 v19, v19, v22 :: v_dual_add_f32 v26, v25, v24
	s_delay_alu instid0(VALU_DEP_1) | instskip(SKIP_1) | instid1(VALU_DEP_1)
	v_rcp_f32_e32 v22, v26
	v_sub_f32_e32 v25, v25, v26
	v_dual_add_f32 v27, v23, v19 :: v_dual_add_f32 v24, v24, v25
	s_delay_alu instid0(VALU_DEP_1) | instskip(NEXT) | instid1(TRANS32_DEP_1)
	v_sub_f32_e32 v23, v23, v27
	v_mul_f32_e32 v28, v27, v22
	s_delay_alu instid0(VALU_DEP_2) | instskip(NEXT) | instid1(VALU_DEP_2)
	v_add_f32_e32 v19, v19, v23
	v_mul_f32_e32 v29, v26, v28
	s_delay_alu instid0(VALU_DEP_1) | instskip(NEXT) | instid1(VALU_DEP_1)
	v_fma_f32 v25, v28, v26, -v29
	v_fmac_f32_e32 v25, v28, v24
	s_delay_alu instid0(VALU_DEP_1) | instskip(NEXT) | instid1(VALU_DEP_1)
	v_add_f32_e32 v30, v29, v25
	v_sub_f32_e32 v31, v27, v30
	v_sub_f32_e32 v23, v30, v29
	s_delay_alu instid0(VALU_DEP_2) | instskip(NEXT) | instid1(VALU_DEP_2)
	v_sub_f32_e32 v27, v27, v31
	v_sub_f32_e32 v23, v23, v25
	s_delay_alu instid0(VALU_DEP_2) | instskip(NEXT) | instid1(VALU_DEP_1)
	v_sub_f32_e32 v27, v27, v30
	v_add_f32_e32 v19, v19, v27
	s_delay_alu instid0(VALU_DEP_1) | instskip(NEXT) | instid1(VALU_DEP_1)
	v_add_f32_e32 v19, v23, v19
	v_add_f32_e32 v23, v31, v19
	s_delay_alu instid0(VALU_DEP_1) | instskip(NEXT) | instid1(VALU_DEP_1)
	v_mul_f32_e32 v25, v22, v23
	v_mul_f32_e32 v27, v26, v25
	s_delay_alu instid0(VALU_DEP_1) | instskip(NEXT) | instid1(VALU_DEP_1)
	v_fma_f32 v26, v25, v26, -v27
	v_fmac_f32_e32 v26, v25, v24
	v_sub_f32_e32 v30, v31, v23
	s_delay_alu instid0(VALU_DEP_2) | instskip(NEXT) | instid1(VALU_DEP_2)
	v_add_f32_e32 v24, v27, v26
	v_add_f32_e32 v19, v19, v30
	s_delay_alu instid0(VALU_DEP_2) | instskip(SKIP_1) | instid1(VALU_DEP_2)
	v_sub_f32_e32 v29, v23, v24
	v_sub_f32_e32 v27, v24, v27
	;; [unrolled: 1-line block ×3, first 2 shown]
	s_delay_alu instid0(VALU_DEP_1) | instskip(NEXT) | instid1(VALU_DEP_3)
	v_sub_f32_e32 v23, v23, v24
	v_sub_f32_e32 v24, v27, v26
	s_delay_alu instid0(VALU_DEP_2) | instskip(SKIP_1) | instid1(VALU_DEP_1)
	v_add_f32_e32 v19, v19, v23
	v_add_f32_e32 v23, v28, v25
	v_dual_add_f32 v19, v24, v19 :: v_dual_sub_f32 v24, v23, v28
	s_delay_alu instid0(VALU_DEP_1) | instskip(NEXT) | instid1(VALU_DEP_1)
	v_add_f32_e32 v19, v29, v19
	v_dual_sub_f32 v24, v25, v24 :: v_dual_mul_f32 v19, v22, v19
	s_delay_alu instid0(VALU_DEP_1) | instskip(NEXT) | instid1(VALU_DEP_1)
	v_add_f32_e32 v19, v24, v19
	v_add_f32_e32 v22, v23, v19
	s_delay_alu instid0(VALU_DEP_1) | instskip(SKIP_1) | instid1(VALU_DEP_1)
	v_mul_f32_e32 v24, v22, v22
	s_wait_alu 0xfffe
	v_fmaak_f32 v25, s0, v24, 0x3ecc95a3
	v_mul_f32_e32 v26, v22, v24
	v_cmp_neq_f32_e64 s0, 0x7f800000, v21
	s_delay_alu instid0(VALU_DEP_3) | instskip(SKIP_2) | instid1(VALU_DEP_3)
	v_fmaak_f32 v24, v24, v25, 0x3f2aaada
	v_ldexp_f32 v25, v22, 1
	v_sub_f32_e32 v22, v22, v23
	v_mul_f32_e32 v24, v26, v24
	v_mul_f32_e32 v26, 0x3f317218, v18
	s_delay_alu instid0(VALU_DEP_3) | instskip(NEXT) | instid1(VALU_DEP_3)
	v_sub_f32_e32 v19, v19, v22
	v_add_f32_e32 v23, v25, v24
	s_delay_alu instid0(VALU_DEP_2) | instskip(NEXT) | instid1(VALU_DEP_2)
	v_ldexp_f32 v19, v19, 1
	v_sub_f32_e32 v22, v23, v25
	v_fma_f32 v25, 0x3f317218, v18, -v26
	s_delay_alu instid0(VALU_DEP_2) | instskip(NEXT) | instid1(VALU_DEP_1)
	v_sub_f32_e32 v22, v24, v22
	v_dual_fmamk_f32 v18, v18, 0xb102e308, v25 :: v_dual_add_f32 v19, v19, v22
	s_delay_alu instid0(VALU_DEP_1) | instskip(NEXT) | instid1(VALU_DEP_2)
	v_add_f32_e32 v22, v26, v18
	v_add_f32_e32 v24, v23, v19
	s_delay_alu instid0(VALU_DEP_2) | instskip(NEXT) | instid1(VALU_DEP_2)
	v_sub_f32_e32 v26, v22, v26
	v_add_f32_e32 v25, v22, v24
	s_delay_alu instid0(VALU_DEP_2) | instskip(NEXT) | instid1(VALU_DEP_2)
	v_dual_sub_f32 v23, v24, v23 :: v_dual_sub_f32 v18, v18, v26
	v_sub_f32_e32 v27, v25, v22
	s_delay_alu instid0(VALU_DEP_2) | instskip(NEXT) | instid1(VALU_DEP_2)
	v_sub_f32_e32 v19, v19, v23
	v_sub_f32_e32 v28, v25, v27
	;; [unrolled: 1-line block ×3, first 2 shown]
	s_delay_alu instid0(VALU_DEP_3) | instskip(NEXT) | instid1(VALU_DEP_3)
	v_add_f32_e32 v24, v18, v19
	v_sub_f32_e32 v22, v22, v28
	s_delay_alu instid0(VALU_DEP_1) | instskip(NEXT) | instid1(VALU_DEP_3)
	v_add_f32_e32 v22, v23, v22
	v_sub_f32_e32 v23, v24, v18
	s_delay_alu instid0(VALU_DEP_2) | instskip(NEXT) | instid1(VALU_DEP_2)
	v_add_f32_e32 v22, v24, v22
	v_sub_f32_e32 v24, v24, v23
	s_delay_alu instid0(VALU_DEP_1) | instskip(NEXT) | instid1(VALU_DEP_1)
	v_dual_sub_f32 v19, v19, v23 :: v_dual_sub_f32 v18, v18, v24
	v_add_f32_e32 v18, v19, v18
	s_delay_alu instid0(VALU_DEP_4) | instskip(NEXT) | instid1(VALU_DEP_1)
	v_add_f32_e32 v26, v25, v22
	v_sub_f32_e32 v23, v26, v25
	s_delay_alu instid0(VALU_DEP_1) | instskip(NEXT) | instid1(VALU_DEP_1)
	v_sub_f32_e32 v19, v22, v23
	v_add_f32_e32 v18, v18, v19
	s_delay_alu instid0(VALU_DEP_1) | instskip(SKIP_1) | instid1(VALU_DEP_1)
	v_add_f32_e32 v18, v26, v18
	s_wait_alu 0xf1ff
	v_cndmask_b32_e64 v18, 0x7f800000, v18, s0
	v_cmp_gt_f32_e64 s0, 0x33800000, |v21|
	s_wait_alu 0xf1ff
	s_delay_alu instid0(VALU_DEP_1) | instskip(NEXT) | instid1(VALU_DEP_1)
	v_cndmask_b32_e64 v18, v18, v21, s0
	v_add_f32_e32 v18, v20, v18
	s_delay_alu instid0(VALU_DEP_1) | instskip(NEXT) | instid1(VALU_DEP_1)
	v_cvt_f16_f32_e32 v18, v18
	v_cvt_f32_f16_e32 v19, v18
.LBB411_93:
	s_wait_alu 0xfffe
	s_or_b32 exec_lo, exec_lo, s1
	ds_load_u16 v20, v17 offset:12
	v_max_num_f32_e32 v21, v19, v19
	v_cmp_u_f16_e64 s0, v18, v18
	ds_store_b16 v17, v18 offset:10
	s_wait_dscnt 0x1
	v_cvt_f32_f16_e32 v22, v20
	s_delay_alu instid0(VALU_DEP_1) | instskip(SKIP_2) | instid1(VALU_DEP_2)
	v_min_num_f32_e32 v23, v21, v22
	v_max_num_f32_e32 v21, v21, v22
	s_wait_alu 0xf1ff
	v_cndmask_b32_e64 v23, v23, v19, s0
	s_delay_alu instid0(VALU_DEP_2) | instskip(SKIP_2) | instid1(VALU_DEP_1)
	v_cndmask_b32_e64 v24, v21, v19, s0
	v_cmp_u_f16_e64 s0, v20, v20
	s_wait_alu 0xf1ff
	v_cndmask_b32_e64 v21, v23, v22, s0
	s_delay_alu instid0(VALU_DEP_3) | instskip(NEXT) | instid1(VALU_DEP_2)
	v_cndmask_b32_e64 v20, v24, v22, s0
	v_cmp_class_f32_e64 s1, v21, 0x1f8
	s_delay_alu instid0(VALU_DEP_2)
	v_cmp_neq_f32_e64 s0, v21, v20
	s_or_b32 s0, s0, s1
	s_wait_alu 0xfffe
	s_and_saveexec_b32 s1, s0
	s_cbranch_execz .LBB411_95
; %bb.94:
	v_sub_f32_e32 v18, v21, v20
	s_delay_alu instid0(VALU_DEP_1) | instskip(NEXT) | instid1(VALU_DEP_1)
	v_mul_f32_e32 v19, 0x3fb8aa3b, v18
	v_fma_f32 v21, 0x3fb8aa3b, v18, -v19
	v_rndne_f32_e32 v22, v19
	s_delay_alu instid0(VALU_DEP_1) | instskip(NEXT) | instid1(VALU_DEP_3)
	v_sub_f32_e32 v19, v19, v22
	v_fmamk_f32 v21, v18, 0x32a5705f, v21
	v_cmp_ngt_f32_e64 s0, 0xc2ce8ed0, v18
	s_delay_alu instid0(VALU_DEP_2) | instskip(SKIP_1) | instid1(VALU_DEP_2)
	v_add_f32_e32 v19, v19, v21
	v_cvt_i32_f32_e32 v21, v22
	v_exp_f32_e32 v19, v19
	s_delay_alu instid0(TRANS32_DEP_1) | instskip(SKIP_1) | instid1(VALU_DEP_1)
	v_ldexp_f32 v19, v19, v21
	s_wait_alu 0xf1ff
	v_cndmask_b32_e64 v19, 0, v19, s0
	v_cmp_nlt_f32_e64 s0, 0x42b17218, v18
	s_wait_alu 0xf1ff
	s_delay_alu instid0(VALU_DEP_1) | instskip(NEXT) | instid1(VALU_DEP_1)
	v_cndmask_b32_e64 v21, 0x7f800000, v19, s0
	v_add_f32_e32 v22, 1.0, v21
	s_delay_alu instid0(VALU_DEP_1) | instskip(NEXT) | instid1(VALU_DEP_1)
	v_cvt_f64_f32_e32 v[18:19], v22
	v_frexp_exp_i32_f64_e32 v18, v[18:19]
	v_frexp_mant_f32_e32 v19, v22
	s_delay_alu instid0(VALU_DEP_1) | instskip(SKIP_1) | instid1(VALU_DEP_1)
	v_cmp_gt_f32_e64 s0, 0x3f2aaaab, v19
	v_add_f32_e32 v19, -1.0, v22
	v_sub_f32_e32 v24, v19, v22
	s_delay_alu instid0(VALU_DEP_1)
	v_add_f32_e32 v24, 1.0, v24
	s_wait_alu 0xf1ff
	v_subrev_co_ci_u32_e64 v18, null, 0, v18, s0
	s_mov_b32 s0, 0x3e9b6dac
	v_sub_nc_u32_e32 v23, 0, v18
	v_cvt_f32_i32_e32 v18, v18
	s_delay_alu instid0(VALU_DEP_2) | instskip(SKIP_1) | instid1(VALU_DEP_1)
	v_ldexp_f32 v22, v22, v23
	v_sub_f32_e32 v19, v21, v19
	v_add_f32_e32 v19, v19, v24
	s_delay_alu instid0(VALU_DEP_1) | instskip(NEXT) | instid1(VALU_DEP_4)
	v_ldexp_f32 v19, v19, v23
	v_add_f32_e32 v23, -1.0, v22
	s_delay_alu instid0(VALU_DEP_1) | instskip(NEXT) | instid1(VALU_DEP_1)
	v_dual_add_f32 v25, 1.0, v22 :: v_dual_add_f32 v26, 1.0, v23
	v_add_f32_e32 v24, -1.0, v25
	s_delay_alu instid0(VALU_DEP_1) | instskip(NEXT) | instid1(VALU_DEP_3)
	v_sub_f32_e32 v24, v22, v24
	v_sub_f32_e32 v22, v22, v26
	s_delay_alu instid0(VALU_DEP_2) | instskip(NEXT) | instid1(VALU_DEP_1)
	v_add_f32_e32 v24, v19, v24
	v_dual_add_f32 v19, v19, v22 :: v_dual_add_f32 v26, v25, v24
	s_delay_alu instid0(VALU_DEP_1) | instskip(SKIP_1) | instid1(VALU_DEP_1)
	v_rcp_f32_e32 v22, v26
	v_sub_f32_e32 v25, v25, v26
	v_dual_add_f32 v27, v23, v19 :: v_dual_add_f32 v24, v24, v25
	s_delay_alu instid0(VALU_DEP_1) | instskip(NEXT) | instid1(TRANS32_DEP_1)
	v_sub_f32_e32 v23, v23, v27
	v_mul_f32_e32 v28, v27, v22
	s_delay_alu instid0(VALU_DEP_2) | instskip(NEXT) | instid1(VALU_DEP_2)
	v_add_f32_e32 v19, v19, v23
	v_mul_f32_e32 v29, v26, v28
	s_delay_alu instid0(VALU_DEP_1) | instskip(NEXT) | instid1(VALU_DEP_1)
	v_fma_f32 v25, v28, v26, -v29
	v_fmac_f32_e32 v25, v28, v24
	s_delay_alu instid0(VALU_DEP_1) | instskip(NEXT) | instid1(VALU_DEP_1)
	v_add_f32_e32 v30, v29, v25
	v_sub_f32_e32 v31, v27, v30
	v_sub_f32_e32 v23, v30, v29
	s_delay_alu instid0(VALU_DEP_2) | instskip(NEXT) | instid1(VALU_DEP_2)
	v_sub_f32_e32 v27, v27, v31
	v_sub_f32_e32 v23, v23, v25
	s_delay_alu instid0(VALU_DEP_2) | instskip(NEXT) | instid1(VALU_DEP_1)
	v_sub_f32_e32 v27, v27, v30
	v_add_f32_e32 v19, v19, v27
	s_delay_alu instid0(VALU_DEP_1) | instskip(NEXT) | instid1(VALU_DEP_1)
	v_add_f32_e32 v19, v23, v19
	v_add_f32_e32 v23, v31, v19
	s_delay_alu instid0(VALU_DEP_1) | instskip(NEXT) | instid1(VALU_DEP_1)
	v_mul_f32_e32 v25, v22, v23
	v_mul_f32_e32 v27, v26, v25
	s_delay_alu instid0(VALU_DEP_1) | instskip(NEXT) | instid1(VALU_DEP_1)
	v_fma_f32 v26, v25, v26, -v27
	v_fmac_f32_e32 v26, v25, v24
	v_sub_f32_e32 v30, v31, v23
	s_delay_alu instid0(VALU_DEP_2) | instskip(NEXT) | instid1(VALU_DEP_2)
	v_add_f32_e32 v24, v27, v26
	v_add_f32_e32 v19, v19, v30
	s_delay_alu instid0(VALU_DEP_2) | instskip(SKIP_1) | instid1(VALU_DEP_2)
	v_sub_f32_e32 v29, v23, v24
	v_sub_f32_e32 v27, v24, v27
	;; [unrolled: 1-line block ×3, first 2 shown]
	s_delay_alu instid0(VALU_DEP_1) | instskip(NEXT) | instid1(VALU_DEP_3)
	v_sub_f32_e32 v23, v23, v24
	v_sub_f32_e32 v24, v27, v26
	s_delay_alu instid0(VALU_DEP_2) | instskip(SKIP_1) | instid1(VALU_DEP_1)
	v_add_f32_e32 v19, v19, v23
	v_add_f32_e32 v23, v28, v25
	v_dual_add_f32 v19, v24, v19 :: v_dual_sub_f32 v24, v23, v28
	s_delay_alu instid0(VALU_DEP_1) | instskip(NEXT) | instid1(VALU_DEP_1)
	v_add_f32_e32 v19, v29, v19
	v_dual_sub_f32 v24, v25, v24 :: v_dual_mul_f32 v19, v22, v19
	s_delay_alu instid0(VALU_DEP_1) | instskip(NEXT) | instid1(VALU_DEP_1)
	v_add_f32_e32 v19, v24, v19
	v_add_f32_e32 v22, v23, v19
	s_delay_alu instid0(VALU_DEP_1) | instskip(SKIP_1) | instid1(VALU_DEP_1)
	v_mul_f32_e32 v24, v22, v22
	s_wait_alu 0xfffe
	v_fmaak_f32 v25, s0, v24, 0x3ecc95a3
	v_mul_f32_e32 v26, v22, v24
	v_cmp_neq_f32_e64 s0, 0x7f800000, v21
	s_delay_alu instid0(VALU_DEP_3) | instskip(SKIP_2) | instid1(VALU_DEP_3)
	v_fmaak_f32 v24, v24, v25, 0x3f2aaada
	v_ldexp_f32 v25, v22, 1
	v_sub_f32_e32 v22, v22, v23
	v_mul_f32_e32 v24, v26, v24
	v_mul_f32_e32 v26, 0x3f317218, v18
	s_delay_alu instid0(VALU_DEP_3) | instskip(NEXT) | instid1(VALU_DEP_3)
	v_sub_f32_e32 v19, v19, v22
	v_add_f32_e32 v23, v25, v24
	s_delay_alu instid0(VALU_DEP_2) | instskip(NEXT) | instid1(VALU_DEP_2)
	v_ldexp_f32 v19, v19, 1
	v_sub_f32_e32 v22, v23, v25
	v_fma_f32 v25, 0x3f317218, v18, -v26
	s_delay_alu instid0(VALU_DEP_2) | instskip(NEXT) | instid1(VALU_DEP_1)
	v_sub_f32_e32 v22, v24, v22
	v_dual_fmamk_f32 v18, v18, 0xb102e308, v25 :: v_dual_add_f32 v19, v19, v22
	s_delay_alu instid0(VALU_DEP_1) | instskip(NEXT) | instid1(VALU_DEP_2)
	v_add_f32_e32 v22, v26, v18
	v_add_f32_e32 v24, v23, v19
	s_delay_alu instid0(VALU_DEP_2) | instskip(NEXT) | instid1(VALU_DEP_2)
	v_sub_f32_e32 v26, v22, v26
	v_add_f32_e32 v25, v22, v24
	s_delay_alu instid0(VALU_DEP_2) | instskip(NEXT) | instid1(VALU_DEP_2)
	v_dual_sub_f32 v23, v24, v23 :: v_dual_sub_f32 v18, v18, v26
	v_sub_f32_e32 v27, v25, v22
	s_delay_alu instid0(VALU_DEP_2) | instskip(NEXT) | instid1(VALU_DEP_2)
	v_sub_f32_e32 v19, v19, v23
	v_sub_f32_e32 v28, v25, v27
	;; [unrolled: 1-line block ×3, first 2 shown]
	s_delay_alu instid0(VALU_DEP_3) | instskip(NEXT) | instid1(VALU_DEP_3)
	v_add_f32_e32 v24, v18, v19
	v_sub_f32_e32 v22, v22, v28
	s_delay_alu instid0(VALU_DEP_1) | instskip(NEXT) | instid1(VALU_DEP_3)
	v_add_f32_e32 v22, v23, v22
	v_sub_f32_e32 v23, v24, v18
	s_delay_alu instid0(VALU_DEP_2) | instskip(NEXT) | instid1(VALU_DEP_2)
	v_add_f32_e32 v22, v24, v22
	v_sub_f32_e32 v24, v24, v23
	s_delay_alu instid0(VALU_DEP_1) | instskip(NEXT) | instid1(VALU_DEP_1)
	v_dual_sub_f32 v19, v19, v23 :: v_dual_sub_f32 v18, v18, v24
	v_add_f32_e32 v18, v19, v18
	s_delay_alu instid0(VALU_DEP_4) | instskip(NEXT) | instid1(VALU_DEP_1)
	v_add_f32_e32 v26, v25, v22
	v_sub_f32_e32 v23, v26, v25
	s_delay_alu instid0(VALU_DEP_1) | instskip(NEXT) | instid1(VALU_DEP_1)
	v_sub_f32_e32 v19, v22, v23
	v_add_f32_e32 v18, v18, v19
	s_delay_alu instid0(VALU_DEP_1) | instskip(SKIP_1) | instid1(VALU_DEP_1)
	v_add_f32_e32 v18, v26, v18
	s_wait_alu 0xf1ff
	v_cndmask_b32_e64 v18, 0x7f800000, v18, s0
	v_cmp_gt_f32_e64 s0, 0x33800000, |v21|
	s_wait_alu 0xf1ff
	s_delay_alu instid0(VALU_DEP_1) | instskip(NEXT) | instid1(VALU_DEP_1)
	v_cndmask_b32_e64 v18, v18, v21, s0
	v_add_f32_e32 v18, v20, v18
	s_delay_alu instid0(VALU_DEP_1) | instskip(NEXT) | instid1(VALU_DEP_1)
	v_cvt_f16_f32_e32 v18, v18
	v_cvt_f32_f16_e32 v19, v18
.LBB411_95:
	s_wait_alu 0xfffe
	s_or_b32 exec_lo, exec_lo, s1
	ds_load_u16 v20, v17 offset:14
	v_max_num_f32_e32 v21, v19, v19
	v_cmp_u_f16_e64 s0, v18, v18
	ds_store_b16 v17, v18 offset:12
	s_wait_dscnt 0x1
	v_cvt_f32_f16_e32 v22, v20
	s_delay_alu instid0(VALU_DEP_1) | instskip(SKIP_2) | instid1(VALU_DEP_2)
	v_min_num_f32_e32 v23, v21, v22
	v_max_num_f32_e32 v21, v21, v22
	s_wait_alu 0xf1ff
	v_cndmask_b32_e64 v23, v23, v19, s0
	s_delay_alu instid0(VALU_DEP_2) | instskip(SKIP_2) | instid1(VALU_DEP_1)
	v_cndmask_b32_e64 v19, v21, v19, s0
	v_cmp_u_f16_e64 s0, v20, v20
	s_wait_alu 0xf1ff
	v_cndmask_b32_e64 v20, v23, v22, s0
	s_delay_alu instid0(VALU_DEP_3) | instskip(NEXT) | instid1(VALU_DEP_2)
	v_cndmask_b32_e64 v19, v19, v22, s0
	v_cmp_class_f32_e64 s1, v20, 0x1f8
	s_delay_alu instid0(VALU_DEP_2)
	v_cmp_neq_f32_e64 s0, v20, v19
	s_or_b32 s0, s0, s1
	s_wait_alu 0xfffe
	s_and_saveexec_b32 s1, s0
	s_cbranch_execz .LBB411_97
; %bb.96:
	v_sub_f32_e32 v18, v20, v19
	s_delay_alu instid0(VALU_DEP_1) | instskip(SKIP_1) | instid1(VALU_DEP_2)
	v_mul_f32_e32 v20, 0x3fb8aa3b, v18
	v_cmp_ngt_f32_e64 s0, 0xc2ce8ed0, v18
	v_fma_f32 v21, 0x3fb8aa3b, v18, -v20
	v_rndne_f32_e32 v22, v20
	s_delay_alu instid0(VALU_DEP_1) | instskip(NEXT) | instid1(VALU_DEP_1)
	v_dual_fmamk_f32 v21, v18, 0x32a5705f, v21 :: v_dual_sub_f32 v20, v20, v22
	v_add_f32_e32 v20, v20, v21
	v_cvt_i32_f32_e32 v21, v22
	s_delay_alu instid0(VALU_DEP_2) | instskip(NEXT) | instid1(TRANS32_DEP_1)
	v_exp_f32_e32 v20, v20
	v_ldexp_f32 v20, v20, v21
	s_wait_alu 0xf1ff
	s_delay_alu instid0(VALU_DEP_1) | instskip(SKIP_2) | instid1(VALU_DEP_1)
	v_cndmask_b32_e64 v20, 0, v20, s0
	v_cmp_nlt_f32_e64 s0, 0x42b17218, v18
	s_wait_alu 0xf1ff
	v_cndmask_b32_e64 v18, 0x7f800000, v20, s0
	s_delay_alu instid0(VALU_DEP_1) | instskip(NEXT) | instid1(VALU_DEP_1)
	v_add_f32_e32 v22, 1.0, v18
	v_cvt_f64_f32_e32 v[20:21], v22
	s_delay_alu instid0(VALU_DEP_1) | instskip(SKIP_1) | instid1(VALU_DEP_1)
	v_frexp_exp_i32_f64_e32 v20, v[20:21]
	v_frexp_mant_f32_e32 v21, v22
	v_cmp_gt_f32_e64 s0, 0x3f2aaaab, v21
	v_add_f32_e32 v21, -1.0, v22
	s_delay_alu instid0(VALU_DEP_1) | instskip(NEXT) | instid1(VALU_DEP_1)
	v_dual_sub_f32 v24, v21, v22 :: v_dual_sub_f32 v21, v18, v21
	v_add_f32_e32 v24, 1.0, v24
	s_delay_alu instid0(VALU_DEP_1)
	v_add_f32_e32 v21, v21, v24
	s_wait_alu 0xf1ff
	v_subrev_co_ci_u32_e64 v20, null, 0, v20, s0
	s_mov_b32 s0, 0x3e9b6dac
	v_sub_nc_u32_e32 v23, 0, v20
	v_cvt_f32_i32_e32 v20, v20
	s_delay_alu instid0(VALU_DEP_2) | instskip(SKIP_1) | instid1(VALU_DEP_2)
	v_ldexp_f32 v22, v22, v23
	v_ldexp_f32 v21, v21, v23
	v_add_f32_e32 v25, 1.0, v22
	s_delay_alu instid0(VALU_DEP_1) | instskip(NEXT) | instid1(VALU_DEP_1)
	v_dual_add_f32 v23, -1.0, v22 :: v_dual_add_f32 v24, -1.0, v25
	v_add_f32_e32 v26, 1.0, v23
	s_delay_alu instid0(VALU_DEP_2) | instskip(NEXT) | instid1(VALU_DEP_2)
	v_sub_f32_e32 v24, v22, v24
	v_sub_f32_e32 v22, v22, v26
	s_delay_alu instid0(VALU_DEP_2) | instskip(NEXT) | instid1(VALU_DEP_2)
	v_add_f32_e32 v24, v21, v24
	v_add_f32_e32 v21, v21, v22
	s_delay_alu instid0(VALU_DEP_1) | instskip(NEXT) | instid1(VALU_DEP_1)
	v_dual_add_f32 v27, v23, v21 :: v_dual_add_f32 v26, v25, v24
	v_sub_f32_e32 v23, v23, v27
	s_delay_alu instid0(VALU_DEP_2) | instskip(SKIP_1) | instid1(VALU_DEP_1)
	v_rcp_f32_e32 v22, v26
	v_sub_f32_e32 v25, v25, v26
	v_dual_add_f32 v21, v21, v23 :: v_dual_add_f32 v24, v24, v25
	s_delay_alu instid0(TRANS32_DEP_1) | instskip(NEXT) | instid1(VALU_DEP_1)
	v_mul_f32_e32 v28, v27, v22
	v_mul_f32_e32 v29, v26, v28
	s_delay_alu instid0(VALU_DEP_1) | instskip(NEXT) | instid1(VALU_DEP_1)
	v_fma_f32 v25, v28, v26, -v29
	v_fmac_f32_e32 v25, v28, v24
	s_delay_alu instid0(VALU_DEP_1) | instskip(NEXT) | instid1(VALU_DEP_1)
	v_add_f32_e32 v30, v29, v25
	v_sub_f32_e32 v31, v27, v30
	v_sub_f32_e32 v23, v30, v29
	s_delay_alu instid0(VALU_DEP_2) | instskip(NEXT) | instid1(VALU_DEP_2)
	v_sub_f32_e32 v27, v27, v31
	v_sub_f32_e32 v23, v23, v25
	s_delay_alu instid0(VALU_DEP_2) | instskip(NEXT) | instid1(VALU_DEP_1)
	v_sub_f32_e32 v27, v27, v30
	v_add_f32_e32 v21, v21, v27
	s_delay_alu instid0(VALU_DEP_1) | instskip(NEXT) | instid1(VALU_DEP_1)
	v_add_f32_e32 v21, v23, v21
	v_add_f32_e32 v23, v31, v21
	s_delay_alu instid0(VALU_DEP_1) | instskip(NEXT) | instid1(VALU_DEP_1)
	v_mul_f32_e32 v25, v22, v23
	v_dual_sub_f32 v30, v31, v23 :: v_dual_mul_f32 v27, v26, v25
	s_delay_alu instid0(VALU_DEP_1) | instskip(NEXT) | instid1(VALU_DEP_2)
	v_add_f32_e32 v21, v21, v30
	v_fma_f32 v26, v25, v26, -v27
	s_delay_alu instid0(VALU_DEP_1) | instskip(NEXT) | instid1(VALU_DEP_1)
	v_fmac_f32_e32 v26, v25, v24
	v_add_f32_e32 v24, v27, v26
	s_delay_alu instid0(VALU_DEP_1) | instskip(NEXT) | instid1(VALU_DEP_1)
	v_sub_f32_e32 v29, v23, v24
	v_sub_f32_e32 v23, v23, v29
	s_delay_alu instid0(VALU_DEP_1) | instskip(NEXT) | instid1(VALU_DEP_1)
	v_sub_f32_e32 v23, v23, v24
	v_add_f32_e32 v21, v21, v23
	v_add_f32_e32 v23, v28, v25
	v_sub_f32_e32 v27, v24, v27
	s_delay_alu instid0(VALU_DEP_1) | instskip(NEXT) | instid1(VALU_DEP_1)
	v_sub_f32_e32 v24, v27, v26
	v_dual_add_f32 v21, v24, v21 :: v_dual_sub_f32 v24, v23, v28
	s_delay_alu instid0(VALU_DEP_1) | instskip(NEXT) | instid1(VALU_DEP_1)
	v_add_f32_e32 v21, v29, v21
	v_dual_sub_f32 v24, v25, v24 :: v_dual_mul_f32 v21, v22, v21
	s_delay_alu instid0(VALU_DEP_1) | instskip(NEXT) | instid1(VALU_DEP_1)
	v_add_f32_e32 v21, v24, v21
	v_add_f32_e32 v22, v23, v21
	s_delay_alu instid0(VALU_DEP_1) | instskip(SKIP_1) | instid1(VALU_DEP_1)
	v_mul_f32_e32 v24, v22, v22
	s_wait_alu 0xfffe
	v_fmaak_f32 v25, s0, v24, 0x3ecc95a3
	v_mul_f32_e32 v26, v22, v24
	v_cmp_neq_f32_e64 s0, 0x7f800000, v18
	s_delay_alu instid0(VALU_DEP_3) | instskip(SKIP_2) | instid1(VALU_DEP_3)
	v_fmaak_f32 v24, v24, v25, 0x3f2aaada
	v_ldexp_f32 v25, v22, 1
	v_sub_f32_e32 v22, v22, v23
	v_mul_f32_e32 v24, v26, v24
	s_delay_alu instid0(VALU_DEP_2) | instskip(NEXT) | instid1(VALU_DEP_2)
	v_dual_mul_f32 v26, 0x3f317218, v20 :: v_dual_sub_f32 v21, v21, v22
	v_add_f32_e32 v23, v25, v24
	s_delay_alu instid0(VALU_DEP_2) | instskip(NEXT) | instid1(VALU_DEP_2)
	v_ldexp_f32 v21, v21, 1
	v_sub_f32_e32 v22, v23, v25
	s_delay_alu instid0(VALU_DEP_4) | instskip(NEXT) | instid1(VALU_DEP_2)
	v_fma_f32 v25, 0x3f317218, v20, -v26
	v_sub_f32_e32 v22, v24, v22
	s_delay_alu instid0(VALU_DEP_1) | instskip(NEXT) | instid1(VALU_DEP_1)
	v_dual_fmamk_f32 v20, v20, 0xb102e308, v25 :: v_dual_add_f32 v21, v21, v22
	v_add_f32_e32 v22, v26, v20
	s_delay_alu instid0(VALU_DEP_1) | instskip(NEXT) | instid1(VALU_DEP_1)
	v_sub_f32_e32 v26, v22, v26
	v_sub_f32_e32 v20, v20, v26
	s_delay_alu instid0(VALU_DEP_4) | instskip(NEXT) | instid1(VALU_DEP_1)
	v_add_f32_e32 v24, v23, v21
	v_sub_f32_e32 v23, v24, v23
	s_delay_alu instid0(VALU_DEP_1) | instskip(SKIP_1) | instid1(VALU_DEP_1)
	v_sub_f32_e32 v21, v21, v23
	v_add_f32_e32 v25, v22, v24
	v_sub_f32_e32 v27, v25, v22
	s_delay_alu instid0(VALU_DEP_1) | instskip(NEXT) | instid1(VALU_DEP_4)
	v_sub_f32_e32 v23, v24, v27
	v_add_f32_e32 v24, v20, v21
	v_sub_f32_e32 v28, v25, v27
	s_delay_alu instid0(VALU_DEP_1) | instskip(NEXT) | instid1(VALU_DEP_1)
	v_sub_f32_e32 v22, v22, v28
	v_dual_add_f32 v22, v23, v22 :: v_dual_sub_f32 v23, v24, v20
	s_delay_alu instid0(VALU_DEP_1) | instskip(SKIP_1) | instid1(VALU_DEP_2)
	v_dual_add_f32 v22, v24, v22 :: v_dual_sub_f32 v21, v21, v23
	v_sub_f32_e32 v24, v24, v23
	v_add_f32_e32 v26, v25, v22
	s_delay_alu instid0(VALU_DEP_1) | instskip(NEXT) | instid1(VALU_DEP_1)
	v_dual_sub_f32 v20, v20, v24 :: v_dual_sub_f32 v23, v26, v25
	v_dual_add_f32 v20, v21, v20 :: v_dual_sub_f32 v21, v22, v23
	s_delay_alu instid0(VALU_DEP_1) | instskip(NEXT) | instid1(VALU_DEP_1)
	v_add_f32_e32 v20, v20, v21
	v_add_f32_e32 v20, v26, v20
	s_wait_alu 0xf1ff
	s_delay_alu instid0(VALU_DEP_1) | instskip(SKIP_2) | instid1(VALU_DEP_1)
	v_cndmask_b32_e64 v20, 0x7f800000, v20, s0
	v_cmp_gt_f32_e64 s0, 0x33800000, |v18|
	s_wait_alu 0xf1ff
	v_cndmask_b32_e64 v18, v20, v18, s0
	s_delay_alu instid0(VALU_DEP_1) | instskip(NEXT) | instid1(VALU_DEP_1)
	v_add_f32_e32 v18, v19, v18
	v_cvt_f16_f32_e32 v18, v18
.LBB411_97:
	s_wait_alu 0xfffe
	s_or_b32 exec_lo, exec_lo, s1
	ds_store_b16 v17, v18 offset:14
.LBB411_98:
	s_wait_alu 0xfffe
	s_or_b32 exec_lo, exec_lo, s25
	v_mul_u32_u24_e32 v17, 22, v0
	v_mov_b32_e32 v18, v1
	s_mov_b32 s1, exec_lo
	s_wait_loadcnt_dscnt 0x0
	s_barrier_signal -1
	s_barrier_wait -1
	global_inv scope:SCOPE_SE
	v_cmpx_ne_u32_e32 0, v0
	s_cbranch_execz .LBB411_102
; %bb.99:
	v_add_nc_u32_e32 v1, -1, v0
	s_delay_alu instid0(VALU_DEP_1) | instskip(NEXT) | instid1(VALU_DEP_1)
	v_lshrrev_b32_e32 v15, 4, v1
	v_and_b32_e32 v15, 0xffffffe, v15
	s_delay_alu instid0(VALU_DEP_1)
	v_lshl_add_u32 v1, v1, 1, v15
	v_max_num_f32_e32 v15, v8, v8
	ds_load_u16 v1, v1
	s_wait_dscnt 0x0
	v_cvt_f32_f16_e32 v19, v1
	v_cmp_u_f16_e64 s0, v1, v1
	s_delay_alu instid0(VALU_DEP_2) | instskip(SKIP_2) | instid1(VALU_DEP_2)
	v_min_num_f32_e32 v16, v19, v15
	v_max_num_f32_e32 v15, v19, v15
	s_wait_alu 0xf1ff
	v_cndmask_b32_e64 v16, v16, v19, s0
	s_delay_alu instid0(VALU_DEP_2) | instskip(NEXT) | instid1(VALU_DEP_2)
	v_cndmask_b32_e64 v18, v15, v19, s0
	v_cndmask_b32_e64 v15, v16, v8, s24
	s_delay_alu instid0(VALU_DEP_2) | instskip(NEXT) | instid1(VALU_DEP_2)
	v_cndmask_b32_e64 v8, v18, v8, s24
	v_cmp_class_f32_e64 s24, v15, 0x1f8
	s_delay_alu instid0(VALU_DEP_2)
	v_cmp_neq_f32_e64 s0, v15, v8
	s_or_b32 s0, s0, s24
	s_wait_alu 0xfffe
	s_and_saveexec_b32 s24, s0
	s_cbranch_execz .LBB411_101
; %bb.100:
	v_sub_f32_e32 v1, v15, v8
	s_delay_alu instid0(VALU_DEP_1) | instskip(SKIP_1) | instid1(VALU_DEP_2)
	v_mul_f32_e32 v15, 0x3fb8aa3b, v1
	v_cmp_ngt_f32_e64 s0, 0xc2ce8ed0, v1
	v_fma_f32 v16, 0x3fb8aa3b, v1, -v15
	v_rndne_f32_e32 v18, v15
	s_delay_alu instid0(VALU_DEP_1) | instskip(NEXT) | instid1(VALU_DEP_1)
	v_dual_fmamk_f32 v16, v1, 0x32a5705f, v16 :: v_dual_sub_f32 v15, v15, v18
	v_add_f32_e32 v15, v15, v16
	v_cvt_i32_f32_e32 v16, v18
	s_delay_alu instid0(VALU_DEP_2) | instskip(NEXT) | instid1(TRANS32_DEP_1)
	v_exp_f32_e32 v15, v15
	v_ldexp_f32 v15, v15, v16
	s_wait_alu 0xf1ff
	s_delay_alu instid0(VALU_DEP_1) | instskip(SKIP_2) | instid1(VALU_DEP_1)
	v_cndmask_b32_e64 v15, 0, v15, s0
	v_cmp_nlt_f32_e64 s0, 0x42b17218, v1
	s_wait_alu 0xf1ff
	v_cndmask_b32_e64 v1, 0x7f800000, v15, s0
	s_delay_alu instid0(VALU_DEP_1) | instskip(NEXT) | instid1(VALU_DEP_1)
	v_add_f32_e32 v18, 1.0, v1
	v_cvt_f64_f32_e32 v[15:16], v18
	s_delay_alu instid0(VALU_DEP_1) | instskip(SKIP_1) | instid1(VALU_DEP_1)
	v_frexp_exp_i32_f64_e32 v15, v[15:16]
	v_frexp_mant_f32_e32 v16, v18
	v_cmp_gt_f32_e64 s0, 0x3f2aaaab, v16
	v_add_f32_e32 v16, -1.0, v18
	s_delay_alu instid0(VALU_DEP_1) | instskip(SKIP_1) | instid1(VALU_DEP_3)
	v_sub_f32_e32 v20, v16, v18
	s_wait_alu 0xf1ff
	v_subrev_co_ci_u32_e64 v15, null, 0, v15, s0
	s_mov_b32 s0, 0x3e9b6dac
	v_sub_nc_u32_e32 v19, 0, v15
	v_cvt_f32_i32_e32 v15, v15
	s_delay_alu instid0(VALU_DEP_2) | instskip(SKIP_1) | instid1(VALU_DEP_2)
	v_ldexp_f32 v18, v18, v19
	v_sub_f32_e32 v16, v1, v16
	v_dual_add_f32 v20, 1.0, v20 :: v_dual_add_f32 v21, 1.0, v18
	s_delay_alu instid0(VALU_DEP_1) | instskip(NEXT) | instid1(VALU_DEP_1)
	v_add_f32_e32 v16, v16, v20
	v_ldexp_f32 v16, v16, v19
	s_delay_alu instid0(VALU_DEP_3) | instskip(NEXT) | instid1(VALU_DEP_1)
	v_dual_add_f32 v19, -1.0, v18 :: v_dual_add_f32 v20, -1.0, v21
	v_add_f32_e32 v22, 1.0, v19
	s_delay_alu instid0(VALU_DEP_2) | instskip(NEXT) | instid1(VALU_DEP_2)
	v_sub_f32_e32 v20, v18, v20
	v_sub_f32_e32 v18, v18, v22
	s_delay_alu instid0(VALU_DEP_2) | instskip(NEXT) | instid1(VALU_DEP_2)
	v_add_f32_e32 v20, v16, v20
	v_add_f32_e32 v16, v16, v18
	s_delay_alu instid0(VALU_DEP_1) | instskip(NEXT) | instid1(VALU_DEP_1)
	v_add_f32_e32 v23, v19, v16
	v_dual_sub_f32 v19, v19, v23 :: v_dual_add_f32 v22, v21, v20
	s_delay_alu instid0(VALU_DEP_1) | instskip(SKIP_1) | instid1(VALU_DEP_1)
	v_rcp_f32_e32 v18, v22
	v_sub_f32_e32 v21, v21, v22
	v_add_f32_e32 v20, v20, v21
	s_delay_alu instid0(TRANS32_DEP_1) | instskip(NEXT) | instid1(VALU_DEP_1)
	v_mul_f32_e32 v24, v23, v18
	v_mul_f32_e32 v25, v22, v24
	s_delay_alu instid0(VALU_DEP_1) | instskip(NEXT) | instid1(VALU_DEP_1)
	v_fma_f32 v21, v24, v22, -v25
	v_fmac_f32_e32 v21, v24, v20
	v_add_f32_e32 v16, v16, v19
	s_delay_alu instid0(VALU_DEP_2) | instskip(NEXT) | instid1(VALU_DEP_1)
	v_add_f32_e32 v26, v25, v21
	v_sub_f32_e32 v27, v23, v26
	v_sub_f32_e32 v19, v26, v25
	s_delay_alu instid0(VALU_DEP_2) | instskip(NEXT) | instid1(VALU_DEP_2)
	v_sub_f32_e32 v23, v23, v27
	v_sub_f32_e32 v19, v19, v21
	s_delay_alu instid0(VALU_DEP_2) | instskip(NEXT) | instid1(VALU_DEP_1)
	v_sub_f32_e32 v23, v23, v26
	v_add_f32_e32 v16, v16, v23
	s_delay_alu instid0(VALU_DEP_1) | instskip(NEXT) | instid1(VALU_DEP_1)
	v_add_f32_e32 v16, v19, v16
	v_add_f32_e32 v19, v27, v16
	s_delay_alu instid0(VALU_DEP_1) | instskip(NEXT) | instid1(VALU_DEP_1)
	v_mul_f32_e32 v21, v18, v19
	v_dual_sub_f32 v26, v27, v19 :: v_dual_mul_f32 v23, v22, v21
	s_delay_alu instid0(VALU_DEP_1) | instskip(NEXT) | instid1(VALU_DEP_1)
	v_fma_f32 v22, v21, v22, -v23
	v_fmac_f32_e32 v22, v21, v20
	s_delay_alu instid0(VALU_DEP_1) | instskip(NEXT) | instid1(VALU_DEP_1)
	v_add_f32_e32 v20, v23, v22
	v_sub_f32_e32 v23, v20, v23
	v_dual_sub_f32 v25, v19, v20 :: v_dual_add_f32 v16, v16, v26
	s_delay_alu instid0(VALU_DEP_1) | instskip(NEXT) | instid1(VALU_DEP_1)
	v_sub_f32_e32 v19, v19, v25
	v_sub_f32_e32 v19, v19, v20
	s_delay_alu instid0(VALU_DEP_4) | instskip(NEXT) | instid1(VALU_DEP_2)
	v_sub_f32_e32 v20, v23, v22
	v_add_f32_e32 v16, v16, v19
	v_add_f32_e32 v19, v24, v21
	s_delay_alu instid0(VALU_DEP_2) | instskip(NEXT) | instid1(VALU_DEP_2)
	v_add_f32_e32 v16, v20, v16
	v_sub_f32_e32 v20, v19, v24
	s_delay_alu instid0(VALU_DEP_2) | instskip(NEXT) | instid1(VALU_DEP_2)
	v_add_f32_e32 v16, v25, v16
	v_sub_f32_e32 v20, v21, v20
	s_delay_alu instid0(VALU_DEP_2) | instskip(NEXT) | instid1(VALU_DEP_1)
	v_mul_f32_e32 v16, v18, v16
	v_add_f32_e32 v16, v20, v16
	s_delay_alu instid0(VALU_DEP_1) | instskip(NEXT) | instid1(VALU_DEP_1)
	v_add_f32_e32 v18, v19, v16
	v_mul_f32_e32 v20, v18, v18
	s_wait_alu 0xfffe
	s_delay_alu instid0(VALU_DEP_1) | instskip(SKIP_2) | instid1(VALU_DEP_3)
	v_fmaak_f32 v21, s0, v20, 0x3ecc95a3
	v_mul_f32_e32 v22, v18, v20
	v_cmp_neq_f32_e64 s0, 0x7f800000, v1
	v_fmaak_f32 v20, v20, v21, 0x3f2aaada
	v_ldexp_f32 v21, v18, 1
	v_sub_f32_e32 v18, v18, v19
	s_delay_alu instid0(VALU_DEP_3) | instskip(NEXT) | instid1(VALU_DEP_1)
	v_mul_f32_e32 v20, v22, v20
	v_dual_sub_f32 v16, v16, v18 :: v_dual_add_f32 v19, v21, v20
	s_delay_alu instid0(VALU_DEP_1) | instskip(NEXT) | instid1(VALU_DEP_2)
	v_ldexp_f32 v16, v16, 1
	v_sub_f32_e32 v18, v19, v21
	s_delay_alu instid0(VALU_DEP_1) | instskip(NEXT) | instid1(VALU_DEP_1)
	v_sub_f32_e32 v18, v20, v18
	v_add_f32_e32 v16, v16, v18
	s_delay_alu instid0(VALU_DEP_1) | instskip(SKIP_1) | instid1(VALU_DEP_2)
	v_add_f32_e32 v20, v19, v16
	v_mul_f32_e32 v22, 0x3f317218, v15
	v_sub_f32_e32 v19, v20, v19
	s_delay_alu instid0(VALU_DEP_2) | instskip(NEXT) | instid1(VALU_DEP_1)
	v_fma_f32 v21, 0x3f317218, v15, -v22
	v_dual_sub_f32 v16, v16, v19 :: v_dual_fmamk_f32 v15, v15, 0xb102e308, v21
	s_delay_alu instid0(VALU_DEP_1) | instskip(NEXT) | instid1(VALU_DEP_1)
	v_add_f32_e32 v18, v22, v15
	v_add_f32_e32 v21, v18, v20
	v_sub_f32_e32 v22, v18, v22
	s_delay_alu instid0(VALU_DEP_2) | instskip(NEXT) | instid1(VALU_DEP_1)
	v_sub_f32_e32 v23, v21, v18
	v_dual_sub_f32 v15, v15, v22 :: v_dual_sub_f32 v24, v21, v23
	s_delay_alu instid0(VALU_DEP_1) | instskip(NEXT) | instid1(VALU_DEP_2)
	v_dual_sub_f32 v19, v20, v23 :: v_dual_add_f32 v20, v15, v16
	v_sub_f32_e32 v18, v18, v24
	s_delay_alu instid0(VALU_DEP_1) | instskip(NEXT) | instid1(VALU_DEP_1)
	v_dual_add_f32 v18, v19, v18 :: v_dual_sub_f32 v19, v20, v15
	v_add_f32_e32 v18, v20, v18
	s_delay_alu instid0(VALU_DEP_2) | instskip(SKIP_1) | instid1(VALU_DEP_2)
	v_sub_f32_e32 v20, v20, v19
	v_sub_f32_e32 v16, v16, v19
	v_dual_add_f32 v22, v21, v18 :: v_dual_sub_f32 v15, v15, v20
	s_delay_alu instid0(VALU_DEP_1) | instskip(NEXT) | instid1(VALU_DEP_2)
	v_sub_f32_e32 v19, v22, v21
	v_add_f32_e32 v15, v16, v15
	s_delay_alu instid0(VALU_DEP_2) | instskip(NEXT) | instid1(VALU_DEP_1)
	v_sub_f32_e32 v16, v18, v19
	v_add_f32_e32 v15, v15, v16
	s_delay_alu instid0(VALU_DEP_1) | instskip(SKIP_1) | instid1(VALU_DEP_1)
	v_add_f32_e32 v15, v22, v15
	s_wait_alu 0xf1ff
	v_cndmask_b32_e64 v15, 0x7f800000, v15, s0
	v_cmp_gt_f32_e64 s0, 0x33800000, |v1|
	s_wait_alu 0xf1ff
	s_delay_alu instid0(VALU_DEP_1) | instskip(NEXT) | instid1(VALU_DEP_1)
	v_cndmask_b32_e64 v1, v15, v1, s0
	v_add_f32_e32 v1, v8, v1
	s_delay_alu instid0(VALU_DEP_1) | instskip(NEXT) | instid1(VALU_DEP_1)
	v_cvt_f16_f32_e32 v1, v1
	v_cvt_f32_f16_e32 v19, v1
.LBB411_101:
	s_wait_alu 0xfffe
	s_or_b32 exec_lo, exec_lo, s24
	v_max_num_f32_e32 v8, v9, v9
	s_delay_alu instid0(VALU_DEP_2) | instskip(SKIP_2) | instid1(VALU_DEP_2)
	v_max_num_f32_e32 v16, v19, v19
	v_mov_b32_e32 v18, v1
	;;#ASMSTART
	;;#ASMEND
	v_min_num_f32_e32 v15, v16, v8
	v_max_num_f32_e32 v16, v16, v8
	v_mov_b32_e32 v8, v19
.LBB411_102:
	s_wait_alu 0xfffe
	s_or_b32 exec_lo, exec_lo, s1
	v_cmp_u_f16_e64 s0, v18, v18
	s_wait_alu 0xf1ff
	s_delay_alu instid0(VALU_DEP_1) | instskip(SKIP_1) | instid1(VALU_DEP_2)
	v_cndmask_b32_e64 v15, v15, v8, s0
	v_cndmask_b32_e64 v19, v16, v8, s0
	;; [unrolled: 1-line block ×3, first 2 shown]
	s_delay_alu instid0(VALU_DEP_2) | instskip(SKIP_1) | instid1(VALU_DEP_3)
	v_cndmask_b32_e64 v15, v19, v9, s13
	v_mov_b32_e32 v9, v1
	v_cmp_class_f32_e64 s1, v16, 0x1f8
	s_delay_alu instid0(VALU_DEP_3)
	v_cmp_neq_f32_e64 s0, v16, v15
	s_or_b32 s0, s0, s1
	s_wait_alu 0xfffe
	s_and_saveexec_b32 s1, s0
	s_cbranch_execz .LBB411_104
; %bb.103:
	v_sub_f32_e32 v8, v16, v15
	s_delay_alu instid0(VALU_DEP_1) | instskip(NEXT) | instid1(VALU_DEP_1)
	v_mul_f32_e32 v9, 0x3fb8aa3b, v8
	v_fma_f32 v16, 0x3fb8aa3b, v8, -v9
	v_rndne_f32_e32 v18, v9
	s_delay_alu instid0(VALU_DEP_1) | instskip(SKIP_1) | instid1(VALU_DEP_2)
	v_dual_sub_f32 v9, v9, v18 :: v_dual_fmamk_f32 v16, v8, 0x32a5705f, v16
	v_cmp_ngt_f32_e64 s0, 0xc2ce8ed0, v8
	v_add_f32_e32 v9, v9, v16
	v_cvt_i32_f32_e32 v16, v18
	s_delay_alu instid0(VALU_DEP_2) | instskip(NEXT) | instid1(TRANS32_DEP_1)
	v_exp_f32_e32 v9, v9
	v_ldexp_f32 v9, v9, v16
	s_wait_alu 0xf1ff
	s_delay_alu instid0(VALU_DEP_1) | instskip(SKIP_2) | instid1(VALU_DEP_1)
	v_cndmask_b32_e64 v9, 0, v9, s0
	v_cmp_nlt_f32_e64 s0, 0x42b17218, v8
	s_wait_alu 0xf1ff
	v_cndmask_b32_e64 v16, 0x7f800000, v9, s0
	s_delay_alu instid0(VALU_DEP_1) | instskip(NEXT) | instid1(VALU_DEP_1)
	v_add_f32_e32 v18, 1.0, v16
	v_cvt_f64_f32_e32 v[8:9], v18
	s_delay_alu instid0(VALU_DEP_1) | instskip(SKIP_1) | instid1(VALU_DEP_1)
	v_frexp_exp_i32_f64_e32 v8, v[8:9]
	v_frexp_mant_f32_e32 v9, v18
	v_cmp_gt_f32_e64 s0, 0x3f2aaaab, v9
	v_add_f32_e32 v9, -1.0, v18
	s_delay_alu instid0(VALU_DEP_1) | instskip(SKIP_1) | instid1(VALU_DEP_3)
	v_dual_sub_f32 v20, v9, v18 :: v_dual_sub_f32 v9, v16, v9
	s_wait_alu 0xf1ff
	v_subrev_co_ci_u32_e64 v8, null, 0, v8, s0
	s_mov_b32 s0, 0x3e9b6dac
	v_sub_nc_u32_e32 v19, 0, v8
	v_cvt_f32_i32_e32 v8, v8
	s_delay_alu instid0(VALU_DEP_2) | instskip(NEXT) | instid1(VALU_DEP_1)
	v_ldexp_f32 v18, v18, v19
	v_dual_add_f32 v20, 1.0, v20 :: v_dual_add_f32 v21, 1.0, v18
	s_delay_alu instid0(VALU_DEP_1) | instskip(NEXT) | instid1(VALU_DEP_1)
	v_dual_add_f32 v9, v9, v20 :: v_dual_add_f32 v20, -1.0, v21
	v_ldexp_f32 v9, v9, v19
	s_delay_alu instid0(VALU_DEP_2) | instskip(NEXT) | instid1(VALU_DEP_1)
	v_dual_add_f32 v19, -1.0, v18 :: v_dual_sub_f32 v20, v18, v20
	v_add_f32_e32 v22, 1.0, v19
	s_delay_alu instid0(VALU_DEP_2) | instskip(NEXT) | instid1(VALU_DEP_2)
	v_add_f32_e32 v20, v9, v20
	v_sub_f32_e32 v18, v18, v22
	s_delay_alu instid0(VALU_DEP_1) | instskip(NEXT) | instid1(VALU_DEP_1)
	v_add_f32_e32 v9, v9, v18
	v_dual_add_f32 v23, v19, v9 :: v_dual_add_f32 v22, v21, v20
	s_delay_alu instid0(VALU_DEP_1) | instskip(NEXT) | instid1(VALU_DEP_2)
	v_sub_f32_e32 v19, v19, v23
	v_rcp_f32_e32 v18, v22
	v_sub_f32_e32 v21, v21, v22
	s_delay_alu instid0(VALU_DEP_1) | instskip(NEXT) | instid1(TRANS32_DEP_1)
	v_dual_add_f32 v20, v20, v21 :: v_dual_add_f32 v9, v9, v19
	v_mul_f32_e32 v24, v23, v18
	s_delay_alu instid0(VALU_DEP_1) | instskip(NEXT) | instid1(VALU_DEP_1)
	v_mul_f32_e32 v25, v22, v24
	v_fma_f32 v21, v24, v22, -v25
	s_delay_alu instid0(VALU_DEP_1) | instskip(NEXT) | instid1(VALU_DEP_1)
	v_fmac_f32_e32 v21, v24, v20
	v_add_f32_e32 v26, v25, v21
	s_delay_alu instid0(VALU_DEP_1) | instskip(NEXT) | instid1(VALU_DEP_1)
	v_sub_f32_e32 v27, v23, v26
	v_sub_f32_e32 v23, v23, v27
	;; [unrolled: 1-line block ×3, first 2 shown]
	s_delay_alu instid0(VALU_DEP_2) | instskip(NEXT) | instid1(VALU_DEP_2)
	v_sub_f32_e32 v23, v23, v26
	v_sub_f32_e32 v19, v19, v21
	s_delay_alu instid0(VALU_DEP_2) | instskip(NEXT) | instid1(VALU_DEP_1)
	v_add_f32_e32 v9, v9, v23
	v_add_f32_e32 v9, v19, v9
	s_delay_alu instid0(VALU_DEP_1) | instskip(NEXT) | instid1(VALU_DEP_1)
	v_add_f32_e32 v19, v27, v9
	v_mul_f32_e32 v21, v18, v19
	s_delay_alu instid0(VALU_DEP_1) | instskip(NEXT) | instid1(VALU_DEP_1)
	v_dual_sub_f32 v26, v27, v19 :: v_dual_mul_f32 v23, v22, v21
	v_add_f32_e32 v9, v9, v26
	s_delay_alu instid0(VALU_DEP_2) | instskip(NEXT) | instid1(VALU_DEP_1)
	v_fma_f32 v22, v21, v22, -v23
	v_fmac_f32_e32 v22, v21, v20
	s_delay_alu instid0(VALU_DEP_1) | instskip(NEXT) | instid1(VALU_DEP_1)
	v_add_f32_e32 v20, v23, v22
	v_sub_f32_e32 v25, v19, v20
	v_sub_f32_e32 v23, v20, v23
	s_delay_alu instid0(VALU_DEP_2) | instskip(NEXT) | instid1(VALU_DEP_1)
	v_sub_f32_e32 v19, v19, v25
	v_sub_f32_e32 v19, v19, v20
	s_delay_alu instid0(VALU_DEP_1) | instskip(SKIP_1) | instid1(VALU_DEP_1)
	v_dual_sub_f32 v20, v23, v22 :: v_dual_add_f32 v9, v9, v19
	v_add_f32_e32 v19, v24, v21
	v_dual_add_f32 v9, v20, v9 :: v_dual_sub_f32 v20, v19, v24
	s_delay_alu instid0(VALU_DEP_1) | instskip(NEXT) | instid1(VALU_DEP_1)
	v_add_f32_e32 v9, v25, v9
	v_dual_sub_f32 v20, v21, v20 :: v_dual_mul_f32 v9, v18, v9
	s_delay_alu instid0(VALU_DEP_1) | instskip(NEXT) | instid1(VALU_DEP_1)
	v_add_f32_e32 v9, v20, v9
	v_add_f32_e32 v18, v19, v9
	s_delay_alu instid0(VALU_DEP_1) | instskip(SKIP_1) | instid1(VALU_DEP_1)
	v_mul_f32_e32 v20, v18, v18
	s_wait_alu 0xfffe
	v_fmaak_f32 v21, s0, v20, 0x3ecc95a3
	v_mul_f32_e32 v22, v18, v20
	v_cmp_neq_f32_e64 s0, 0x7f800000, v16
	s_delay_alu instid0(VALU_DEP_3) | instskip(SKIP_2) | instid1(VALU_DEP_3)
	v_fmaak_f32 v20, v20, v21, 0x3f2aaada
	v_ldexp_f32 v21, v18, 1
	v_sub_f32_e32 v18, v18, v19
	v_mul_f32_e32 v20, v22, v20
	s_delay_alu instid0(VALU_DEP_2) | instskip(NEXT) | instid1(VALU_DEP_2)
	v_dual_mul_f32 v22, 0x3f317218, v8 :: v_dual_sub_f32 v9, v9, v18
	v_add_f32_e32 v19, v21, v20
	s_delay_alu instid0(VALU_DEP_2) | instskip(NEXT) | instid1(VALU_DEP_2)
	v_ldexp_f32 v9, v9, 1
	v_sub_f32_e32 v18, v19, v21
	s_delay_alu instid0(VALU_DEP_4) | instskip(NEXT) | instid1(VALU_DEP_2)
	v_fma_f32 v21, 0x3f317218, v8, -v22
	v_sub_f32_e32 v18, v20, v18
	s_delay_alu instid0(VALU_DEP_1) | instskip(NEXT) | instid1(VALU_DEP_1)
	v_dual_fmamk_f32 v8, v8, 0xb102e308, v21 :: v_dual_add_f32 v9, v9, v18
	v_add_f32_e32 v18, v22, v8
	s_delay_alu instid0(VALU_DEP_2) | instskip(NEXT) | instid1(VALU_DEP_2)
	v_add_f32_e32 v20, v19, v9
	v_sub_f32_e32 v22, v18, v22
	s_delay_alu instid0(VALU_DEP_2) | instskip(SKIP_1) | instid1(VALU_DEP_3)
	v_add_f32_e32 v21, v18, v20
	v_sub_f32_e32 v19, v20, v19
	v_sub_f32_e32 v8, v8, v22
	s_delay_alu instid0(VALU_DEP_3) | instskip(NEXT) | instid1(VALU_DEP_3)
	v_sub_f32_e32 v23, v21, v18
	v_sub_f32_e32 v9, v9, v19
	s_delay_alu instid0(VALU_DEP_2) | instskip(SKIP_1) | instid1(VALU_DEP_3)
	v_sub_f32_e32 v24, v21, v23
	v_sub_f32_e32 v19, v20, v23
	v_add_f32_e32 v20, v8, v9
	s_delay_alu instid0(VALU_DEP_3) | instskip(NEXT) | instid1(VALU_DEP_1)
	v_sub_f32_e32 v18, v18, v24
	v_dual_add_f32 v18, v19, v18 :: v_dual_sub_f32 v19, v20, v8
	s_delay_alu instid0(VALU_DEP_1) | instskip(NEXT) | instid1(VALU_DEP_2)
	v_add_f32_e32 v18, v20, v18
	v_sub_f32_e32 v20, v20, v19
	v_sub_f32_e32 v9, v9, v19
	s_delay_alu instid0(VALU_DEP_3) | instskip(NEXT) | instid1(VALU_DEP_1)
	v_add_f32_e32 v22, v21, v18
	v_dual_sub_f32 v8, v8, v20 :: v_dual_sub_f32 v19, v22, v21
	s_delay_alu instid0(VALU_DEP_1) | instskip(NEXT) | instid1(VALU_DEP_1)
	v_dual_add_f32 v8, v9, v8 :: v_dual_sub_f32 v9, v18, v19
	v_add_f32_e32 v8, v8, v9
	s_delay_alu instid0(VALU_DEP_1) | instskip(SKIP_1) | instid1(VALU_DEP_1)
	v_add_f32_e32 v8, v22, v8
	s_wait_alu 0xf1ff
	v_cndmask_b32_e64 v8, 0x7f800000, v8, s0
	v_cmp_gt_f32_e64 s0, 0x33800000, |v16|
	s_wait_alu 0xf1ff
	s_delay_alu instid0(VALU_DEP_1) | instskip(NEXT) | instid1(VALU_DEP_1)
	v_cndmask_b32_e64 v8, v8, v16, s0
	v_add_f32_e32 v8, v15, v8
	s_delay_alu instid0(VALU_DEP_1) | instskip(NEXT) | instid1(VALU_DEP_1)
	v_cvt_f16_f32_e32 v18, v8
	v_cvt_f32_f16_e32 v8, v18
	v_mov_b32_e32 v9, v18
.LBB411_104:
	s_wait_alu 0xfffe
	s_or_b32 exec_lo, exec_lo, s1
	s_delay_alu instid0(VALU_DEP_2) | instskip(SKIP_1) | instid1(VALU_DEP_2)
	v_dual_max_num_f32 v15, v10, v10 :: v_dual_max_num_f32 v16, v8, v8
	v_cmp_u_f16_e64 s0, v18, v18
	v_min_num_f32_e32 v19, v16, v15
	v_max_num_f32_e32 v15, v16, v15
	s_wait_alu 0xf1ff
	s_delay_alu instid0(VALU_DEP_2) | instskip(NEXT) | instid1(VALU_DEP_2)
	v_cndmask_b32_e64 v16, v19, v8, s0
	v_cndmask_b32_e64 v15, v15, v8, s0
	s_delay_alu instid0(VALU_DEP_2) | instskip(NEXT) | instid1(VALU_DEP_2)
	v_cndmask_b32_e64 v16, v16, v10, s14
	v_cndmask_b32_e64 v15, v15, v10, s14
	v_mov_b32_e32 v10, v9
	s_delay_alu instid0(VALU_DEP_3) | instskip(NEXT) | instid1(VALU_DEP_3)
	v_cmp_class_f32_e64 s1, v16, 0x1f8
	v_cmp_neq_f32_e64 s0, v16, v15
	s_or_b32 s0, s0, s1
	s_wait_alu 0xfffe
	s_and_saveexec_b32 s1, s0
	s_cbranch_execz .LBB411_106
; %bb.105:
	v_sub_f32_e32 v8, v16, v15
	s_delay_alu instid0(VALU_DEP_1) | instskip(SKIP_1) | instid1(VALU_DEP_2)
	v_mul_f32_e32 v10, 0x3fb8aa3b, v8
	v_cmp_ngt_f32_e64 s0, 0xc2ce8ed0, v8
	v_fma_f32 v16, 0x3fb8aa3b, v8, -v10
	v_rndne_f32_e32 v18, v10
	s_delay_alu instid0(VALU_DEP_2) | instskip(NEXT) | instid1(VALU_DEP_2)
	v_fmamk_f32 v16, v8, 0x32a5705f, v16
	v_sub_f32_e32 v10, v10, v18
	s_delay_alu instid0(VALU_DEP_1) | instskip(SKIP_1) | instid1(VALU_DEP_2)
	v_add_f32_e32 v10, v10, v16
	v_cvt_i32_f32_e32 v16, v18
	v_exp_f32_e32 v10, v10
	s_delay_alu instid0(TRANS32_DEP_1) | instskip(SKIP_1) | instid1(VALU_DEP_1)
	v_ldexp_f32 v10, v10, v16
	s_wait_alu 0xf1ff
	v_cndmask_b32_e64 v10, 0, v10, s0
	v_cmp_nlt_f32_e64 s0, 0x42b17218, v8
	s_wait_alu 0xf1ff
	s_delay_alu instid0(VALU_DEP_1) | instskip(NEXT) | instid1(VALU_DEP_1)
	v_cndmask_b32_e64 v8, 0x7f800000, v10, s0
	v_add_f32_e32 v10, 1.0, v8
	s_delay_alu instid0(VALU_DEP_1) | instskip(NEXT) | instid1(VALU_DEP_1)
	v_cvt_f64_f32_e32 v[18:19], v10
	v_frexp_exp_i32_f64_e32 v16, v[18:19]
	v_frexp_mant_f32_e32 v18, v10
	s_delay_alu instid0(VALU_DEP_1) | instskip(SKIP_1) | instid1(VALU_DEP_1)
	v_cmp_gt_f32_e64 s0, 0x3f2aaaab, v18
	v_add_f32_e32 v18, -1.0, v10
	v_sub_f32_e32 v20, v18, v10
	v_sub_f32_e32 v18, v8, v18
	s_delay_alu instid0(VALU_DEP_2) | instskip(NEXT) | instid1(VALU_DEP_1)
	v_add_f32_e32 v20, 1.0, v20
	v_add_f32_e32 v18, v18, v20
	s_wait_alu 0xf1ff
	v_subrev_co_ci_u32_e64 v16, null, 0, v16, s0
	s_mov_b32 s0, 0x3e9b6dac
	v_sub_nc_u32_e32 v19, 0, v16
	v_cvt_f32_i32_e32 v16, v16
	s_delay_alu instid0(VALU_DEP_2) | instskip(SKIP_1) | instid1(VALU_DEP_2)
	v_ldexp_f32 v10, v10, v19
	v_ldexp_f32 v18, v18, v19
	v_add_f32_e32 v21, 1.0, v10
	s_delay_alu instid0(VALU_DEP_1) | instskip(NEXT) | instid1(VALU_DEP_1)
	v_dual_add_f32 v19, -1.0, v10 :: v_dual_add_f32 v20, -1.0, v21
	v_add_f32_e32 v22, 1.0, v19
	s_delay_alu instid0(VALU_DEP_2) | instskip(NEXT) | instid1(VALU_DEP_2)
	v_sub_f32_e32 v20, v10, v20
	v_sub_f32_e32 v10, v10, v22
	s_delay_alu instid0(VALU_DEP_2) | instskip(NEXT) | instid1(VALU_DEP_2)
	v_add_f32_e32 v20, v18, v20
	v_add_f32_e32 v10, v18, v10
	s_delay_alu instid0(VALU_DEP_1) | instskip(NEXT) | instid1(VALU_DEP_1)
	v_dual_add_f32 v22, v21, v20 :: v_dual_add_f32 v23, v19, v10
	v_rcp_f32_e32 v18, v22
	v_sub_f32_e32 v21, v21, v22
	s_delay_alu instid0(VALU_DEP_1) | instskip(NEXT) | instid1(TRANS32_DEP_1)
	v_dual_sub_f32 v19, v19, v23 :: v_dual_add_f32 v20, v20, v21
	v_mul_f32_e32 v24, v23, v18
	s_delay_alu instid0(VALU_DEP_2) | instskip(NEXT) | instid1(VALU_DEP_2)
	v_add_f32_e32 v10, v10, v19
	v_mul_f32_e32 v25, v22, v24
	s_delay_alu instid0(VALU_DEP_1) | instskip(NEXT) | instid1(VALU_DEP_1)
	v_fma_f32 v21, v24, v22, -v25
	v_fmac_f32_e32 v21, v24, v20
	s_delay_alu instid0(VALU_DEP_1) | instskip(NEXT) | instid1(VALU_DEP_1)
	v_add_f32_e32 v26, v25, v21
	v_sub_f32_e32 v27, v23, v26
	v_sub_f32_e32 v19, v26, v25
	s_delay_alu instid0(VALU_DEP_2) | instskip(NEXT) | instid1(VALU_DEP_2)
	v_sub_f32_e32 v23, v23, v27
	v_sub_f32_e32 v19, v19, v21
	s_delay_alu instid0(VALU_DEP_2) | instskip(NEXT) | instid1(VALU_DEP_1)
	v_sub_f32_e32 v23, v23, v26
	v_add_f32_e32 v10, v10, v23
	s_delay_alu instid0(VALU_DEP_1) | instskip(NEXT) | instid1(VALU_DEP_1)
	v_add_f32_e32 v10, v19, v10
	v_add_f32_e32 v19, v27, v10
	s_delay_alu instid0(VALU_DEP_1) | instskip(NEXT) | instid1(VALU_DEP_1)
	v_mul_f32_e32 v21, v18, v19
	v_dual_sub_f32 v26, v27, v19 :: v_dual_mul_f32 v23, v22, v21
	s_delay_alu instid0(VALU_DEP_1) | instskip(NEXT) | instid1(VALU_DEP_2)
	v_add_f32_e32 v10, v10, v26
	v_fma_f32 v22, v21, v22, -v23
	s_delay_alu instid0(VALU_DEP_1) | instskip(NEXT) | instid1(VALU_DEP_1)
	v_fmac_f32_e32 v22, v21, v20
	v_add_f32_e32 v20, v23, v22
	s_delay_alu instid0(VALU_DEP_1) | instskip(SKIP_1) | instid1(VALU_DEP_2)
	v_sub_f32_e32 v25, v19, v20
	v_sub_f32_e32 v23, v20, v23
	;; [unrolled: 1-line block ×3, first 2 shown]
	s_delay_alu instid0(VALU_DEP_1) | instskip(NEXT) | instid1(VALU_DEP_3)
	v_sub_f32_e32 v19, v19, v20
	v_sub_f32_e32 v20, v23, v22
	s_delay_alu instid0(VALU_DEP_2) | instskip(NEXT) | instid1(VALU_DEP_1)
	v_dual_add_f32 v10, v10, v19 :: v_dual_add_f32 v19, v24, v21
	v_add_f32_e32 v10, v20, v10
	s_delay_alu instid0(VALU_DEP_2) | instskip(NEXT) | instid1(VALU_DEP_2)
	v_sub_f32_e32 v20, v19, v24
	v_add_f32_e32 v10, v25, v10
	s_delay_alu instid0(VALU_DEP_2) | instskip(NEXT) | instid1(VALU_DEP_2)
	v_sub_f32_e32 v20, v21, v20
	v_mul_f32_e32 v10, v18, v10
	s_delay_alu instid0(VALU_DEP_1) | instskip(NEXT) | instid1(VALU_DEP_1)
	v_add_f32_e32 v10, v20, v10
	v_add_f32_e32 v18, v19, v10
	s_delay_alu instid0(VALU_DEP_1) | instskip(SKIP_1) | instid1(VALU_DEP_1)
	v_mul_f32_e32 v20, v18, v18
	s_wait_alu 0xfffe
	v_fmaak_f32 v21, s0, v20, 0x3ecc95a3
	v_mul_f32_e32 v22, v18, v20
	v_cmp_neq_f32_e64 s0, 0x7f800000, v8
	s_delay_alu instid0(VALU_DEP_3) | instskip(SKIP_2) | instid1(VALU_DEP_3)
	v_fmaak_f32 v20, v20, v21, 0x3f2aaada
	v_ldexp_f32 v21, v18, 1
	v_sub_f32_e32 v18, v18, v19
	v_mul_f32_e32 v20, v22, v20
	v_mul_f32_e32 v22, 0x3f317218, v16
	s_delay_alu instid0(VALU_DEP_2) | instskip(NEXT) | instid1(VALU_DEP_1)
	v_dual_sub_f32 v10, v10, v18 :: v_dual_add_f32 v19, v21, v20
	v_ldexp_f32 v10, v10, 1
	s_delay_alu instid0(VALU_DEP_2) | instskip(NEXT) | instid1(VALU_DEP_4)
	v_sub_f32_e32 v18, v19, v21
	v_fma_f32 v21, 0x3f317218, v16, -v22
	s_delay_alu instid0(VALU_DEP_2) | instskip(NEXT) | instid1(VALU_DEP_2)
	v_sub_f32_e32 v18, v20, v18
	v_fmamk_f32 v16, v16, 0xb102e308, v21
	s_delay_alu instid0(VALU_DEP_2) | instskip(NEXT) | instid1(VALU_DEP_2)
	v_add_f32_e32 v10, v10, v18
	v_add_f32_e32 v18, v22, v16
	s_delay_alu instid0(VALU_DEP_2) | instskip(NEXT) | instid1(VALU_DEP_2)
	v_add_f32_e32 v20, v19, v10
	v_sub_f32_e32 v22, v18, v22
	s_delay_alu instid0(VALU_DEP_2) | instskip(SKIP_1) | instid1(VALU_DEP_3)
	v_add_f32_e32 v21, v18, v20
	v_sub_f32_e32 v19, v20, v19
	v_sub_f32_e32 v16, v16, v22
	s_delay_alu instid0(VALU_DEP_2) | instskip(NEXT) | instid1(VALU_DEP_1)
	v_dual_sub_f32 v23, v21, v18 :: v_dual_sub_f32 v10, v10, v19
	v_sub_f32_e32 v24, v21, v23
	v_sub_f32_e32 v19, v20, v23
	s_delay_alu instid0(VALU_DEP_3) | instskip(NEXT) | instid1(VALU_DEP_3)
	v_add_f32_e32 v20, v16, v10
	v_sub_f32_e32 v18, v18, v24
	s_delay_alu instid0(VALU_DEP_1) | instskip(NEXT) | instid1(VALU_DEP_1)
	v_dual_add_f32 v18, v19, v18 :: v_dual_sub_f32 v19, v20, v16
	v_add_f32_e32 v18, v20, v18
	s_delay_alu instid0(VALU_DEP_2) | instskip(SKIP_1) | instid1(VALU_DEP_3)
	v_sub_f32_e32 v20, v20, v19
	v_sub_f32_e32 v10, v10, v19
	v_add_f32_e32 v22, v21, v18
	s_delay_alu instid0(VALU_DEP_1) | instskip(NEXT) | instid1(VALU_DEP_1)
	v_dual_sub_f32 v16, v16, v20 :: v_dual_sub_f32 v19, v22, v21
	v_add_f32_e32 v10, v10, v16
	s_delay_alu instid0(VALU_DEP_2) | instskip(NEXT) | instid1(VALU_DEP_1)
	v_sub_f32_e32 v16, v18, v19
	v_add_f32_e32 v10, v10, v16
	s_delay_alu instid0(VALU_DEP_1) | instskip(SKIP_1) | instid1(VALU_DEP_1)
	v_add_f32_e32 v10, v22, v10
	s_wait_alu 0xf1ff
	v_cndmask_b32_e64 v10, 0x7f800000, v10, s0
	v_cmp_gt_f32_e64 s0, 0x33800000, |v8|
	s_wait_alu 0xf1ff
	s_delay_alu instid0(VALU_DEP_1) | instskip(NEXT) | instid1(VALU_DEP_1)
	v_cndmask_b32_e64 v8, v10, v8, s0
	v_add_f32_e32 v8, v15, v8
	s_delay_alu instid0(VALU_DEP_1) | instskip(NEXT) | instid1(VALU_DEP_1)
	v_cvt_f16_f32_e32 v18, v8
	v_cvt_f32_f16_e32 v8, v18
	v_mov_b32_e32 v10, v18
.LBB411_106:
	s_wait_alu 0xfffe
	s_or_b32 exec_lo, exec_lo, s1
	s_delay_alu instid0(VALU_DEP_2) | instskip(SKIP_1) | instid1(VALU_DEP_2)
	v_dual_max_num_f32 v15, v11, v11 :: v_dual_max_num_f32 v16, v8, v8
	v_cmp_u_f16_e64 s0, v18, v18
	v_min_num_f32_e32 v19, v16, v15
	v_max_num_f32_e32 v15, v16, v15
	s_wait_alu 0xf1ff
	s_delay_alu instid0(VALU_DEP_2) | instskip(NEXT) | instid1(VALU_DEP_2)
	v_cndmask_b32_e64 v16, v19, v8, s0
	v_cndmask_b32_e64 v15, v15, v8, s0
	s_delay_alu instid0(VALU_DEP_2) | instskip(NEXT) | instid1(VALU_DEP_2)
	v_cndmask_b32_e64 v16, v16, v11, s15
	v_cndmask_b32_e64 v15, v15, v11, s15
	v_mov_b32_e32 v11, v10
	s_delay_alu instid0(VALU_DEP_3) | instskip(NEXT) | instid1(VALU_DEP_3)
	v_cmp_class_f32_e64 s1, v16, 0x1f8
	v_cmp_neq_f32_e64 s0, v16, v15
	s_or_b32 s0, s0, s1
	s_wait_alu 0xfffe
	s_and_saveexec_b32 s1, s0
	s_cbranch_execz .LBB411_108
; %bb.107:
	v_sub_f32_e32 v8, v16, v15
	s_delay_alu instid0(VALU_DEP_1) | instskip(NEXT) | instid1(VALU_DEP_1)
	v_mul_f32_e32 v11, 0x3fb8aa3b, v8
	v_fma_f32 v16, 0x3fb8aa3b, v8, -v11
	v_rndne_f32_e32 v18, v11
	s_delay_alu instid0(VALU_DEP_1) | instskip(SKIP_1) | instid1(VALU_DEP_2)
	v_dual_sub_f32 v11, v11, v18 :: v_dual_fmamk_f32 v16, v8, 0x32a5705f, v16
	v_cmp_ngt_f32_e64 s0, 0xc2ce8ed0, v8
	v_add_f32_e32 v11, v11, v16
	v_cvt_i32_f32_e32 v16, v18
	s_delay_alu instid0(VALU_DEP_2) | instskip(NEXT) | instid1(TRANS32_DEP_1)
	v_exp_f32_e32 v11, v11
	v_ldexp_f32 v11, v11, v16
	s_wait_alu 0xf1ff
	s_delay_alu instid0(VALU_DEP_1) | instskip(SKIP_2) | instid1(VALU_DEP_1)
	v_cndmask_b32_e64 v11, 0, v11, s0
	v_cmp_nlt_f32_e64 s0, 0x42b17218, v8
	s_wait_alu 0xf1ff
	v_cndmask_b32_e64 v8, 0x7f800000, v11, s0
	s_delay_alu instid0(VALU_DEP_1) | instskip(NEXT) | instid1(VALU_DEP_1)
	v_add_f32_e32 v11, 1.0, v8
	v_cvt_f64_f32_e32 v[18:19], v11
	s_delay_alu instid0(VALU_DEP_1) | instskip(SKIP_1) | instid1(VALU_DEP_1)
	v_frexp_exp_i32_f64_e32 v16, v[18:19]
	v_frexp_mant_f32_e32 v18, v11
	v_cmp_gt_f32_e64 s0, 0x3f2aaaab, v18
	v_add_f32_e32 v18, -1.0, v11
	s_delay_alu instid0(VALU_DEP_1)
	v_sub_f32_e32 v20, v18, v11
	v_sub_f32_e32 v18, v8, v18
	s_wait_alu 0xf1ff
	v_subrev_co_ci_u32_e64 v16, null, 0, v16, s0
	s_mov_b32 s0, 0x3e9b6dac
	v_sub_nc_u32_e32 v19, 0, v16
	v_cvt_f32_i32_e32 v16, v16
	s_delay_alu instid0(VALU_DEP_2) | instskip(NEXT) | instid1(VALU_DEP_1)
	v_ldexp_f32 v11, v11, v19
	v_dual_add_f32 v20, 1.0, v20 :: v_dual_add_f32 v21, 1.0, v11
	s_delay_alu instid0(VALU_DEP_1) | instskip(NEXT) | instid1(VALU_DEP_2)
	v_add_f32_e32 v18, v18, v20
	v_add_f32_e32 v20, -1.0, v21
	s_delay_alu instid0(VALU_DEP_2) | instskip(NEXT) | instid1(VALU_DEP_2)
	v_ldexp_f32 v18, v18, v19
	v_dual_add_f32 v19, -1.0, v11 :: v_dual_sub_f32 v20, v11, v20
	s_delay_alu instid0(VALU_DEP_1) | instskip(NEXT) | instid1(VALU_DEP_1)
	v_add_f32_e32 v22, 1.0, v19
	v_sub_f32_e32 v11, v11, v22
	s_delay_alu instid0(VALU_DEP_1) | instskip(NEXT) | instid1(VALU_DEP_1)
	v_add_f32_e32 v11, v18, v11
	v_dual_add_f32 v20, v18, v20 :: v_dual_add_f32 v23, v19, v11
	s_delay_alu instid0(VALU_DEP_1) | instskip(NEXT) | instid1(VALU_DEP_1)
	v_dual_add_f32 v22, v21, v20 :: v_dual_sub_f32 v19, v19, v23
	v_rcp_f32_e32 v18, v22
	v_sub_f32_e32 v21, v21, v22
	s_delay_alu instid0(VALU_DEP_1) | instskip(NEXT) | instid1(TRANS32_DEP_1)
	v_dual_add_f32 v11, v11, v19 :: v_dual_add_f32 v20, v20, v21
	v_mul_f32_e32 v24, v23, v18
	s_delay_alu instid0(VALU_DEP_1) | instskip(NEXT) | instid1(VALU_DEP_1)
	v_mul_f32_e32 v25, v22, v24
	v_fma_f32 v21, v24, v22, -v25
	s_delay_alu instid0(VALU_DEP_1) | instskip(NEXT) | instid1(VALU_DEP_1)
	v_fmac_f32_e32 v21, v24, v20
	v_add_f32_e32 v26, v25, v21
	s_delay_alu instid0(VALU_DEP_1) | instskip(SKIP_1) | instid1(VALU_DEP_2)
	v_sub_f32_e32 v27, v23, v26
	v_sub_f32_e32 v19, v26, v25
	;; [unrolled: 1-line block ×3, first 2 shown]
	s_delay_alu instid0(VALU_DEP_2) | instskip(NEXT) | instid1(VALU_DEP_2)
	v_sub_f32_e32 v19, v19, v21
	v_sub_f32_e32 v23, v23, v26
	s_delay_alu instid0(VALU_DEP_1) | instskip(NEXT) | instid1(VALU_DEP_1)
	v_add_f32_e32 v11, v11, v23
	v_add_f32_e32 v11, v19, v11
	s_delay_alu instid0(VALU_DEP_1) | instskip(NEXT) | instid1(VALU_DEP_1)
	v_add_f32_e32 v19, v27, v11
	v_mul_f32_e32 v21, v18, v19
	s_delay_alu instid0(VALU_DEP_1) | instskip(NEXT) | instid1(VALU_DEP_1)
	v_dual_sub_f32 v26, v27, v19 :: v_dual_mul_f32 v23, v22, v21
	v_add_f32_e32 v11, v11, v26
	s_delay_alu instid0(VALU_DEP_2) | instskip(NEXT) | instid1(VALU_DEP_1)
	v_fma_f32 v22, v21, v22, -v23
	v_fmac_f32_e32 v22, v21, v20
	s_delay_alu instid0(VALU_DEP_1) | instskip(NEXT) | instid1(VALU_DEP_1)
	v_add_f32_e32 v20, v23, v22
	v_sub_f32_e32 v25, v19, v20
	s_delay_alu instid0(VALU_DEP_1) | instskip(NEXT) | instid1(VALU_DEP_1)
	v_sub_f32_e32 v19, v19, v25
	v_sub_f32_e32 v19, v19, v20
	s_delay_alu instid0(VALU_DEP_1) | instskip(SKIP_2) | instid1(VALU_DEP_1)
	v_add_f32_e32 v11, v11, v19
	v_add_f32_e32 v19, v24, v21
	v_sub_f32_e32 v23, v20, v23
	v_sub_f32_e32 v20, v23, v22
	s_delay_alu instid0(VALU_DEP_1) | instskip(NEXT) | instid1(VALU_DEP_1)
	v_dual_add_f32 v11, v20, v11 :: v_dual_sub_f32 v20, v19, v24
	v_add_f32_e32 v11, v25, v11
	s_delay_alu instid0(VALU_DEP_1) | instskip(NEXT) | instid1(VALU_DEP_1)
	v_dual_sub_f32 v20, v21, v20 :: v_dual_mul_f32 v11, v18, v11
	v_add_f32_e32 v11, v20, v11
	s_delay_alu instid0(VALU_DEP_1) | instskip(NEXT) | instid1(VALU_DEP_1)
	v_add_f32_e32 v18, v19, v11
	v_mul_f32_e32 v20, v18, v18
	s_wait_alu 0xfffe
	s_delay_alu instid0(VALU_DEP_1) | instskip(SKIP_2) | instid1(VALU_DEP_3)
	v_fmaak_f32 v21, s0, v20, 0x3ecc95a3
	v_mul_f32_e32 v22, v18, v20
	v_cmp_neq_f32_e64 s0, 0x7f800000, v8
	v_fmaak_f32 v20, v20, v21, 0x3f2aaada
	v_ldexp_f32 v21, v18, 1
	v_sub_f32_e32 v18, v18, v19
	s_delay_alu instid0(VALU_DEP_3) | instskip(NEXT) | instid1(VALU_DEP_2)
	v_mul_f32_e32 v20, v22, v20
	v_dual_mul_f32 v22, 0x3f317218, v16 :: v_dual_sub_f32 v11, v11, v18
	s_delay_alu instid0(VALU_DEP_2) | instskip(NEXT) | instid1(VALU_DEP_2)
	v_add_f32_e32 v19, v21, v20
	v_ldexp_f32 v11, v11, 1
	s_delay_alu instid0(VALU_DEP_2) | instskip(NEXT) | instid1(VALU_DEP_4)
	v_sub_f32_e32 v18, v19, v21
	v_fma_f32 v21, 0x3f317218, v16, -v22
	s_delay_alu instid0(VALU_DEP_2) | instskip(NEXT) | instid1(VALU_DEP_1)
	v_sub_f32_e32 v18, v20, v18
	v_dual_fmamk_f32 v16, v16, 0xb102e308, v21 :: v_dual_add_f32 v11, v11, v18
	s_delay_alu instid0(VALU_DEP_1) | instskip(NEXT) | instid1(VALU_DEP_2)
	v_add_f32_e32 v18, v22, v16
	v_add_f32_e32 v20, v19, v11
	s_delay_alu instid0(VALU_DEP_2) | instskip(NEXT) | instid1(VALU_DEP_1)
	v_sub_f32_e32 v22, v18, v22
	v_dual_add_f32 v21, v18, v20 :: v_dual_sub_f32 v16, v16, v22
	s_delay_alu instid0(VALU_DEP_1) | instskip(SKIP_1) | instid1(VALU_DEP_2)
	v_sub_f32_e32 v23, v21, v18
	v_sub_f32_e32 v19, v20, v19
	;; [unrolled: 1-line block ×3, first 2 shown]
	s_delay_alu instid0(VALU_DEP_2) | instskip(NEXT) | instid1(VALU_DEP_2)
	v_sub_f32_e32 v11, v11, v19
	v_dual_sub_f32 v19, v20, v23 :: v_dual_sub_f32 v18, v18, v24
	s_delay_alu instid0(VALU_DEP_2) | instskip(NEXT) | instid1(VALU_DEP_1)
	v_add_f32_e32 v20, v16, v11
	v_dual_add_f32 v18, v19, v18 :: v_dual_sub_f32 v19, v20, v16
	s_delay_alu instid0(VALU_DEP_1) | instskip(NEXT) | instid1(VALU_DEP_2)
	v_add_f32_e32 v18, v20, v18
	v_sub_f32_e32 v20, v20, v19
	s_delay_alu instid0(VALU_DEP_2) | instskip(NEXT) | instid1(VALU_DEP_1)
	v_dual_sub_f32 v11, v11, v19 :: v_dual_add_f32 v22, v21, v18
	v_dual_sub_f32 v16, v16, v20 :: v_dual_sub_f32 v19, v22, v21
	s_delay_alu instid0(VALU_DEP_1) | instskip(NEXT) | instid1(VALU_DEP_1)
	v_dual_add_f32 v11, v11, v16 :: v_dual_sub_f32 v16, v18, v19
	v_add_f32_e32 v11, v11, v16
	s_delay_alu instid0(VALU_DEP_1) | instskip(SKIP_1) | instid1(VALU_DEP_1)
	v_add_f32_e32 v11, v22, v11
	s_wait_alu 0xf1ff
	v_cndmask_b32_e64 v11, 0x7f800000, v11, s0
	v_cmp_gt_f32_e64 s0, 0x33800000, |v8|
	s_wait_alu 0xf1ff
	s_delay_alu instid0(VALU_DEP_1) | instskip(NEXT) | instid1(VALU_DEP_1)
	v_cndmask_b32_e64 v8, v11, v8, s0
	v_add_f32_e32 v8, v15, v8
	s_delay_alu instid0(VALU_DEP_1) | instskip(NEXT) | instid1(VALU_DEP_1)
	v_cvt_f16_f32_e32 v18, v8
	v_cvt_f32_f16_e32 v8, v18
	v_mov_b32_e32 v11, v18
.LBB411_108:
	s_wait_alu 0xfffe
	s_or_b32 exec_lo, exec_lo, s1
	s_delay_alu instid0(VALU_DEP_2) | instskip(SKIP_1) | instid1(VALU_DEP_2)
	v_dual_max_num_f32 v15, v2, v2 :: v_dual_max_num_f32 v16, v8, v8
	v_cmp_u_f16_e64 s0, v18, v18
	v_min_num_f32_e32 v19, v16, v15
	v_max_num_f32_e32 v15, v16, v15
	s_wait_alu 0xf1ff
	s_delay_alu instid0(VALU_DEP_2) | instskip(NEXT) | instid1(VALU_DEP_2)
	v_cndmask_b32_e64 v16, v19, v8, s0
	v_cndmask_b32_e64 v15, v15, v8, s0
	s_delay_alu instid0(VALU_DEP_2) | instskip(NEXT) | instid1(VALU_DEP_2)
	v_cndmask_b32_e64 v16, v16, v2, s16
	v_cndmask_b32_e64 v15, v15, v2, s16
	v_mov_b32_e32 v2, v11
	s_delay_alu instid0(VALU_DEP_3) | instskip(NEXT) | instid1(VALU_DEP_3)
	v_cmp_class_f32_e64 s1, v16, 0x1f8
	v_cmp_neq_f32_e64 s0, v16, v15
	s_or_b32 s0, s0, s1
	s_wait_alu 0xfffe
	s_and_saveexec_b32 s1, s0
	s_cbranch_execz .LBB411_110
; %bb.109:
	v_sub_f32_e32 v2, v16, v15
	s_delay_alu instid0(VALU_DEP_1) | instskip(SKIP_1) | instid1(VALU_DEP_2)
	v_mul_f32_e32 v8, 0x3fb8aa3b, v2
	v_cmp_ngt_f32_e64 s0, 0xc2ce8ed0, v2
	v_fma_f32 v16, 0x3fb8aa3b, v2, -v8
	v_rndne_f32_e32 v18, v8
	s_delay_alu instid0(VALU_DEP_2) | instskip(NEXT) | instid1(VALU_DEP_2)
	v_fmamk_f32 v16, v2, 0x32a5705f, v16
	v_sub_f32_e32 v8, v8, v18
	s_delay_alu instid0(VALU_DEP_1) | instskip(SKIP_1) | instid1(VALU_DEP_2)
	v_add_f32_e32 v8, v8, v16
	v_cvt_i32_f32_e32 v16, v18
	v_exp_f32_e32 v8, v8
	s_delay_alu instid0(TRANS32_DEP_1) | instskip(SKIP_1) | instid1(VALU_DEP_1)
	v_ldexp_f32 v8, v8, v16
	s_wait_alu 0xf1ff
	v_cndmask_b32_e64 v8, 0, v8, s0
	v_cmp_nlt_f32_e64 s0, 0x42b17218, v2
	s_wait_alu 0xf1ff
	s_delay_alu instid0(VALU_DEP_1) | instskip(NEXT) | instid1(VALU_DEP_1)
	v_cndmask_b32_e64 v2, 0x7f800000, v8, s0
	v_add_f32_e32 v8, 1.0, v2
	s_delay_alu instid0(VALU_DEP_1) | instskip(NEXT) | instid1(VALU_DEP_1)
	v_cvt_f64_f32_e32 v[18:19], v8
	v_frexp_exp_i32_f64_e32 v16, v[18:19]
	v_frexp_mant_f32_e32 v18, v8
	s_delay_alu instid0(VALU_DEP_1) | instskip(SKIP_1) | instid1(VALU_DEP_1)
	v_cmp_gt_f32_e64 s0, 0x3f2aaaab, v18
	v_add_f32_e32 v18, -1.0, v8
	v_sub_f32_e32 v20, v18, v8
	v_sub_f32_e32 v18, v2, v18
	s_delay_alu instid0(VALU_DEP_2) | instskip(NEXT) | instid1(VALU_DEP_1)
	v_add_f32_e32 v20, 1.0, v20
	v_add_f32_e32 v18, v18, v20
	s_wait_alu 0xf1ff
	v_subrev_co_ci_u32_e64 v16, null, 0, v16, s0
	s_mov_b32 s0, 0x3e9b6dac
	v_sub_nc_u32_e32 v19, 0, v16
	v_cvt_f32_i32_e32 v16, v16
	s_delay_alu instid0(VALU_DEP_2) | instskip(SKIP_1) | instid1(VALU_DEP_2)
	v_ldexp_f32 v8, v8, v19
	v_ldexp_f32 v18, v18, v19
	v_add_f32_e32 v21, 1.0, v8
	s_delay_alu instid0(VALU_DEP_1) | instskip(NEXT) | instid1(VALU_DEP_1)
	v_dual_add_f32 v19, -1.0, v8 :: v_dual_add_f32 v20, -1.0, v21
	v_add_f32_e32 v22, 1.0, v19
	s_delay_alu instid0(VALU_DEP_2) | instskip(NEXT) | instid1(VALU_DEP_2)
	v_sub_f32_e32 v20, v8, v20
	v_sub_f32_e32 v8, v8, v22
	s_delay_alu instid0(VALU_DEP_2) | instskip(NEXT) | instid1(VALU_DEP_2)
	v_add_f32_e32 v20, v18, v20
	v_add_f32_e32 v8, v18, v8
	s_delay_alu instid0(VALU_DEP_2) | instskip(NEXT) | instid1(VALU_DEP_2)
	v_add_f32_e32 v22, v21, v20
	v_add_f32_e32 v23, v19, v8
	s_delay_alu instid0(VALU_DEP_2) | instskip(SKIP_1) | instid1(VALU_DEP_1)
	v_rcp_f32_e32 v18, v22
	v_sub_f32_e32 v21, v21, v22
	v_dual_sub_f32 v19, v19, v23 :: v_dual_add_f32 v20, v20, v21
	s_delay_alu instid0(VALU_DEP_1) | instskip(NEXT) | instid1(TRANS32_DEP_1)
	v_add_f32_e32 v8, v8, v19
	v_mul_f32_e32 v24, v23, v18
	s_delay_alu instid0(VALU_DEP_1) | instskip(NEXT) | instid1(VALU_DEP_1)
	v_mul_f32_e32 v25, v22, v24
	v_fma_f32 v21, v24, v22, -v25
	s_delay_alu instid0(VALU_DEP_1) | instskip(NEXT) | instid1(VALU_DEP_1)
	v_fmac_f32_e32 v21, v24, v20
	v_add_f32_e32 v26, v25, v21
	s_delay_alu instid0(VALU_DEP_1) | instskip(SKIP_1) | instid1(VALU_DEP_2)
	v_sub_f32_e32 v27, v23, v26
	v_sub_f32_e32 v19, v26, v25
	;; [unrolled: 1-line block ×3, first 2 shown]
	s_delay_alu instid0(VALU_DEP_2) | instskip(NEXT) | instid1(VALU_DEP_2)
	v_sub_f32_e32 v19, v19, v21
	v_sub_f32_e32 v23, v23, v26
	s_delay_alu instid0(VALU_DEP_1) | instskip(NEXT) | instid1(VALU_DEP_1)
	v_add_f32_e32 v8, v8, v23
	v_add_f32_e32 v8, v19, v8
	s_delay_alu instid0(VALU_DEP_1) | instskip(NEXT) | instid1(VALU_DEP_1)
	v_add_f32_e32 v19, v27, v8
	v_mul_f32_e32 v21, v18, v19
	s_delay_alu instid0(VALU_DEP_1) | instskip(NEXT) | instid1(VALU_DEP_1)
	v_dual_sub_f32 v26, v27, v19 :: v_dual_mul_f32 v23, v22, v21
	v_add_f32_e32 v8, v8, v26
	s_delay_alu instid0(VALU_DEP_2) | instskip(NEXT) | instid1(VALU_DEP_1)
	v_fma_f32 v22, v21, v22, -v23
	v_fmac_f32_e32 v22, v21, v20
	s_delay_alu instid0(VALU_DEP_1) | instskip(NEXT) | instid1(VALU_DEP_1)
	v_add_f32_e32 v20, v23, v22
	v_sub_f32_e32 v25, v19, v20
	v_sub_f32_e32 v23, v20, v23
	s_delay_alu instid0(VALU_DEP_2) | instskip(NEXT) | instid1(VALU_DEP_1)
	v_sub_f32_e32 v19, v19, v25
	v_sub_f32_e32 v19, v19, v20
	s_delay_alu instid0(VALU_DEP_3) | instskip(NEXT) | instid1(VALU_DEP_2)
	v_sub_f32_e32 v20, v23, v22
	v_add_f32_e32 v8, v8, v19
	v_add_f32_e32 v19, v24, v21
	s_delay_alu instid0(VALU_DEP_2) | instskip(NEXT) | instid1(VALU_DEP_2)
	v_add_f32_e32 v8, v20, v8
	v_sub_f32_e32 v20, v19, v24
	s_delay_alu instid0(VALU_DEP_2) | instskip(NEXT) | instid1(VALU_DEP_2)
	v_add_f32_e32 v8, v25, v8
	v_sub_f32_e32 v20, v21, v20
	s_delay_alu instid0(VALU_DEP_2) | instskip(NEXT) | instid1(VALU_DEP_1)
	v_mul_f32_e32 v8, v18, v8
	v_add_f32_e32 v8, v20, v8
	s_delay_alu instid0(VALU_DEP_1) | instskip(NEXT) | instid1(VALU_DEP_1)
	v_add_f32_e32 v18, v19, v8
	v_mul_f32_e32 v20, v18, v18
	s_wait_alu 0xfffe
	s_delay_alu instid0(VALU_DEP_1) | instskip(SKIP_2) | instid1(VALU_DEP_3)
	v_fmaak_f32 v21, s0, v20, 0x3ecc95a3
	v_mul_f32_e32 v22, v18, v20
	v_cmp_neq_f32_e64 s0, 0x7f800000, v2
	v_fmaak_f32 v20, v20, v21, 0x3f2aaada
	v_ldexp_f32 v21, v18, 1
	v_sub_f32_e32 v18, v18, v19
	s_delay_alu instid0(VALU_DEP_3) | instskip(SKIP_1) | instid1(VALU_DEP_2)
	v_mul_f32_e32 v20, v22, v20
	v_mul_f32_e32 v22, 0x3f317218, v16
	v_dual_sub_f32 v8, v8, v18 :: v_dual_add_f32 v19, v21, v20
	s_delay_alu instid0(VALU_DEP_1) | instskip(NEXT) | instid1(VALU_DEP_2)
	v_ldexp_f32 v8, v8, 1
	v_sub_f32_e32 v18, v19, v21
	s_delay_alu instid0(VALU_DEP_4) | instskip(NEXT) | instid1(VALU_DEP_2)
	v_fma_f32 v21, 0x3f317218, v16, -v22
	v_sub_f32_e32 v18, v20, v18
	s_delay_alu instid0(VALU_DEP_2) | instskip(NEXT) | instid1(VALU_DEP_2)
	v_fmamk_f32 v16, v16, 0xb102e308, v21
	v_add_f32_e32 v8, v8, v18
	s_delay_alu instid0(VALU_DEP_2) | instskip(NEXT) | instid1(VALU_DEP_2)
	v_add_f32_e32 v18, v22, v16
	v_add_f32_e32 v20, v19, v8
	s_delay_alu instid0(VALU_DEP_2) | instskip(NEXT) | instid1(VALU_DEP_2)
	v_sub_f32_e32 v22, v18, v22
	v_add_f32_e32 v21, v18, v20
	v_sub_f32_e32 v19, v20, v19
	s_delay_alu instid0(VALU_DEP_3) | instskip(NEXT) | instid1(VALU_DEP_2)
	v_sub_f32_e32 v16, v16, v22
	v_dual_sub_f32 v23, v21, v18 :: v_dual_sub_f32 v8, v8, v19
	s_delay_alu instid0(VALU_DEP_1) | instskip(SKIP_1) | instid1(VALU_DEP_3)
	v_sub_f32_e32 v24, v21, v23
	v_sub_f32_e32 v19, v20, v23
	v_add_f32_e32 v20, v16, v8
	s_delay_alu instid0(VALU_DEP_3) | instskip(NEXT) | instid1(VALU_DEP_1)
	v_sub_f32_e32 v18, v18, v24
	v_dual_add_f32 v18, v19, v18 :: v_dual_sub_f32 v19, v20, v16
	s_delay_alu instid0(VALU_DEP_1) | instskip(NEXT) | instid1(VALU_DEP_2)
	v_add_f32_e32 v18, v20, v18
	v_sub_f32_e32 v20, v20, v19
	v_sub_f32_e32 v8, v8, v19
	s_delay_alu instid0(VALU_DEP_3) | instskip(NEXT) | instid1(VALU_DEP_1)
	v_add_f32_e32 v22, v21, v18
	v_dual_sub_f32 v16, v16, v20 :: v_dual_sub_f32 v19, v22, v21
	s_delay_alu instid0(VALU_DEP_1) | instskip(NEXT) | instid1(VALU_DEP_2)
	v_add_f32_e32 v8, v8, v16
	v_sub_f32_e32 v16, v18, v19
	s_delay_alu instid0(VALU_DEP_1) | instskip(NEXT) | instid1(VALU_DEP_1)
	v_add_f32_e32 v8, v8, v16
	v_add_f32_e32 v8, v22, v8
	s_wait_alu 0xf1ff
	s_delay_alu instid0(VALU_DEP_1) | instskip(SKIP_2) | instid1(VALU_DEP_1)
	v_cndmask_b32_e64 v8, 0x7f800000, v8, s0
	v_cmp_gt_f32_e64 s0, 0x33800000, |v2|
	s_wait_alu 0xf1ff
	v_cndmask_b32_e64 v2, v8, v2, s0
	s_delay_alu instid0(VALU_DEP_1) | instskip(NEXT) | instid1(VALU_DEP_1)
	v_add_f32_e32 v2, v15, v2
	v_cvt_f16_f32_e32 v18, v2
	s_delay_alu instid0(VALU_DEP_1)
	v_cvt_f32_f16_e32 v8, v18
	v_mov_b32_e32 v2, v18
.LBB411_110:
	s_wait_alu 0xfffe
	s_or_b32 exec_lo, exec_lo, s1
	v_max_num_f32_e32 v15, v12, v12
	v_max_num_f32_e32 v16, v8, v8
	v_cmp_u_f16_e64 s0, v18, v18
	s_delay_alu instid0(VALU_DEP_2) | instskip(SKIP_2) | instid1(VALU_DEP_2)
	v_min_num_f32_e32 v19, v16, v15
	v_max_num_f32_e32 v15, v16, v15
	s_wait_alu 0xf1ff
	v_cndmask_b32_e64 v16, v19, v8, s0
	s_delay_alu instid0(VALU_DEP_2) | instskip(NEXT) | instid1(VALU_DEP_2)
	v_cndmask_b32_e64 v15, v15, v8, s0
	v_cndmask_b32_e64 v16, v16, v12, s17
	s_delay_alu instid0(VALU_DEP_2) | instskip(SKIP_1) | instid1(VALU_DEP_3)
	v_cndmask_b32_e64 v15, v15, v12, s17
	v_mov_b32_e32 v12, v2
	v_cmp_class_f32_e64 s1, v16, 0x1f8
	s_delay_alu instid0(VALU_DEP_3)
	v_cmp_neq_f32_e64 s0, v16, v15
	s_or_b32 s0, s0, s1
	s_wait_alu 0xfffe
	s_and_saveexec_b32 s1, s0
	s_cbranch_execz .LBB411_112
; %bb.111:
	v_sub_f32_e32 v8, v16, v15
	s_delay_alu instid0(VALU_DEP_1) | instskip(SKIP_1) | instid1(VALU_DEP_2)
	v_mul_f32_e32 v12, 0x3fb8aa3b, v8
	v_cmp_ngt_f32_e64 s0, 0xc2ce8ed0, v8
	v_fma_f32 v16, 0x3fb8aa3b, v8, -v12
	v_rndne_f32_e32 v18, v12
	s_delay_alu instid0(VALU_DEP_2) | instskip(NEXT) | instid1(VALU_DEP_2)
	v_fmamk_f32 v16, v8, 0x32a5705f, v16
	v_sub_f32_e32 v12, v12, v18
	s_delay_alu instid0(VALU_DEP_1) | instskip(SKIP_1) | instid1(VALU_DEP_2)
	v_add_f32_e32 v12, v12, v16
	v_cvt_i32_f32_e32 v16, v18
	v_exp_f32_e32 v12, v12
	s_delay_alu instid0(TRANS32_DEP_1) | instskip(SKIP_1) | instid1(VALU_DEP_1)
	v_ldexp_f32 v12, v12, v16
	s_wait_alu 0xf1ff
	v_cndmask_b32_e64 v12, 0, v12, s0
	v_cmp_nlt_f32_e64 s0, 0x42b17218, v8
	s_wait_alu 0xf1ff
	s_delay_alu instid0(VALU_DEP_1) | instskip(NEXT) | instid1(VALU_DEP_1)
	v_cndmask_b32_e64 v8, 0x7f800000, v12, s0
	v_add_f32_e32 v12, 1.0, v8
	s_delay_alu instid0(VALU_DEP_1) | instskip(NEXT) | instid1(VALU_DEP_1)
	v_cvt_f64_f32_e32 v[18:19], v12
	v_frexp_exp_i32_f64_e32 v16, v[18:19]
	v_frexp_mant_f32_e32 v18, v12
	s_delay_alu instid0(VALU_DEP_1) | instskip(SKIP_1) | instid1(VALU_DEP_1)
	v_cmp_gt_f32_e64 s0, 0x3f2aaaab, v18
	v_add_f32_e32 v18, -1.0, v12
	v_sub_f32_e32 v20, v18, v12
	v_sub_f32_e32 v18, v8, v18
	s_delay_alu instid0(VALU_DEP_2) | instskip(NEXT) | instid1(VALU_DEP_1)
	v_add_f32_e32 v20, 1.0, v20
	v_add_f32_e32 v18, v18, v20
	s_wait_alu 0xf1ff
	v_subrev_co_ci_u32_e64 v16, null, 0, v16, s0
	s_mov_b32 s0, 0x3e9b6dac
	v_sub_nc_u32_e32 v19, 0, v16
	v_cvt_f32_i32_e32 v16, v16
	s_delay_alu instid0(VALU_DEP_2) | instskip(SKIP_1) | instid1(VALU_DEP_2)
	v_ldexp_f32 v12, v12, v19
	v_ldexp_f32 v18, v18, v19
	v_add_f32_e32 v21, 1.0, v12
	s_delay_alu instid0(VALU_DEP_1) | instskip(NEXT) | instid1(VALU_DEP_1)
	v_dual_add_f32 v19, -1.0, v12 :: v_dual_add_f32 v20, -1.0, v21
	v_add_f32_e32 v22, 1.0, v19
	s_delay_alu instid0(VALU_DEP_2) | instskip(NEXT) | instid1(VALU_DEP_2)
	v_sub_f32_e32 v20, v12, v20
	v_sub_f32_e32 v12, v12, v22
	s_delay_alu instid0(VALU_DEP_2) | instskip(NEXT) | instid1(VALU_DEP_2)
	v_add_f32_e32 v20, v18, v20
	v_add_f32_e32 v12, v18, v12
	s_delay_alu instid0(VALU_DEP_2) | instskip(NEXT) | instid1(VALU_DEP_2)
	v_add_f32_e32 v22, v21, v20
	v_add_f32_e32 v23, v19, v12
	s_delay_alu instid0(VALU_DEP_2) | instskip(SKIP_1) | instid1(VALU_DEP_1)
	v_rcp_f32_e32 v18, v22
	v_sub_f32_e32 v21, v21, v22
	v_dual_sub_f32 v19, v19, v23 :: v_dual_add_f32 v20, v20, v21
	s_delay_alu instid0(VALU_DEP_1) | instskip(NEXT) | instid1(TRANS32_DEP_1)
	v_add_f32_e32 v12, v12, v19
	v_mul_f32_e32 v24, v23, v18
	s_delay_alu instid0(VALU_DEP_1) | instskip(NEXT) | instid1(VALU_DEP_1)
	v_mul_f32_e32 v25, v22, v24
	v_fma_f32 v21, v24, v22, -v25
	s_delay_alu instid0(VALU_DEP_1) | instskip(NEXT) | instid1(VALU_DEP_1)
	v_fmac_f32_e32 v21, v24, v20
	v_add_f32_e32 v26, v25, v21
	s_delay_alu instid0(VALU_DEP_1) | instskip(SKIP_1) | instid1(VALU_DEP_2)
	v_sub_f32_e32 v27, v23, v26
	v_sub_f32_e32 v19, v26, v25
	;; [unrolled: 1-line block ×3, first 2 shown]
	s_delay_alu instid0(VALU_DEP_2) | instskip(NEXT) | instid1(VALU_DEP_2)
	v_sub_f32_e32 v19, v19, v21
	v_sub_f32_e32 v23, v23, v26
	s_delay_alu instid0(VALU_DEP_1) | instskip(NEXT) | instid1(VALU_DEP_1)
	v_add_f32_e32 v12, v12, v23
	v_add_f32_e32 v12, v19, v12
	s_delay_alu instid0(VALU_DEP_1) | instskip(NEXT) | instid1(VALU_DEP_1)
	v_add_f32_e32 v19, v27, v12
	v_mul_f32_e32 v21, v18, v19
	s_delay_alu instid0(VALU_DEP_1) | instskip(NEXT) | instid1(VALU_DEP_1)
	v_dual_sub_f32 v26, v27, v19 :: v_dual_mul_f32 v23, v22, v21
	v_add_f32_e32 v12, v12, v26
	s_delay_alu instid0(VALU_DEP_2) | instskip(NEXT) | instid1(VALU_DEP_1)
	v_fma_f32 v22, v21, v22, -v23
	v_fmac_f32_e32 v22, v21, v20
	s_delay_alu instid0(VALU_DEP_1) | instskip(NEXT) | instid1(VALU_DEP_1)
	v_add_f32_e32 v20, v23, v22
	v_sub_f32_e32 v25, v19, v20
	v_sub_f32_e32 v23, v20, v23
	s_delay_alu instid0(VALU_DEP_2) | instskip(NEXT) | instid1(VALU_DEP_1)
	v_sub_f32_e32 v19, v19, v25
	v_sub_f32_e32 v19, v19, v20
	s_delay_alu instid0(VALU_DEP_3) | instskip(NEXT) | instid1(VALU_DEP_2)
	v_sub_f32_e32 v20, v23, v22
	v_add_f32_e32 v12, v12, v19
	v_add_f32_e32 v19, v24, v21
	s_delay_alu instid0(VALU_DEP_2) | instskip(NEXT) | instid1(VALU_DEP_2)
	v_add_f32_e32 v12, v20, v12
	v_sub_f32_e32 v20, v19, v24
	s_delay_alu instid0(VALU_DEP_2) | instskip(NEXT) | instid1(VALU_DEP_2)
	v_add_f32_e32 v12, v25, v12
	v_sub_f32_e32 v20, v21, v20
	s_delay_alu instid0(VALU_DEP_2) | instskip(NEXT) | instid1(VALU_DEP_1)
	v_mul_f32_e32 v12, v18, v12
	v_add_f32_e32 v12, v20, v12
	s_delay_alu instid0(VALU_DEP_1) | instskip(NEXT) | instid1(VALU_DEP_1)
	v_add_f32_e32 v18, v19, v12
	v_mul_f32_e32 v20, v18, v18
	s_wait_alu 0xfffe
	s_delay_alu instid0(VALU_DEP_1) | instskip(SKIP_2) | instid1(VALU_DEP_3)
	v_fmaak_f32 v21, s0, v20, 0x3ecc95a3
	v_mul_f32_e32 v22, v18, v20
	v_cmp_neq_f32_e64 s0, 0x7f800000, v8
	v_fmaak_f32 v20, v20, v21, 0x3f2aaada
	v_ldexp_f32 v21, v18, 1
	v_sub_f32_e32 v18, v18, v19
	s_delay_alu instid0(VALU_DEP_3) | instskip(SKIP_1) | instid1(VALU_DEP_2)
	v_mul_f32_e32 v20, v22, v20
	v_mul_f32_e32 v22, 0x3f317218, v16
	v_dual_sub_f32 v12, v12, v18 :: v_dual_add_f32 v19, v21, v20
	s_delay_alu instid0(VALU_DEP_1) | instskip(NEXT) | instid1(VALU_DEP_2)
	v_ldexp_f32 v12, v12, 1
	v_sub_f32_e32 v18, v19, v21
	s_delay_alu instid0(VALU_DEP_4) | instskip(NEXT) | instid1(VALU_DEP_2)
	v_fma_f32 v21, 0x3f317218, v16, -v22
	v_sub_f32_e32 v18, v20, v18
	s_delay_alu instid0(VALU_DEP_2) | instskip(NEXT) | instid1(VALU_DEP_2)
	v_fmamk_f32 v16, v16, 0xb102e308, v21
	v_add_f32_e32 v12, v12, v18
	s_delay_alu instid0(VALU_DEP_2) | instskip(NEXT) | instid1(VALU_DEP_2)
	v_add_f32_e32 v18, v22, v16
	v_add_f32_e32 v20, v19, v12
	s_delay_alu instid0(VALU_DEP_2) | instskip(NEXT) | instid1(VALU_DEP_2)
	v_sub_f32_e32 v22, v18, v22
	v_add_f32_e32 v21, v18, v20
	v_sub_f32_e32 v19, v20, v19
	s_delay_alu instid0(VALU_DEP_3) | instskip(NEXT) | instid1(VALU_DEP_2)
	v_sub_f32_e32 v16, v16, v22
	v_dual_sub_f32 v23, v21, v18 :: v_dual_sub_f32 v12, v12, v19
	s_delay_alu instid0(VALU_DEP_1) | instskip(SKIP_1) | instid1(VALU_DEP_3)
	v_sub_f32_e32 v24, v21, v23
	v_sub_f32_e32 v19, v20, v23
	v_add_f32_e32 v20, v16, v12
	s_delay_alu instid0(VALU_DEP_3) | instskip(NEXT) | instid1(VALU_DEP_1)
	v_sub_f32_e32 v18, v18, v24
	v_dual_add_f32 v18, v19, v18 :: v_dual_sub_f32 v19, v20, v16
	s_delay_alu instid0(VALU_DEP_1) | instskip(NEXT) | instid1(VALU_DEP_2)
	v_add_f32_e32 v18, v20, v18
	v_sub_f32_e32 v20, v20, v19
	v_sub_f32_e32 v12, v12, v19
	s_delay_alu instid0(VALU_DEP_3) | instskip(NEXT) | instid1(VALU_DEP_1)
	v_add_f32_e32 v22, v21, v18
	v_dual_sub_f32 v16, v16, v20 :: v_dual_sub_f32 v19, v22, v21
	s_delay_alu instid0(VALU_DEP_1) | instskip(NEXT) | instid1(VALU_DEP_2)
	v_add_f32_e32 v12, v12, v16
	v_sub_f32_e32 v16, v18, v19
	s_delay_alu instid0(VALU_DEP_1) | instskip(NEXT) | instid1(VALU_DEP_1)
	v_add_f32_e32 v12, v12, v16
	v_add_f32_e32 v12, v22, v12
	s_wait_alu 0xf1ff
	s_delay_alu instid0(VALU_DEP_1) | instskip(SKIP_2) | instid1(VALU_DEP_1)
	v_cndmask_b32_e64 v12, 0x7f800000, v12, s0
	v_cmp_gt_f32_e64 s0, 0x33800000, |v8|
	s_wait_alu 0xf1ff
	v_cndmask_b32_e64 v8, v12, v8, s0
	s_delay_alu instid0(VALU_DEP_1) | instskip(NEXT) | instid1(VALU_DEP_1)
	v_add_f32_e32 v8, v15, v8
	v_cvt_f16_f32_e32 v18, v8
	s_delay_alu instid0(VALU_DEP_1)
	v_cvt_f32_f16_e32 v8, v18
	v_mov_b32_e32 v12, v18
.LBB411_112:
	s_wait_alu 0xfffe
	s_or_b32 exec_lo, exec_lo, s1
	s_delay_alu instid0(VALU_DEP_2) | instskip(SKIP_1) | instid1(VALU_DEP_2)
	v_dual_max_num_f32 v15, v3, v3 :: v_dual_max_num_f32 v16, v8, v8
	v_cmp_u_f16_e64 s0, v18, v18
	v_min_num_f32_e32 v19, v16, v15
	v_max_num_f32_e32 v15, v16, v15
	s_wait_alu 0xf1ff
	s_delay_alu instid0(VALU_DEP_2) | instskip(NEXT) | instid1(VALU_DEP_2)
	v_cndmask_b32_e64 v16, v19, v8, s0
	v_cndmask_b32_e64 v15, v15, v8, s0
	s_delay_alu instid0(VALU_DEP_2) | instskip(NEXT) | instid1(VALU_DEP_2)
	v_cndmask_b32_e64 v16, v16, v3, s18
	v_cndmask_b32_e64 v15, v15, v3, s18
	v_mov_b32_e32 v3, v12
	s_delay_alu instid0(VALU_DEP_3) | instskip(NEXT) | instid1(VALU_DEP_3)
	v_cmp_class_f32_e64 s1, v16, 0x1f8
	v_cmp_neq_f32_e64 s0, v16, v15
	s_or_b32 s0, s0, s1
	s_wait_alu 0xfffe
	s_and_saveexec_b32 s1, s0
	s_cbranch_execz .LBB411_114
; %bb.113:
	v_sub_f32_e32 v3, v16, v15
	s_delay_alu instid0(VALU_DEP_1) | instskip(SKIP_1) | instid1(VALU_DEP_2)
	v_mul_f32_e32 v8, 0x3fb8aa3b, v3
	v_cmp_ngt_f32_e64 s0, 0xc2ce8ed0, v3
	v_fma_f32 v16, 0x3fb8aa3b, v3, -v8
	v_rndne_f32_e32 v18, v8
	s_delay_alu instid0(VALU_DEP_2) | instskip(NEXT) | instid1(VALU_DEP_2)
	v_fmamk_f32 v16, v3, 0x32a5705f, v16
	v_sub_f32_e32 v8, v8, v18
	s_delay_alu instid0(VALU_DEP_1) | instskip(SKIP_1) | instid1(VALU_DEP_2)
	v_add_f32_e32 v8, v8, v16
	v_cvt_i32_f32_e32 v16, v18
	v_exp_f32_e32 v8, v8
	s_delay_alu instid0(TRANS32_DEP_1) | instskip(SKIP_1) | instid1(VALU_DEP_1)
	v_ldexp_f32 v8, v8, v16
	s_wait_alu 0xf1ff
	v_cndmask_b32_e64 v8, 0, v8, s0
	v_cmp_nlt_f32_e64 s0, 0x42b17218, v3
	s_wait_alu 0xf1ff
	s_delay_alu instid0(VALU_DEP_1) | instskip(NEXT) | instid1(VALU_DEP_1)
	v_cndmask_b32_e64 v3, 0x7f800000, v8, s0
	v_add_f32_e32 v8, 1.0, v3
	s_delay_alu instid0(VALU_DEP_1) | instskip(NEXT) | instid1(VALU_DEP_1)
	v_cvt_f64_f32_e32 v[18:19], v8
	v_frexp_exp_i32_f64_e32 v16, v[18:19]
	v_frexp_mant_f32_e32 v18, v8
	s_delay_alu instid0(VALU_DEP_1) | instskip(SKIP_1) | instid1(VALU_DEP_1)
	v_cmp_gt_f32_e64 s0, 0x3f2aaaab, v18
	v_add_f32_e32 v18, -1.0, v8
	v_sub_f32_e32 v20, v18, v8
	s_delay_alu instid0(VALU_DEP_1)
	v_add_f32_e32 v20, 1.0, v20
	s_wait_alu 0xf1ff
	v_subrev_co_ci_u32_e64 v16, null, 0, v16, s0
	s_mov_b32 s0, 0x3e9b6dac
	v_sub_nc_u32_e32 v19, 0, v16
	v_cvt_f32_i32_e32 v16, v16
	s_delay_alu instid0(VALU_DEP_2) | instskip(NEXT) | instid1(VALU_DEP_1)
	v_ldexp_f32 v8, v8, v19
	v_dual_sub_f32 v18, v3, v18 :: v_dual_add_f32 v21, 1.0, v8
	s_delay_alu instid0(VALU_DEP_1) | instskip(NEXT) | instid1(VALU_DEP_1)
	v_add_f32_e32 v18, v18, v20
	v_ldexp_f32 v18, v18, v19
	s_delay_alu instid0(VALU_DEP_3) | instskip(NEXT) | instid1(VALU_DEP_1)
	v_dual_add_f32 v19, -1.0, v8 :: v_dual_add_f32 v20, -1.0, v21
	v_add_f32_e32 v22, 1.0, v19
	s_delay_alu instid0(VALU_DEP_2) | instskip(NEXT) | instid1(VALU_DEP_2)
	v_sub_f32_e32 v20, v8, v20
	v_sub_f32_e32 v8, v8, v22
	s_delay_alu instid0(VALU_DEP_2) | instskip(NEXT) | instid1(VALU_DEP_2)
	v_add_f32_e32 v20, v18, v20
	v_add_f32_e32 v8, v18, v8
	s_delay_alu instid0(VALU_DEP_2) | instskip(NEXT) | instid1(VALU_DEP_2)
	v_add_f32_e32 v22, v21, v20
	v_add_f32_e32 v23, v19, v8
	s_delay_alu instid0(VALU_DEP_2) | instskip(SKIP_1) | instid1(VALU_DEP_1)
	v_rcp_f32_e32 v18, v22
	v_sub_f32_e32 v21, v21, v22
	v_dual_sub_f32 v19, v19, v23 :: v_dual_add_f32 v20, v20, v21
	s_delay_alu instid0(VALU_DEP_1) | instskip(NEXT) | instid1(TRANS32_DEP_1)
	v_add_f32_e32 v8, v8, v19
	v_mul_f32_e32 v24, v23, v18
	s_delay_alu instid0(VALU_DEP_1) | instskip(NEXT) | instid1(VALU_DEP_1)
	v_mul_f32_e32 v25, v22, v24
	v_fma_f32 v21, v24, v22, -v25
	s_delay_alu instid0(VALU_DEP_1) | instskip(NEXT) | instid1(VALU_DEP_1)
	v_fmac_f32_e32 v21, v24, v20
	v_add_f32_e32 v26, v25, v21
	s_delay_alu instid0(VALU_DEP_1) | instskip(SKIP_1) | instid1(VALU_DEP_2)
	v_sub_f32_e32 v27, v23, v26
	v_sub_f32_e32 v19, v26, v25
	;; [unrolled: 1-line block ×3, first 2 shown]
	s_delay_alu instid0(VALU_DEP_2) | instskip(NEXT) | instid1(VALU_DEP_2)
	v_sub_f32_e32 v19, v19, v21
	v_sub_f32_e32 v23, v23, v26
	s_delay_alu instid0(VALU_DEP_1) | instskip(NEXT) | instid1(VALU_DEP_1)
	v_add_f32_e32 v8, v8, v23
	v_add_f32_e32 v8, v19, v8
	s_delay_alu instid0(VALU_DEP_1) | instskip(NEXT) | instid1(VALU_DEP_1)
	v_add_f32_e32 v19, v27, v8
	v_mul_f32_e32 v21, v18, v19
	s_delay_alu instid0(VALU_DEP_1) | instskip(NEXT) | instid1(VALU_DEP_1)
	v_dual_sub_f32 v26, v27, v19 :: v_dual_mul_f32 v23, v22, v21
	v_add_f32_e32 v8, v8, v26
	s_delay_alu instid0(VALU_DEP_2) | instskip(NEXT) | instid1(VALU_DEP_1)
	v_fma_f32 v22, v21, v22, -v23
	v_fmac_f32_e32 v22, v21, v20
	s_delay_alu instid0(VALU_DEP_1) | instskip(NEXT) | instid1(VALU_DEP_1)
	v_add_f32_e32 v20, v23, v22
	v_sub_f32_e32 v25, v19, v20
	v_sub_f32_e32 v23, v20, v23
	s_delay_alu instid0(VALU_DEP_2) | instskip(NEXT) | instid1(VALU_DEP_1)
	v_sub_f32_e32 v19, v19, v25
	v_sub_f32_e32 v19, v19, v20
	s_delay_alu instid0(VALU_DEP_3) | instskip(NEXT) | instid1(VALU_DEP_2)
	v_sub_f32_e32 v20, v23, v22
	v_add_f32_e32 v8, v8, v19
	v_add_f32_e32 v19, v24, v21
	s_delay_alu instid0(VALU_DEP_2) | instskip(NEXT) | instid1(VALU_DEP_2)
	v_add_f32_e32 v8, v20, v8
	v_sub_f32_e32 v20, v19, v24
	s_delay_alu instid0(VALU_DEP_2) | instskip(NEXT) | instid1(VALU_DEP_2)
	v_add_f32_e32 v8, v25, v8
	v_sub_f32_e32 v20, v21, v20
	s_delay_alu instid0(VALU_DEP_2) | instskip(NEXT) | instid1(VALU_DEP_1)
	v_mul_f32_e32 v8, v18, v8
	v_add_f32_e32 v8, v20, v8
	s_delay_alu instid0(VALU_DEP_1) | instskip(NEXT) | instid1(VALU_DEP_1)
	v_add_f32_e32 v18, v19, v8
	v_mul_f32_e32 v20, v18, v18
	s_wait_alu 0xfffe
	s_delay_alu instid0(VALU_DEP_1) | instskip(SKIP_2) | instid1(VALU_DEP_3)
	v_fmaak_f32 v21, s0, v20, 0x3ecc95a3
	v_mul_f32_e32 v22, v18, v20
	v_cmp_neq_f32_e64 s0, 0x7f800000, v3
	v_fmaak_f32 v20, v20, v21, 0x3f2aaada
	v_ldexp_f32 v21, v18, 1
	v_sub_f32_e32 v18, v18, v19
	s_delay_alu instid0(VALU_DEP_3) | instskip(SKIP_1) | instid1(VALU_DEP_2)
	v_mul_f32_e32 v20, v22, v20
	v_mul_f32_e32 v22, 0x3f317218, v16
	v_dual_sub_f32 v8, v8, v18 :: v_dual_add_f32 v19, v21, v20
	s_delay_alu instid0(VALU_DEP_1) | instskip(NEXT) | instid1(VALU_DEP_2)
	v_ldexp_f32 v8, v8, 1
	v_sub_f32_e32 v18, v19, v21
	s_delay_alu instid0(VALU_DEP_4) | instskip(NEXT) | instid1(VALU_DEP_2)
	v_fma_f32 v21, 0x3f317218, v16, -v22
	v_sub_f32_e32 v18, v20, v18
	s_delay_alu instid0(VALU_DEP_2) | instskip(NEXT) | instid1(VALU_DEP_2)
	v_fmamk_f32 v16, v16, 0xb102e308, v21
	v_add_f32_e32 v8, v8, v18
	s_delay_alu instid0(VALU_DEP_2) | instskip(NEXT) | instid1(VALU_DEP_2)
	v_add_f32_e32 v18, v22, v16
	v_add_f32_e32 v20, v19, v8
	s_delay_alu instid0(VALU_DEP_2) | instskip(NEXT) | instid1(VALU_DEP_2)
	v_sub_f32_e32 v22, v18, v22
	v_add_f32_e32 v21, v18, v20
	v_sub_f32_e32 v19, v20, v19
	s_delay_alu instid0(VALU_DEP_3) | instskip(NEXT) | instid1(VALU_DEP_2)
	v_sub_f32_e32 v16, v16, v22
	v_dual_sub_f32 v23, v21, v18 :: v_dual_sub_f32 v8, v8, v19
	s_delay_alu instid0(VALU_DEP_1) | instskip(SKIP_1) | instid1(VALU_DEP_3)
	v_sub_f32_e32 v24, v21, v23
	v_sub_f32_e32 v19, v20, v23
	v_add_f32_e32 v20, v16, v8
	s_delay_alu instid0(VALU_DEP_3) | instskip(NEXT) | instid1(VALU_DEP_1)
	v_sub_f32_e32 v18, v18, v24
	v_dual_add_f32 v18, v19, v18 :: v_dual_sub_f32 v19, v20, v16
	s_delay_alu instid0(VALU_DEP_1) | instskip(NEXT) | instid1(VALU_DEP_2)
	v_add_f32_e32 v18, v20, v18
	v_sub_f32_e32 v20, v20, v19
	v_sub_f32_e32 v8, v8, v19
	s_delay_alu instid0(VALU_DEP_3) | instskip(NEXT) | instid1(VALU_DEP_1)
	v_add_f32_e32 v22, v21, v18
	v_dual_sub_f32 v16, v16, v20 :: v_dual_sub_f32 v19, v22, v21
	s_delay_alu instid0(VALU_DEP_1) | instskip(NEXT) | instid1(VALU_DEP_2)
	v_add_f32_e32 v8, v8, v16
	v_sub_f32_e32 v16, v18, v19
	s_delay_alu instid0(VALU_DEP_1) | instskip(NEXT) | instid1(VALU_DEP_1)
	v_add_f32_e32 v8, v8, v16
	v_add_f32_e32 v8, v22, v8
	s_wait_alu 0xf1ff
	s_delay_alu instid0(VALU_DEP_1) | instskip(SKIP_2) | instid1(VALU_DEP_1)
	v_cndmask_b32_e64 v8, 0x7f800000, v8, s0
	v_cmp_gt_f32_e64 s0, 0x33800000, |v3|
	s_wait_alu 0xf1ff
	v_cndmask_b32_e64 v3, v8, v3, s0
	s_delay_alu instid0(VALU_DEP_1) | instskip(NEXT) | instid1(VALU_DEP_1)
	v_add_f32_e32 v3, v15, v3
	v_cvt_f16_f32_e32 v18, v3
	s_delay_alu instid0(VALU_DEP_1)
	v_cvt_f32_f16_e32 v8, v18
	v_mov_b32_e32 v3, v18
.LBB411_114:
	s_wait_alu 0xfffe
	s_or_b32 exec_lo, exec_lo, s1
	s_delay_alu instid0(VALU_DEP_2) | instskip(SKIP_1) | instid1(VALU_DEP_2)
	v_dual_max_num_f32 v15, v13, v13 :: v_dual_max_num_f32 v16, v8, v8
	v_cmp_u_f16_e64 s0, v18, v18
	v_min_num_f32_e32 v19, v16, v15
	v_max_num_f32_e32 v15, v16, v15
	s_wait_alu 0xf1ff
	s_delay_alu instid0(VALU_DEP_2) | instskip(NEXT) | instid1(VALU_DEP_2)
	v_cndmask_b32_e64 v16, v19, v8, s0
	v_cndmask_b32_e64 v15, v15, v8, s0
	s_delay_alu instid0(VALU_DEP_2) | instskip(NEXT) | instid1(VALU_DEP_2)
	v_cndmask_b32_e64 v16, v16, v13, s19
	v_cndmask_b32_e64 v15, v15, v13, s19
	v_mov_b32_e32 v13, v3
	s_delay_alu instid0(VALU_DEP_3) | instskip(NEXT) | instid1(VALU_DEP_3)
	v_cmp_class_f32_e64 s1, v16, 0x1f8
	v_cmp_neq_f32_e64 s0, v16, v15
	s_or_b32 s0, s0, s1
	s_wait_alu 0xfffe
	s_and_saveexec_b32 s1, s0
	s_cbranch_execz .LBB411_116
; %bb.115:
	v_sub_f32_e32 v8, v16, v15
	s_delay_alu instid0(VALU_DEP_1) | instskip(NEXT) | instid1(VALU_DEP_1)
	v_mul_f32_e32 v13, 0x3fb8aa3b, v8
	v_fma_f32 v16, 0x3fb8aa3b, v8, -v13
	v_rndne_f32_e32 v18, v13
	s_delay_alu instid0(VALU_DEP_1) | instskip(SKIP_1) | instid1(VALU_DEP_2)
	v_dual_sub_f32 v13, v13, v18 :: v_dual_fmamk_f32 v16, v8, 0x32a5705f, v16
	v_cmp_ngt_f32_e64 s0, 0xc2ce8ed0, v8
	v_add_f32_e32 v13, v13, v16
	v_cvt_i32_f32_e32 v16, v18
	s_delay_alu instid0(VALU_DEP_2) | instskip(NEXT) | instid1(TRANS32_DEP_1)
	v_exp_f32_e32 v13, v13
	v_ldexp_f32 v13, v13, v16
	s_wait_alu 0xf1ff
	s_delay_alu instid0(VALU_DEP_1) | instskip(SKIP_2) | instid1(VALU_DEP_1)
	v_cndmask_b32_e64 v13, 0, v13, s0
	v_cmp_nlt_f32_e64 s0, 0x42b17218, v8
	s_wait_alu 0xf1ff
	v_cndmask_b32_e64 v8, 0x7f800000, v13, s0
	s_delay_alu instid0(VALU_DEP_1) | instskip(NEXT) | instid1(VALU_DEP_1)
	v_add_f32_e32 v13, 1.0, v8
	v_cvt_f64_f32_e32 v[18:19], v13
	s_delay_alu instid0(VALU_DEP_1) | instskip(SKIP_1) | instid1(VALU_DEP_1)
	v_frexp_exp_i32_f64_e32 v16, v[18:19]
	v_frexp_mant_f32_e32 v18, v13
	v_cmp_gt_f32_e64 s0, 0x3f2aaaab, v18
	v_add_f32_e32 v18, -1.0, v13
	s_delay_alu instid0(VALU_DEP_1)
	v_sub_f32_e32 v20, v18, v13
	v_sub_f32_e32 v18, v8, v18
	s_wait_alu 0xf1ff
	v_subrev_co_ci_u32_e64 v16, null, 0, v16, s0
	s_mov_b32 s0, 0x3e9b6dac
	v_sub_nc_u32_e32 v19, 0, v16
	v_cvt_f32_i32_e32 v16, v16
	s_delay_alu instid0(VALU_DEP_2) | instskip(NEXT) | instid1(VALU_DEP_1)
	v_ldexp_f32 v13, v13, v19
	v_dual_add_f32 v20, 1.0, v20 :: v_dual_add_f32 v21, 1.0, v13
	s_delay_alu instid0(VALU_DEP_1) | instskip(NEXT) | instid1(VALU_DEP_2)
	v_add_f32_e32 v18, v18, v20
	v_add_f32_e32 v20, -1.0, v21
	s_delay_alu instid0(VALU_DEP_2) | instskip(NEXT) | instid1(VALU_DEP_2)
	v_ldexp_f32 v18, v18, v19
	v_dual_add_f32 v19, -1.0, v13 :: v_dual_sub_f32 v20, v13, v20
	s_delay_alu instid0(VALU_DEP_1) | instskip(NEXT) | instid1(VALU_DEP_1)
	v_add_f32_e32 v22, 1.0, v19
	v_sub_f32_e32 v13, v13, v22
	s_delay_alu instid0(VALU_DEP_1) | instskip(NEXT) | instid1(VALU_DEP_1)
	v_add_f32_e32 v13, v18, v13
	v_dual_add_f32 v23, v19, v13 :: v_dual_add_f32 v20, v18, v20
	s_delay_alu instid0(VALU_DEP_1) | instskip(NEXT) | instid1(VALU_DEP_1)
	v_dual_sub_f32 v19, v19, v23 :: v_dual_add_f32 v22, v21, v20
	v_add_f32_e32 v13, v13, v19
	s_delay_alu instid0(VALU_DEP_2) | instskip(SKIP_1) | instid1(VALU_DEP_1)
	v_rcp_f32_e32 v18, v22
	v_sub_f32_e32 v21, v21, v22
	v_add_f32_e32 v20, v20, v21
	s_delay_alu instid0(TRANS32_DEP_1) | instskip(NEXT) | instid1(VALU_DEP_1)
	v_mul_f32_e32 v24, v23, v18
	v_mul_f32_e32 v25, v22, v24
	s_delay_alu instid0(VALU_DEP_1) | instskip(NEXT) | instid1(VALU_DEP_1)
	v_fma_f32 v21, v24, v22, -v25
	v_fmac_f32_e32 v21, v24, v20
	s_delay_alu instid0(VALU_DEP_1) | instskip(NEXT) | instid1(VALU_DEP_1)
	v_add_f32_e32 v26, v25, v21
	v_sub_f32_e32 v27, v23, v26
	s_delay_alu instid0(VALU_DEP_1) | instskip(SKIP_1) | instid1(VALU_DEP_2)
	v_sub_f32_e32 v23, v23, v27
	v_sub_f32_e32 v19, v26, v25
	;; [unrolled: 1-line block ×3, first 2 shown]
	s_delay_alu instid0(VALU_DEP_2) | instskip(NEXT) | instid1(VALU_DEP_2)
	v_sub_f32_e32 v19, v19, v21
	v_add_f32_e32 v13, v13, v23
	s_delay_alu instid0(VALU_DEP_1) | instskip(NEXT) | instid1(VALU_DEP_1)
	v_add_f32_e32 v13, v19, v13
	v_add_f32_e32 v19, v27, v13
	s_delay_alu instid0(VALU_DEP_1) | instskip(NEXT) | instid1(VALU_DEP_1)
	v_mul_f32_e32 v21, v18, v19
	v_dual_sub_f32 v26, v27, v19 :: v_dual_mul_f32 v23, v22, v21
	s_delay_alu instid0(VALU_DEP_1) | instskip(NEXT) | instid1(VALU_DEP_2)
	v_add_f32_e32 v13, v13, v26
	v_fma_f32 v22, v21, v22, -v23
	s_delay_alu instid0(VALU_DEP_1) | instskip(NEXT) | instid1(VALU_DEP_1)
	v_fmac_f32_e32 v22, v21, v20
	v_add_f32_e32 v20, v23, v22
	s_delay_alu instid0(VALU_DEP_1) | instskip(NEXT) | instid1(VALU_DEP_1)
	v_sub_f32_e32 v25, v19, v20
	v_sub_f32_e32 v19, v19, v25
	s_delay_alu instid0(VALU_DEP_1) | instskip(NEXT) | instid1(VALU_DEP_1)
	v_sub_f32_e32 v19, v19, v20
	v_add_f32_e32 v13, v13, v19
	v_add_f32_e32 v19, v24, v21
	v_sub_f32_e32 v23, v20, v23
	s_delay_alu instid0(VALU_DEP_1) | instskip(NEXT) | instid1(VALU_DEP_1)
	v_sub_f32_e32 v20, v23, v22
	v_dual_add_f32 v13, v20, v13 :: v_dual_sub_f32 v20, v19, v24
	s_delay_alu instid0(VALU_DEP_1) | instskip(NEXT) | instid1(VALU_DEP_1)
	v_add_f32_e32 v13, v25, v13
	v_dual_sub_f32 v20, v21, v20 :: v_dual_mul_f32 v13, v18, v13
	s_delay_alu instid0(VALU_DEP_1) | instskip(NEXT) | instid1(VALU_DEP_1)
	v_add_f32_e32 v13, v20, v13
	v_add_f32_e32 v18, v19, v13
	s_delay_alu instid0(VALU_DEP_1) | instskip(SKIP_1) | instid1(VALU_DEP_1)
	v_mul_f32_e32 v20, v18, v18
	s_wait_alu 0xfffe
	v_fmaak_f32 v21, s0, v20, 0x3ecc95a3
	v_mul_f32_e32 v22, v18, v20
	v_cmp_neq_f32_e64 s0, 0x7f800000, v8
	s_delay_alu instid0(VALU_DEP_3) | instskip(SKIP_2) | instid1(VALU_DEP_3)
	v_fmaak_f32 v20, v20, v21, 0x3f2aaada
	v_ldexp_f32 v21, v18, 1
	v_sub_f32_e32 v18, v18, v19
	v_mul_f32_e32 v20, v22, v20
	s_delay_alu instid0(VALU_DEP_2) | instskip(NEXT) | instid1(VALU_DEP_2)
	v_dual_mul_f32 v22, 0x3f317218, v16 :: v_dual_sub_f32 v13, v13, v18
	v_add_f32_e32 v19, v21, v20
	s_delay_alu instid0(VALU_DEP_2) | instskip(NEXT) | instid1(VALU_DEP_2)
	v_ldexp_f32 v13, v13, 1
	v_sub_f32_e32 v18, v19, v21
	s_delay_alu instid0(VALU_DEP_4) | instskip(NEXT) | instid1(VALU_DEP_2)
	v_fma_f32 v21, 0x3f317218, v16, -v22
	v_sub_f32_e32 v18, v20, v18
	s_delay_alu instid0(VALU_DEP_1) | instskip(NEXT) | instid1(VALU_DEP_1)
	v_dual_fmamk_f32 v16, v16, 0xb102e308, v21 :: v_dual_add_f32 v13, v13, v18
	v_add_f32_e32 v18, v22, v16
	s_delay_alu instid0(VALU_DEP_1) | instskip(NEXT) | instid1(VALU_DEP_1)
	v_sub_f32_e32 v22, v18, v22
	v_sub_f32_e32 v16, v16, v22
	s_delay_alu instid0(VALU_DEP_4) | instskip(NEXT) | instid1(VALU_DEP_1)
	v_add_f32_e32 v20, v19, v13
	v_sub_f32_e32 v19, v20, v19
	s_delay_alu instid0(VALU_DEP_1) | instskip(SKIP_1) | instid1(VALU_DEP_1)
	v_sub_f32_e32 v13, v13, v19
	v_add_f32_e32 v21, v18, v20
	v_sub_f32_e32 v23, v21, v18
	s_delay_alu instid0(VALU_DEP_1) | instskip(NEXT) | instid1(VALU_DEP_4)
	v_sub_f32_e32 v19, v20, v23
	v_add_f32_e32 v20, v16, v13
	v_sub_f32_e32 v24, v21, v23
	s_delay_alu instid0(VALU_DEP_1) | instskip(NEXT) | instid1(VALU_DEP_1)
	v_sub_f32_e32 v18, v18, v24
	v_dual_add_f32 v18, v19, v18 :: v_dual_sub_f32 v19, v20, v16
	s_delay_alu instid0(VALU_DEP_1) | instskip(SKIP_1) | instid1(VALU_DEP_2)
	v_dual_add_f32 v18, v20, v18 :: v_dual_sub_f32 v13, v13, v19
	v_sub_f32_e32 v20, v20, v19
	v_add_f32_e32 v22, v21, v18
	s_delay_alu instid0(VALU_DEP_1) | instskip(NEXT) | instid1(VALU_DEP_1)
	v_dual_sub_f32 v16, v16, v20 :: v_dual_sub_f32 v19, v22, v21
	v_dual_add_f32 v13, v13, v16 :: v_dual_sub_f32 v16, v18, v19
	s_delay_alu instid0(VALU_DEP_1) | instskip(NEXT) | instid1(VALU_DEP_1)
	v_add_f32_e32 v13, v13, v16
	v_add_f32_e32 v13, v22, v13
	s_wait_alu 0xf1ff
	s_delay_alu instid0(VALU_DEP_1) | instskip(SKIP_2) | instid1(VALU_DEP_1)
	v_cndmask_b32_e64 v13, 0x7f800000, v13, s0
	v_cmp_gt_f32_e64 s0, 0x33800000, |v8|
	s_wait_alu 0xf1ff
	v_cndmask_b32_e64 v8, v13, v8, s0
	s_delay_alu instid0(VALU_DEP_1) | instskip(NEXT) | instid1(VALU_DEP_1)
	v_add_f32_e32 v8, v15, v8
	v_cvt_f16_f32_e32 v18, v8
	s_delay_alu instid0(VALU_DEP_1)
	v_cvt_f32_f16_e32 v8, v18
	v_mov_b32_e32 v13, v18
.LBB411_116:
	s_wait_alu 0xfffe
	s_or_b32 exec_lo, exec_lo, s1
	v_max_num_f32_e32 v15, v4, v4
	v_max_num_f32_e32 v16, v8, v8
	v_cmp_u_f16_e64 s0, v18, v18
	s_delay_alu instid0(VALU_DEP_2) | instskip(SKIP_2) | instid1(VALU_DEP_2)
	v_min_num_f32_e32 v19, v16, v15
	v_max_num_f32_e32 v15, v16, v15
	s_wait_alu 0xf1ff
	v_cndmask_b32_e64 v16, v19, v8, s0
	s_delay_alu instid0(VALU_DEP_2) | instskip(NEXT) | instid1(VALU_DEP_2)
	v_cndmask_b32_e64 v15, v15, v8, s0
	v_cndmask_b32_e64 v16, v16, v4, s20
	s_delay_alu instid0(VALU_DEP_2) | instskip(SKIP_1) | instid1(VALU_DEP_3)
	v_cndmask_b32_e64 v15, v15, v4, s20
	v_mov_b32_e32 v4, v13
	v_cmp_class_f32_e64 s1, v16, 0x1f8
	s_delay_alu instid0(VALU_DEP_3)
	v_cmp_neq_f32_e64 s0, v16, v15
	s_or_b32 s0, s0, s1
	s_wait_alu 0xfffe
	s_and_saveexec_b32 s1, s0
	s_cbranch_execz .LBB411_118
; %bb.117:
	v_sub_f32_e32 v4, v16, v15
	s_delay_alu instid0(VALU_DEP_1) | instskip(SKIP_1) | instid1(VALU_DEP_2)
	v_mul_f32_e32 v8, 0x3fb8aa3b, v4
	v_cmp_ngt_f32_e64 s0, 0xc2ce8ed0, v4
	v_fma_f32 v16, 0x3fb8aa3b, v4, -v8
	v_rndne_f32_e32 v18, v8
	s_delay_alu instid0(VALU_DEP_2) | instskip(NEXT) | instid1(VALU_DEP_2)
	v_fmamk_f32 v16, v4, 0x32a5705f, v16
	v_sub_f32_e32 v8, v8, v18
	s_delay_alu instid0(VALU_DEP_1) | instskip(SKIP_1) | instid1(VALU_DEP_2)
	v_add_f32_e32 v8, v8, v16
	v_cvt_i32_f32_e32 v16, v18
	v_exp_f32_e32 v8, v8
	s_delay_alu instid0(TRANS32_DEP_1) | instskip(SKIP_1) | instid1(VALU_DEP_1)
	v_ldexp_f32 v8, v8, v16
	s_wait_alu 0xf1ff
	v_cndmask_b32_e64 v8, 0, v8, s0
	v_cmp_nlt_f32_e64 s0, 0x42b17218, v4
	s_wait_alu 0xf1ff
	s_delay_alu instid0(VALU_DEP_1) | instskip(NEXT) | instid1(VALU_DEP_1)
	v_cndmask_b32_e64 v4, 0x7f800000, v8, s0
	v_add_f32_e32 v8, 1.0, v4
	s_delay_alu instid0(VALU_DEP_1) | instskip(NEXT) | instid1(VALU_DEP_1)
	v_cvt_f64_f32_e32 v[18:19], v8
	v_frexp_exp_i32_f64_e32 v16, v[18:19]
	v_frexp_mant_f32_e32 v18, v8
	s_delay_alu instid0(VALU_DEP_1) | instskip(SKIP_1) | instid1(VALU_DEP_1)
	v_cmp_gt_f32_e64 s0, 0x3f2aaaab, v18
	v_add_f32_e32 v18, -1.0, v8
	v_sub_f32_e32 v20, v18, v8
	v_sub_f32_e32 v18, v4, v18
	s_delay_alu instid0(VALU_DEP_2) | instskip(NEXT) | instid1(VALU_DEP_1)
	v_add_f32_e32 v20, 1.0, v20
	v_add_f32_e32 v18, v18, v20
	s_wait_alu 0xf1ff
	v_subrev_co_ci_u32_e64 v16, null, 0, v16, s0
	s_mov_b32 s0, 0x3e9b6dac
	v_sub_nc_u32_e32 v19, 0, v16
	v_cvt_f32_i32_e32 v16, v16
	s_delay_alu instid0(VALU_DEP_2) | instskip(SKIP_1) | instid1(VALU_DEP_2)
	v_ldexp_f32 v8, v8, v19
	v_ldexp_f32 v18, v18, v19
	v_add_f32_e32 v21, 1.0, v8
	s_delay_alu instid0(VALU_DEP_1) | instskip(NEXT) | instid1(VALU_DEP_1)
	v_dual_add_f32 v19, -1.0, v8 :: v_dual_add_f32 v20, -1.0, v21
	v_add_f32_e32 v22, 1.0, v19
	s_delay_alu instid0(VALU_DEP_2) | instskip(NEXT) | instid1(VALU_DEP_2)
	v_sub_f32_e32 v20, v8, v20
	v_sub_f32_e32 v8, v8, v22
	s_delay_alu instid0(VALU_DEP_2) | instskip(NEXT) | instid1(VALU_DEP_2)
	v_add_f32_e32 v20, v18, v20
	v_add_f32_e32 v8, v18, v8
	s_delay_alu instid0(VALU_DEP_2) | instskip(NEXT) | instid1(VALU_DEP_2)
	v_add_f32_e32 v22, v21, v20
	v_add_f32_e32 v23, v19, v8
	s_delay_alu instid0(VALU_DEP_2) | instskip(SKIP_1) | instid1(VALU_DEP_1)
	v_rcp_f32_e32 v18, v22
	v_sub_f32_e32 v21, v21, v22
	v_dual_sub_f32 v19, v19, v23 :: v_dual_add_f32 v20, v20, v21
	s_delay_alu instid0(VALU_DEP_1) | instskip(NEXT) | instid1(TRANS32_DEP_1)
	v_add_f32_e32 v8, v8, v19
	v_mul_f32_e32 v24, v23, v18
	s_delay_alu instid0(VALU_DEP_1) | instskip(NEXT) | instid1(VALU_DEP_1)
	v_mul_f32_e32 v25, v22, v24
	v_fma_f32 v21, v24, v22, -v25
	s_delay_alu instid0(VALU_DEP_1) | instskip(NEXT) | instid1(VALU_DEP_1)
	v_fmac_f32_e32 v21, v24, v20
	v_add_f32_e32 v26, v25, v21
	s_delay_alu instid0(VALU_DEP_1) | instskip(SKIP_1) | instid1(VALU_DEP_2)
	v_sub_f32_e32 v27, v23, v26
	v_sub_f32_e32 v19, v26, v25
	;; [unrolled: 1-line block ×3, first 2 shown]
	s_delay_alu instid0(VALU_DEP_2) | instskip(NEXT) | instid1(VALU_DEP_2)
	v_sub_f32_e32 v19, v19, v21
	v_sub_f32_e32 v23, v23, v26
	s_delay_alu instid0(VALU_DEP_1) | instskip(NEXT) | instid1(VALU_DEP_1)
	v_add_f32_e32 v8, v8, v23
	v_add_f32_e32 v8, v19, v8
	s_delay_alu instid0(VALU_DEP_1) | instskip(NEXT) | instid1(VALU_DEP_1)
	v_add_f32_e32 v19, v27, v8
	v_mul_f32_e32 v21, v18, v19
	s_delay_alu instid0(VALU_DEP_1) | instskip(NEXT) | instid1(VALU_DEP_1)
	v_dual_sub_f32 v26, v27, v19 :: v_dual_mul_f32 v23, v22, v21
	v_add_f32_e32 v8, v8, v26
	s_delay_alu instid0(VALU_DEP_2) | instskip(NEXT) | instid1(VALU_DEP_1)
	v_fma_f32 v22, v21, v22, -v23
	v_fmac_f32_e32 v22, v21, v20
	s_delay_alu instid0(VALU_DEP_1) | instskip(NEXT) | instid1(VALU_DEP_1)
	v_add_f32_e32 v20, v23, v22
	v_sub_f32_e32 v25, v19, v20
	v_sub_f32_e32 v23, v20, v23
	s_delay_alu instid0(VALU_DEP_2) | instskip(NEXT) | instid1(VALU_DEP_1)
	v_sub_f32_e32 v19, v19, v25
	v_sub_f32_e32 v19, v19, v20
	s_delay_alu instid0(VALU_DEP_3) | instskip(NEXT) | instid1(VALU_DEP_2)
	v_sub_f32_e32 v20, v23, v22
	v_add_f32_e32 v8, v8, v19
	v_add_f32_e32 v19, v24, v21
	s_delay_alu instid0(VALU_DEP_2) | instskip(NEXT) | instid1(VALU_DEP_2)
	v_add_f32_e32 v8, v20, v8
	v_sub_f32_e32 v20, v19, v24
	s_delay_alu instid0(VALU_DEP_2) | instskip(NEXT) | instid1(VALU_DEP_2)
	v_add_f32_e32 v8, v25, v8
	v_sub_f32_e32 v20, v21, v20
	s_delay_alu instid0(VALU_DEP_2) | instskip(NEXT) | instid1(VALU_DEP_1)
	v_mul_f32_e32 v8, v18, v8
	v_add_f32_e32 v8, v20, v8
	s_delay_alu instid0(VALU_DEP_1) | instskip(NEXT) | instid1(VALU_DEP_1)
	v_add_f32_e32 v18, v19, v8
	v_mul_f32_e32 v20, v18, v18
	s_wait_alu 0xfffe
	s_delay_alu instid0(VALU_DEP_1) | instskip(SKIP_2) | instid1(VALU_DEP_3)
	v_fmaak_f32 v21, s0, v20, 0x3ecc95a3
	v_mul_f32_e32 v22, v18, v20
	v_cmp_neq_f32_e64 s0, 0x7f800000, v4
	v_fmaak_f32 v20, v20, v21, 0x3f2aaada
	v_ldexp_f32 v21, v18, 1
	v_sub_f32_e32 v18, v18, v19
	s_delay_alu instid0(VALU_DEP_3) | instskip(SKIP_1) | instid1(VALU_DEP_2)
	v_mul_f32_e32 v20, v22, v20
	v_mul_f32_e32 v22, 0x3f317218, v16
	v_dual_sub_f32 v8, v8, v18 :: v_dual_add_f32 v19, v21, v20
	s_delay_alu instid0(VALU_DEP_1) | instskip(NEXT) | instid1(VALU_DEP_2)
	v_ldexp_f32 v8, v8, 1
	v_sub_f32_e32 v18, v19, v21
	s_delay_alu instid0(VALU_DEP_4) | instskip(NEXT) | instid1(VALU_DEP_2)
	v_fma_f32 v21, 0x3f317218, v16, -v22
	v_sub_f32_e32 v18, v20, v18
	s_delay_alu instid0(VALU_DEP_2) | instskip(NEXT) | instid1(VALU_DEP_2)
	v_fmamk_f32 v16, v16, 0xb102e308, v21
	v_add_f32_e32 v8, v8, v18
	s_delay_alu instid0(VALU_DEP_2) | instskip(NEXT) | instid1(VALU_DEP_2)
	v_add_f32_e32 v18, v22, v16
	v_add_f32_e32 v20, v19, v8
	s_delay_alu instid0(VALU_DEP_2) | instskip(NEXT) | instid1(VALU_DEP_2)
	v_sub_f32_e32 v22, v18, v22
	v_add_f32_e32 v21, v18, v20
	v_sub_f32_e32 v19, v20, v19
	s_delay_alu instid0(VALU_DEP_3) | instskip(NEXT) | instid1(VALU_DEP_2)
	v_sub_f32_e32 v16, v16, v22
	v_dual_sub_f32 v23, v21, v18 :: v_dual_sub_f32 v8, v8, v19
	s_delay_alu instid0(VALU_DEP_1) | instskip(SKIP_1) | instid1(VALU_DEP_3)
	v_sub_f32_e32 v24, v21, v23
	v_sub_f32_e32 v19, v20, v23
	v_add_f32_e32 v20, v16, v8
	s_delay_alu instid0(VALU_DEP_3) | instskip(NEXT) | instid1(VALU_DEP_1)
	v_sub_f32_e32 v18, v18, v24
	v_dual_add_f32 v18, v19, v18 :: v_dual_sub_f32 v19, v20, v16
	s_delay_alu instid0(VALU_DEP_1) | instskip(NEXT) | instid1(VALU_DEP_2)
	v_add_f32_e32 v18, v20, v18
	v_sub_f32_e32 v20, v20, v19
	v_sub_f32_e32 v8, v8, v19
	s_delay_alu instid0(VALU_DEP_3) | instskip(NEXT) | instid1(VALU_DEP_1)
	v_add_f32_e32 v22, v21, v18
	v_dual_sub_f32 v16, v16, v20 :: v_dual_sub_f32 v19, v22, v21
	s_delay_alu instid0(VALU_DEP_1) | instskip(NEXT) | instid1(VALU_DEP_2)
	v_add_f32_e32 v8, v8, v16
	v_sub_f32_e32 v16, v18, v19
	s_delay_alu instid0(VALU_DEP_1) | instskip(NEXT) | instid1(VALU_DEP_1)
	v_add_f32_e32 v8, v8, v16
	v_add_f32_e32 v8, v22, v8
	s_wait_alu 0xf1ff
	s_delay_alu instid0(VALU_DEP_1) | instskip(SKIP_2) | instid1(VALU_DEP_1)
	v_cndmask_b32_e64 v8, 0x7f800000, v8, s0
	v_cmp_gt_f32_e64 s0, 0x33800000, |v4|
	s_wait_alu 0xf1ff
	v_cndmask_b32_e64 v4, v8, v4, s0
	s_delay_alu instid0(VALU_DEP_1) | instskip(NEXT) | instid1(VALU_DEP_1)
	v_add_f32_e32 v4, v15, v4
	v_cvt_f16_f32_e32 v18, v4
	s_delay_alu instid0(VALU_DEP_1)
	v_cvt_f32_f16_e32 v8, v18
	v_mov_b32_e32 v4, v18
.LBB411_118:
	s_wait_alu 0xfffe
	s_or_b32 exec_lo, exec_lo, s1
	s_delay_alu instid0(VALU_DEP_2) | instskip(SKIP_1) | instid1(VALU_DEP_2)
	v_dual_max_num_f32 v15, v14, v14 :: v_dual_max_num_f32 v16, v8, v8
	v_cmp_u_f16_e64 s0, v18, v18
	v_min_num_f32_e32 v19, v16, v15
	v_max_num_f32_e32 v15, v16, v15
	s_wait_alu 0xf1ff
	s_delay_alu instid0(VALU_DEP_2) | instskip(NEXT) | instid1(VALU_DEP_2)
	v_cndmask_b32_e64 v16, v19, v8, s0
	v_cndmask_b32_e64 v15, v15, v8, s0
	s_delay_alu instid0(VALU_DEP_2) | instskip(NEXT) | instid1(VALU_DEP_2)
	v_cndmask_b32_e64 v16, v16, v14, s21
	v_cndmask_b32_e64 v15, v15, v14, s21
	v_mov_b32_e32 v14, v4
	s_delay_alu instid0(VALU_DEP_3) | instskip(NEXT) | instid1(VALU_DEP_3)
	v_cmp_class_f32_e64 s1, v16, 0x1f8
	v_cmp_neq_f32_e64 s0, v16, v15
	s_or_b32 s0, s0, s1
	s_wait_alu 0xfffe
	s_and_saveexec_b32 s1, s0
	s_cbranch_execz .LBB411_120
; %bb.119:
	v_sub_f32_e32 v8, v16, v15
	s_delay_alu instid0(VALU_DEP_1) | instskip(SKIP_1) | instid1(VALU_DEP_2)
	v_mul_f32_e32 v14, 0x3fb8aa3b, v8
	v_cmp_ngt_f32_e64 s0, 0xc2ce8ed0, v8
	v_fma_f32 v16, 0x3fb8aa3b, v8, -v14
	v_rndne_f32_e32 v18, v14
	s_delay_alu instid0(VALU_DEP_2) | instskip(NEXT) | instid1(VALU_DEP_2)
	v_fmamk_f32 v16, v8, 0x32a5705f, v16
	v_sub_f32_e32 v14, v14, v18
	s_delay_alu instid0(VALU_DEP_1) | instskip(SKIP_1) | instid1(VALU_DEP_2)
	v_add_f32_e32 v14, v14, v16
	v_cvt_i32_f32_e32 v16, v18
	v_exp_f32_e32 v14, v14
	s_delay_alu instid0(TRANS32_DEP_1) | instskip(SKIP_1) | instid1(VALU_DEP_1)
	v_ldexp_f32 v14, v14, v16
	s_wait_alu 0xf1ff
	v_cndmask_b32_e64 v14, 0, v14, s0
	v_cmp_nlt_f32_e64 s0, 0x42b17218, v8
	s_wait_alu 0xf1ff
	s_delay_alu instid0(VALU_DEP_1) | instskip(NEXT) | instid1(VALU_DEP_1)
	v_cndmask_b32_e64 v8, 0x7f800000, v14, s0
	v_add_f32_e32 v14, 1.0, v8
	s_delay_alu instid0(VALU_DEP_1) | instskip(NEXT) | instid1(VALU_DEP_1)
	v_cvt_f64_f32_e32 v[18:19], v14
	v_frexp_exp_i32_f64_e32 v16, v[18:19]
	v_frexp_mant_f32_e32 v18, v14
	s_delay_alu instid0(VALU_DEP_1) | instskip(SKIP_1) | instid1(VALU_DEP_1)
	v_cmp_gt_f32_e64 s0, 0x3f2aaaab, v18
	v_add_f32_e32 v18, -1.0, v14
	v_sub_f32_e32 v20, v18, v14
	v_sub_f32_e32 v18, v8, v18
	s_delay_alu instid0(VALU_DEP_2) | instskip(NEXT) | instid1(VALU_DEP_1)
	v_add_f32_e32 v20, 1.0, v20
	v_add_f32_e32 v18, v18, v20
	s_wait_alu 0xf1ff
	v_subrev_co_ci_u32_e64 v16, null, 0, v16, s0
	s_mov_b32 s0, 0x3e9b6dac
	v_sub_nc_u32_e32 v19, 0, v16
	v_cvt_f32_i32_e32 v16, v16
	s_delay_alu instid0(VALU_DEP_2) | instskip(SKIP_1) | instid1(VALU_DEP_2)
	v_ldexp_f32 v14, v14, v19
	v_ldexp_f32 v18, v18, v19
	v_add_f32_e32 v21, 1.0, v14
	s_delay_alu instid0(VALU_DEP_1) | instskip(NEXT) | instid1(VALU_DEP_1)
	v_dual_add_f32 v19, -1.0, v14 :: v_dual_add_f32 v20, -1.0, v21
	v_add_f32_e32 v22, 1.0, v19
	s_delay_alu instid0(VALU_DEP_2) | instskip(NEXT) | instid1(VALU_DEP_2)
	v_sub_f32_e32 v20, v14, v20
	v_sub_f32_e32 v14, v14, v22
	s_delay_alu instid0(VALU_DEP_2) | instskip(NEXT) | instid1(VALU_DEP_2)
	v_add_f32_e32 v20, v18, v20
	v_add_f32_e32 v14, v18, v14
	s_delay_alu instid0(VALU_DEP_1) | instskip(NEXT) | instid1(VALU_DEP_1)
	v_dual_add_f32 v22, v21, v20 :: v_dual_add_f32 v23, v19, v14
	v_rcp_f32_e32 v18, v22
	v_sub_f32_e32 v21, v21, v22
	s_delay_alu instid0(VALU_DEP_1) | instskip(NEXT) | instid1(TRANS32_DEP_1)
	v_dual_sub_f32 v19, v19, v23 :: v_dual_add_f32 v20, v20, v21
	v_mul_f32_e32 v24, v23, v18
	s_delay_alu instid0(VALU_DEP_2) | instskip(NEXT) | instid1(VALU_DEP_2)
	v_add_f32_e32 v14, v14, v19
	v_mul_f32_e32 v25, v22, v24
	s_delay_alu instid0(VALU_DEP_1) | instskip(NEXT) | instid1(VALU_DEP_1)
	v_fma_f32 v21, v24, v22, -v25
	v_fmac_f32_e32 v21, v24, v20
	s_delay_alu instid0(VALU_DEP_1) | instskip(NEXT) | instid1(VALU_DEP_1)
	v_add_f32_e32 v26, v25, v21
	v_sub_f32_e32 v27, v23, v26
	v_sub_f32_e32 v19, v26, v25
	s_delay_alu instid0(VALU_DEP_2) | instskip(NEXT) | instid1(VALU_DEP_2)
	v_sub_f32_e32 v23, v23, v27
	v_sub_f32_e32 v19, v19, v21
	s_delay_alu instid0(VALU_DEP_2) | instskip(NEXT) | instid1(VALU_DEP_1)
	v_sub_f32_e32 v23, v23, v26
	v_add_f32_e32 v14, v14, v23
	s_delay_alu instid0(VALU_DEP_1) | instskip(NEXT) | instid1(VALU_DEP_1)
	v_add_f32_e32 v14, v19, v14
	v_add_f32_e32 v19, v27, v14
	s_delay_alu instid0(VALU_DEP_1) | instskip(NEXT) | instid1(VALU_DEP_1)
	v_mul_f32_e32 v21, v18, v19
	v_dual_sub_f32 v26, v27, v19 :: v_dual_mul_f32 v23, v22, v21
	s_delay_alu instid0(VALU_DEP_1) | instskip(NEXT) | instid1(VALU_DEP_2)
	v_add_f32_e32 v14, v14, v26
	v_fma_f32 v22, v21, v22, -v23
	s_delay_alu instid0(VALU_DEP_1) | instskip(NEXT) | instid1(VALU_DEP_1)
	v_fmac_f32_e32 v22, v21, v20
	v_add_f32_e32 v20, v23, v22
	s_delay_alu instid0(VALU_DEP_1) | instskip(SKIP_1) | instid1(VALU_DEP_2)
	v_sub_f32_e32 v25, v19, v20
	v_sub_f32_e32 v23, v20, v23
	v_sub_f32_e32 v19, v19, v25
	s_delay_alu instid0(VALU_DEP_1) | instskip(NEXT) | instid1(VALU_DEP_3)
	v_sub_f32_e32 v19, v19, v20
	v_sub_f32_e32 v20, v23, v22
	s_delay_alu instid0(VALU_DEP_2) | instskip(NEXT) | instid1(VALU_DEP_1)
	v_dual_add_f32 v14, v14, v19 :: v_dual_add_f32 v19, v24, v21
	v_add_f32_e32 v14, v20, v14
	s_delay_alu instid0(VALU_DEP_2) | instskip(NEXT) | instid1(VALU_DEP_2)
	v_sub_f32_e32 v20, v19, v24
	v_add_f32_e32 v14, v25, v14
	s_delay_alu instid0(VALU_DEP_2) | instskip(NEXT) | instid1(VALU_DEP_2)
	v_sub_f32_e32 v20, v21, v20
	v_mul_f32_e32 v14, v18, v14
	s_delay_alu instid0(VALU_DEP_1) | instskip(NEXT) | instid1(VALU_DEP_1)
	v_add_f32_e32 v14, v20, v14
	v_add_f32_e32 v18, v19, v14
	s_delay_alu instid0(VALU_DEP_1) | instskip(SKIP_1) | instid1(VALU_DEP_1)
	v_mul_f32_e32 v20, v18, v18
	s_wait_alu 0xfffe
	v_fmaak_f32 v21, s0, v20, 0x3ecc95a3
	v_mul_f32_e32 v22, v18, v20
	v_cmp_neq_f32_e64 s0, 0x7f800000, v8
	s_delay_alu instid0(VALU_DEP_3) | instskip(SKIP_2) | instid1(VALU_DEP_3)
	v_fmaak_f32 v20, v20, v21, 0x3f2aaada
	v_ldexp_f32 v21, v18, 1
	v_sub_f32_e32 v18, v18, v19
	v_mul_f32_e32 v20, v22, v20
	v_mul_f32_e32 v22, 0x3f317218, v16
	s_delay_alu instid0(VALU_DEP_2) | instskip(NEXT) | instid1(VALU_DEP_1)
	v_dual_sub_f32 v14, v14, v18 :: v_dual_add_f32 v19, v21, v20
	v_ldexp_f32 v14, v14, 1
	s_delay_alu instid0(VALU_DEP_2) | instskip(NEXT) | instid1(VALU_DEP_4)
	v_sub_f32_e32 v18, v19, v21
	v_fma_f32 v21, 0x3f317218, v16, -v22
	s_delay_alu instid0(VALU_DEP_2) | instskip(NEXT) | instid1(VALU_DEP_2)
	v_sub_f32_e32 v18, v20, v18
	v_fmamk_f32 v16, v16, 0xb102e308, v21
	s_delay_alu instid0(VALU_DEP_2) | instskip(NEXT) | instid1(VALU_DEP_2)
	v_add_f32_e32 v14, v14, v18
	v_add_f32_e32 v18, v22, v16
	s_delay_alu instid0(VALU_DEP_2) | instskip(NEXT) | instid1(VALU_DEP_2)
	v_add_f32_e32 v20, v19, v14
	v_sub_f32_e32 v22, v18, v22
	s_delay_alu instid0(VALU_DEP_2) | instskip(SKIP_1) | instid1(VALU_DEP_3)
	v_add_f32_e32 v21, v18, v20
	v_sub_f32_e32 v19, v20, v19
	v_sub_f32_e32 v16, v16, v22
	s_delay_alu instid0(VALU_DEP_2) | instskip(NEXT) | instid1(VALU_DEP_1)
	v_dual_sub_f32 v23, v21, v18 :: v_dual_sub_f32 v14, v14, v19
	v_sub_f32_e32 v24, v21, v23
	v_sub_f32_e32 v19, v20, v23
	s_delay_alu instid0(VALU_DEP_3) | instskip(NEXT) | instid1(VALU_DEP_3)
	v_add_f32_e32 v20, v16, v14
	v_sub_f32_e32 v18, v18, v24
	s_delay_alu instid0(VALU_DEP_1) | instskip(NEXT) | instid1(VALU_DEP_1)
	v_dual_add_f32 v18, v19, v18 :: v_dual_sub_f32 v19, v20, v16
	v_add_f32_e32 v18, v20, v18
	s_delay_alu instid0(VALU_DEP_2) | instskip(SKIP_1) | instid1(VALU_DEP_3)
	v_sub_f32_e32 v20, v20, v19
	v_sub_f32_e32 v14, v14, v19
	v_add_f32_e32 v22, v21, v18
	s_delay_alu instid0(VALU_DEP_1) | instskip(NEXT) | instid1(VALU_DEP_1)
	v_dual_sub_f32 v16, v16, v20 :: v_dual_sub_f32 v19, v22, v21
	v_add_f32_e32 v14, v14, v16
	s_delay_alu instid0(VALU_DEP_2) | instskip(NEXT) | instid1(VALU_DEP_1)
	v_sub_f32_e32 v16, v18, v19
	v_add_f32_e32 v14, v14, v16
	s_delay_alu instid0(VALU_DEP_1) | instskip(SKIP_1) | instid1(VALU_DEP_1)
	v_add_f32_e32 v14, v22, v14
	s_wait_alu 0xf1ff
	v_cndmask_b32_e64 v14, 0x7f800000, v14, s0
	v_cmp_gt_f32_e64 s0, 0x33800000, |v8|
	s_wait_alu 0xf1ff
	s_delay_alu instid0(VALU_DEP_1) | instskip(NEXT) | instid1(VALU_DEP_1)
	v_cndmask_b32_e64 v8, v14, v8, s0
	v_add_f32_e32 v8, v15, v8
	s_delay_alu instid0(VALU_DEP_1) | instskip(NEXT) | instid1(VALU_DEP_1)
	v_cvt_f16_f32_e32 v18, v8
	v_cvt_f32_f16_e32 v8, v18
	v_mov_b32_e32 v14, v18
.LBB411_120:
	s_wait_alu 0xfffe
	s_or_b32 exec_lo, exec_lo, s1
	s_delay_alu instid0(VALU_DEP_2) | instskip(SKIP_1) | instid1(VALU_DEP_2)
	v_dual_max_num_f32 v15, v5, v5 :: v_dual_max_num_f32 v16, v8, v8
	v_cmp_u_f16_e64 s0, v18, v18
	v_min_num_f32_e32 v19, v16, v15
	v_max_num_f32_e32 v15, v16, v15
	s_wait_alu 0xf1ff
	s_delay_alu instid0(VALU_DEP_2) | instskip(NEXT) | instid1(VALU_DEP_2)
	v_cndmask_b32_e64 v16, v19, v8, s0
	v_cndmask_b32_e64 v15, v15, v8, s0
	s_delay_alu instid0(VALU_DEP_2) | instskip(NEXT) | instid1(VALU_DEP_2)
	v_cndmask_b32_e64 v16, v16, v5, s22
	v_cndmask_b32_e64 v15, v15, v5, s22
	v_mov_b32_e32 v5, v14
	s_delay_alu instid0(VALU_DEP_3) | instskip(NEXT) | instid1(VALU_DEP_3)
	v_cmp_class_f32_e64 s1, v16, 0x1f8
	v_cmp_neq_f32_e64 s0, v16, v15
	s_or_b32 s0, s0, s1
	s_wait_alu 0xfffe
	s_and_saveexec_b32 s1, s0
	s_cbranch_execz .LBB411_122
; %bb.121:
	v_sub_f32_e32 v5, v16, v15
	s_delay_alu instid0(VALU_DEP_1) | instskip(SKIP_1) | instid1(VALU_DEP_2)
	v_mul_f32_e32 v8, 0x3fb8aa3b, v5
	v_cmp_ngt_f32_e64 s0, 0xc2ce8ed0, v5
	v_fma_f32 v16, 0x3fb8aa3b, v5, -v8
	v_rndne_f32_e32 v18, v8
	s_delay_alu instid0(VALU_DEP_2) | instskip(NEXT) | instid1(VALU_DEP_2)
	v_fmamk_f32 v16, v5, 0x32a5705f, v16
	v_sub_f32_e32 v8, v8, v18
	s_delay_alu instid0(VALU_DEP_1) | instskip(SKIP_1) | instid1(VALU_DEP_2)
	v_add_f32_e32 v8, v8, v16
	v_cvt_i32_f32_e32 v16, v18
	v_exp_f32_e32 v8, v8
	s_delay_alu instid0(TRANS32_DEP_1) | instskip(SKIP_1) | instid1(VALU_DEP_1)
	v_ldexp_f32 v8, v8, v16
	s_wait_alu 0xf1ff
	v_cndmask_b32_e64 v8, 0, v8, s0
	v_cmp_nlt_f32_e64 s0, 0x42b17218, v5
	s_wait_alu 0xf1ff
	s_delay_alu instid0(VALU_DEP_1) | instskip(NEXT) | instid1(VALU_DEP_1)
	v_cndmask_b32_e64 v5, 0x7f800000, v8, s0
	v_add_f32_e32 v8, 1.0, v5
	s_delay_alu instid0(VALU_DEP_1) | instskip(NEXT) | instid1(VALU_DEP_1)
	v_cvt_f64_f32_e32 v[18:19], v8
	v_frexp_exp_i32_f64_e32 v16, v[18:19]
	v_frexp_mant_f32_e32 v18, v8
	s_delay_alu instid0(VALU_DEP_1) | instskip(SKIP_1) | instid1(VALU_DEP_1)
	v_cmp_gt_f32_e64 s0, 0x3f2aaaab, v18
	v_add_f32_e32 v18, -1.0, v8
	v_sub_f32_e32 v20, v18, v8
	s_delay_alu instid0(VALU_DEP_1)
	v_add_f32_e32 v20, 1.0, v20
	s_wait_alu 0xf1ff
	v_subrev_co_ci_u32_e64 v16, null, 0, v16, s0
	s_mov_b32 s0, 0x3e9b6dac
	v_sub_nc_u32_e32 v19, 0, v16
	v_cvt_f32_i32_e32 v16, v16
	s_delay_alu instid0(VALU_DEP_2) | instskip(NEXT) | instid1(VALU_DEP_1)
	v_ldexp_f32 v8, v8, v19
	v_dual_sub_f32 v18, v5, v18 :: v_dual_add_f32 v21, 1.0, v8
	s_delay_alu instid0(VALU_DEP_1) | instskip(NEXT) | instid1(VALU_DEP_1)
	v_add_f32_e32 v18, v18, v20
	v_ldexp_f32 v18, v18, v19
	s_delay_alu instid0(VALU_DEP_3) | instskip(NEXT) | instid1(VALU_DEP_1)
	v_dual_add_f32 v19, -1.0, v8 :: v_dual_add_f32 v20, -1.0, v21
	v_add_f32_e32 v22, 1.0, v19
	s_delay_alu instid0(VALU_DEP_2) | instskip(NEXT) | instid1(VALU_DEP_2)
	v_sub_f32_e32 v20, v8, v20
	v_sub_f32_e32 v8, v8, v22
	s_delay_alu instid0(VALU_DEP_2) | instskip(NEXT) | instid1(VALU_DEP_2)
	v_add_f32_e32 v20, v18, v20
	v_add_f32_e32 v8, v18, v8
	s_delay_alu instid0(VALU_DEP_2) | instskip(NEXT) | instid1(VALU_DEP_2)
	v_add_f32_e32 v22, v21, v20
	v_add_f32_e32 v23, v19, v8
	s_delay_alu instid0(VALU_DEP_2) | instskip(SKIP_1) | instid1(VALU_DEP_1)
	v_rcp_f32_e32 v18, v22
	v_sub_f32_e32 v21, v21, v22
	v_dual_sub_f32 v19, v19, v23 :: v_dual_add_f32 v20, v20, v21
	s_delay_alu instid0(VALU_DEP_1) | instskip(NEXT) | instid1(TRANS32_DEP_1)
	v_add_f32_e32 v8, v8, v19
	v_mul_f32_e32 v24, v23, v18
	s_delay_alu instid0(VALU_DEP_1) | instskip(NEXT) | instid1(VALU_DEP_1)
	v_mul_f32_e32 v25, v22, v24
	v_fma_f32 v21, v24, v22, -v25
	s_delay_alu instid0(VALU_DEP_1) | instskip(NEXT) | instid1(VALU_DEP_1)
	v_fmac_f32_e32 v21, v24, v20
	v_add_f32_e32 v26, v25, v21
	s_delay_alu instid0(VALU_DEP_1) | instskip(SKIP_1) | instid1(VALU_DEP_2)
	v_sub_f32_e32 v27, v23, v26
	v_sub_f32_e32 v19, v26, v25
	;; [unrolled: 1-line block ×3, first 2 shown]
	s_delay_alu instid0(VALU_DEP_2) | instskip(NEXT) | instid1(VALU_DEP_2)
	v_sub_f32_e32 v19, v19, v21
	v_sub_f32_e32 v23, v23, v26
	s_delay_alu instid0(VALU_DEP_1) | instskip(NEXT) | instid1(VALU_DEP_1)
	v_add_f32_e32 v8, v8, v23
	v_add_f32_e32 v8, v19, v8
	s_delay_alu instid0(VALU_DEP_1) | instskip(NEXT) | instid1(VALU_DEP_1)
	v_add_f32_e32 v19, v27, v8
	v_mul_f32_e32 v21, v18, v19
	s_delay_alu instid0(VALU_DEP_1) | instskip(NEXT) | instid1(VALU_DEP_1)
	v_dual_sub_f32 v26, v27, v19 :: v_dual_mul_f32 v23, v22, v21
	v_add_f32_e32 v8, v8, v26
	s_delay_alu instid0(VALU_DEP_2) | instskip(NEXT) | instid1(VALU_DEP_1)
	v_fma_f32 v22, v21, v22, -v23
	v_fmac_f32_e32 v22, v21, v20
	s_delay_alu instid0(VALU_DEP_1) | instskip(NEXT) | instid1(VALU_DEP_1)
	v_add_f32_e32 v20, v23, v22
	v_sub_f32_e32 v25, v19, v20
	v_sub_f32_e32 v23, v20, v23
	s_delay_alu instid0(VALU_DEP_2) | instskip(NEXT) | instid1(VALU_DEP_1)
	v_sub_f32_e32 v19, v19, v25
	v_sub_f32_e32 v19, v19, v20
	s_delay_alu instid0(VALU_DEP_3) | instskip(NEXT) | instid1(VALU_DEP_2)
	v_sub_f32_e32 v20, v23, v22
	v_add_f32_e32 v8, v8, v19
	v_add_f32_e32 v19, v24, v21
	s_delay_alu instid0(VALU_DEP_2) | instskip(NEXT) | instid1(VALU_DEP_2)
	v_add_f32_e32 v8, v20, v8
	v_sub_f32_e32 v20, v19, v24
	s_delay_alu instid0(VALU_DEP_2) | instskip(NEXT) | instid1(VALU_DEP_2)
	v_add_f32_e32 v8, v25, v8
	v_sub_f32_e32 v20, v21, v20
	s_delay_alu instid0(VALU_DEP_2) | instskip(NEXT) | instid1(VALU_DEP_1)
	v_mul_f32_e32 v8, v18, v8
	v_add_f32_e32 v8, v20, v8
	s_delay_alu instid0(VALU_DEP_1) | instskip(NEXT) | instid1(VALU_DEP_1)
	v_add_f32_e32 v18, v19, v8
	v_mul_f32_e32 v20, v18, v18
	s_wait_alu 0xfffe
	s_delay_alu instid0(VALU_DEP_1) | instskip(SKIP_2) | instid1(VALU_DEP_3)
	v_fmaak_f32 v21, s0, v20, 0x3ecc95a3
	v_mul_f32_e32 v22, v18, v20
	v_cmp_neq_f32_e64 s0, 0x7f800000, v5
	v_fmaak_f32 v20, v20, v21, 0x3f2aaada
	v_ldexp_f32 v21, v18, 1
	v_sub_f32_e32 v18, v18, v19
	s_delay_alu instid0(VALU_DEP_3) | instskip(SKIP_1) | instid1(VALU_DEP_2)
	v_mul_f32_e32 v20, v22, v20
	v_mul_f32_e32 v22, 0x3f317218, v16
	v_dual_sub_f32 v8, v8, v18 :: v_dual_add_f32 v19, v21, v20
	s_delay_alu instid0(VALU_DEP_1) | instskip(NEXT) | instid1(VALU_DEP_2)
	v_ldexp_f32 v8, v8, 1
	v_sub_f32_e32 v18, v19, v21
	s_delay_alu instid0(VALU_DEP_4) | instskip(NEXT) | instid1(VALU_DEP_2)
	v_fma_f32 v21, 0x3f317218, v16, -v22
	v_sub_f32_e32 v18, v20, v18
	s_delay_alu instid0(VALU_DEP_2) | instskip(NEXT) | instid1(VALU_DEP_2)
	v_fmamk_f32 v16, v16, 0xb102e308, v21
	v_add_f32_e32 v8, v8, v18
	s_delay_alu instid0(VALU_DEP_2) | instskip(NEXT) | instid1(VALU_DEP_2)
	v_add_f32_e32 v18, v22, v16
	v_add_f32_e32 v20, v19, v8
	s_delay_alu instid0(VALU_DEP_2) | instskip(NEXT) | instid1(VALU_DEP_2)
	v_sub_f32_e32 v22, v18, v22
	v_add_f32_e32 v21, v18, v20
	v_sub_f32_e32 v19, v20, v19
	s_delay_alu instid0(VALU_DEP_3) | instskip(NEXT) | instid1(VALU_DEP_2)
	v_sub_f32_e32 v16, v16, v22
	v_dual_sub_f32 v23, v21, v18 :: v_dual_sub_f32 v8, v8, v19
	s_delay_alu instid0(VALU_DEP_1) | instskip(SKIP_1) | instid1(VALU_DEP_3)
	v_sub_f32_e32 v24, v21, v23
	v_sub_f32_e32 v19, v20, v23
	v_add_f32_e32 v20, v16, v8
	s_delay_alu instid0(VALU_DEP_3) | instskip(NEXT) | instid1(VALU_DEP_1)
	v_sub_f32_e32 v18, v18, v24
	v_dual_add_f32 v18, v19, v18 :: v_dual_sub_f32 v19, v20, v16
	s_delay_alu instid0(VALU_DEP_1) | instskip(NEXT) | instid1(VALU_DEP_2)
	v_add_f32_e32 v18, v20, v18
	v_sub_f32_e32 v20, v20, v19
	v_sub_f32_e32 v8, v8, v19
	s_delay_alu instid0(VALU_DEP_3) | instskip(NEXT) | instid1(VALU_DEP_1)
	v_add_f32_e32 v22, v21, v18
	v_dual_sub_f32 v16, v16, v20 :: v_dual_sub_f32 v19, v22, v21
	s_delay_alu instid0(VALU_DEP_1) | instskip(NEXT) | instid1(VALU_DEP_2)
	v_add_f32_e32 v8, v8, v16
	v_sub_f32_e32 v16, v18, v19
	s_delay_alu instid0(VALU_DEP_1) | instskip(NEXT) | instid1(VALU_DEP_1)
	v_add_f32_e32 v8, v8, v16
	v_add_f32_e32 v8, v22, v8
	s_wait_alu 0xf1ff
	s_delay_alu instid0(VALU_DEP_1) | instskip(SKIP_2) | instid1(VALU_DEP_1)
	v_cndmask_b32_e64 v8, 0x7f800000, v8, s0
	v_cmp_gt_f32_e64 s0, 0x33800000, |v5|
	s_wait_alu 0xf1ff
	v_cndmask_b32_e64 v5, v8, v5, s0
	s_delay_alu instid0(VALU_DEP_1) | instskip(NEXT) | instid1(VALU_DEP_1)
	v_add_f32_e32 v5, v15, v5
	v_cvt_f16_f32_e32 v18, v5
	s_delay_alu instid0(VALU_DEP_1)
	v_cvt_f32_f16_e32 v8, v18
	v_mov_b32_e32 v5, v18
.LBB411_122:
	s_wait_alu 0xfffe
	s_or_b32 exec_lo, exec_lo, s1
	s_delay_alu instid0(VALU_DEP_2) | instskip(SKIP_1) | instid1(VALU_DEP_2)
	v_dual_max_num_f32 v15, v6, v6 :: v_dual_max_num_f32 v16, v8, v8
	v_cmp_u_f16_e64 s0, v18, v18
	v_min_num_f32_e32 v19, v16, v15
	v_max_num_f32_e32 v15, v16, v15
	s_wait_alu 0xf1ff
	s_delay_alu instid0(VALU_DEP_2) | instskip(NEXT) | instid1(VALU_DEP_2)
	v_cndmask_b32_e64 v16, v19, v8, s0
	v_cndmask_b32_e64 v8, v15, v8, s0
	s_delay_alu instid0(VALU_DEP_2) | instskip(NEXT) | instid1(VALU_DEP_2)
	v_cndmask_b32_e64 v15, v16, v6, s23
	v_cndmask_b32_e64 v6, v8, v6, s23
	v_mov_b32_e32 v8, v5
	s_delay_alu instid0(VALU_DEP_3) | instskip(NEXT) | instid1(VALU_DEP_3)
	v_cmp_class_f32_e64 s1, v15, 0x1f8
	v_cmp_neq_f32_e64 s0, v15, v6
	s_or_b32 s0, s0, s1
	s_wait_alu 0xfffe
	s_and_saveexec_b32 s1, s0
	s_cbranch_execz .LBB411_124
; %bb.123:
	v_sub_f32_e32 v8, v15, v6
	s_delay_alu instid0(VALU_DEP_1) | instskip(SKIP_1) | instid1(VALU_DEP_2)
	v_mul_f32_e32 v15, 0x3fb8aa3b, v8
	v_cmp_ngt_f32_e64 s0, 0xc2ce8ed0, v8
	v_fma_f32 v16, 0x3fb8aa3b, v8, -v15
	v_rndne_f32_e32 v18, v15
	s_delay_alu instid0(VALU_DEP_1) | instskip(NEXT) | instid1(VALU_DEP_1)
	v_dual_fmamk_f32 v16, v8, 0x32a5705f, v16 :: v_dual_sub_f32 v15, v15, v18
	v_add_f32_e32 v15, v15, v16
	v_cvt_i32_f32_e32 v16, v18
	s_delay_alu instid0(VALU_DEP_2) | instskip(NEXT) | instid1(TRANS32_DEP_1)
	v_exp_f32_e32 v15, v15
	v_ldexp_f32 v15, v15, v16
	s_wait_alu 0xf1ff
	s_delay_alu instid0(VALU_DEP_1) | instskip(SKIP_2) | instid1(VALU_DEP_1)
	v_cndmask_b32_e64 v15, 0, v15, s0
	v_cmp_nlt_f32_e64 s0, 0x42b17218, v8
	s_wait_alu 0xf1ff
	v_cndmask_b32_e64 v8, 0x7f800000, v15, s0
	s_delay_alu instid0(VALU_DEP_1) | instskip(NEXT) | instid1(VALU_DEP_1)
	v_add_f32_e32 v18, 1.0, v8
	v_cvt_f64_f32_e32 v[15:16], v18
	s_delay_alu instid0(VALU_DEP_1) | instskip(SKIP_1) | instid1(VALU_DEP_1)
	v_frexp_exp_i32_f64_e32 v15, v[15:16]
	v_frexp_mant_f32_e32 v16, v18
	v_cmp_gt_f32_e64 s0, 0x3f2aaaab, v16
	v_add_f32_e32 v16, -1.0, v18
	s_delay_alu instid0(VALU_DEP_1) | instskip(SKIP_1) | instid1(VALU_DEP_3)
	v_sub_f32_e32 v20, v16, v18
	s_wait_alu 0xf1ff
	v_subrev_co_ci_u32_e64 v15, null, 0, v15, s0
	s_mov_b32 s0, 0x3e9b6dac
	v_sub_nc_u32_e32 v19, 0, v15
	v_cvt_f32_i32_e32 v15, v15
	s_delay_alu instid0(VALU_DEP_2) | instskip(SKIP_1) | instid1(VALU_DEP_2)
	v_ldexp_f32 v18, v18, v19
	v_sub_f32_e32 v16, v8, v16
	v_dual_add_f32 v20, 1.0, v20 :: v_dual_add_f32 v21, 1.0, v18
	s_delay_alu instid0(VALU_DEP_1) | instskip(NEXT) | instid1(VALU_DEP_1)
	v_add_f32_e32 v16, v16, v20
	v_ldexp_f32 v16, v16, v19
	s_delay_alu instid0(VALU_DEP_3) | instskip(NEXT) | instid1(VALU_DEP_1)
	v_dual_add_f32 v19, -1.0, v18 :: v_dual_add_f32 v20, -1.0, v21
	v_add_f32_e32 v22, 1.0, v19
	s_delay_alu instid0(VALU_DEP_2) | instskip(NEXT) | instid1(VALU_DEP_2)
	v_sub_f32_e32 v20, v18, v20
	v_sub_f32_e32 v18, v18, v22
	s_delay_alu instid0(VALU_DEP_2) | instskip(NEXT) | instid1(VALU_DEP_2)
	v_add_f32_e32 v20, v16, v20
	v_add_f32_e32 v16, v16, v18
	s_delay_alu instid0(VALU_DEP_2) | instskip(NEXT) | instid1(VALU_DEP_2)
	v_add_f32_e32 v22, v21, v20
	v_add_f32_e32 v23, v19, v16
	s_delay_alu instid0(VALU_DEP_2) | instskip(SKIP_1) | instid1(VALU_DEP_1)
	v_rcp_f32_e32 v18, v22
	v_sub_f32_e32 v21, v21, v22
	v_dual_sub_f32 v19, v19, v23 :: v_dual_add_f32 v20, v20, v21
	s_delay_alu instid0(VALU_DEP_1) | instskip(NEXT) | instid1(TRANS32_DEP_1)
	v_add_f32_e32 v16, v16, v19
	v_mul_f32_e32 v24, v23, v18
	s_delay_alu instid0(VALU_DEP_1) | instskip(NEXT) | instid1(VALU_DEP_1)
	v_mul_f32_e32 v25, v22, v24
	v_fma_f32 v21, v24, v22, -v25
	s_delay_alu instid0(VALU_DEP_1) | instskip(NEXT) | instid1(VALU_DEP_1)
	v_fmac_f32_e32 v21, v24, v20
	v_add_f32_e32 v26, v25, v21
	s_delay_alu instid0(VALU_DEP_1) | instskip(SKIP_1) | instid1(VALU_DEP_2)
	v_sub_f32_e32 v27, v23, v26
	v_sub_f32_e32 v19, v26, v25
	;; [unrolled: 1-line block ×3, first 2 shown]
	s_delay_alu instid0(VALU_DEP_2) | instskip(NEXT) | instid1(VALU_DEP_2)
	v_sub_f32_e32 v19, v19, v21
	v_sub_f32_e32 v23, v23, v26
	s_delay_alu instid0(VALU_DEP_1) | instskip(NEXT) | instid1(VALU_DEP_1)
	v_add_f32_e32 v16, v16, v23
	v_add_f32_e32 v16, v19, v16
	s_delay_alu instid0(VALU_DEP_1) | instskip(NEXT) | instid1(VALU_DEP_1)
	v_add_f32_e32 v19, v27, v16
	v_mul_f32_e32 v21, v18, v19
	s_delay_alu instid0(VALU_DEP_1) | instskip(NEXT) | instid1(VALU_DEP_1)
	v_dual_sub_f32 v26, v27, v19 :: v_dual_mul_f32 v23, v22, v21
	v_fma_f32 v22, v21, v22, -v23
	s_delay_alu instid0(VALU_DEP_1) | instskip(NEXT) | instid1(VALU_DEP_1)
	v_fmac_f32_e32 v22, v21, v20
	v_add_f32_e32 v20, v23, v22
	s_delay_alu instid0(VALU_DEP_1) | instskip(SKIP_1) | instid1(VALU_DEP_2)
	v_sub_f32_e32 v25, v19, v20
	v_sub_f32_e32 v23, v20, v23
	v_dual_sub_f32 v19, v19, v25 :: v_dual_add_f32 v16, v16, v26
	s_delay_alu instid0(VALU_DEP_1) | instskip(NEXT) | instid1(VALU_DEP_1)
	v_sub_f32_e32 v19, v19, v20
	v_add_f32_e32 v16, v16, v19
	s_delay_alu instid0(VALU_DEP_4) | instskip(NEXT) | instid1(VALU_DEP_1)
	v_dual_add_f32 v19, v24, v21 :: v_dual_sub_f32 v20, v23, v22
	v_add_f32_e32 v16, v20, v16
	s_delay_alu instid0(VALU_DEP_2) | instskip(NEXT) | instid1(VALU_DEP_2)
	v_sub_f32_e32 v20, v19, v24
	v_add_f32_e32 v16, v25, v16
	s_delay_alu instid0(VALU_DEP_2) | instskip(NEXT) | instid1(VALU_DEP_2)
	v_sub_f32_e32 v20, v21, v20
	v_mul_f32_e32 v16, v18, v16
	s_delay_alu instid0(VALU_DEP_1) | instskip(NEXT) | instid1(VALU_DEP_1)
	v_add_f32_e32 v16, v20, v16
	v_add_f32_e32 v18, v19, v16
	s_delay_alu instid0(VALU_DEP_1) | instskip(SKIP_1) | instid1(VALU_DEP_1)
	v_mul_f32_e32 v20, v18, v18
	s_wait_alu 0xfffe
	v_fmaak_f32 v21, s0, v20, 0x3ecc95a3
	v_mul_f32_e32 v22, v18, v20
	v_cmp_neq_f32_e64 s0, 0x7f800000, v8
	s_delay_alu instid0(VALU_DEP_3) | instskip(SKIP_2) | instid1(VALU_DEP_3)
	v_fmaak_f32 v20, v20, v21, 0x3f2aaada
	v_ldexp_f32 v21, v18, 1
	v_sub_f32_e32 v18, v18, v19
	v_mul_f32_e32 v20, v22, v20
	s_delay_alu instid0(VALU_DEP_1) | instskip(NEXT) | instid1(VALU_DEP_1)
	v_dual_sub_f32 v16, v16, v18 :: v_dual_add_f32 v19, v21, v20
	v_ldexp_f32 v16, v16, 1
	s_delay_alu instid0(VALU_DEP_2) | instskip(NEXT) | instid1(VALU_DEP_1)
	v_sub_f32_e32 v18, v19, v21
	v_sub_f32_e32 v18, v20, v18
	s_delay_alu instid0(VALU_DEP_1) | instskip(NEXT) | instid1(VALU_DEP_1)
	v_add_f32_e32 v16, v16, v18
	v_add_f32_e32 v20, v19, v16
	v_mul_f32_e32 v22, 0x3f317218, v15
	s_delay_alu instid0(VALU_DEP_2) | instskip(NEXT) | instid1(VALU_DEP_2)
	v_sub_f32_e32 v19, v20, v19
	v_fma_f32 v21, 0x3f317218, v15, -v22
	s_delay_alu instid0(VALU_DEP_1) | instskip(NEXT) | instid1(VALU_DEP_1)
	v_dual_sub_f32 v16, v16, v19 :: v_dual_fmamk_f32 v15, v15, 0xb102e308, v21
	v_add_f32_e32 v18, v22, v15
	s_delay_alu instid0(VALU_DEP_1) | instskip(SKIP_1) | instid1(VALU_DEP_2)
	v_add_f32_e32 v21, v18, v20
	v_sub_f32_e32 v22, v18, v22
	v_sub_f32_e32 v23, v21, v18
	s_delay_alu instid0(VALU_DEP_1) | instskip(NEXT) | instid1(VALU_DEP_1)
	v_dual_sub_f32 v15, v15, v22 :: v_dual_sub_f32 v24, v21, v23
	v_dual_sub_f32 v19, v20, v23 :: v_dual_add_f32 v20, v15, v16
	s_delay_alu instid0(VALU_DEP_2) | instskip(NEXT) | instid1(VALU_DEP_1)
	v_sub_f32_e32 v18, v18, v24
	v_dual_add_f32 v18, v19, v18 :: v_dual_sub_f32 v19, v20, v15
	s_delay_alu instid0(VALU_DEP_1) | instskip(NEXT) | instid1(VALU_DEP_2)
	v_add_f32_e32 v18, v20, v18
	v_sub_f32_e32 v20, v20, v19
	v_sub_f32_e32 v16, v16, v19
	s_delay_alu instid0(VALU_DEP_2) | instskip(NEXT) | instid1(VALU_DEP_1)
	v_dual_add_f32 v22, v21, v18 :: v_dual_sub_f32 v15, v15, v20
	v_sub_f32_e32 v19, v22, v21
	s_delay_alu instid0(VALU_DEP_2) | instskip(NEXT) | instid1(VALU_DEP_2)
	v_add_f32_e32 v15, v16, v15
	v_sub_f32_e32 v16, v18, v19
	s_delay_alu instid0(VALU_DEP_1) | instskip(NEXT) | instid1(VALU_DEP_1)
	v_add_f32_e32 v15, v15, v16
	v_add_f32_e32 v15, v22, v15
	s_wait_alu 0xf1ff
	s_delay_alu instid0(VALU_DEP_1) | instskip(SKIP_2) | instid1(VALU_DEP_1)
	v_cndmask_b32_e64 v15, 0x7f800000, v15, s0
	v_cmp_gt_f32_e64 s0, 0x33800000, |v8|
	s_wait_alu 0xf1ff
	v_cndmask_b32_e64 v8, v15, v8, s0
	s_delay_alu instid0(VALU_DEP_1) | instskip(NEXT) | instid1(VALU_DEP_1)
	v_add_f32_e32 v6, v6, v8
	v_cvt_f16_f32_e32 v8, v6
.LBB411_124:
	s_wait_alu 0xfffe
	s_or_b32 exec_lo, exec_lo, s1
	v_add_nc_u32_e32 v6, v7, v17
	v_perm_b32 v3, v13, v3, 0x5040100
	v_perm_b32 v2, v12, v2, 0x5040100
	;; [unrolled: 1-line block ×6, first 2 shown]
	s_wait_loadcnt 0x0
	s_barrier_signal -1
	s_barrier_wait -1
	global_inv scope:SCOPE_SE
	ds_store_2addr_b64 v6, v[9:10], v[2:3] offset1:1
	ds_store_b64 v6, v[4:5] offset:16
	s_wait_loadcnt_dscnt 0x0
	s_barrier_signal -1
	s_barrier_wait -1
	global_inv scope:SCOPE_SE
	ds_load_u16 v13, v7 offset:512
	ds_load_u16 v12, v7 offset:1024
	;; [unrolled: 1-line block ×11, first 2 shown]
	v_lshlrev_b32_e32 v0, 1, v0
	s_wait_kmcnt 0x0
	s_delay_alu instid0(VALU_DEP_1)
	v_add_co_u32 v0, s0, s26, v0
	s_wait_alu 0xf1ff
	v_add_co_ci_u32_e64 v1, null, s27, 0, s0
	s_and_saveexec_b32 s0, vcc_lo
	s_cbranch_execnz .LBB411_137
; %bb.125:
	s_wait_alu 0xfffe
	s_or_b32 exec_lo, exec_lo, s0
	s_and_saveexec_b32 s0, s2
	s_cbranch_execnz .LBB411_138
.LBB411_126:
	s_wait_alu 0xfffe
	s_or_b32 exec_lo, exec_lo, s0
	s_and_saveexec_b32 s0, s3
	s_cbranch_execnz .LBB411_139
.LBB411_127:
	s_wait_alu 0xfffe
	s_or_b32 exec_lo, exec_lo, s0
	s_and_saveexec_b32 s0, s4
	s_cbranch_execnz .LBB411_140
.LBB411_128:
	s_wait_alu 0xfffe
	s_or_b32 exec_lo, exec_lo, s0
	s_and_saveexec_b32 s0, s5
	s_cbranch_execnz .LBB411_141
.LBB411_129:
	s_wait_alu 0xfffe
	s_or_b32 exec_lo, exec_lo, s0
	s_and_saveexec_b32 s0, s6
	s_cbranch_execnz .LBB411_142
.LBB411_130:
	s_wait_alu 0xfffe
	s_or_b32 exec_lo, exec_lo, s0
	s_and_saveexec_b32 s0, s7
	s_cbranch_execnz .LBB411_143
.LBB411_131:
	s_wait_alu 0xfffe
	s_or_b32 exec_lo, exec_lo, s0
	s_and_saveexec_b32 s0, s8
	s_cbranch_execnz .LBB411_144
.LBB411_132:
	s_wait_alu 0xfffe
	s_or_b32 exec_lo, exec_lo, s0
	s_and_saveexec_b32 s0, s9
	s_cbranch_execnz .LBB411_145
.LBB411_133:
	s_wait_alu 0xfffe
	s_or_b32 exec_lo, exec_lo, s0
	s_and_saveexec_b32 s0, s10
	s_cbranch_execnz .LBB411_146
.LBB411_134:
	s_wait_alu 0xfffe
	s_or_b32 exec_lo, exec_lo, s0
	s_and_saveexec_b32 s0, s11
	s_cbranch_execnz .LBB411_147
.LBB411_135:
	s_wait_alu 0xfffe
	s_or_b32 exec_lo, exec_lo, s0
	s_and_saveexec_b32 s0, s12
	s_cbranch_execnz .LBB411_148
.LBB411_136:
	s_endpgm
.LBB411_137:
	ds_load_u16 v7, v7
	s_wait_dscnt 0x0
	global_store_b16 v[0:1], v7, off
	s_wait_alu 0xfffe
	s_or_b32 exec_lo, exec_lo, s0
	s_and_saveexec_b32 s0, s2
	s_cbranch_execz .LBB411_126
.LBB411_138:
	s_wait_dscnt 0xa
	global_store_b16 v[0:1], v13, off offset:512
	s_wait_alu 0xfffe
	s_or_b32 exec_lo, exec_lo, s0
	s_and_saveexec_b32 s0, s3
	s_cbranch_execz .LBB411_127
.LBB411_139:
	s_wait_dscnt 0x9
	global_store_b16 v[0:1], v12, off offset:1024
	s_wait_alu 0xfffe
	s_or_b32 exec_lo, exec_lo, s0
	s_and_saveexec_b32 s0, s4
	s_cbranch_execz .LBB411_128
.LBB411_140:
	s_wait_dscnt 0x8
	global_store_b16 v[0:1], v11, off offset:1536
	s_wait_alu 0xfffe
	s_or_b32 exec_lo, exec_lo, s0
	s_and_saveexec_b32 s0, s5
	s_cbranch_execz .LBB411_129
.LBB411_141:
	s_wait_dscnt 0x7
	global_store_b16 v[0:1], v10, off offset:2048
	s_wait_alu 0xfffe
	s_or_b32 exec_lo, exec_lo, s0
	s_and_saveexec_b32 s0, s6
	s_cbranch_execz .LBB411_130
.LBB411_142:
	s_wait_dscnt 0x6
	global_store_b16 v[0:1], v9, off offset:2560
	s_wait_alu 0xfffe
	s_or_b32 exec_lo, exec_lo, s0
	s_and_saveexec_b32 s0, s7
	s_cbranch_execz .LBB411_131
.LBB411_143:
	s_wait_dscnt 0x5
	global_store_b16 v[0:1], v8, off offset:3072
	s_wait_alu 0xfffe
	s_or_b32 exec_lo, exec_lo, s0
	s_and_saveexec_b32 s0, s8
	s_cbranch_execz .LBB411_132
.LBB411_144:
	s_wait_dscnt 0x4
	global_store_b16 v[0:1], v6, off offset:3584
	s_wait_alu 0xfffe
	s_or_b32 exec_lo, exec_lo, s0
	s_and_saveexec_b32 s0, s9
	s_cbranch_execz .LBB411_133
.LBB411_145:
	s_wait_dscnt 0x3
	global_store_b16 v[0:1], v5, off offset:4096
	s_wait_alu 0xfffe
	s_or_b32 exec_lo, exec_lo, s0
	s_and_saveexec_b32 s0, s10
	s_cbranch_execz .LBB411_134
.LBB411_146:
	s_wait_dscnt 0x2
	global_store_b16 v[0:1], v4, off offset:4608
	s_wait_alu 0xfffe
	s_or_b32 exec_lo, exec_lo, s0
	s_and_saveexec_b32 s0, s11
	s_cbranch_execz .LBB411_135
.LBB411_147:
	s_wait_dscnt 0x1
	global_store_b16 v[0:1], v3, off offset:5120
	s_wait_alu 0xfffe
	s_or_b32 exec_lo, exec_lo, s0
	s_and_saveexec_b32 s0, s12
	s_cbranch_execz .LBB411_136
.LBB411_148:
	s_wait_dscnt 0x0
	global_store_b16 v[0:1], v2, off offset:5632
	s_endpgm
	.section	.rodata,"a",@progbits
	.p2align	6, 0x0
	.amdhsa_kernel _ZN7rocprim17ROCPRIM_400000_NS6detail17trampoline_kernelINS0_14default_configENS1_20scan_config_selectorIN3c104HalfEEEZZNS1_9scan_implILNS1_25lookback_scan_determinismE0ELb0ELb0ES3_PKS6_PS6_S6_ZZZN2at6native31launch_logcumsumexp_cuda_kernelERKNSD_10TensorBaseESH_lENKUlvE_clEvENKUlvE3_clEvEUlS6_S6_E_S6_EEDaPvRmT3_T4_T5_mT6_P12ihipStream_tbENKUlT_T0_E_clISt17integral_constantIbLb1EESX_IbLb0EEEEDaST_SU_EUlST_E0_NS1_11comp_targetILNS1_3genE10ELNS1_11target_archE1201ELNS1_3gpuE5ELNS1_3repE0EEENS1_30default_config_static_selectorELNS0_4arch9wavefront6targetE0EEEvT1_
		.amdhsa_group_segment_fixed_size 6144
		.amdhsa_private_segment_fixed_size 0
		.amdhsa_kernarg_size 32
		.amdhsa_user_sgpr_count 2
		.amdhsa_user_sgpr_dispatch_ptr 0
		.amdhsa_user_sgpr_queue_ptr 0
		.amdhsa_user_sgpr_kernarg_segment_ptr 1
		.amdhsa_user_sgpr_dispatch_id 0
		.amdhsa_user_sgpr_private_segment_size 0
		.amdhsa_wavefront_size32 1
		.amdhsa_uses_dynamic_stack 0
		.amdhsa_enable_private_segment 0
		.amdhsa_system_sgpr_workgroup_id_x 1
		.amdhsa_system_sgpr_workgroup_id_y 0
		.amdhsa_system_sgpr_workgroup_id_z 0
		.amdhsa_system_sgpr_workgroup_info 0
		.amdhsa_system_vgpr_workitem_id 0
		.amdhsa_next_free_vgpr 36
		.amdhsa_next_free_sgpr 30
		.amdhsa_reserve_vcc 1
		.amdhsa_float_round_mode_32 0
		.amdhsa_float_round_mode_16_64 0
		.amdhsa_float_denorm_mode_32 3
		.amdhsa_float_denorm_mode_16_64 3
		.amdhsa_fp16_overflow 0
		.amdhsa_workgroup_processor_mode 1
		.amdhsa_memory_ordered 1
		.amdhsa_forward_progress 1
		.amdhsa_inst_pref_size 255
		.amdhsa_round_robin_scheduling 0
		.amdhsa_exception_fp_ieee_invalid_op 0
		.amdhsa_exception_fp_denorm_src 0
		.amdhsa_exception_fp_ieee_div_zero 0
		.amdhsa_exception_fp_ieee_overflow 0
		.amdhsa_exception_fp_ieee_underflow 0
		.amdhsa_exception_fp_ieee_inexact 0
		.amdhsa_exception_int_div_zero 0
	.end_amdhsa_kernel
	.section	.text._ZN7rocprim17ROCPRIM_400000_NS6detail17trampoline_kernelINS0_14default_configENS1_20scan_config_selectorIN3c104HalfEEEZZNS1_9scan_implILNS1_25lookback_scan_determinismE0ELb0ELb0ES3_PKS6_PS6_S6_ZZZN2at6native31launch_logcumsumexp_cuda_kernelERKNSD_10TensorBaseESH_lENKUlvE_clEvENKUlvE3_clEvEUlS6_S6_E_S6_EEDaPvRmT3_T4_T5_mT6_P12ihipStream_tbENKUlT_T0_E_clISt17integral_constantIbLb1EESX_IbLb0EEEEDaST_SU_EUlST_E0_NS1_11comp_targetILNS1_3genE10ELNS1_11target_archE1201ELNS1_3gpuE5ELNS1_3repE0EEENS1_30default_config_static_selectorELNS0_4arch9wavefront6targetE0EEEvT1_,"axG",@progbits,_ZN7rocprim17ROCPRIM_400000_NS6detail17trampoline_kernelINS0_14default_configENS1_20scan_config_selectorIN3c104HalfEEEZZNS1_9scan_implILNS1_25lookback_scan_determinismE0ELb0ELb0ES3_PKS6_PS6_S6_ZZZN2at6native31launch_logcumsumexp_cuda_kernelERKNSD_10TensorBaseESH_lENKUlvE_clEvENKUlvE3_clEvEUlS6_S6_E_S6_EEDaPvRmT3_T4_T5_mT6_P12ihipStream_tbENKUlT_T0_E_clISt17integral_constantIbLb1EESX_IbLb0EEEEDaST_SU_EUlST_E0_NS1_11comp_targetILNS1_3genE10ELNS1_11target_archE1201ELNS1_3gpuE5ELNS1_3repE0EEENS1_30default_config_static_selectorELNS0_4arch9wavefront6targetE0EEEvT1_,comdat
.Lfunc_end411:
	.size	_ZN7rocprim17ROCPRIM_400000_NS6detail17trampoline_kernelINS0_14default_configENS1_20scan_config_selectorIN3c104HalfEEEZZNS1_9scan_implILNS1_25lookback_scan_determinismE0ELb0ELb0ES3_PKS6_PS6_S6_ZZZN2at6native31launch_logcumsumexp_cuda_kernelERKNSD_10TensorBaseESH_lENKUlvE_clEvENKUlvE3_clEvEUlS6_S6_E_S6_EEDaPvRmT3_T4_T5_mT6_P12ihipStream_tbENKUlT_T0_E_clISt17integral_constantIbLb1EESX_IbLb0EEEEDaST_SU_EUlST_E0_NS1_11comp_targetILNS1_3genE10ELNS1_11target_archE1201ELNS1_3gpuE5ELNS1_3repE0EEENS1_30default_config_static_selectorELNS0_4arch9wavefront6targetE0EEEvT1_, .Lfunc_end411-_ZN7rocprim17ROCPRIM_400000_NS6detail17trampoline_kernelINS0_14default_configENS1_20scan_config_selectorIN3c104HalfEEEZZNS1_9scan_implILNS1_25lookback_scan_determinismE0ELb0ELb0ES3_PKS6_PS6_S6_ZZZN2at6native31launch_logcumsumexp_cuda_kernelERKNSD_10TensorBaseESH_lENKUlvE_clEvENKUlvE3_clEvEUlS6_S6_E_S6_EEDaPvRmT3_T4_T5_mT6_P12ihipStream_tbENKUlT_T0_E_clISt17integral_constantIbLb1EESX_IbLb0EEEEDaST_SU_EUlST_E0_NS1_11comp_targetILNS1_3genE10ELNS1_11target_archE1201ELNS1_3gpuE5ELNS1_3repE0EEENS1_30default_config_static_selectorELNS0_4arch9wavefront6targetE0EEEvT1_
                                        ; -- End function
	.set _ZN7rocprim17ROCPRIM_400000_NS6detail17trampoline_kernelINS0_14default_configENS1_20scan_config_selectorIN3c104HalfEEEZZNS1_9scan_implILNS1_25lookback_scan_determinismE0ELb0ELb0ES3_PKS6_PS6_S6_ZZZN2at6native31launch_logcumsumexp_cuda_kernelERKNSD_10TensorBaseESH_lENKUlvE_clEvENKUlvE3_clEvEUlS6_S6_E_S6_EEDaPvRmT3_T4_T5_mT6_P12ihipStream_tbENKUlT_T0_E_clISt17integral_constantIbLb1EESX_IbLb0EEEEDaST_SU_EUlST_E0_NS1_11comp_targetILNS1_3genE10ELNS1_11target_archE1201ELNS1_3gpuE5ELNS1_3repE0EEENS1_30default_config_static_selectorELNS0_4arch9wavefront6targetE0EEEvT1_.num_vgpr, 36
	.set _ZN7rocprim17ROCPRIM_400000_NS6detail17trampoline_kernelINS0_14default_configENS1_20scan_config_selectorIN3c104HalfEEEZZNS1_9scan_implILNS1_25lookback_scan_determinismE0ELb0ELb0ES3_PKS6_PS6_S6_ZZZN2at6native31launch_logcumsumexp_cuda_kernelERKNSD_10TensorBaseESH_lENKUlvE_clEvENKUlvE3_clEvEUlS6_S6_E_S6_EEDaPvRmT3_T4_T5_mT6_P12ihipStream_tbENKUlT_T0_E_clISt17integral_constantIbLb1EESX_IbLb0EEEEDaST_SU_EUlST_E0_NS1_11comp_targetILNS1_3genE10ELNS1_11target_archE1201ELNS1_3gpuE5ELNS1_3repE0EEENS1_30default_config_static_selectorELNS0_4arch9wavefront6targetE0EEEvT1_.num_agpr, 0
	.set _ZN7rocprim17ROCPRIM_400000_NS6detail17trampoline_kernelINS0_14default_configENS1_20scan_config_selectorIN3c104HalfEEEZZNS1_9scan_implILNS1_25lookback_scan_determinismE0ELb0ELb0ES3_PKS6_PS6_S6_ZZZN2at6native31launch_logcumsumexp_cuda_kernelERKNSD_10TensorBaseESH_lENKUlvE_clEvENKUlvE3_clEvEUlS6_S6_E_S6_EEDaPvRmT3_T4_T5_mT6_P12ihipStream_tbENKUlT_T0_E_clISt17integral_constantIbLb1EESX_IbLb0EEEEDaST_SU_EUlST_E0_NS1_11comp_targetILNS1_3genE10ELNS1_11target_archE1201ELNS1_3gpuE5ELNS1_3repE0EEENS1_30default_config_static_selectorELNS0_4arch9wavefront6targetE0EEEvT1_.numbered_sgpr, 30
	.set _ZN7rocprim17ROCPRIM_400000_NS6detail17trampoline_kernelINS0_14default_configENS1_20scan_config_selectorIN3c104HalfEEEZZNS1_9scan_implILNS1_25lookback_scan_determinismE0ELb0ELb0ES3_PKS6_PS6_S6_ZZZN2at6native31launch_logcumsumexp_cuda_kernelERKNSD_10TensorBaseESH_lENKUlvE_clEvENKUlvE3_clEvEUlS6_S6_E_S6_EEDaPvRmT3_T4_T5_mT6_P12ihipStream_tbENKUlT_T0_E_clISt17integral_constantIbLb1EESX_IbLb0EEEEDaST_SU_EUlST_E0_NS1_11comp_targetILNS1_3genE10ELNS1_11target_archE1201ELNS1_3gpuE5ELNS1_3repE0EEENS1_30default_config_static_selectorELNS0_4arch9wavefront6targetE0EEEvT1_.num_named_barrier, 0
	.set _ZN7rocprim17ROCPRIM_400000_NS6detail17trampoline_kernelINS0_14default_configENS1_20scan_config_selectorIN3c104HalfEEEZZNS1_9scan_implILNS1_25lookback_scan_determinismE0ELb0ELb0ES3_PKS6_PS6_S6_ZZZN2at6native31launch_logcumsumexp_cuda_kernelERKNSD_10TensorBaseESH_lENKUlvE_clEvENKUlvE3_clEvEUlS6_S6_E_S6_EEDaPvRmT3_T4_T5_mT6_P12ihipStream_tbENKUlT_T0_E_clISt17integral_constantIbLb1EESX_IbLb0EEEEDaST_SU_EUlST_E0_NS1_11comp_targetILNS1_3genE10ELNS1_11target_archE1201ELNS1_3gpuE5ELNS1_3repE0EEENS1_30default_config_static_selectorELNS0_4arch9wavefront6targetE0EEEvT1_.private_seg_size, 0
	.set _ZN7rocprim17ROCPRIM_400000_NS6detail17trampoline_kernelINS0_14default_configENS1_20scan_config_selectorIN3c104HalfEEEZZNS1_9scan_implILNS1_25lookback_scan_determinismE0ELb0ELb0ES3_PKS6_PS6_S6_ZZZN2at6native31launch_logcumsumexp_cuda_kernelERKNSD_10TensorBaseESH_lENKUlvE_clEvENKUlvE3_clEvEUlS6_S6_E_S6_EEDaPvRmT3_T4_T5_mT6_P12ihipStream_tbENKUlT_T0_E_clISt17integral_constantIbLb1EESX_IbLb0EEEEDaST_SU_EUlST_E0_NS1_11comp_targetILNS1_3genE10ELNS1_11target_archE1201ELNS1_3gpuE5ELNS1_3repE0EEENS1_30default_config_static_selectorELNS0_4arch9wavefront6targetE0EEEvT1_.uses_vcc, 1
	.set _ZN7rocprim17ROCPRIM_400000_NS6detail17trampoline_kernelINS0_14default_configENS1_20scan_config_selectorIN3c104HalfEEEZZNS1_9scan_implILNS1_25lookback_scan_determinismE0ELb0ELb0ES3_PKS6_PS6_S6_ZZZN2at6native31launch_logcumsumexp_cuda_kernelERKNSD_10TensorBaseESH_lENKUlvE_clEvENKUlvE3_clEvEUlS6_S6_E_S6_EEDaPvRmT3_T4_T5_mT6_P12ihipStream_tbENKUlT_T0_E_clISt17integral_constantIbLb1EESX_IbLb0EEEEDaST_SU_EUlST_E0_NS1_11comp_targetILNS1_3genE10ELNS1_11target_archE1201ELNS1_3gpuE5ELNS1_3repE0EEENS1_30default_config_static_selectorELNS0_4arch9wavefront6targetE0EEEvT1_.uses_flat_scratch, 0
	.set _ZN7rocprim17ROCPRIM_400000_NS6detail17trampoline_kernelINS0_14default_configENS1_20scan_config_selectorIN3c104HalfEEEZZNS1_9scan_implILNS1_25lookback_scan_determinismE0ELb0ELb0ES3_PKS6_PS6_S6_ZZZN2at6native31launch_logcumsumexp_cuda_kernelERKNSD_10TensorBaseESH_lENKUlvE_clEvENKUlvE3_clEvEUlS6_S6_E_S6_EEDaPvRmT3_T4_T5_mT6_P12ihipStream_tbENKUlT_T0_E_clISt17integral_constantIbLb1EESX_IbLb0EEEEDaST_SU_EUlST_E0_NS1_11comp_targetILNS1_3genE10ELNS1_11target_archE1201ELNS1_3gpuE5ELNS1_3repE0EEENS1_30default_config_static_selectorELNS0_4arch9wavefront6targetE0EEEvT1_.has_dyn_sized_stack, 0
	.set _ZN7rocprim17ROCPRIM_400000_NS6detail17trampoline_kernelINS0_14default_configENS1_20scan_config_selectorIN3c104HalfEEEZZNS1_9scan_implILNS1_25lookback_scan_determinismE0ELb0ELb0ES3_PKS6_PS6_S6_ZZZN2at6native31launch_logcumsumexp_cuda_kernelERKNSD_10TensorBaseESH_lENKUlvE_clEvENKUlvE3_clEvEUlS6_S6_E_S6_EEDaPvRmT3_T4_T5_mT6_P12ihipStream_tbENKUlT_T0_E_clISt17integral_constantIbLb1EESX_IbLb0EEEEDaST_SU_EUlST_E0_NS1_11comp_targetILNS1_3genE10ELNS1_11target_archE1201ELNS1_3gpuE5ELNS1_3repE0EEENS1_30default_config_static_selectorELNS0_4arch9wavefront6targetE0EEEvT1_.has_recursion, 0
	.set _ZN7rocprim17ROCPRIM_400000_NS6detail17trampoline_kernelINS0_14default_configENS1_20scan_config_selectorIN3c104HalfEEEZZNS1_9scan_implILNS1_25lookback_scan_determinismE0ELb0ELb0ES3_PKS6_PS6_S6_ZZZN2at6native31launch_logcumsumexp_cuda_kernelERKNSD_10TensorBaseESH_lENKUlvE_clEvENKUlvE3_clEvEUlS6_S6_E_S6_EEDaPvRmT3_T4_T5_mT6_P12ihipStream_tbENKUlT_T0_E_clISt17integral_constantIbLb1EESX_IbLb0EEEEDaST_SU_EUlST_E0_NS1_11comp_targetILNS1_3genE10ELNS1_11target_archE1201ELNS1_3gpuE5ELNS1_3repE0EEENS1_30default_config_static_selectorELNS0_4arch9wavefront6targetE0EEEvT1_.has_indirect_call, 0
	.section	.AMDGPU.csdata,"",@progbits
; Kernel info:
; codeLenInByte = 44520
; TotalNumSgprs: 32
; NumVgprs: 36
; ScratchSize: 0
; MemoryBound: 0
; FloatMode: 240
; IeeeMode: 1
; LDSByteSize: 6144 bytes/workgroup (compile time only)
; SGPRBlocks: 0
; VGPRBlocks: 4
; NumSGPRsForWavesPerEU: 32
; NumVGPRsForWavesPerEU: 36
; Occupancy: 16
; WaveLimiterHint : 0
; COMPUTE_PGM_RSRC2:SCRATCH_EN: 0
; COMPUTE_PGM_RSRC2:USER_SGPR: 2
; COMPUTE_PGM_RSRC2:TRAP_HANDLER: 0
; COMPUTE_PGM_RSRC2:TGID_X_EN: 1
; COMPUTE_PGM_RSRC2:TGID_Y_EN: 0
; COMPUTE_PGM_RSRC2:TGID_Z_EN: 0
; COMPUTE_PGM_RSRC2:TIDIG_COMP_CNT: 0
	.section	.text._ZN7rocprim17ROCPRIM_400000_NS6detail17trampoline_kernelINS0_14default_configENS1_20scan_config_selectorIN3c104HalfEEEZZNS1_9scan_implILNS1_25lookback_scan_determinismE0ELb0ELb0ES3_PKS6_PS6_S6_ZZZN2at6native31launch_logcumsumexp_cuda_kernelERKNSD_10TensorBaseESH_lENKUlvE_clEvENKUlvE3_clEvEUlS6_S6_E_S6_EEDaPvRmT3_T4_T5_mT6_P12ihipStream_tbENKUlT_T0_E_clISt17integral_constantIbLb1EESX_IbLb0EEEEDaST_SU_EUlST_E0_NS1_11comp_targetILNS1_3genE10ELNS1_11target_archE1200ELNS1_3gpuE4ELNS1_3repE0EEENS1_30default_config_static_selectorELNS0_4arch9wavefront6targetE0EEEvT1_,"axG",@progbits,_ZN7rocprim17ROCPRIM_400000_NS6detail17trampoline_kernelINS0_14default_configENS1_20scan_config_selectorIN3c104HalfEEEZZNS1_9scan_implILNS1_25lookback_scan_determinismE0ELb0ELb0ES3_PKS6_PS6_S6_ZZZN2at6native31launch_logcumsumexp_cuda_kernelERKNSD_10TensorBaseESH_lENKUlvE_clEvENKUlvE3_clEvEUlS6_S6_E_S6_EEDaPvRmT3_T4_T5_mT6_P12ihipStream_tbENKUlT_T0_E_clISt17integral_constantIbLb1EESX_IbLb0EEEEDaST_SU_EUlST_E0_NS1_11comp_targetILNS1_3genE10ELNS1_11target_archE1200ELNS1_3gpuE4ELNS1_3repE0EEENS1_30default_config_static_selectorELNS0_4arch9wavefront6targetE0EEEvT1_,comdat
	.globl	_ZN7rocprim17ROCPRIM_400000_NS6detail17trampoline_kernelINS0_14default_configENS1_20scan_config_selectorIN3c104HalfEEEZZNS1_9scan_implILNS1_25lookback_scan_determinismE0ELb0ELb0ES3_PKS6_PS6_S6_ZZZN2at6native31launch_logcumsumexp_cuda_kernelERKNSD_10TensorBaseESH_lENKUlvE_clEvENKUlvE3_clEvEUlS6_S6_E_S6_EEDaPvRmT3_T4_T5_mT6_P12ihipStream_tbENKUlT_T0_E_clISt17integral_constantIbLb1EESX_IbLb0EEEEDaST_SU_EUlST_E0_NS1_11comp_targetILNS1_3genE10ELNS1_11target_archE1200ELNS1_3gpuE4ELNS1_3repE0EEENS1_30default_config_static_selectorELNS0_4arch9wavefront6targetE0EEEvT1_ ; -- Begin function _ZN7rocprim17ROCPRIM_400000_NS6detail17trampoline_kernelINS0_14default_configENS1_20scan_config_selectorIN3c104HalfEEEZZNS1_9scan_implILNS1_25lookback_scan_determinismE0ELb0ELb0ES3_PKS6_PS6_S6_ZZZN2at6native31launch_logcumsumexp_cuda_kernelERKNSD_10TensorBaseESH_lENKUlvE_clEvENKUlvE3_clEvEUlS6_S6_E_S6_EEDaPvRmT3_T4_T5_mT6_P12ihipStream_tbENKUlT_T0_E_clISt17integral_constantIbLb1EESX_IbLb0EEEEDaST_SU_EUlST_E0_NS1_11comp_targetILNS1_3genE10ELNS1_11target_archE1200ELNS1_3gpuE4ELNS1_3repE0EEENS1_30default_config_static_selectorELNS0_4arch9wavefront6targetE0EEEvT1_
	.p2align	8
	.type	_ZN7rocprim17ROCPRIM_400000_NS6detail17trampoline_kernelINS0_14default_configENS1_20scan_config_selectorIN3c104HalfEEEZZNS1_9scan_implILNS1_25lookback_scan_determinismE0ELb0ELb0ES3_PKS6_PS6_S6_ZZZN2at6native31launch_logcumsumexp_cuda_kernelERKNSD_10TensorBaseESH_lENKUlvE_clEvENKUlvE3_clEvEUlS6_S6_E_S6_EEDaPvRmT3_T4_T5_mT6_P12ihipStream_tbENKUlT_T0_E_clISt17integral_constantIbLb1EESX_IbLb0EEEEDaST_SU_EUlST_E0_NS1_11comp_targetILNS1_3genE10ELNS1_11target_archE1200ELNS1_3gpuE4ELNS1_3repE0EEENS1_30default_config_static_selectorELNS0_4arch9wavefront6targetE0EEEvT1_,@function
_ZN7rocprim17ROCPRIM_400000_NS6detail17trampoline_kernelINS0_14default_configENS1_20scan_config_selectorIN3c104HalfEEEZZNS1_9scan_implILNS1_25lookback_scan_determinismE0ELb0ELb0ES3_PKS6_PS6_S6_ZZZN2at6native31launch_logcumsumexp_cuda_kernelERKNSD_10TensorBaseESH_lENKUlvE_clEvENKUlvE3_clEvEUlS6_S6_E_S6_EEDaPvRmT3_T4_T5_mT6_P12ihipStream_tbENKUlT_T0_E_clISt17integral_constantIbLb1EESX_IbLb0EEEEDaST_SU_EUlST_E0_NS1_11comp_targetILNS1_3genE10ELNS1_11target_archE1200ELNS1_3gpuE4ELNS1_3repE0EEENS1_30default_config_static_selectorELNS0_4arch9wavefront6targetE0EEEvT1_: ; @_ZN7rocprim17ROCPRIM_400000_NS6detail17trampoline_kernelINS0_14default_configENS1_20scan_config_selectorIN3c104HalfEEEZZNS1_9scan_implILNS1_25lookback_scan_determinismE0ELb0ELb0ES3_PKS6_PS6_S6_ZZZN2at6native31launch_logcumsumexp_cuda_kernelERKNSD_10TensorBaseESH_lENKUlvE_clEvENKUlvE3_clEvEUlS6_S6_E_S6_EEDaPvRmT3_T4_T5_mT6_P12ihipStream_tbENKUlT_T0_E_clISt17integral_constantIbLb1EESX_IbLb0EEEEDaST_SU_EUlST_E0_NS1_11comp_targetILNS1_3genE10ELNS1_11target_archE1200ELNS1_3gpuE4ELNS1_3repE0EEENS1_30default_config_static_selectorELNS0_4arch9wavefront6targetE0EEEvT1_
; %bb.0:
	.section	.rodata,"a",@progbits
	.p2align	6, 0x0
	.amdhsa_kernel _ZN7rocprim17ROCPRIM_400000_NS6detail17trampoline_kernelINS0_14default_configENS1_20scan_config_selectorIN3c104HalfEEEZZNS1_9scan_implILNS1_25lookback_scan_determinismE0ELb0ELb0ES3_PKS6_PS6_S6_ZZZN2at6native31launch_logcumsumexp_cuda_kernelERKNSD_10TensorBaseESH_lENKUlvE_clEvENKUlvE3_clEvEUlS6_S6_E_S6_EEDaPvRmT3_T4_T5_mT6_P12ihipStream_tbENKUlT_T0_E_clISt17integral_constantIbLb1EESX_IbLb0EEEEDaST_SU_EUlST_E0_NS1_11comp_targetILNS1_3genE10ELNS1_11target_archE1200ELNS1_3gpuE4ELNS1_3repE0EEENS1_30default_config_static_selectorELNS0_4arch9wavefront6targetE0EEEvT1_
		.amdhsa_group_segment_fixed_size 0
		.amdhsa_private_segment_fixed_size 0
		.amdhsa_kernarg_size 32
		.amdhsa_user_sgpr_count 2
		.amdhsa_user_sgpr_dispatch_ptr 0
		.amdhsa_user_sgpr_queue_ptr 0
		.amdhsa_user_sgpr_kernarg_segment_ptr 1
		.amdhsa_user_sgpr_dispatch_id 0
		.amdhsa_user_sgpr_private_segment_size 0
		.amdhsa_wavefront_size32 1
		.amdhsa_uses_dynamic_stack 0
		.amdhsa_enable_private_segment 0
		.amdhsa_system_sgpr_workgroup_id_x 1
		.amdhsa_system_sgpr_workgroup_id_y 0
		.amdhsa_system_sgpr_workgroup_id_z 0
		.amdhsa_system_sgpr_workgroup_info 0
		.amdhsa_system_vgpr_workitem_id 0
		.amdhsa_next_free_vgpr 1
		.amdhsa_next_free_sgpr 1
		.amdhsa_reserve_vcc 0
		.amdhsa_float_round_mode_32 0
		.amdhsa_float_round_mode_16_64 0
		.amdhsa_float_denorm_mode_32 3
		.amdhsa_float_denorm_mode_16_64 3
		.amdhsa_fp16_overflow 0
		.amdhsa_workgroup_processor_mode 1
		.amdhsa_memory_ordered 1
		.amdhsa_forward_progress 1
		.amdhsa_inst_pref_size 0
		.amdhsa_round_robin_scheduling 0
		.amdhsa_exception_fp_ieee_invalid_op 0
		.amdhsa_exception_fp_denorm_src 0
		.amdhsa_exception_fp_ieee_div_zero 0
		.amdhsa_exception_fp_ieee_overflow 0
		.amdhsa_exception_fp_ieee_underflow 0
		.amdhsa_exception_fp_ieee_inexact 0
		.amdhsa_exception_int_div_zero 0
	.end_amdhsa_kernel
	.section	.text._ZN7rocprim17ROCPRIM_400000_NS6detail17trampoline_kernelINS0_14default_configENS1_20scan_config_selectorIN3c104HalfEEEZZNS1_9scan_implILNS1_25lookback_scan_determinismE0ELb0ELb0ES3_PKS6_PS6_S6_ZZZN2at6native31launch_logcumsumexp_cuda_kernelERKNSD_10TensorBaseESH_lENKUlvE_clEvENKUlvE3_clEvEUlS6_S6_E_S6_EEDaPvRmT3_T4_T5_mT6_P12ihipStream_tbENKUlT_T0_E_clISt17integral_constantIbLb1EESX_IbLb0EEEEDaST_SU_EUlST_E0_NS1_11comp_targetILNS1_3genE10ELNS1_11target_archE1200ELNS1_3gpuE4ELNS1_3repE0EEENS1_30default_config_static_selectorELNS0_4arch9wavefront6targetE0EEEvT1_,"axG",@progbits,_ZN7rocprim17ROCPRIM_400000_NS6detail17trampoline_kernelINS0_14default_configENS1_20scan_config_selectorIN3c104HalfEEEZZNS1_9scan_implILNS1_25lookback_scan_determinismE0ELb0ELb0ES3_PKS6_PS6_S6_ZZZN2at6native31launch_logcumsumexp_cuda_kernelERKNSD_10TensorBaseESH_lENKUlvE_clEvENKUlvE3_clEvEUlS6_S6_E_S6_EEDaPvRmT3_T4_T5_mT6_P12ihipStream_tbENKUlT_T0_E_clISt17integral_constantIbLb1EESX_IbLb0EEEEDaST_SU_EUlST_E0_NS1_11comp_targetILNS1_3genE10ELNS1_11target_archE1200ELNS1_3gpuE4ELNS1_3repE0EEENS1_30default_config_static_selectorELNS0_4arch9wavefront6targetE0EEEvT1_,comdat
.Lfunc_end412:
	.size	_ZN7rocprim17ROCPRIM_400000_NS6detail17trampoline_kernelINS0_14default_configENS1_20scan_config_selectorIN3c104HalfEEEZZNS1_9scan_implILNS1_25lookback_scan_determinismE0ELb0ELb0ES3_PKS6_PS6_S6_ZZZN2at6native31launch_logcumsumexp_cuda_kernelERKNSD_10TensorBaseESH_lENKUlvE_clEvENKUlvE3_clEvEUlS6_S6_E_S6_EEDaPvRmT3_T4_T5_mT6_P12ihipStream_tbENKUlT_T0_E_clISt17integral_constantIbLb1EESX_IbLb0EEEEDaST_SU_EUlST_E0_NS1_11comp_targetILNS1_3genE10ELNS1_11target_archE1200ELNS1_3gpuE4ELNS1_3repE0EEENS1_30default_config_static_selectorELNS0_4arch9wavefront6targetE0EEEvT1_, .Lfunc_end412-_ZN7rocprim17ROCPRIM_400000_NS6detail17trampoline_kernelINS0_14default_configENS1_20scan_config_selectorIN3c104HalfEEEZZNS1_9scan_implILNS1_25lookback_scan_determinismE0ELb0ELb0ES3_PKS6_PS6_S6_ZZZN2at6native31launch_logcumsumexp_cuda_kernelERKNSD_10TensorBaseESH_lENKUlvE_clEvENKUlvE3_clEvEUlS6_S6_E_S6_EEDaPvRmT3_T4_T5_mT6_P12ihipStream_tbENKUlT_T0_E_clISt17integral_constantIbLb1EESX_IbLb0EEEEDaST_SU_EUlST_E0_NS1_11comp_targetILNS1_3genE10ELNS1_11target_archE1200ELNS1_3gpuE4ELNS1_3repE0EEENS1_30default_config_static_selectorELNS0_4arch9wavefront6targetE0EEEvT1_
                                        ; -- End function
	.set _ZN7rocprim17ROCPRIM_400000_NS6detail17trampoline_kernelINS0_14default_configENS1_20scan_config_selectorIN3c104HalfEEEZZNS1_9scan_implILNS1_25lookback_scan_determinismE0ELb0ELb0ES3_PKS6_PS6_S6_ZZZN2at6native31launch_logcumsumexp_cuda_kernelERKNSD_10TensorBaseESH_lENKUlvE_clEvENKUlvE3_clEvEUlS6_S6_E_S6_EEDaPvRmT3_T4_T5_mT6_P12ihipStream_tbENKUlT_T0_E_clISt17integral_constantIbLb1EESX_IbLb0EEEEDaST_SU_EUlST_E0_NS1_11comp_targetILNS1_3genE10ELNS1_11target_archE1200ELNS1_3gpuE4ELNS1_3repE0EEENS1_30default_config_static_selectorELNS0_4arch9wavefront6targetE0EEEvT1_.num_vgpr, 0
	.set _ZN7rocprim17ROCPRIM_400000_NS6detail17trampoline_kernelINS0_14default_configENS1_20scan_config_selectorIN3c104HalfEEEZZNS1_9scan_implILNS1_25lookback_scan_determinismE0ELb0ELb0ES3_PKS6_PS6_S6_ZZZN2at6native31launch_logcumsumexp_cuda_kernelERKNSD_10TensorBaseESH_lENKUlvE_clEvENKUlvE3_clEvEUlS6_S6_E_S6_EEDaPvRmT3_T4_T5_mT6_P12ihipStream_tbENKUlT_T0_E_clISt17integral_constantIbLb1EESX_IbLb0EEEEDaST_SU_EUlST_E0_NS1_11comp_targetILNS1_3genE10ELNS1_11target_archE1200ELNS1_3gpuE4ELNS1_3repE0EEENS1_30default_config_static_selectorELNS0_4arch9wavefront6targetE0EEEvT1_.num_agpr, 0
	.set _ZN7rocprim17ROCPRIM_400000_NS6detail17trampoline_kernelINS0_14default_configENS1_20scan_config_selectorIN3c104HalfEEEZZNS1_9scan_implILNS1_25lookback_scan_determinismE0ELb0ELb0ES3_PKS6_PS6_S6_ZZZN2at6native31launch_logcumsumexp_cuda_kernelERKNSD_10TensorBaseESH_lENKUlvE_clEvENKUlvE3_clEvEUlS6_S6_E_S6_EEDaPvRmT3_T4_T5_mT6_P12ihipStream_tbENKUlT_T0_E_clISt17integral_constantIbLb1EESX_IbLb0EEEEDaST_SU_EUlST_E0_NS1_11comp_targetILNS1_3genE10ELNS1_11target_archE1200ELNS1_3gpuE4ELNS1_3repE0EEENS1_30default_config_static_selectorELNS0_4arch9wavefront6targetE0EEEvT1_.numbered_sgpr, 0
	.set _ZN7rocprim17ROCPRIM_400000_NS6detail17trampoline_kernelINS0_14default_configENS1_20scan_config_selectorIN3c104HalfEEEZZNS1_9scan_implILNS1_25lookback_scan_determinismE0ELb0ELb0ES3_PKS6_PS6_S6_ZZZN2at6native31launch_logcumsumexp_cuda_kernelERKNSD_10TensorBaseESH_lENKUlvE_clEvENKUlvE3_clEvEUlS6_S6_E_S6_EEDaPvRmT3_T4_T5_mT6_P12ihipStream_tbENKUlT_T0_E_clISt17integral_constantIbLb1EESX_IbLb0EEEEDaST_SU_EUlST_E0_NS1_11comp_targetILNS1_3genE10ELNS1_11target_archE1200ELNS1_3gpuE4ELNS1_3repE0EEENS1_30default_config_static_selectorELNS0_4arch9wavefront6targetE0EEEvT1_.num_named_barrier, 0
	.set _ZN7rocprim17ROCPRIM_400000_NS6detail17trampoline_kernelINS0_14default_configENS1_20scan_config_selectorIN3c104HalfEEEZZNS1_9scan_implILNS1_25lookback_scan_determinismE0ELb0ELb0ES3_PKS6_PS6_S6_ZZZN2at6native31launch_logcumsumexp_cuda_kernelERKNSD_10TensorBaseESH_lENKUlvE_clEvENKUlvE3_clEvEUlS6_S6_E_S6_EEDaPvRmT3_T4_T5_mT6_P12ihipStream_tbENKUlT_T0_E_clISt17integral_constantIbLb1EESX_IbLb0EEEEDaST_SU_EUlST_E0_NS1_11comp_targetILNS1_3genE10ELNS1_11target_archE1200ELNS1_3gpuE4ELNS1_3repE0EEENS1_30default_config_static_selectorELNS0_4arch9wavefront6targetE0EEEvT1_.private_seg_size, 0
	.set _ZN7rocprim17ROCPRIM_400000_NS6detail17trampoline_kernelINS0_14default_configENS1_20scan_config_selectorIN3c104HalfEEEZZNS1_9scan_implILNS1_25lookback_scan_determinismE0ELb0ELb0ES3_PKS6_PS6_S6_ZZZN2at6native31launch_logcumsumexp_cuda_kernelERKNSD_10TensorBaseESH_lENKUlvE_clEvENKUlvE3_clEvEUlS6_S6_E_S6_EEDaPvRmT3_T4_T5_mT6_P12ihipStream_tbENKUlT_T0_E_clISt17integral_constantIbLb1EESX_IbLb0EEEEDaST_SU_EUlST_E0_NS1_11comp_targetILNS1_3genE10ELNS1_11target_archE1200ELNS1_3gpuE4ELNS1_3repE0EEENS1_30default_config_static_selectorELNS0_4arch9wavefront6targetE0EEEvT1_.uses_vcc, 0
	.set _ZN7rocprim17ROCPRIM_400000_NS6detail17trampoline_kernelINS0_14default_configENS1_20scan_config_selectorIN3c104HalfEEEZZNS1_9scan_implILNS1_25lookback_scan_determinismE0ELb0ELb0ES3_PKS6_PS6_S6_ZZZN2at6native31launch_logcumsumexp_cuda_kernelERKNSD_10TensorBaseESH_lENKUlvE_clEvENKUlvE3_clEvEUlS6_S6_E_S6_EEDaPvRmT3_T4_T5_mT6_P12ihipStream_tbENKUlT_T0_E_clISt17integral_constantIbLb1EESX_IbLb0EEEEDaST_SU_EUlST_E0_NS1_11comp_targetILNS1_3genE10ELNS1_11target_archE1200ELNS1_3gpuE4ELNS1_3repE0EEENS1_30default_config_static_selectorELNS0_4arch9wavefront6targetE0EEEvT1_.uses_flat_scratch, 0
	.set _ZN7rocprim17ROCPRIM_400000_NS6detail17trampoline_kernelINS0_14default_configENS1_20scan_config_selectorIN3c104HalfEEEZZNS1_9scan_implILNS1_25lookback_scan_determinismE0ELb0ELb0ES3_PKS6_PS6_S6_ZZZN2at6native31launch_logcumsumexp_cuda_kernelERKNSD_10TensorBaseESH_lENKUlvE_clEvENKUlvE3_clEvEUlS6_S6_E_S6_EEDaPvRmT3_T4_T5_mT6_P12ihipStream_tbENKUlT_T0_E_clISt17integral_constantIbLb1EESX_IbLb0EEEEDaST_SU_EUlST_E0_NS1_11comp_targetILNS1_3genE10ELNS1_11target_archE1200ELNS1_3gpuE4ELNS1_3repE0EEENS1_30default_config_static_selectorELNS0_4arch9wavefront6targetE0EEEvT1_.has_dyn_sized_stack, 0
	.set _ZN7rocprim17ROCPRIM_400000_NS6detail17trampoline_kernelINS0_14default_configENS1_20scan_config_selectorIN3c104HalfEEEZZNS1_9scan_implILNS1_25lookback_scan_determinismE0ELb0ELb0ES3_PKS6_PS6_S6_ZZZN2at6native31launch_logcumsumexp_cuda_kernelERKNSD_10TensorBaseESH_lENKUlvE_clEvENKUlvE3_clEvEUlS6_S6_E_S6_EEDaPvRmT3_T4_T5_mT6_P12ihipStream_tbENKUlT_T0_E_clISt17integral_constantIbLb1EESX_IbLb0EEEEDaST_SU_EUlST_E0_NS1_11comp_targetILNS1_3genE10ELNS1_11target_archE1200ELNS1_3gpuE4ELNS1_3repE0EEENS1_30default_config_static_selectorELNS0_4arch9wavefront6targetE0EEEvT1_.has_recursion, 0
	.set _ZN7rocprim17ROCPRIM_400000_NS6detail17trampoline_kernelINS0_14default_configENS1_20scan_config_selectorIN3c104HalfEEEZZNS1_9scan_implILNS1_25lookback_scan_determinismE0ELb0ELb0ES3_PKS6_PS6_S6_ZZZN2at6native31launch_logcumsumexp_cuda_kernelERKNSD_10TensorBaseESH_lENKUlvE_clEvENKUlvE3_clEvEUlS6_S6_E_S6_EEDaPvRmT3_T4_T5_mT6_P12ihipStream_tbENKUlT_T0_E_clISt17integral_constantIbLb1EESX_IbLb0EEEEDaST_SU_EUlST_E0_NS1_11comp_targetILNS1_3genE10ELNS1_11target_archE1200ELNS1_3gpuE4ELNS1_3repE0EEENS1_30default_config_static_selectorELNS0_4arch9wavefront6targetE0EEEvT1_.has_indirect_call, 0
	.section	.AMDGPU.csdata,"",@progbits
; Kernel info:
; codeLenInByte = 0
; TotalNumSgprs: 0
; NumVgprs: 0
; ScratchSize: 0
; MemoryBound: 0
; FloatMode: 240
; IeeeMode: 1
; LDSByteSize: 0 bytes/workgroup (compile time only)
; SGPRBlocks: 0
; VGPRBlocks: 0
; NumSGPRsForWavesPerEU: 1
; NumVGPRsForWavesPerEU: 1
; Occupancy: 16
; WaveLimiterHint : 0
; COMPUTE_PGM_RSRC2:SCRATCH_EN: 0
; COMPUTE_PGM_RSRC2:USER_SGPR: 2
; COMPUTE_PGM_RSRC2:TRAP_HANDLER: 0
; COMPUTE_PGM_RSRC2:TGID_X_EN: 1
; COMPUTE_PGM_RSRC2:TGID_Y_EN: 0
; COMPUTE_PGM_RSRC2:TGID_Z_EN: 0
; COMPUTE_PGM_RSRC2:TIDIG_COMP_CNT: 0
	.section	.text._ZN7rocprim17ROCPRIM_400000_NS6detail17trampoline_kernelINS0_14default_configENS1_20scan_config_selectorIN3c104HalfEEEZZNS1_9scan_implILNS1_25lookback_scan_determinismE0ELb0ELb0ES3_PKS6_PS6_S6_ZZZN2at6native31launch_logcumsumexp_cuda_kernelERKNSD_10TensorBaseESH_lENKUlvE_clEvENKUlvE3_clEvEUlS6_S6_E_S6_EEDaPvRmT3_T4_T5_mT6_P12ihipStream_tbENKUlT_T0_E_clISt17integral_constantIbLb1EESX_IbLb0EEEEDaST_SU_EUlST_E0_NS1_11comp_targetILNS1_3genE9ELNS1_11target_archE1100ELNS1_3gpuE3ELNS1_3repE0EEENS1_30default_config_static_selectorELNS0_4arch9wavefront6targetE0EEEvT1_,"axG",@progbits,_ZN7rocprim17ROCPRIM_400000_NS6detail17trampoline_kernelINS0_14default_configENS1_20scan_config_selectorIN3c104HalfEEEZZNS1_9scan_implILNS1_25lookback_scan_determinismE0ELb0ELb0ES3_PKS6_PS6_S6_ZZZN2at6native31launch_logcumsumexp_cuda_kernelERKNSD_10TensorBaseESH_lENKUlvE_clEvENKUlvE3_clEvEUlS6_S6_E_S6_EEDaPvRmT3_T4_T5_mT6_P12ihipStream_tbENKUlT_T0_E_clISt17integral_constantIbLb1EESX_IbLb0EEEEDaST_SU_EUlST_E0_NS1_11comp_targetILNS1_3genE9ELNS1_11target_archE1100ELNS1_3gpuE3ELNS1_3repE0EEENS1_30default_config_static_selectorELNS0_4arch9wavefront6targetE0EEEvT1_,comdat
	.globl	_ZN7rocprim17ROCPRIM_400000_NS6detail17trampoline_kernelINS0_14default_configENS1_20scan_config_selectorIN3c104HalfEEEZZNS1_9scan_implILNS1_25lookback_scan_determinismE0ELb0ELb0ES3_PKS6_PS6_S6_ZZZN2at6native31launch_logcumsumexp_cuda_kernelERKNSD_10TensorBaseESH_lENKUlvE_clEvENKUlvE3_clEvEUlS6_S6_E_S6_EEDaPvRmT3_T4_T5_mT6_P12ihipStream_tbENKUlT_T0_E_clISt17integral_constantIbLb1EESX_IbLb0EEEEDaST_SU_EUlST_E0_NS1_11comp_targetILNS1_3genE9ELNS1_11target_archE1100ELNS1_3gpuE3ELNS1_3repE0EEENS1_30default_config_static_selectorELNS0_4arch9wavefront6targetE0EEEvT1_ ; -- Begin function _ZN7rocprim17ROCPRIM_400000_NS6detail17trampoline_kernelINS0_14default_configENS1_20scan_config_selectorIN3c104HalfEEEZZNS1_9scan_implILNS1_25lookback_scan_determinismE0ELb0ELb0ES3_PKS6_PS6_S6_ZZZN2at6native31launch_logcumsumexp_cuda_kernelERKNSD_10TensorBaseESH_lENKUlvE_clEvENKUlvE3_clEvEUlS6_S6_E_S6_EEDaPvRmT3_T4_T5_mT6_P12ihipStream_tbENKUlT_T0_E_clISt17integral_constantIbLb1EESX_IbLb0EEEEDaST_SU_EUlST_E0_NS1_11comp_targetILNS1_3genE9ELNS1_11target_archE1100ELNS1_3gpuE3ELNS1_3repE0EEENS1_30default_config_static_selectorELNS0_4arch9wavefront6targetE0EEEvT1_
	.p2align	8
	.type	_ZN7rocprim17ROCPRIM_400000_NS6detail17trampoline_kernelINS0_14default_configENS1_20scan_config_selectorIN3c104HalfEEEZZNS1_9scan_implILNS1_25lookback_scan_determinismE0ELb0ELb0ES3_PKS6_PS6_S6_ZZZN2at6native31launch_logcumsumexp_cuda_kernelERKNSD_10TensorBaseESH_lENKUlvE_clEvENKUlvE3_clEvEUlS6_S6_E_S6_EEDaPvRmT3_T4_T5_mT6_P12ihipStream_tbENKUlT_T0_E_clISt17integral_constantIbLb1EESX_IbLb0EEEEDaST_SU_EUlST_E0_NS1_11comp_targetILNS1_3genE9ELNS1_11target_archE1100ELNS1_3gpuE3ELNS1_3repE0EEENS1_30default_config_static_selectorELNS0_4arch9wavefront6targetE0EEEvT1_,@function
_ZN7rocprim17ROCPRIM_400000_NS6detail17trampoline_kernelINS0_14default_configENS1_20scan_config_selectorIN3c104HalfEEEZZNS1_9scan_implILNS1_25lookback_scan_determinismE0ELb0ELb0ES3_PKS6_PS6_S6_ZZZN2at6native31launch_logcumsumexp_cuda_kernelERKNSD_10TensorBaseESH_lENKUlvE_clEvENKUlvE3_clEvEUlS6_S6_E_S6_EEDaPvRmT3_T4_T5_mT6_P12ihipStream_tbENKUlT_T0_E_clISt17integral_constantIbLb1EESX_IbLb0EEEEDaST_SU_EUlST_E0_NS1_11comp_targetILNS1_3genE9ELNS1_11target_archE1100ELNS1_3gpuE3ELNS1_3repE0EEENS1_30default_config_static_selectorELNS0_4arch9wavefront6targetE0EEEvT1_: ; @_ZN7rocprim17ROCPRIM_400000_NS6detail17trampoline_kernelINS0_14default_configENS1_20scan_config_selectorIN3c104HalfEEEZZNS1_9scan_implILNS1_25lookback_scan_determinismE0ELb0ELb0ES3_PKS6_PS6_S6_ZZZN2at6native31launch_logcumsumexp_cuda_kernelERKNSD_10TensorBaseESH_lENKUlvE_clEvENKUlvE3_clEvEUlS6_S6_E_S6_EEDaPvRmT3_T4_T5_mT6_P12ihipStream_tbENKUlT_T0_E_clISt17integral_constantIbLb1EESX_IbLb0EEEEDaST_SU_EUlST_E0_NS1_11comp_targetILNS1_3genE9ELNS1_11target_archE1100ELNS1_3gpuE3ELNS1_3repE0EEENS1_30default_config_static_selectorELNS0_4arch9wavefront6targetE0EEEvT1_
; %bb.0:
	.section	.rodata,"a",@progbits
	.p2align	6, 0x0
	.amdhsa_kernel _ZN7rocprim17ROCPRIM_400000_NS6detail17trampoline_kernelINS0_14default_configENS1_20scan_config_selectorIN3c104HalfEEEZZNS1_9scan_implILNS1_25lookback_scan_determinismE0ELb0ELb0ES3_PKS6_PS6_S6_ZZZN2at6native31launch_logcumsumexp_cuda_kernelERKNSD_10TensorBaseESH_lENKUlvE_clEvENKUlvE3_clEvEUlS6_S6_E_S6_EEDaPvRmT3_T4_T5_mT6_P12ihipStream_tbENKUlT_T0_E_clISt17integral_constantIbLb1EESX_IbLb0EEEEDaST_SU_EUlST_E0_NS1_11comp_targetILNS1_3genE9ELNS1_11target_archE1100ELNS1_3gpuE3ELNS1_3repE0EEENS1_30default_config_static_selectorELNS0_4arch9wavefront6targetE0EEEvT1_
		.amdhsa_group_segment_fixed_size 0
		.amdhsa_private_segment_fixed_size 0
		.amdhsa_kernarg_size 32
		.amdhsa_user_sgpr_count 2
		.amdhsa_user_sgpr_dispatch_ptr 0
		.amdhsa_user_sgpr_queue_ptr 0
		.amdhsa_user_sgpr_kernarg_segment_ptr 1
		.amdhsa_user_sgpr_dispatch_id 0
		.amdhsa_user_sgpr_private_segment_size 0
		.amdhsa_wavefront_size32 1
		.amdhsa_uses_dynamic_stack 0
		.amdhsa_enable_private_segment 0
		.amdhsa_system_sgpr_workgroup_id_x 1
		.amdhsa_system_sgpr_workgroup_id_y 0
		.amdhsa_system_sgpr_workgroup_id_z 0
		.amdhsa_system_sgpr_workgroup_info 0
		.amdhsa_system_vgpr_workitem_id 0
		.amdhsa_next_free_vgpr 1
		.amdhsa_next_free_sgpr 1
		.amdhsa_reserve_vcc 0
		.amdhsa_float_round_mode_32 0
		.amdhsa_float_round_mode_16_64 0
		.amdhsa_float_denorm_mode_32 3
		.amdhsa_float_denorm_mode_16_64 3
		.amdhsa_fp16_overflow 0
		.amdhsa_workgroup_processor_mode 1
		.amdhsa_memory_ordered 1
		.amdhsa_forward_progress 1
		.amdhsa_inst_pref_size 0
		.amdhsa_round_robin_scheduling 0
		.amdhsa_exception_fp_ieee_invalid_op 0
		.amdhsa_exception_fp_denorm_src 0
		.amdhsa_exception_fp_ieee_div_zero 0
		.amdhsa_exception_fp_ieee_overflow 0
		.amdhsa_exception_fp_ieee_underflow 0
		.amdhsa_exception_fp_ieee_inexact 0
		.amdhsa_exception_int_div_zero 0
	.end_amdhsa_kernel
	.section	.text._ZN7rocprim17ROCPRIM_400000_NS6detail17trampoline_kernelINS0_14default_configENS1_20scan_config_selectorIN3c104HalfEEEZZNS1_9scan_implILNS1_25lookback_scan_determinismE0ELb0ELb0ES3_PKS6_PS6_S6_ZZZN2at6native31launch_logcumsumexp_cuda_kernelERKNSD_10TensorBaseESH_lENKUlvE_clEvENKUlvE3_clEvEUlS6_S6_E_S6_EEDaPvRmT3_T4_T5_mT6_P12ihipStream_tbENKUlT_T0_E_clISt17integral_constantIbLb1EESX_IbLb0EEEEDaST_SU_EUlST_E0_NS1_11comp_targetILNS1_3genE9ELNS1_11target_archE1100ELNS1_3gpuE3ELNS1_3repE0EEENS1_30default_config_static_selectorELNS0_4arch9wavefront6targetE0EEEvT1_,"axG",@progbits,_ZN7rocprim17ROCPRIM_400000_NS6detail17trampoline_kernelINS0_14default_configENS1_20scan_config_selectorIN3c104HalfEEEZZNS1_9scan_implILNS1_25lookback_scan_determinismE0ELb0ELb0ES3_PKS6_PS6_S6_ZZZN2at6native31launch_logcumsumexp_cuda_kernelERKNSD_10TensorBaseESH_lENKUlvE_clEvENKUlvE3_clEvEUlS6_S6_E_S6_EEDaPvRmT3_T4_T5_mT6_P12ihipStream_tbENKUlT_T0_E_clISt17integral_constantIbLb1EESX_IbLb0EEEEDaST_SU_EUlST_E0_NS1_11comp_targetILNS1_3genE9ELNS1_11target_archE1100ELNS1_3gpuE3ELNS1_3repE0EEENS1_30default_config_static_selectorELNS0_4arch9wavefront6targetE0EEEvT1_,comdat
.Lfunc_end413:
	.size	_ZN7rocprim17ROCPRIM_400000_NS6detail17trampoline_kernelINS0_14default_configENS1_20scan_config_selectorIN3c104HalfEEEZZNS1_9scan_implILNS1_25lookback_scan_determinismE0ELb0ELb0ES3_PKS6_PS6_S6_ZZZN2at6native31launch_logcumsumexp_cuda_kernelERKNSD_10TensorBaseESH_lENKUlvE_clEvENKUlvE3_clEvEUlS6_S6_E_S6_EEDaPvRmT3_T4_T5_mT6_P12ihipStream_tbENKUlT_T0_E_clISt17integral_constantIbLb1EESX_IbLb0EEEEDaST_SU_EUlST_E0_NS1_11comp_targetILNS1_3genE9ELNS1_11target_archE1100ELNS1_3gpuE3ELNS1_3repE0EEENS1_30default_config_static_selectorELNS0_4arch9wavefront6targetE0EEEvT1_, .Lfunc_end413-_ZN7rocprim17ROCPRIM_400000_NS6detail17trampoline_kernelINS0_14default_configENS1_20scan_config_selectorIN3c104HalfEEEZZNS1_9scan_implILNS1_25lookback_scan_determinismE0ELb0ELb0ES3_PKS6_PS6_S6_ZZZN2at6native31launch_logcumsumexp_cuda_kernelERKNSD_10TensorBaseESH_lENKUlvE_clEvENKUlvE3_clEvEUlS6_S6_E_S6_EEDaPvRmT3_T4_T5_mT6_P12ihipStream_tbENKUlT_T0_E_clISt17integral_constantIbLb1EESX_IbLb0EEEEDaST_SU_EUlST_E0_NS1_11comp_targetILNS1_3genE9ELNS1_11target_archE1100ELNS1_3gpuE3ELNS1_3repE0EEENS1_30default_config_static_selectorELNS0_4arch9wavefront6targetE0EEEvT1_
                                        ; -- End function
	.set _ZN7rocprim17ROCPRIM_400000_NS6detail17trampoline_kernelINS0_14default_configENS1_20scan_config_selectorIN3c104HalfEEEZZNS1_9scan_implILNS1_25lookback_scan_determinismE0ELb0ELb0ES3_PKS6_PS6_S6_ZZZN2at6native31launch_logcumsumexp_cuda_kernelERKNSD_10TensorBaseESH_lENKUlvE_clEvENKUlvE3_clEvEUlS6_S6_E_S6_EEDaPvRmT3_T4_T5_mT6_P12ihipStream_tbENKUlT_T0_E_clISt17integral_constantIbLb1EESX_IbLb0EEEEDaST_SU_EUlST_E0_NS1_11comp_targetILNS1_3genE9ELNS1_11target_archE1100ELNS1_3gpuE3ELNS1_3repE0EEENS1_30default_config_static_selectorELNS0_4arch9wavefront6targetE0EEEvT1_.num_vgpr, 0
	.set _ZN7rocprim17ROCPRIM_400000_NS6detail17trampoline_kernelINS0_14default_configENS1_20scan_config_selectorIN3c104HalfEEEZZNS1_9scan_implILNS1_25lookback_scan_determinismE0ELb0ELb0ES3_PKS6_PS6_S6_ZZZN2at6native31launch_logcumsumexp_cuda_kernelERKNSD_10TensorBaseESH_lENKUlvE_clEvENKUlvE3_clEvEUlS6_S6_E_S6_EEDaPvRmT3_T4_T5_mT6_P12ihipStream_tbENKUlT_T0_E_clISt17integral_constantIbLb1EESX_IbLb0EEEEDaST_SU_EUlST_E0_NS1_11comp_targetILNS1_3genE9ELNS1_11target_archE1100ELNS1_3gpuE3ELNS1_3repE0EEENS1_30default_config_static_selectorELNS0_4arch9wavefront6targetE0EEEvT1_.num_agpr, 0
	.set _ZN7rocprim17ROCPRIM_400000_NS6detail17trampoline_kernelINS0_14default_configENS1_20scan_config_selectorIN3c104HalfEEEZZNS1_9scan_implILNS1_25lookback_scan_determinismE0ELb0ELb0ES3_PKS6_PS6_S6_ZZZN2at6native31launch_logcumsumexp_cuda_kernelERKNSD_10TensorBaseESH_lENKUlvE_clEvENKUlvE3_clEvEUlS6_S6_E_S6_EEDaPvRmT3_T4_T5_mT6_P12ihipStream_tbENKUlT_T0_E_clISt17integral_constantIbLb1EESX_IbLb0EEEEDaST_SU_EUlST_E0_NS1_11comp_targetILNS1_3genE9ELNS1_11target_archE1100ELNS1_3gpuE3ELNS1_3repE0EEENS1_30default_config_static_selectorELNS0_4arch9wavefront6targetE0EEEvT1_.numbered_sgpr, 0
	.set _ZN7rocprim17ROCPRIM_400000_NS6detail17trampoline_kernelINS0_14default_configENS1_20scan_config_selectorIN3c104HalfEEEZZNS1_9scan_implILNS1_25lookback_scan_determinismE0ELb0ELb0ES3_PKS6_PS6_S6_ZZZN2at6native31launch_logcumsumexp_cuda_kernelERKNSD_10TensorBaseESH_lENKUlvE_clEvENKUlvE3_clEvEUlS6_S6_E_S6_EEDaPvRmT3_T4_T5_mT6_P12ihipStream_tbENKUlT_T0_E_clISt17integral_constantIbLb1EESX_IbLb0EEEEDaST_SU_EUlST_E0_NS1_11comp_targetILNS1_3genE9ELNS1_11target_archE1100ELNS1_3gpuE3ELNS1_3repE0EEENS1_30default_config_static_selectorELNS0_4arch9wavefront6targetE0EEEvT1_.num_named_barrier, 0
	.set _ZN7rocprim17ROCPRIM_400000_NS6detail17trampoline_kernelINS0_14default_configENS1_20scan_config_selectorIN3c104HalfEEEZZNS1_9scan_implILNS1_25lookback_scan_determinismE0ELb0ELb0ES3_PKS6_PS6_S6_ZZZN2at6native31launch_logcumsumexp_cuda_kernelERKNSD_10TensorBaseESH_lENKUlvE_clEvENKUlvE3_clEvEUlS6_S6_E_S6_EEDaPvRmT3_T4_T5_mT6_P12ihipStream_tbENKUlT_T0_E_clISt17integral_constantIbLb1EESX_IbLb0EEEEDaST_SU_EUlST_E0_NS1_11comp_targetILNS1_3genE9ELNS1_11target_archE1100ELNS1_3gpuE3ELNS1_3repE0EEENS1_30default_config_static_selectorELNS0_4arch9wavefront6targetE0EEEvT1_.private_seg_size, 0
	.set _ZN7rocprim17ROCPRIM_400000_NS6detail17trampoline_kernelINS0_14default_configENS1_20scan_config_selectorIN3c104HalfEEEZZNS1_9scan_implILNS1_25lookback_scan_determinismE0ELb0ELb0ES3_PKS6_PS6_S6_ZZZN2at6native31launch_logcumsumexp_cuda_kernelERKNSD_10TensorBaseESH_lENKUlvE_clEvENKUlvE3_clEvEUlS6_S6_E_S6_EEDaPvRmT3_T4_T5_mT6_P12ihipStream_tbENKUlT_T0_E_clISt17integral_constantIbLb1EESX_IbLb0EEEEDaST_SU_EUlST_E0_NS1_11comp_targetILNS1_3genE9ELNS1_11target_archE1100ELNS1_3gpuE3ELNS1_3repE0EEENS1_30default_config_static_selectorELNS0_4arch9wavefront6targetE0EEEvT1_.uses_vcc, 0
	.set _ZN7rocprim17ROCPRIM_400000_NS6detail17trampoline_kernelINS0_14default_configENS1_20scan_config_selectorIN3c104HalfEEEZZNS1_9scan_implILNS1_25lookback_scan_determinismE0ELb0ELb0ES3_PKS6_PS6_S6_ZZZN2at6native31launch_logcumsumexp_cuda_kernelERKNSD_10TensorBaseESH_lENKUlvE_clEvENKUlvE3_clEvEUlS6_S6_E_S6_EEDaPvRmT3_T4_T5_mT6_P12ihipStream_tbENKUlT_T0_E_clISt17integral_constantIbLb1EESX_IbLb0EEEEDaST_SU_EUlST_E0_NS1_11comp_targetILNS1_3genE9ELNS1_11target_archE1100ELNS1_3gpuE3ELNS1_3repE0EEENS1_30default_config_static_selectorELNS0_4arch9wavefront6targetE0EEEvT1_.uses_flat_scratch, 0
	.set _ZN7rocprim17ROCPRIM_400000_NS6detail17trampoline_kernelINS0_14default_configENS1_20scan_config_selectorIN3c104HalfEEEZZNS1_9scan_implILNS1_25lookback_scan_determinismE0ELb0ELb0ES3_PKS6_PS6_S6_ZZZN2at6native31launch_logcumsumexp_cuda_kernelERKNSD_10TensorBaseESH_lENKUlvE_clEvENKUlvE3_clEvEUlS6_S6_E_S6_EEDaPvRmT3_T4_T5_mT6_P12ihipStream_tbENKUlT_T0_E_clISt17integral_constantIbLb1EESX_IbLb0EEEEDaST_SU_EUlST_E0_NS1_11comp_targetILNS1_3genE9ELNS1_11target_archE1100ELNS1_3gpuE3ELNS1_3repE0EEENS1_30default_config_static_selectorELNS0_4arch9wavefront6targetE0EEEvT1_.has_dyn_sized_stack, 0
	.set _ZN7rocprim17ROCPRIM_400000_NS6detail17trampoline_kernelINS0_14default_configENS1_20scan_config_selectorIN3c104HalfEEEZZNS1_9scan_implILNS1_25lookback_scan_determinismE0ELb0ELb0ES3_PKS6_PS6_S6_ZZZN2at6native31launch_logcumsumexp_cuda_kernelERKNSD_10TensorBaseESH_lENKUlvE_clEvENKUlvE3_clEvEUlS6_S6_E_S6_EEDaPvRmT3_T4_T5_mT6_P12ihipStream_tbENKUlT_T0_E_clISt17integral_constantIbLb1EESX_IbLb0EEEEDaST_SU_EUlST_E0_NS1_11comp_targetILNS1_3genE9ELNS1_11target_archE1100ELNS1_3gpuE3ELNS1_3repE0EEENS1_30default_config_static_selectorELNS0_4arch9wavefront6targetE0EEEvT1_.has_recursion, 0
	.set _ZN7rocprim17ROCPRIM_400000_NS6detail17trampoline_kernelINS0_14default_configENS1_20scan_config_selectorIN3c104HalfEEEZZNS1_9scan_implILNS1_25lookback_scan_determinismE0ELb0ELb0ES3_PKS6_PS6_S6_ZZZN2at6native31launch_logcumsumexp_cuda_kernelERKNSD_10TensorBaseESH_lENKUlvE_clEvENKUlvE3_clEvEUlS6_S6_E_S6_EEDaPvRmT3_T4_T5_mT6_P12ihipStream_tbENKUlT_T0_E_clISt17integral_constantIbLb1EESX_IbLb0EEEEDaST_SU_EUlST_E0_NS1_11comp_targetILNS1_3genE9ELNS1_11target_archE1100ELNS1_3gpuE3ELNS1_3repE0EEENS1_30default_config_static_selectorELNS0_4arch9wavefront6targetE0EEEvT1_.has_indirect_call, 0
	.section	.AMDGPU.csdata,"",@progbits
; Kernel info:
; codeLenInByte = 0
; TotalNumSgprs: 0
; NumVgprs: 0
; ScratchSize: 0
; MemoryBound: 0
; FloatMode: 240
; IeeeMode: 1
; LDSByteSize: 0 bytes/workgroup (compile time only)
; SGPRBlocks: 0
; VGPRBlocks: 0
; NumSGPRsForWavesPerEU: 1
; NumVGPRsForWavesPerEU: 1
; Occupancy: 16
; WaveLimiterHint : 0
; COMPUTE_PGM_RSRC2:SCRATCH_EN: 0
; COMPUTE_PGM_RSRC2:USER_SGPR: 2
; COMPUTE_PGM_RSRC2:TRAP_HANDLER: 0
; COMPUTE_PGM_RSRC2:TGID_X_EN: 1
; COMPUTE_PGM_RSRC2:TGID_Y_EN: 0
; COMPUTE_PGM_RSRC2:TGID_Z_EN: 0
; COMPUTE_PGM_RSRC2:TIDIG_COMP_CNT: 0
	.section	.text._ZN7rocprim17ROCPRIM_400000_NS6detail17trampoline_kernelINS0_14default_configENS1_20scan_config_selectorIN3c104HalfEEEZZNS1_9scan_implILNS1_25lookback_scan_determinismE0ELb0ELb0ES3_PKS6_PS6_S6_ZZZN2at6native31launch_logcumsumexp_cuda_kernelERKNSD_10TensorBaseESH_lENKUlvE_clEvENKUlvE3_clEvEUlS6_S6_E_S6_EEDaPvRmT3_T4_T5_mT6_P12ihipStream_tbENKUlT_T0_E_clISt17integral_constantIbLb1EESX_IbLb0EEEEDaST_SU_EUlST_E0_NS1_11comp_targetILNS1_3genE8ELNS1_11target_archE1030ELNS1_3gpuE2ELNS1_3repE0EEENS1_30default_config_static_selectorELNS0_4arch9wavefront6targetE0EEEvT1_,"axG",@progbits,_ZN7rocprim17ROCPRIM_400000_NS6detail17trampoline_kernelINS0_14default_configENS1_20scan_config_selectorIN3c104HalfEEEZZNS1_9scan_implILNS1_25lookback_scan_determinismE0ELb0ELb0ES3_PKS6_PS6_S6_ZZZN2at6native31launch_logcumsumexp_cuda_kernelERKNSD_10TensorBaseESH_lENKUlvE_clEvENKUlvE3_clEvEUlS6_S6_E_S6_EEDaPvRmT3_T4_T5_mT6_P12ihipStream_tbENKUlT_T0_E_clISt17integral_constantIbLb1EESX_IbLb0EEEEDaST_SU_EUlST_E0_NS1_11comp_targetILNS1_3genE8ELNS1_11target_archE1030ELNS1_3gpuE2ELNS1_3repE0EEENS1_30default_config_static_selectorELNS0_4arch9wavefront6targetE0EEEvT1_,comdat
	.globl	_ZN7rocprim17ROCPRIM_400000_NS6detail17trampoline_kernelINS0_14default_configENS1_20scan_config_selectorIN3c104HalfEEEZZNS1_9scan_implILNS1_25lookback_scan_determinismE0ELb0ELb0ES3_PKS6_PS6_S6_ZZZN2at6native31launch_logcumsumexp_cuda_kernelERKNSD_10TensorBaseESH_lENKUlvE_clEvENKUlvE3_clEvEUlS6_S6_E_S6_EEDaPvRmT3_T4_T5_mT6_P12ihipStream_tbENKUlT_T0_E_clISt17integral_constantIbLb1EESX_IbLb0EEEEDaST_SU_EUlST_E0_NS1_11comp_targetILNS1_3genE8ELNS1_11target_archE1030ELNS1_3gpuE2ELNS1_3repE0EEENS1_30default_config_static_selectorELNS0_4arch9wavefront6targetE0EEEvT1_ ; -- Begin function _ZN7rocprim17ROCPRIM_400000_NS6detail17trampoline_kernelINS0_14default_configENS1_20scan_config_selectorIN3c104HalfEEEZZNS1_9scan_implILNS1_25lookback_scan_determinismE0ELb0ELb0ES3_PKS6_PS6_S6_ZZZN2at6native31launch_logcumsumexp_cuda_kernelERKNSD_10TensorBaseESH_lENKUlvE_clEvENKUlvE3_clEvEUlS6_S6_E_S6_EEDaPvRmT3_T4_T5_mT6_P12ihipStream_tbENKUlT_T0_E_clISt17integral_constantIbLb1EESX_IbLb0EEEEDaST_SU_EUlST_E0_NS1_11comp_targetILNS1_3genE8ELNS1_11target_archE1030ELNS1_3gpuE2ELNS1_3repE0EEENS1_30default_config_static_selectorELNS0_4arch9wavefront6targetE0EEEvT1_
	.p2align	8
	.type	_ZN7rocprim17ROCPRIM_400000_NS6detail17trampoline_kernelINS0_14default_configENS1_20scan_config_selectorIN3c104HalfEEEZZNS1_9scan_implILNS1_25lookback_scan_determinismE0ELb0ELb0ES3_PKS6_PS6_S6_ZZZN2at6native31launch_logcumsumexp_cuda_kernelERKNSD_10TensorBaseESH_lENKUlvE_clEvENKUlvE3_clEvEUlS6_S6_E_S6_EEDaPvRmT3_T4_T5_mT6_P12ihipStream_tbENKUlT_T0_E_clISt17integral_constantIbLb1EESX_IbLb0EEEEDaST_SU_EUlST_E0_NS1_11comp_targetILNS1_3genE8ELNS1_11target_archE1030ELNS1_3gpuE2ELNS1_3repE0EEENS1_30default_config_static_selectorELNS0_4arch9wavefront6targetE0EEEvT1_,@function
_ZN7rocprim17ROCPRIM_400000_NS6detail17trampoline_kernelINS0_14default_configENS1_20scan_config_selectorIN3c104HalfEEEZZNS1_9scan_implILNS1_25lookback_scan_determinismE0ELb0ELb0ES3_PKS6_PS6_S6_ZZZN2at6native31launch_logcumsumexp_cuda_kernelERKNSD_10TensorBaseESH_lENKUlvE_clEvENKUlvE3_clEvEUlS6_S6_E_S6_EEDaPvRmT3_T4_T5_mT6_P12ihipStream_tbENKUlT_T0_E_clISt17integral_constantIbLb1EESX_IbLb0EEEEDaST_SU_EUlST_E0_NS1_11comp_targetILNS1_3genE8ELNS1_11target_archE1030ELNS1_3gpuE2ELNS1_3repE0EEENS1_30default_config_static_selectorELNS0_4arch9wavefront6targetE0EEEvT1_: ; @_ZN7rocprim17ROCPRIM_400000_NS6detail17trampoline_kernelINS0_14default_configENS1_20scan_config_selectorIN3c104HalfEEEZZNS1_9scan_implILNS1_25lookback_scan_determinismE0ELb0ELb0ES3_PKS6_PS6_S6_ZZZN2at6native31launch_logcumsumexp_cuda_kernelERKNSD_10TensorBaseESH_lENKUlvE_clEvENKUlvE3_clEvEUlS6_S6_E_S6_EEDaPvRmT3_T4_T5_mT6_P12ihipStream_tbENKUlT_T0_E_clISt17integral_constantIbLb1EESX_IbLb0EEEEDaST_SU_EUlST_E0_NS1_11comp_targetILNS1_3genE8ELNS1_11target_archE1030ELNS1_3gpuE2ELNS1_3repE0EEENS1_30default_config_static_selectorELNS0_4arch9wavefront6targetE0EEEvT1_
; %bb.0:
	.section	.rodata,"a",@progbits
	.p2align	6, 0x0
	.amdhsa_kernel _ZN7rocprim17ROCPRIM_400000_NS6detail17trampoline_kernelINS0_14default_configENS1_20scan_config_selectorIN3c104HalfEEEZZNS1_9scan_implILNS1_25lookback_scan_determinismE0ELb0ELb0ES3_PKS6_PS6_S6_ZZZN2at6native31launch_logcumsumexp_cuda_kernelERKNSD_10TensorBaseESH_lENKUlvE_clEvENKUlvE3_clEvEUlS6_S6_E_S6_EEDaPvRmT3_T4_T5_mT6_P12ihipStream_tbENKUlT_T0_E_clISt17integral_constantIbLb1EESX_IbLb0EEEEDaST_SU_EUlST_E0_NS1_11comp_targetILNS1_3genE8ELNS1_11target_archE1030ELNS1_3gpuE2ELNS1_3repE0EEENS1_30default_config_static_selectorELNS0_4arch9wavefront6targetE0EEEvT1_
		.amdhsa_group_segment_fixed_size 0
		.amdhsa_private_segment_fixed_size 0
		.amdhsa_kernarg_size 32
		.amdhsa_user_sgpr_count 2
		.amdhsa_user_sgpr_dispatch_ptr 0
		.amdhsa_user_sgpr_queue_ptr 0
		.amdhsa_user_sgpr_kernarg_segment_ptr 1
		.amdhsa_user_sgpr_dispatch_id 0
		.amdhsa_user_sgpr_private_segment_size 0
		.amdhsa_wavefront_size32 1
		.amdhsa_uses_dynamic_stack 0
		.amdhsa_enable_private_segment 0
		.amdhsa_system_sgpr_workgroup_id_x 1
		.amdhsa_system_sgpr_workgroup_id_y 0
		.amdhsa_system_sgpr_workgroup_id_z 0
		.amdhsa_system_sgpr_workgroup_info 0
		.amdhsa_system_vgpr_workitem_id 0
		.amdhsa_next_free_vgpr 1
		.amdhsa_next_free_sgpr 1
		.amdhsa_reserve_vcc 0
		.amdhsa_float_round_mode_32 0
		.amdhsa_float_round_mode_16_64 0
		.amdhsa_float_denorm_mode_32 3
		.amdhsa_float_denorm_mode_16_64 3
		.amdhsa_fp16_overflow 0
		.amdhsa_workgroup_processor_mode 1
		.amdhsa_memory_ordered 1
		.amdhsa_forward_progress 1
		.amdhsa_inst_pref_size 0
		.amdhsa_round_robin_scheduling 0
		.amdhsa_exception_fp_ieee_invalid_op 0
		.amdhsa_exception_fp_denorm_src 0
		.amdhsa_exception_fp_ieee_div_zero 0
		.amdhsa_exception_fp_ieee_overflow 0
		.amdhsa_exception_fp_ieee_underflow 0
		.amdhsa_exception_fp_ieee_inexact 0
		.amdhsa_exception_int_div_zero 0
	.end_amdhsa_kernel
	.section	.text._ZN7rocprim17ROCPRIM_400000_NS6detail17trampoline_kernelINS0_14default_configENS1_20scan_config_selectorIN3c104HalfEEEZZNS1_9scan_implILNS1_25lookback_scan_determinismE0ELb0ELb0ES3_PKS6_PS6_S6_ZZZN2at6native31launch_logcumsumexp_cuda_kernelERKNSD_10TensorBaseESH_lENKUlvE_clEvENKUlvE3_clEvEUlS6_S6_E_S6_EEDaPvRmT3_T4_T5_mT6_P12ihipStream_tbENKUlT_T0_E_clISt17integral_constantIbLb1EESX_IbLb0EEEEDaST_SU_EUlST_E0_NS1_11comp_targetILNS1_3genE8ELNS1_11target_archE1030ELNS1_3gpuE2ELNS1_3repE0EEENS1_30default_config_static_selectorELNS0_4arch9wavefront6targetE0EEEvT1_,"axG",@progbits,_ZN7rocprim17ROCPRIM_400000_NS6detail17trampoline_kernelINS0_14default_configENS1_20scan_config_selectorIN3c104HalfEEEZZNS1_9scan_implILNS1_25lookback_scan_determinismE0ELb0ELb0ES3_PKS6_PS6_S6_ZZZN2at6native31launch_logcumsumexp_cuda_kernelERKNSD_10TensorBaseESH_lENKUlvE_clEvENKUlvE3_clEvEUlS6_S6_E_S6_EEDaPvRmT3_T4_T5_mT6_P12ihipStream_tbENKUlT_T0_E_clISt17integral_constantIbLb1EESX_IbLb0EEEEDaST_SU_EUlST_E0_NS1_11comp_targetILNS1_3genE8ELNS1_11target_archE1030ELNS1_3gpuE2ELNS1_3repE0EEENS1_30default_config_static_selectorELNS0_4arch9wavefront6targetE0EEEvT1_,comdat
.Lfunc_end414:
	.size	_ZN7rocprim17ROCPRIM_400000_NS6detail17trampoline_kernelINS0_14default_configENS1_20scan_config_selectorIN3c104HalfEEEZZNS1_9scan_implILNS1_25lookback_scan_determinismE0ELb0ELb0ES3_PKS6_PS6_S6_ZZZN2at6native31launch_logcumsumexp_cuda_kernelERKNSD_10TensorBaseESH_lENKUlvE_clEvENKUlvE3_clEvEUlS6_S6_E_S6_EEDaPvRmT3_T4_T5_mT6_P12ihipStream_tbENKUlT_T0_E_clISt17integral_constantIbLb1EESX_IbLb0EEEEDaST_SU_EUlST_E0_NS1_11comp_targetILNS1_3genE8ELNS1_11target_archE1030ELNS1_3gpuE2ELNS1_3repE0EEENS1_30default_config_static_selectorELNS0_4arch9wavefront6targetE0EEEvT1_, .Lfunc_end414-_ZN7rocprim17ROCPRIM_400000_NS6detail17trampoline_kernelINS0_14default_configENS1_20scan_config_selectorIN3c104HalfEEEZZNS1_9scan_implILNS1_25lookback_scan_determinismE0ELb0ELb0ES3_PKS6_PS6_S6_ZZZN2at6native31launch_logcumsumexp_cuda_kernelERKNSD_10TensorBaseESH_lENKUlvE_clEvENKUlvE3_clEvEUlS6_S6_E_S6_EEDaPvRmT3_T4_T5_mT6_P12ihipStream_tbENKUlT_T0_E_clISt17integral_constantIbLb1EESX_IbLb0EEEEDaST_SU_EUlST_E0_NS1_11comp_targetILNS1_3genE8ELNS1_11target_archE1030ELNS1_3gpuE2ELNS1_3repE0EEENS1_30default_config_static_selectorELNS0_4arch9wavefront6targetE0EEEvT1_
                                        ; -- End function
	.set _ZN7rocprim17ROCPRIM_400000_NS6detail17trampoline_kernelINS0_14default_configENS1_20scan_config_selectorIN3c104HalfEEEZZNS1_9scan_implILNS1_25lookback_scan_determinismE0ELb0ELb0ES3_PKS6_PS6_S6_ZZZN2at6native31launch_logcumsumexp_cuda_kernelERKNSD_10TensorBaseESH_lENKUlvE_clEvENKUlvE3_clEvEUlS6_S6_E_S6_EEDaPvRmT3_T4_T5_mT6_P12ihipStream_tbENKUlT_T0_E_clISt17integral_constantIbLb1EESX_IbLb0EEEEDaST_SU_EUlST_E0_NS1_11comp_targetILNS1_3genE8ELNS1_11target_archE1030ELNS1_3gpuE2ELNS1_3repE0EEENS1_30default_config_static_selectorELNS0_4arch9wavefront6targetE0EEEvT1_.num_vgpr, 0
	.set _ZN7rocprim17ROCPRIM_400000_NS6detail17trampoline_kernelINS0_14default_configENS1_20scan_config_selectorIN3c104HalfEEEZZNS1_9scan_implILNS1_25lookback_scan_determinismE0ELb0ELb0ES3_PKS6_PS6_S6_ZZZN2at6native31launch_logcumsumexp_cuda_kernelERKNSD_10TensorBaseESH_lENKUlvE_clEvENKUlvE3_clEvEUlS6_S6_E_S6_EEDaPvRmT3_T4_T5_mT6_P12ihipStream_tbENKUlT_T0_E_clISt17integral_constantIbLb1EESX_IbLb0EEEEDaST_SU_EUlST_E0_NS1_11comp_targetILNS1_3genE8ELNS1_11target_archE1030ELNS1_3gpuE2ELNS1_3repE0EEENS1_30default_config_static_selectorELNS0_4arch9wavefront6targetE0EEEvT1_.num_agpr, 0
	.set _ZN7rocprim17ROCPRIM_400000_NS6detail17trampoline_kernelINS0_14default_configENS1_20scan_config_selectorIN3c104HalfEEEZZNS1_9scan_implILNS1_25lookback_scan_determinismE0ELb0ELb0ES3_PKS6_PS6_S6_ZZZN2at6native31launch_logcumsumexp_cuda_kernelERKNSD_10TensorBaseESH_lENKUlvE_clEvENKUlvE3_clEvEUlS6_S6_E_S6_EEDaPvRmT3_T4_T5_mT6_P12ihipStream_tbENKUlT_T0_E_clISt17integral_constantIbLb1EESX_IbLb0EEEEDaST_SU_EUlST_E0_NS1_11comp_targetILNS1_3genE8ELNS1_11target_archE1030ELNS1_3gpuE2ELNS1_3repE0EEENS1_30default_config_static_selectorELNS0_4arch9wavefront6targetE0EEEvT1_.numbered_sgpr, 0
	.set _ZN7rocprim17ROCPRIM_400000_NS6detail17trampoline_kernelINS0_14default_configENS1_20scan_config_selectorIN3c104HalfEEEZZNS1_9scan_implILNS1_25lookback_scan_determinismE0ELb0ELb0ES3_PKS6_PS6_S6_ZZZN2at6native31launch_logcumsumexp_cuda_kernelERKNSD_10TensorBaseESH_lENKUlvE_clEvENKUlvE3_clEvEUlS6_S6_E_S6_EEDaPvRmT3_T4_T5_mT6_P12ihipStream_tbENKUlT_T0_E_clISt17integral_constantIbLb1EESX_IbLb0EEEEDaST_SU_EUlST_E0_NS1_11comp_targetILNS1_3genE8ELNS1_11target_archE1030ELNS1_3gpuE2ELNS1_3repE0EEENS1_30default_config_static_selectorELNS0_4arch9wavefront6targetE0EEEvT1_.num_named_barrier, 0
	.set _ZN7rocprim17ROCPRIM_400000_NS6detail17trampoline_kernelINS0_14default_configENS1_20scan_config_selectorIN3c104HalfEEEZZNS1_9scan_implILNS1_25lookback_scan_determinismE0ELb0ELb0ES3_PKS6_PS6_S6_ZZZN2at6native31launch_logcumsumexp_cuda_kernelERKNSD_10TensorBaseESH_lENKUlvE_clEvENKUlvE3_clEvEUlS6_S6_E_S6_EEDaPvRmT3_T4_T5_mT6_P12ihipStream_tbENKUlT_T0_E_clISt17integral_constantIbLb1EESX_IbLb0EEEEDaST_SU_EUlST_E0_NS1_11comp_targetILNS1_3genE8ELNS1_11target_archE1030ELNS1_3gpuE2ELNS1_3repE0EEENS1_30default_config_static_selectorELNS0_4arch9wavefront6targetE0EEEvT1_.private_seg_size, 0
	.set _ZN7rocprim17ROCPRIM_400000_NS6detail17trampoline_kernelINS0_14default_configENS1_20scan_config_selectorIN3c104HalfEEEZZNS1_9scan_implILNS1_25lookback_scan_determinismE0ELb0ELb0ES3_PKS6_PS6_S6_ZZZN2at6native31launch_logcumsumexp_cuda_kernelERKNSD_10TensorBaseESH_lENKUlvE_clEvENKUlvE3_clEvEUlS6_S6_E_S6_EEDaPvRmT3_T4_T5_mT6_P12ihipStream_tbENKUlT_T0_E_clISt17integral_constantIbLb1EESX_IbLb0EEEEDaST_SU_EUlST_E0_NS1_11comp_targetILNS1_3genE8ELNS1_11target_archE1030ELNS1_3gpuE2ELNS1_3repE0EEENS1_30default_config_static_selectorELNS0_4arch9wavefront6targetE0EEEvT1_.uses_vcc, 0
	.set _ZN7rocprim17ROCPRIM_400000_NS6detail17trampoline_kernelINS0_14default_configENS1_20scan_config_selectorIN3c104HalfEEEZZNS1_9scan_implILNS1_25lookback_scan_determinismE0ELb0ELb0ES3_PKS6_PS6_S6_ZZZN2at6native31launch_logcumsumexp_cuda_kernelERKNSD_10TensorBaseESH_lENKUlvE_clEvENKUlvE3_clEvEUlS6_S6_E_S6_EEDaPvRmT3_T4_T5_mT6_P12ihipStream_tbENKUlT_T0_E_clISt17integral_constantIbLb1EESX_IbLb0EEEEDaST_SU_EUlST_E0_NS1_11comp_targetILNS1_3genE8ELNS1_11target_archE1030ELNS1_3gpuE2ELNS1_3repE0EEENS1_30default_config_static_selectorELNS0_4arch9wavefront6targetE0EEEvT1_.uses_flat_scratch, 0
	.set _ZN7rocprim17ROCPRIM_400000_NS6detail17trampoline_kernelINS0_14default_configENS1_20scan_config_selectorIN3c104HalfEEEZZNS1_9scan_implILNS1_25lookback_scan_determinismE0ELb0ELb0ES3_PKS6_PS6_S6_ZZZN2at6native31launch_logcumsumexp_cuda_kernelERKNSD_10TensorBaseESH_lENKUlvE_clEvENKUlvE3_clEvEUlS6_S6_E_S6_EEDaPvRmT3_T4_T5_mT6_P12ihipStream_tbENKUlT_T0_E_clISt17integral_constantIbLb1EESX_IbLb0EEEEDaST_SU_EUlST_E0_NS1_11comp_targetILNS1_3genE8ELNS1_11target_archE1030ELNS1_3gpuE2ELNS1_3repE0EEENS1_30default_config_static_selectorELNS0_4arch9wavefront6targetE0EEEvT1_.has_dyn_sized_stack, 0
	.set _ZN7rocprim17ROCPRIM_400000_NS6detail17trampoline_kernelINS0_14default_configENS1_20scan_config_selectorIN3c104HalfEEEZZNS1_9scan_implILNS1_25lookback_scan_determinismE0ELb0ELb0ES3_PKS6_PS6_S6_ZZZN2at6native31launch_logcumsumexp_cuda_kernelERKNSD_10TensorBaseESH_lENKUlvE_clEvENKUlvE3_clEvEUlS6_S6_E_S6_EEDaPvRmT3_T4_T5_mT6_P12ihipStream_tbENKUlT_T0_E_clISt17integral_constantIbLb1EESX_IbLb0EEEEDaST_SU_EUlST_E0_NS1_11comp_targetILNS1_3genE8ELNS1_11target_archE1030ELNS1_3gpuE2ELNS1_3repE0EEENS1_30default_config_static_selectorELNS0_4arch9wavefront6targetE0EEEvT1_.has_recursion, 0
	.set _ZN7rocprim17ROCPRIM_400000_NS6detail17trampoline_kernelINS0_14default_configENS1_20scan_config_selectorIN3c104HalfEEEZZNS1_9scan_implILNS1_25lookback_scan_determinismE0ELb0ELb0ES3_PKS6_PS6_S6_ZZZN2at6native31launch_logcumsumexp_cuda_kernelERKNSD_10TensorBaseESH_lENKUlvE_clEvENKUlvE3_clEvEUlS6_S6_E_S6_EEDaPvRmT3_T4_T5_mT6_P12ihipStream_tbENKUlT_T0_E_clISt17integral_constantIbLb1EESX_IbLb0EEEEDaST_SU_EUlST_E0_NS1_11comp_targetILNS1_3genE8ELNS1_11target_archE1030ELNS1_3gpuE2ELNS1_3repE0EEENS1_30default_config_static_selectorELNS0_4arch9wavefront6targetE0EEEvT1_.has_indirect_call, 0
	.section	.AMDGPU.csdata,"",@progbits
; Kernel info:
; codeLenInByte = 0
; TotalNumSgprs: 0
; NumVgprs: 0
; ScratchSize: 0
; MemoryBound: 0
; FloatMode: 240
; IeeeMode: 1
; LDSByteSize: 0 bytes/workgroup (compile time only)
; SGPRBlocks: 0
; VGPRBlocks: 0
; NumSGPRsForWavesPerEU: 1
; NumVGPRsForWavesPerEU: 1
; Occupancy: 16
; WaveLimiterHint : 0
; COMPUTE_PGM_RSRC2:SCRATCH_EN: 0
; COMPUTE_PGM_RSRC2:USER_SGPR: 2
; COMPUTE_PGM_RSRC2:TRAP_HANDLER: 0
; COMPUTE_PGM_RSRC2:TGID_X_EN: 1
; COMPUTE_PGM_RSRC2:TGID_Y_EN: 0
; COMPUTE_PGM_RSRC2:TGID_Z_EN: 0
; COMPUTE_PGM_RSRC2:TIDIG_COMP_CNT: 0
	.section	.text._ZN7rocprim17ROCPRIM_400000_NS6detail31init_lookback_scan_state_kernelINS1_19lookback_scan_stateIN3c104HalfELb0ELb1EEENS1_16block_id_wrapperIjLb1EEEEEvT_jT0_jPNS9_10value_typeE,"axG",@progbits,_ZN7rocprim17ROCPRIM_400000_NS6detail31init_lookback_scan_state_kernelINS1_19lookback_scan_stateIN3c104HalfELb0ELb1EEENS1_16block_id_wrapperIjLb1EEEEEvT_jT0_jPNS9_10value_typeE,comdat
	.protected	_ZN7rocprim17ROCPRIM_400000_NS6detail31init_lookback_scan_state_kernelINS1_19lookback_scan_stateIN3c104HalfELb0ELb1EEENS1_16block_id_wrapperIjLb1EEEEEvT_jT0_jPNS9_10value_typeE ; -- Begin function _ZN7rocprim17ROCPRIM_400000_NS6detail31init_lookback_scan_state_kernelINS1_19lookback_scan_stateIN3c104HalfELb0ELb1EEENS1_16block_id_wrapperIjLb1EEEEEvT_jT0_jPNS9_10value_typeE
	.globl	_ZN7rocprim17ROCPRIM_400000_NS6detail31init_lookback_scan_state_kernelINS1_19lookback_scan_stateIN3c104HalfELb0ELb1EEENS1_16block_id_wrapperIjLb1EEEEEvT_jT0_jPNS9_10value_typeE
	.p2align	8
	.type	_ZN7rocprim17ROCPRIM_400000_NS6detail31init_lookback_scan_state_kernelINS1_19lookback_scan_stateIN3c104HalfELb0ELb1EEENS1_16block_id_wrapperIjLb1EEEEEvT_jT0_jPNS9_10value_typeE,@function
_ZN7rocprim17ROCPRIM_400000_NS6detail31init_lookback_scan_state_kernelINS1_19lookback_scan_stateIN3c104HalfELb0ELb1EEENS1_16block_id_wrapperIjLb1EEEEEvT_jT0_jPNS9_10value_typeE: ; @_ZN7rocprim17ROCPRIM_400000_NS6detail31init_lookback_scan_state_kernelINS1_19lookback_scan_stateIN3c104HalfELb0ELb1EEENS1_16block_id_wrapperIjLb1EEEEEvT_jT0_jPNS9_10value_typeE
; %bb.0:
	s_clause 0x2
	s_load_b32 s7, s[0:1], 0x34
	s_load_b64 s[2:3], s[0:1], 0x20
	s_load_b96 s[4:6], s[0:1], 0x0
	s_wait_kmcnt 0x0
	s_and_b32 s7, s7, 0xffff
	s_cmp_eq_u64 s[2:3], 0
	v_mad_co_u64_u32 v[0:1], null, ttmp9, s7, v[0:1]
	s_cbranch_scc1 .LBB415_6
; %bb.1:
	s_load_b32 s8, s[0:1], 0x18
	s_mov_b32 s9, 0
	s_wait_kmcnt 0x0
	s_cmp_lt_u32 s8, s6
	s_cselect_b32 s7, s8, 0
	s_wait_alu 0xfffe
	v_cmp_eq_u32_e32 vcc_lo, s7, v0
	s_and_saveexec_b32 s7, vcc_lo
	s_cbranch_execz .LBB415_5
; %bb.2:
	s_add_co_i32 s8, s8, 32
	v_mov_b32_e32 v2, 0
	s_lshl_b64 s[8:9], s[8:9], 2
	s_delay_alu instid0(SALU_CYCLE_1) | instskip(SKIP_3) | instid1(VALU_DEP_1)
	s_add_nc_u64 s[8:9], s[4:5], s[8:9]
	global_load_b32 v1, v2, s[8:9] scope:SCOPE_DEV
	s_wait_loadcnt 0x0
	v_and_b32_e32 v3, 0xff0000, v1
	v_cmp_ne_u32_e32 vcc_lo, 0, v3
	s_cbranch_vccnz .LBB415_4
.LBB415_3:                              ; =>This Inner Loop Header: Depth=1
	global_load_b32 v1, v2, s[8:9] scope:SCOPE_DEV
	s_wait_loadcnt 0x0
	v_and_b32_e32 v3, 0xff0000, v1
	s_delay_alu instid0(VALU_DEP_1)
	v_cmp_eq_u32_e32 vcc_lo, 0, v3
	s_cbranch_vccnz .LBB415_3
.LBB415_4:
	v_mov_b32_e32 v2, 0
	global_store_b16 v2, v1, s[2:3]
.LBB415_5:
	s_wait_alu 0xfffe
	s_or_b32 exec_lo, exec_lo, s7
.LBB415_6:
	s_delay_alu instid0(SALU_CYCLE_1)
	s_mov_b32 s2, exec_lo
	v_cmpx_eq_u32_e32 0, v0
	s_cbranch_execz .LBB415_8
; %bb.7:
	s_load_b64 s[0:1], s[0:1], 0x10
	v_mov_b32_e32 v1, 0
	s_wait_kmcnt 0x0
	global_store_b32 v1, v1, s[0:1]
.LBB415_8:
	s_or_b32 exec_lo, exec_lo, s2
	s_delay_alu instid0(SALU_CYCLE_1)
	s_mov_b32 s0, exec_lo
	v_cmpx_gt_u32_e64 s6, v0
	s_cbranch_execz .LBB415_10
; %bb.9:
	v_dual_mov_b32 v2, 0 :: v_dual_add_nc_u32 v1, 32, v0
	s_delay_alu instid0(VALU_DEP_1) | instskip(NEXT) | instid1(VALU_DEP_1)
	v_lshlrev_b64_e32 v[3:4], 2, v[1:2]
	v_add_co_u32 v3, vcc_lo, s4, v3
	s_delay_alu instid0(VALU_DEP_1)
	v_add_co_ci_u32_e64 v4, null, s5, v4, vcc_lo
	global_store_b32 v[3:4], v2, off
.LBB415_10:
	s_wait_alu 0xfffe
	s_or_b32 exec_lo, exec_lo, s0
	s_delay_alu instid0(SALU_CYCLE_1)
	s_mov_b32 s0, exec_lo
	v_cmpx_gt_u32_e32 32, v0
	s_cbranch_execz .LBB415_12
; %bb.11:
	v_dual_mov_b32 v1, 0 :: v_dual_mov_b32 v2, 0xff0000
	s_delay_alu instid0(VALU_DEP_1) | instskip(NEXT) | instid1(VALU_DEP_1)
	v_lshlrev_b64_e32 v[0:1], 2, v[0:1]
	v_add_co_u32 v0, vcc_lo, s4, v0
	s_wait_alu 0xfffd
	s_delay_alu instid0(VALU_DEP_2)
	v_add_co_ci_u32_e64 v1, null, s5, v1, vcc_lo
	global_store_b32 v[0:1], v2, off
.LBB415_12:
	s_endpgm
	.section	.rodata,"a",@progbits
	.p2align	6, 0x0
	.amdhsa_kernel _ZN7rocprim17ROCPRIM_400000_NS6detail31init_lookback_scan_state_kernelINS1_19lookback_scan_stateIN3c104HalfELb0ELb1EEENS1_16block_id_wrapperIjLb1EEEEEvT_jT0_jPNS9_10value_typeE
		.amdhsa_group_segment_fixed_size 0
		.amdhsa_private_segment_fixed_size 0
		.amdhsa_kernarg_size 296
		.amdhsa_user_sgpr_count 2
		.amdhsa_user_sgpr_dispatch_ptr 0
		.amdhsa_user_sgpr_queue_ptr 0
		.amdhsa_user_sgpr_kernarg_segment_ptr 1
		.amdhsa_user_sgpr_dispatch_id 0
		.amdhsa_user_sgpr_private_segment_size 0
		.amdhsa_wavefront_size32 1
		.amdhsa_uses_dynamic_stack 0
		.amdhsa_enable_private_segment 0
		.amdhsa_system_sgpr_workgroup_id_x 1
		.amdhsa_system_sgpr_workgroup_id_y 0
		.amdhsa_system_sgpr_workgroup_id_z 0
		.amdhsa_system_sgpr_workgroup_info 0
		.amdhsa_system_vgpr_workitem_id 0
		.amdhsa_next_free_vgpr 5
		.amdhsa_next_free_sgpr 10
		.amdhsa_reserve_vcc 1
		.amdhsa_float_round_mode_32 0
		.amdhsa_float_round_mode_16_64 0
		.amdhsa_float_denorm_mode_32 3
		.amdhsa_float_denorm_mode_16_64 3
		.amdhsa_fp16_overflow 0
		.amdhsa_workgroup_processor_mode 1
		.amdhsa_memory_ordered 1
		.amdhsa_forward_progress 1
		.amdhsa_inst_pref_size 4
		.amdhsa_round_robin_scheduling 0
		.amdhsa_exception_fp_ieee_invalid_op 0
		.amdhsa_exception_fp_denorm_src 0
		.amdhsa_exception_fp_ieee_div_zero 0
		.amdhsa_exception_fp_ieee_overflow 0
		.amdhsa_exception_fp_ieee_underflow 0
		.amdhsa_exception_fp_ieee_inexact 0
		.amdhsa_exception_int_div_zero 0
	.end_amdhsa_kernel
	.section	.text._ZN7rocprim17ROCPRIM_400000_NS6detail31init_lookback_scan_state_kernelINS1_19lookback_scan_stateIN3c104HalfELb0ELb1EEENS1_16block_id_wrapperIjLb1EEEEEvT_jT0_jPNS9_10value_typeE,"axG",@progbits,_ZN7rocprim17ROCPRIM_400000_NS6detail31init_lookback_scan_state_kernelINS1_19lookback_scan_stateIN3c104HalfELb0ELb1EEENS1_16block_id_wrapperIjLb1EEEEEvT_jT0_jPNS9_10value_typeE,comdat
.Lfunc_end415:
	.size	_ZN7rocprim17ROCPRIM_400000_NS6detail31init_lookback_scan_state_kernelINS1_19lookback_scan_stateIN3c104HalfELb0ELb1EEENS1_16block_id_wrapperIjLb1EEEEEvT_jT0_jPNS9_10value_typeE, .Lfunc_end415-_ZN7rocprim17ROCPRIM_400000_NS6detail31init_lookback_scan_state_kernelINS1_19lookback_scan_stateIN3c104HalfELb0ELb1EEENS1_16block_id_wrapperIjLb1EEEEEvT_jT0_jPNS9_10value_typeE
                                        ; -- End function
	.set _ZN7rocprim17ROCPRIM_400000_NS6detail31init_lookback_scan_state_kernelINS1_19lookback_scan_stateIN3c104HalfELb0ELb1EEENS1_16block_id_wrapperIjLb1EEEEEvT_jT0_jPNS9_10value_typeE.num_vgpr, 5
	.set _ZN7rocprim17ROCPRIM_400000_NS6detail31init_lookback_scan_state_kernelINS1_19lookback_scan_stateIN3c104HalfELb0ELb1EEENS1_16block_id_wrapperIjLb1EEEEEvT_jT0_jPNS9_10value_typeE.num_agpr, 0
	.set _ZN7rocprim17ROCPRIM_400000_NS6detail31init_lookback_scan_state_kernelINS1_19lookback_scan_stateIN3c104HalfELb0ELb1EEENS1_16block_id_wrapperIjLb1EEEEEvT_jT0_jPNS9_10value_typeE.numbered_sgpr, 10
	.set _ZN7rocprim17ROCPRIM_400000_NS6detail31init_lookback_scan_state_kernelINS1_19lookback_scan_stateIN3c104HalfELb0ELb1EEENS1_16block_id_wrapperIjLb1EEEEEvT_jT0_jPNS9_10value_typeE.num_named_barrier, 0
	.set _ZN7rocprim17ROCPRIM_400000_NS6detail31init_lookback_scan_state_kernelINS1_19lookback_scan_stateIN3c104HalfELb0ELb1EEENS1_16block_id_wrapperIjLb1EEEEEvT_jT0_jPNS9_10value_typeE.private_seg_size, 0
	.set _ZN7rocprim17ROCPRIM_400000_NS6detail31init_lookback_scan_state_kernelINS1_19lookback_scan_stateIN3c104HalfELb0ELb1EEENS1_16block_id_wrapperIjLb1EEEEEvT_jT0_jPNS9_10value_typeE.uses_vcc, 1
	.set _ZN7rocprim17ROCPRIM_400000_NS6detail31init_lookback_scan_state_kernelINS1_19lookback_scan_stateIN3c104HalfELb0ELb1EEENS1_16block_id_wrapperIjLb1EEEEEvT_jT0_jPNS9_10value_typeE.uses_flat_scratch, 0
	.set _ZN7rocprim17ROCPRIM_400000_NS6detail31init_lookback_scan_state_kernelINS1_19lookback_scan_stateIN3c104HalfELb0ELb1EEENS1_16block_id_wrapperIjLb1EEEEEvT_jT0_jPNS9_10value_typeE.has_dyn_sized_stack, 0
	.set _ZN7rocprim17ROCPRIM_400000_NS6detail31init_lookback_scan_state_kernelINS1_19lookback_scan_stateIN3c104HalfELb0ELb1EEENS1_16block_id_wrapperIjLb1EEEEEvT_jT0_jPNS9_10value_typeE.has_recursion, 0
	.set _ZN7rocprim17ROCPRIM_400000_NS6detail31init_lookback_scan_state_kernelINS1_19lookback_scan_stateIN3c104HalfELb0ELb1EEENS1_16block_id_wrapperIjLb1EEEEEvT_jT0_jPNS9_10value_typeE.has_indirect_call, 0
	.section	.AMDGPU.csdata,"",@progbits
; Kernel info:
; codeLenInByte = 408
; TotalNumSgprs: 12
; NumVgprs: 5
; ScratchSize: 0
; MemoryBound: 0
; FloatMode: 240
; IeeeMode: 1
; LDSByteSize: 0 bytes/workgroup (compile time only)
; SGPRBlocks: 0
; VGPRBlocks: 0
; NumSGPRsForWavesPerEU: 12
; NumVGPRsForWavesPerEU: 5
; Occupancy: 16
; WaveLimiterHint : 0
; COMPUTE_PGM_RSRC2:SCRATCH_EN: 0
; COMPUTE_PGM_RSRC2:USER_SGPR: 2
; COMPUTE_PGM_RSRC2:TRAP_HANDLER: 0
; COMPUTE_PGM_RSRC2:TGID_X_EN: 1
; COMPUTE_PGM_RSRC2:TGID_Y_EN: 0
; COMPUTE_PGM_RSRC2:TGID_Z_EN: 0
; COMPUTE_PGM_RSRC2:TIDIG_COMP_CNT: 0
	.section	.text._ZN7rocprim17ROCPRIM_400000_NS6detail17trampoline_kernelINS0_14default_configENS1_20scan_config_selectorIN3c104HalfEEEZZNS1_9scan_implILNS1_25lookback_scan_determinismE0ELb0ELb0ES3_PKS6_PS6_S6_ZZZN2at6native31launch_logcumsumexp_cuda_kernelERKNSD_10TensorBaseESH_lENKUlvE_clEvENKUlvE3_clEvEUlS6_S6_E_S6_EEDaPvRmT3_T4_T5_mT6_P12ihipStream_tbENKUlT_T0_E_clISt17integral_constantIbLb0EESX_IbLb1EEEEDaST_SU_EUlST_E_NS1_11comp_targetILNS1_3genE0ELNS1_11target_archE4294967295ELNS1_3gpuE0ELNS1_3repE0EEENS1_30default_config_static_selectorELNS0_4arch9wavefront6targetE0EEEvT1_,"axG",@progbits,_ZN7rocprim17ROCPRIM_400000_NS6detail17trampoline_kernelINS0_14default_configENS1_20scan_config_selectorIN3c104HalfEEEZZNS1_9scan_implILNS1_25lookback_scan_determinismE0ELb0ELb0ES3_PKS6_PS6_S6_ZZZN2at6native31launch_logcumsumexp_cuda_kernelERKNSD_10TensorBaseESH_lENKUlvE_clEvENKUlvE3_clEvEUlS6_S6_E_S6_EEDaPvRmT3_T4_T5_mT6_P12ihipStream_tbENKUlT_T0_E_clISt17integral_constantIbLb0EESX_IbLb1EEEEDaST_SU_EUlST_E_NS1_11comp_targetILNS1_3genE0ELNS1_11target_archE4294967295ELNS1_3gpuE0ELNS1_3repE0EEENS1_30default_config_static_selectorELNS0_4arch9wavefront6targetE0EEEvT1_,comdat
	.globl	_ZN7rocprim17ROCPRIM_400000_NS6detail17trampoline_kernelINS0_14default_configENS1_20scan_config_selectorIN3c104HalfEEEZZNS1_9scan_implILNS1_25lookback_scan_determinismE0ELb0ELb0ES3_PKS6_PS6_S6_ZZZN2at6native31launch_logcumsumexp_cuda_kernelERKNSD_10TensorBaseESH_lENKUlvE_clEvENKUlvE3_clEvEUlS6_S6_E_S6_EEDaPvRmT3_T4_T5_mT6_P12ihipStream_tbENKUlT_T0_E_clISt17integral_constantIbLb0EESX_IbLb1EEEEDaST_SU_EUlST_E_NS1_11comp_targetILNS1_3genE0ELNS1_11target_archE4294967295ELNS1_3gpuE0ELNS1_3repE0EEENS1_30default_config_static_selectorELNS0_4arch9wavefront6targetE0EEEvT1_ ; -- Begin function _ZN7rocprim17ROCPRIM_400000_NS6detail17trampoline_kernelINS0_14default_configENS1_20scan_config_selectorIN3c104HalfEEEZZNS1_9scan_implILNS1_25lookback_scan_determinismE0ELb0ELb0ES3_PKS6_PS6_S6_ZZZN2at6native31launch_logcumsumexp_cuda_kernelERKNSD_10TensorBaseESH_lENKUlvE_clEvENKUlvE3_clEvEUlS6_S6_E_S6_EEDaPvRmT3_T4_T5_mT6_P12ihipStream_tbENKUlT_T0_E_clISt17integral_constantIbLb0EESX_IbLb1EEEEDaST_SU_EUlST_E_NS1_11comp_targetILNS1_3genE0ELNS1_11target_archE4294967295ELNS1_3gpuE0ELNS1_3repE0EEENS1_30default_config_static_selectorELNS0_4arch9wavefront6targetE0EEEvT1_
	.p2align	8
	.type	_ZN7rocprim17ROCPRIM_400000_NS6detail17trampoline_kernelINS0_14default_configENS1_20scan_config_selectorIN3c104HalfEEEZZNS1_9scan_implILNS1_25lookback_scan_determinismE0ELb0ELb0ES3_PKS6_PS6_S6_ZZZN2at6native31launch_logcumsumexp_cuda_kernelERKNSD_10TensorBaseESH_lENKUlvE_clEvENKUlvE3_clEvEUlS6_S6_E_S6_EEDaPvRmT3_T4_T5_mT6_P12ihipStream_tbENKUlT_T0_E_clISt17integral_constantIbLb0EESX_IbLb1EEEEDaST_SU_EUlST_E_NS1_11comp_targetILNS1_3genE0ELNS1_11target_archE4294967295ELNS1_3gpuE0ELNS1_3repE0EEENS1_30default_config_static_selectorELNS0_4arch9wavefront6targetE0EEEvT1_,@function
_ZN7rocprim17ROCPRIM_400000_NS6detail17trampoline_kernelINS0_14default_configENS1_20scan_config_selectorIN3c104HalfEEEZZNS1_9scan_implILNS1_25lookback_scan_determinismE0ELb0ELb0ES3_PKS6_PS6_S6_ZZZN2at6native31launch_logcumsumexp_cuda_kernelERKNSD_10TensorBaseESH_lENKUlvE_clEvENKUlvE3_clEvEUlS6_S6_E_S6_EEDaPvRmT3_T4_T5_mT6_P12ihipStream_tbENKUlT_T0_E_clISt17integral_constantIbLb0EESX_IbLb1EEEEDaST_SU_EUlST_E_NS1_11comp_targetILNS1_3genE0ELNS1_11target_archE4294967295ELNS1_3gpuE0ELNS1_3repE0EEENS1_30default_config_static_selectorELNS0_4arch9wavefront6targetE0EEEvT1_: ; @_ZN7rocprim17ROCPRIM_400000_NS6detail17trampoline_kernelINS0_14default_configENS1_20scan_config_selectorIN3c104HalfEEEZZNS1_9scan_implILNS1_25lookback_scan_determinismE0ELb0ELb0ES3_PKS6_PS6_S6_ZZZN2at6native31launch_logcumsumexp_cuda_kernelERKNSD_10TensorBaseESH_lENKUlvE_clEvENKUlvE3_clEvEUlS6_S6_E_S6_EEDaPvRmT3_T4_T5_mT6_P12ihipStream_tbENKUlT_T0_E_clISt17integral_constantIbLb0EESX_IbLb1EEEEDaST_SU_EUlST_E_NS1_11comp_targetILNS1_3genE0ELNS1_11target_archE4294967295ELNS1_3gpuE0ELNS1_3repE0EEENS1_30default_config_static_selectorELNS0_4arch9wavefront6targetE0EEEvT1_
; %bb.0:
	.section	.rodata,"a",@progbits
	.p2align	6, 0x0
	.amdhsa_kernel _ZN7rocprim17ROCPRIM_400000_NS6detail17trampoline_kernelINS0_14default_configENS1_20scan_config_selectorIN3c104HalfEEEZZNS1_9scan_implILNS1_25lookback_scan_determinismE0ELb0ELb0ES3_PKS6_PS6_S6_ZZZN2at6native31launch_logcumsumexp_cuda_kernelERKNSD_10TensorBaseESH_lENKUlvE_clEvENKUlvE3_clEvEUlS6_S6_E_S6_EEDaPvRmT3_T4_T5_mT6_P12ihipStream_tbENKUlT_T0_E_clISt17integral_constantIbLb0EESX_IbLb1EEEEDaST_SU_EUlST_E_NS1_11comp_targetILNS1_3genE0ELNS1_11target_archE4294967295ELNS1_3gpuE0ELNS1_3repE0EEENS1_30default_config_static_selectorELNS0_4arch9wavefront6targetE0EEEvT1_
		.amdhsa_group_segment_fixed_size 0
		.amdhsa_private_segment_fixed_size 0
		.amdhsa_kernarg_size 96
		.amdhsa_user_sgpr_count 2
		.amdhsa_user_sgpr_dispatch_ptr 0
		.amdhsa_user_sgpr_queue_ptr 0
		.amdhsa_user_sgpr_kernarg_segment_ptr 1
		.amdhsa_user_sgpr_dispatch_id 0
		.amdhsa_user_sgpr_private_segment_size 0
		.amdhsa_wavefront_size32 1
		.amdhsa_uses_dynamic_stack 0
		.amdhsa_enable_private_segment 0
		.amdhsa_system_sgpr_workgroup_id_x 1
		.amdhsa_system_sgpr_workgroup_id_y 0
		.amdhsa_system_sgpr_workgroup_id_z 0
		.amdhsa_system_sgpr_workgroup_info 0
		.amdhsa_system_vgpr_workitem_id 0
		.amdhsa_next_free_vgpr 1
		.amdhsa_next_free_sgpr 1
		.amdhsa_reserve_vcc 0
		.amdhsa_float_round_mode_32 0
		.amdhsa_float_round_mode_16_64 0
		.amdhsa_float_denorm_mode_32 3
		.amdhsa_float_denorm_mode_16_64 3
		.amdhsa_fp16_overflow 0
		.amdhsa_workgroup_processor_mode 1
		.amdhsa_memory_ordered 1
		.amdhsa_forward_progress 1
		.amdhsa_inst_pref_size 0
		.amdhsa_round_robin_scheduling 0
		.amdhsa_exception_fp_ieee_invalid_op 0
		.amdhsa_exception_fp_denorm_src 0
		.amdhsa_exception_fp_ieee_div_zero 0
		.amdhsa_exception_fp_ieee_overflow 0
		.amdhsa_exception_fp_ieee_underflow 0
		.amdhsa_exception_fp_ieee_inexact 0
		.amdhsa_exception_int_div_zero 0
	.end_amdhsa_kernel
	.section	.text._ZN7rocprim17ROCPRIM_400000_NS6detail17trampoline_kernelINS0_14default_configENS1_20scan_config_selectorIN3c104HalfEEEZZNS1_9scan_implILNS1_25lookback_scan_determinismE0ELb0ELb0ES3_PKS6_PS6_S6_ZZZN2at6native31launch_logcumsumexp_cuda_kernelERKNSD_10TensorBaseESH_lENKUlvE_clEvENKUlvE3_clEvEUlS6_S6_E_S6_EEDaPvRmT3_T4_T5_mT6_P12ihipStream_tbENKUlT_T0_E_clISt17integral_constantIbLb0EESX_IbLb1EEEEDaST_SU_EUlST_E_NS1_11comp_targetILNS1_3genE0ELNS1_11target_archE4294967295ELNS1_3gpuE0ELNS1_3repE0EEENS1_30default_config_static_selectorELNS0_4arch9wavefront6targetE0EEEvT1_,"axG",@progbits,_ZN7rocprim17ROCPRIM_400000_NS6detail17trampoline_kernelINS0_14default_configENS1_20scan_config_selectorIN3c104HalfEEEZZNS1_9scan_implILNS1_25lookback_scan_determinismE0ELb0ELb0ES3_PKS6_PS6_S6_ZZZN2at6native31launch_logcumsumexp_cuda_kernelERKNSD_10TensorBaseESH_lENKUlvE_clEvENKUlvE3_clEvEUlS6_S6_E_S6_EEDaPvRmT3_T4_T5_mT6_P12ihipStream_tbENKUlT_T0_E_clISt17integral_constantIbLb0EESX_IbLb1EEEEDaST_SU_EUlST_E_NS1_11comp_targetILNS1_3genE0ELNS1_11target_archE4294967295ELNS1_3gpuE0ELNS1_3repE0EEENS1_30default_config_static_selectorELNS0_4arch9wavefront6targetE0EEEvT1_,comdat
.Lfunc_end416:
	.size	_ZN7rocprim17ROCPRIM_400000_NS6detail17trampoline_kernelINS0_14default_configENS1_20scan_config_selectorIN3c104HalfEEEZZNS1_9scan_implILNS1_25lookback_scan_determinismE0ELb0ELb0ES3_PKS6_PS6_S6_ZZZN2at6native31launch_logcumsumexp_cuda_kernelERKNSD_10TensorBaseESH_lENKUlvE_clEvENKUlvE3_clEvEUlS6_S6_E_S6_EEDaPvRmT3_T4_T5_mT6_P12ihipStream_tbENKUlT_T0_E_clISt17integral_constantIbLb0EESX_IbLb1EEEEDaST_SU_EUlST_E_NS1_11comp_targetILNS1_3genE0ELNS1_11target_archE4294967295ELNS1_3gpuE0ELNS1_3repE0EEENS1_30default_config_static_selectorELNS0_4arch9wavefront6targetE0EEEvT1_, .Lfunc_end416-_ZN7rocprim17ROCPRIM_400000_NS6detail17trampoline_kernelINS0_14default_configENS1_20scan_config_selectorIN3c104HalfEEEZZNS1_9scan_implILNS1_25lookback_scan_determinismE0ELb0ELb0ES3_PKS6_PS6_S6_ZZZN2at6native31launch_logcumsumexp_cuda_kernelERKNSD_10TensorBaseESH_lENKUlvE_clEvENKUlvE3_clEvEUlS6_S6_E_S6_EEDaPvRmT3_T4_T5_mT6_P12ihipStream_tbENKUlT_T0_E_clISt17integral_constantIbLb0EESX_IbLb1EEEEDaST_SU_EUlST_E_NS1_11comp_targetILNS1_3genE0ELNS1_11target_archE4294967295ELNS1_3gpuE0ELNS1_3repE0EEENS1_30default_config_static_selectorELNS0_4arch9wavefront6targetE0EEEvT1_
                                        ; -- End function
	.set _ZN7rocprim17ROCPRIM_400000_NS6detail17trampoline_kernelINS0_14default_configENS1_20scan_config_selectorIN3c104HalfEEEZZNS1_9scan_implILNS1_25lookback_scan_determinismE0ELb0ELb0ES3_PKS6_PS6_S6_ZZZN2at6native31launch_logcumsumexp_cuda_kernelERKNSD_10TensorBaseESH_lENKUlvE_clEvENKUlvE3_clEvEUlS6_S6_E_S6_EEDaPvRmT3_T4_T5_mT6_P12ihipStream_tbENKUlT_T0_E_clISt17integral_constantIbLb0EESX_IbLb1EEEEDaST_SU_EUlST_E_NS1_11comp_targetILNS1_3genE0ELNS1_11target_archE4294967295ELNS1_3gpuE0ELNS1_3repE0EEENS1_30default_config_static_selectorELNS0_4arch9wavefront6targetE0EEEvT1_.num_vgpr, 0
	.set _ZN7rocprim17ROCPRIM_400000_NS6detail17trampoline_kernelINS0_14default_configENS1_20scan_config_selectorIN3c104HalfEEEZZNS1_9scan_implILNS1_25lookback_scan_determinismE0ELb0ELb0ES3_PKS6_PS6_S6_ZZZN2at6native31launch_logcumsumexp_cuda_kernelERKNSD_10TensorBaseESH_lENKUlvE_clEvENKUlvE3_clEvEUlS6_S6_E_S6_EEDaPvRmT3_T4_T5_mT6_P12ihipStream_tbENKUlT_T0_E_clISt17integral_constantIbLb0EESX_IbLb1EEEEDaST_SU_EUlST_E_NS1_11comp_targetILNS1_3genE0ELNS1_11target_archE4294967295ELNS1_3gpuE0ELNS1_3repE0EEENS1_30default_config_static_selectorELNS0_4arch9wavefront6targetE0EEEvT1_.num_agpr, 0
	.set _ZN7rocprim17ROCPRIM_400000_NS6detail17trampoline_kernelINS0_14default_configENS1_20scan_config_selectorIN3c104HalfEEEZZNS1_9scan_implILNS1_25lookback_scan_determinismE0ELb0ELb0ES3_PKS6_PS6_S6_ZZZN2at6native31launch_logcumsumexp_cuda_kernelERKNSD_10TensorBaseESH_lENKUlvE_clEvENKUlvE3_clEvEUlS6_S6_E_S6_EEDaPvRmT3_T4_T5_mT6_P12ihipStream_tbENKUlT_T0_E_clISt17integral_constantIbLb0EESX_IbLb1EEEEDaST_SU_EUlST_E_NS1_11comp_targetILNS1_3genE0ELNS1_11target_archE4294967295ELNS1_3gpuE0ELNS1_3repE0EEENS1_30default_config_static_selectorELNS0_4arch9wavefront6targetE0EEEvT1_.numbered_sgpr, 0
	.set _ZN7rocprim17ROCPRIM_400000_NS6detail17trampoline_kernelINS0_14default_configENS1_20scan_config_selectorIN3c104HalfEEEZZNS1_9scan_implILNS1_25lookback_scan_determinismE0ELb0ELb0ES3_PKS6_PS6_S6_ZZZN2at6native31launch_logcumsumexp_cuda_kernelERKNSD_10TensorBaseESH_lENKUlvE_clEvENKUlvE3_clEvEUlS6_S6_E_S6_EEDaPvRmT3_T4_T5_mT6_P12ihipStream_tbENKUlT_T0_E_clISt17integral_constantIbLb0EESX_IbLb1EEEEDaST_SU_EUlST_E_NS1_11comp_targetILNS1_3genE0ELNS1_11target_archE4294967295ELNS1_3gpuE0ELNS1_3repE0EEENS1_30default_config_static_selectorELNS0_4arch9wavefront6targetE0EEEvT1_.num_named_barrier, 0
	.set _ZN7rocprim17ROCPRIM_400000_NS6detail17trampoline_kernelINS0_14default_configENS1_20scan_config_selectorIN3c104HalfEEEZZNS1_9scan_implILNS1_25lookback_scan_determinismE0ELb0ELb0ES3_PKS6_PS6_S6_ZZZN2at6native31launch_logcumsumexp_cuda_kernelERKNSD_10TensorBaseESH_lENKUlvE_clEvENKUlvE3_clEvEUlS6_S6_E_S6_EEDaPvRmT3_T4_T5_mT6_P12ihipStream_tbENKUlT_T0_E_clISt17integral_constantIbLb0EESX_IbLb1EEEEDaST_SU_EUlST_E_NS1_11comp_targetILNS1_3genE0ELNS1_11target_archE4294967295ELNS1_3gpuE0ELNS1_3repE0EEENS1_30default_config_static_selectorELNS0_4arch9wavefront6targetE0EEEvT1_.private_seg_size, 0
	.set _ZN7rocprim17ROCPRIM_400000_NS6detail17trampoline_kernelINS0_14default_configENS1_20scan_config_selectorIN3c104HalfEEEZZNS1_9scan_implILNS1_25lookback_scan_determinismE0ELb0ELb0ES3_PKS6_PS6_S6_ZZZN2at6native31launch_logcumsumexp_cuda_kernelERKNSD_10TensorBaseESH_lENKUlvE_clEvENKUlvE3_clEvEUlS6_S6_E_S6_EEDaPvRmT3_T4_T5_mT6_P12ihipStream_tbENKUlT_T0_E_clISt17integral_constantIbLb0EESX_IbLb1EEEEDaST_SU_EUlST_E_NS1_11comp_targetILNS1_3genE0ELNS1_11target_archE4294967295ELNS1_3gpuE0ELNS1_3repE0EEENS1_30default_config_static_selectorELNS0_4arch9wavefront6targetE0EEEvT1_.uses_vcc, 0
	.set _ZN7rocprim17ROCPRIM_400000_NS6detail17trampoline_kernelINS0_14default_configENS1_20scan_config_selectorIN3c104HalfEEEZZNS1_9scan_implILNS1_25lookback_scan_determinismE0ELb0ELb0ES3_PKS6_PS6_S6_ZZZN2at6native31launch_logcumsumexp_cuda_kernelERKNSD_10TensorBaseESH_lENKUlvE_clEvENKUlvE3_clEvEUlS6_S6_E_S6_EEDaPvRmT3_T4_T5_mT6_P12ihipStream_tbENKUlT_T0_E_clISt17integral_constantIbLb0EESX_IbLb1EEEEDaST_SU_EUlST_E_NS1_11comp_targetILNS1_3genE0ELNS1_11target_archE4294967295ELNS1_3gpuE0ELNS1_3repE0EEENS1_30default_config_static_selectorELNS0_4arch9wavefront6targetE0EEEvT1_.uses_flat_scratch, 0
	.set _ZN7rocprim17ROCPRIM_400000_NS6detail17trampoline_kernelINS0_14default_configENS1_20scan_config_selectorIN3c104HalfEEEZZNS1_9scan_implILNS1_25lookback_scan_determinismE0ELb0ELb0ES3_PKS6_PS6_S6_ZZZN2at6native31launch_logcumsumexp_cuda_kernelERKNSD_10TensorBaseESH_lENKUlvE_clEvENKUlvE3_clEvEUlS6_S6_E_S6_EEDaPvRmT3_T4_T5_mT6_P12ihipStream_tbENKUlT_T0_E_clISt17integral_constantIbLb0EESX_IbLb1EEEEDaST_SU_EUlST_E_NS1_11comp_targetILNS1_3genE0ELNS1_11target_archE4294967295ELNS1_3gpuE0ELNS1_3repE0EEENS1_30default_config_static_selectorELNS0_4arch9wavefront6targetE0EEEvT1_.has_dyn_sized_stack, 0
	.set _ZN7rocprim17ROCPRIM_400000_NS6detail17trampoline_kernelINS0_14default_configENS1_20scan_config_selectorIN3c104HalfEEEZZNS1_9scan_implILNS1_25lookback_scan_determinismE0ELb0ELb0ES3_PKS6_PS6_S6_ZZZN2at6native31launch_logcumsumexp_cuda_kernelERKNSD_10TensorBaseESH_lENKUlvE_clEvENKUlvE3_clEvEUlS6_S6_E_S6_EEDaPvRmT3_T4_T5_mT6_P12ihipStream_tbENKUlT_T0_E_clISt17integral_constantIbLb0EESX_IbLb1EEEEDaST_SU_EUlST_E_NS1_11comp_targetILNS1_3genE0ELNS1_11target_archE4294967295ELNS1_3gpuE0ELNS1_3repE0EEENS1_30default_config_static_selectorELNS0_4arch9wavefront6targetE0EEEvT1_.has_recursion, 0
	.set _ZN7rocprim17ROCPRIM_400000_NS6detail17trampoline_kernelINS0_14default_configENS1_20scan_config_selectorIN3c104HalfEEEZZNS1_9scan_implILNS1_25lookback_scan_determinismE0ELb0ELb0ES3_PKS6_PS6_S6_ZZZN2at6native31launch_logcumsumexp_cuda_kernelERKNSD_10TensorBaseESH_lENKUlvE_clEvENKUlvE3_clEvEUlS6_S6_E_S6_EEDaPvRmT3_T4_T5_mT6_P12ihipStream_tbENKUlT_T0_E_clISt17integral_constantIbLb0EESX_IbLb1EEEEDaST_SU_EUlST_E_NS1_11comp_targetILNS1_3genE0ELNS1_11target_archE4294967295ELNS1_3gpuE0ELNS1_3repE0EEENS1_30default_config_static_selectorELNS0_4arch9wavefront6targetE0EEEvT1_.has_indirect_call, 0
	.section	.AMDGPU.csdata,"",@progbits
; Kernel info:
; codeLenInByte = 0
; TotalNumSgprs: 0
; NumVgprs: 0
; ScratchSize: 0
; MemoryBound: 0
; FloatMode: 240
; IeeeMode: 1
; LDSByteSize: 0 bytes/workgroup (compile time only)
; SGPRBlocks: 0
; VGPRBlocks: 0
; NumSGPRsForWavesPerEU: 1
; NumVGPRsForWavesPerEU: 1
; Occupancy: 16
; WaveLimiterHint : 0
; COMPUTE_PGM_RSRC2:SCRATCH_EN: 0
; COMPUTE_PGM_RSRC2:USER_SGPR: 2
; COMPUTE_PGM_RSRC2:TRAP_HANDLER: 0
; COMPUTE_PGM_RSRC2:TGID_X_EN: 1
; COMPUTE_PGM_RSRC2:TGID_Y_EN: 0
; COMPUTE_PGM_RSRC2:TGID_Z_EN: 0
; COMPUTE_PGM_RSRC2:TIDIG_COMP_CNT: 0
	.section	.text._ZN7rocprim17ROCPRIM_400000_NS6detail17trampoline_kernelINS0_14default_configENS1_20scan_config_selectorIN3c104HalfEEEZZNS1_9scan_implILNS1_25lookback_scan_determinismE0ELb0ELb0ES3_PKS6_PS6_S6_ZZZN2at6native31launch_logcumsumexp_cuda_kernelERKNSD_10TensorBaseESH_lENKUlvE_clEvENKUlvE3_clEvEUlS6_S6_E_S6_EEDaPvRmT3_T4_T5_mT6_P12ihipStream_tbENKUlT_T0_E_clISt17integral_constantIbLb0EESX_IbLb1EEEEDaST_SU_EUlST_E_NS1_11comp_targetILNS1_3genE5ELNS1_11target_archE942ELNS1_3gpuE9ELNS1_3repE0EEENS1_30default_config_static_selectorELNS0_4arch9wavefront6targetE0EEEvT1_,"axG",@progbits,_ZN7rocprim17ROCPRIM_400000_NS6detail17trampoline_kernelINS0_14default_configENS1_20scan_config_selectorIN3c104HalfEEEZZNS1_9scan_implILNS1_25lookback_scan_determinismE0ELb0ELb0ES3_PKS6_PS6_S6_ZZZN2at6native31launch_logcumsumexp_cuda_kernelERKNSD_10TensorBaseESH_lENKUlvE_clEvENKUlvE3_clEvEUlS6_S6_E_S6_EEDaPvRmT3_T4_T5_mT6_P12ihipStream_tbENKUlT_T0_E_clISt17integral_constantIbLb0EESX_IbLb1EEEEDaST_SU_EUlST_E_NS1_11comp_targetILNS1_3genE5ELNS1_11target_archE942ELNS1_3gpuE9ELNS1_3repE0EEENS1_30default_config_static_selectorELNS0_4arch9wavefront6targetE0EEEvT1_,comdat
	.globl	_ZN7rocprim17ROCPRIM_400000_NS6detail17trampoline_kernelINS0_14default_configENS1_20scan_config_selectorIN3c104HalfEEEZZNS1_9scan_implILNS1_25lookback_scan_determinismE0ELb0ELb0ES3_PKS6_PS6_S6_ZZZN2at6native31launch_logcumsumexp_cuda_kernelERKNSD_10TensorBaseESH_lENKUlvE_clEvENKUlvE3_clEvEUlS6_S6_E_S6_EEDaPvRmT3_T4_T5_mT6_P12ihipStream_tbENKUlT_T0_E_clISt17integral_constantIbLb0EESX_IbLb1EEEEDaST_SU_EUlST_E_NS1_11comp_targetILNS1_3genE5ELNS1_11target_archE942ELNS1_3gpuE9ELNS1_3repE0EEENS1_30default_config_static_selectorELNS0_4arch9wavefront6targetE0EEEvT1_ ; -- Begin function _ZN7rocprim17ROCPRIM_400000_NS6detail17trampoline_kernelINS0_14default_configENS1_20scan_config_selectorIN3c104HalfEEEZZNS1_9scan_implILNS1_25lookback_scan_determinismE0ELb0ELb0ES3_PKS6_PS6_S6_ZZZN2at6native31launch_logcumsumexp_cuda_kernelERKNSD_10TensorBaseESH_lENKUlvE_clEvENKUlvE3_clEvEUlS6_S6_E_S6_EEDaPvRmT3_T4_T5_mT6_P12ihipStream_tbENKUlT_T0_E_clISt17integral_constantIbLb0EESX_IbLb1EEEEDaST_SU_EUlST_E_NS1_11comp_targetILNS1_3genE5ELNS1_11target_archE942ELNS1_3gpuE9ELNS1_3repE0EEENS1_30default_config_static_selectorELNS0_4arch9wavefront6targetE0EEEvT1_
	.p2align	8
	.type	_ZN7rocprim17ROCPRIM_400000_NS6detail17trampoline_kernelINS0_14default_configENS1_20scan_config_selectorIN3c104HalfEEEZZNS1_9scan_implILNS1_25lookback_scan_determinismE0ELb0ELb0ES3_PKS6_PS6_S6_ZZZN2at6native31launch_logcumsumexp_cuda_kernelERKNSD_10TensorBaseESH_lENKUlvE_clEvENKUlvE3_clEvEUlS6_S6_E_S6_EEDaPvRmT3_T4_T5_mT6_P12ihipStream_tbENKUlT_T0_E_clISt17integral_constantIbLb0EESX_IbLb1EEEEDaST_SU_EUlST_E_NS1_11comp_targetILNS1_3genE5ELNS1_11target_archE942ELNS1_3gpuE9ELNS1_3repE0EEENS1_30default_config_static_selectorELNS0_4arch9wavefront6targetE0EEEvT1_,@function
_ZN7rocprim17ROCPRIM_400000_NS6detail17trampoline_kernelINS0_14default_configENS1_20scan_config_selectorIN3c104HalfEEEZZNS1_9scan_implILNS1_25lookback_scan_determinismE0ELb0ELb0ES3_PKS6_PS6_S6_ZZZN2at6native31launch_logcumsumexp_cuda_kernelERKNSD_10TensorBaseESH_lENKUlvE_clEvENKUlvE3_clEvEUlS6_S6_E_S6_EEDaPvRmT3_T4_T5_mT6_P12ihipStream_tbENKUlT_T0_E_clISt17integral_constantIbLb0EESX_IbLb1EEEEDaST_SU_EUlST_E_NS1_11comp_targetILNS1_3genE5ELNS1_11target_archE942ELNS1_3gpuE9ELNS1_3repE0EEENS1_30default_config_static_selectorELNS0_4arch9wavefront6targetE0EEEvT1_: ; @_ZN7rocprim17ROCPRIM_400000_NS6detail17trampoline_kernelINS0_14default_configENS1_20scan_config_selectorIN3c104HalfEEEZZNS1_9scan_implILNS1_25lookback_scan_determinismE0ELb0ELb0ES3_PKS6_PS6_S6_ZZZN2at6native31launch_logcumsumexp_cuda_kernelERKNSD_10TensorBaseESH_lENKUlvE_clEvENKUlvE3_clEvEUlS6_S6_E_S6_EEDaPvRmT3_T4_T5_mT6_P12ihipStream_tbENKUlT_T0_E_clISt17integral_constantIbLb0EESX_IbLb1EEEEDaST_SU_EUlST_E_NS1_11comp_targetILNS1_3genE5ELNS1_11target_archE942ELNS1_3gpuE9ELNS1_3repE0EEENS1_30default_config_static_selectorELNS0_4arch9wavefront6targetE0EEEvT1_
; %bb.0:
	.section	.rodata,"a",@progbits
	.p2align	6, 0x0
	.amdhsa_kernel _ZN7rocprim17ROCPRIM_400000_NS6detail17trampoline_kernelINS0_14default_configENS1_20scan_config_selectorIN3c104HalfEEEZZNS1_9scan_implILNS1_25lookback_scan_determinismE0ELb0ELb0ES3_PKS6_PS6_S6_ZZZN2at6native31launch_logcumsumexp_cuda_kernelERKNSD_10TensorBaseESH_lENKUlvE_clEvENKUlvE3_clEvEUlS6_S6_E_S6_EEDaPvRmT3_T4_T5_mT6_P12ihipStream_tbENKUlT_T0_E_clISt17integral_constantIbLb0EESX_IbLb1EEEEDaST_SU_EUlST_E_NS1_11comp_targetILNS1_3genE5ELNS1_11target_archE942ELNS1_3gpuE9ELNS1_3repE0EEENS1_30default_config_static_selectorELNS0_4arch9wavefront6targetE0EEEvT1_
		.amdhsa_group_segment_fixed_size 0
		.amdhsa_private_segment_fixed_size 0
		.amdhsa_kernarg_size 96
		.amdhsa_user_sgpr_count 2
		.amdhsa_user_sgpr_dispatch_ptr 0
		.amdhsa_user_sgpr_queue_ptr 0
		.amdhsa_user_sgpr_kernarg_segment_ptr 1
		.amdhsa_user_sgpr_dispatch_id 0
		.amdhsa_user_sgpr_private_segment_size 0
		.amdhsa_wavefront_size32 1
		.amdhsa_uses_dynamic_stack 0
		.amdhsa_enable_private_segment 0
		.amdhsa_system_sgpr_workgroup_id_x 1
		.amdhsa_system_sgpr_workgroup_id_y 0
		.amdhsa_system_sgpr_workgroup_id_z 0
		.amdhsa_system_sgpr_workgroup_info 0
		.amdhsa_system_vgpr_workitem_id 0
		.amdhsa_next_free_vgpr 1
		.amdhsa_next_free_sgpr 1
		.amdhsa_reserve_vcc 0
		.amdhsa_float_round_mode_32 0
		.amdhsa_float_round_mode_16_64 0
		.amdhsa_float_denorm_mode_32 3
		.amdhsa_float_denorm_mode_16_64 3
		.amdhsa_fp16_overflow 0
		.amdhsa_workgroup_processor_mode 1
		.amdhsa_memory_ordered 1
		.amdhsa_forward_progress 1
		.amdhsa_inst_pref_size 0
		.amdhsa_round_robin_scheduling 0
		.amdhsa_exception_fp_ieee_invalid_op 0
		.amdhsa_exception_fp_denorm_src 0
		.amdhsa_exception_fp_ieee_div_zero 0
		.amdhsa_exception_fp_ieee_overflow 0
		.amdhsa_exception_fp_ieee_underflow 0
		.amdhsa_exception_fp_ieee_inexact 0
		.amdhsa_exception_int_div_zero 0
	.end_amdhsa_kernel
	.section	.text._ZN7rocprim17ROCPRIM_400000_NS6detail17trampoline_kernelINS0_14default_configENS1_20scan_config_selectorIN3c104HalfEEEZZNS1_9scan_implILNS1_25lookback_scan_determinismE0ELb0ELb0ES3_PKS6_PS6_S6_ZZZN2at6native31launch_logcumsumexp_cuda_kernelERKNSD_10TensorBaseESH_lENKUlvE_clEvENKUlvE3_clEvEUlS6_S6_E_S6_EEDaPvRmT3_T4_T5_mT6_P12ihipStream_tbENKUlT_T0_E_clISt17integral_constantIbLb0EESX_IbLb1EEEEDaST_SU_EUlST_E_NS1_11comp_targetILNS1_3genE5ELNS1_11target_archE942ELNS1_3gpuE9ELNS1_3repE0EEENS1_30default_config_static_selectorELNS0_4arch9wavefront6targetE0EEEvT1_,"axG",@progbits,_ZN7rocprim17ROCPRIM_400000_NS6detail17trampoline_kernelINS0_14default_configENS1_20scan_config_selectorIN3c104HalfEEEZZNS1_9scan_implILNS1_25lookback_scan_determinismE0ELb0ELb0ES3_PKS6_PS6_S6_ZZZN2at6native31launch_logcumsumexp_cuda_kernelERKNSD_10TensorBaseESH_lENKUlvE_clEvENKUlvE3_clEvEUlS6_S6_E_S6_EEDaPvRmT3_T4_T5_mT6_P12ihipStream_tbENKUlT_T0_E_clISt17integral_constantIbLb0EESX_IbLb1EEEEDaST_SU_EUlST_E_NS1_11comp_targetILNS1_3genE5ELNS1_11target_archE942ELNS1_3gpuE9ELNS1_3repE0EEENS1_30default_config_static_selectorELNS0_4arch9wavefront6targetE0EEEvT1_,comdat
.Lfunc_end417:
	.size	_ZN7rocprim17ROCPRIM_400000_NS6detail17trampoline_kernelINS0_14default_configENS1_20scan_config_selectorIN3c104HalfEEEZZNS1_9scan_implILNS1_25lookback_scan_determinismE0ELb0ELb0ES3_PKS6_PS6_S6_ZZZN2at6native31launch_logcumsumexp_cuda_kernelERKNSD_10TensorBaseESH_lENKUlvE_clEvENKUlvE3_clEvEUlS6_S6_E_S6_EEDaPvRmT3_T4_T5_mT6_P12ihipStream_tbENKUlT_T0_E_clISt17integral_constantIbLb0EESX_IbLb1EEEEDaST_SU_EUlST_E_NS1_11comp_targetILNS1_3genE5ELNS1_11target_archE942ELNS1_3gpuE9ELNS1_3repE0EEENS1_30default_config_static_selectorELNS0_4arch9wavefront6targetE0EEEvT1_, .Lfunc_end417-_ZN7rocprim17ROCPRIM_400000_NS6detail17trampoline_kernelINS0_14default_configENS1_20scan_config_selectorIN3c104HalfEEEZZNS1_9scan_implILNS1_25lookback_scan_determinismE0ELb0ELb0ES3_PKS6_PS6_S6_ZZZN2at6native31launch_logcumsumexp_cuda_kernelERKNSD_10TensorBaseESH_lENKUlvE_clEvENKUlvE3_clEvEUlS6_S6_E_S6_EEDaPvRmT3_T4_T5_mT6_P12ihipStream_tbENKUlT_T0_E_clISt17integral_constantIbLb0EESX_IbLb1EEEEDaST_SU_EUlST_E_NS1_11comp_targetILNS1_3genE5ELNS1_11target_archE942ELNS1_3gpuE9ELNS1_3repE0EEENS1_30default_config_static_selectorELNS0_4arch9wavefront6targetE0EEEvT1_
                                        ; -- End function
	.set _ZN7rocprim17ROCPRIM_400000_NS6detail17trampoline_kernelINS0_14default_configENS1_20scan_config_selectorIN3c104HalfEEEZZNS1_9scan_implILNS1_25lookback_scan_determinismE0ELb0ELb0ES3_PKS6_PS6_S6_ZZZN2at6native31launch_logcumsumexp_cuda_kernelERKNSD_10TensorBaseESH_lENKUlvE_clEvENKUlvE3_clEvEUlS6_S6_E_S6_EEDaPvRmT3_T4_T5_mT6_P12ihipStream_tbENKUlT_T0_E_clISt17integral_constantIbLb0EESX_IbLb1EEEEDaST_SU_EUlST_E_NS1_11comp_targetILNS1_3genE5ELNS1_11target_archE942ELNS1_3gpuE9ELNS1_3repE0EEENS1_30default_config_static_selectorELNS0_4arch9wavefront6targetE0EEEvT1_.num_vgpr, 0
	.set _ZN7rocprim17ROCPRIM_400000_NS6detail17trampoline_kernelINS0_14default_configENS1_20scan_config_selectorIN3c104HalfEEEZZNS1_9scan_implILNS1_25lookback_scan_determinismE0ELb0ELb0ES3_PKS6_PS6_S6_ZZZN2at6native31launch_logcumsumexp_cuda_kernelERKNSD_10TensorBaseESH_lENKUlvE_clEvENKUlvE3_clEvEUlS6_S6_E_S6_EEDaPvRmT3_T4_T5_mT6_P12ihipStream_tbENKUlT_T0_E_clISt17integral_constantIbLb0EESX_IbLb1EEEEDaST_SU_EUlST_E_NS1_11comp_targetILNS1_3genE5ELNS1_11target_archE942ELNS1_3gpuE9ELNS1_3repE0EEENS1_30default_config_static_selectorELNS0_4arch9wavefront6targetE0EEEvT1_.num_agpr, 0
	.set _ZN7rocprim17ROCPRIM_400000_NS6detail17trampoline_kernelINS0_14default_configENS1_20scan_config_selectorIN3c104HalfEEEZZNS1_9scan_implILNS1_25lookback_scan_determinismE0ELb0ELb0ES3_PKS6_PS6_S6_ZZZN2at6native31launch_logcumsumexp_cuda_kernelERKNSD_10TensorBaseESH_lENKUlvE_clEvENKUlvE3_clEvEUlS6_S6_E_S6_EEDaPvRmT3_T4_T5_mT6_P12ihipStream_tbENKUlT_T0_E_clISt17integral_constantIbLb0EESX_IbLb1EEEEDaST_SU_EUlST_E_NS1_11comp_targetILNS1_3genE5ELNS1_11target_archE942ELNS1_3gpuE9ELNS1_3repE0EEENS1_30default_config_static_selectorELNS0_4arch9wavefront6targetE0EEEvT1_.numbered_sgpr, 0
	.set _ZN7rocprim17ROCPRIM_400000_NS6detail17trampoline_kernelINS0_14default_configENS1_20scan_config_selectorIN3c104HalfEEEZZNS1_9scan_implILNS1_25lookback_scan_determinismE0ELb0ELb0ES3_PKS6_PS6_S6_ZZZN2at6native31launch_logcumsumexp_cuda_kernelERKNSD_10TensorBaseESH_lENKUlvE_clEvENKUlvE3_clEvEUlS6_S6_E_S6_EEDaPvRmT3_T4_T5_mT6_P12ihipStream_tbENKUlT_T0_E_clISt17integral_constantIbLb0EESX_IbLb1EEEEDaST_SU_EUlST_E_NS1_11comp_targetILNS1_3genE5ELNS1_11target_archE942ELNS1_3gpuE9ELNS1_3repE0EEENS1_30default_config_static_selectorELNS0_4arch9wavefront6targetE0EEEvT1_.num_named_barrier, 0
	.set _ZN7rocprim17ROCPRIM_400000_NS6detail17trampoline_kernelINS0_14default_configENS1_20scan_config_selectorIN3c104HalfEEEZZNS1_9scan_implILNS1_25lookback_scan_determinismE0ELb0ELb0ES3_PKS6_PS6_S6_ZZZN2at6native31launch_logcumsumexp_cuda_kernelERKNSD_10TensorBaseESH_lENKUlvE_clEvENKUlvE3_clEvEUlS6_S6_E_S6_EEDaPvRmT3_T4_T5_mT6_P12ihipStream_tbENKUlT_T0_E_clISt17integral_constantIbLb0EESX_IbLb1EEEEDaST_SU_EUlST_E_NS1_11comp_targetILNS1_3genE5ELNS1_11target_archE942ELNS1_3gpuE9ELNS1_3repE0EEENS1_30default_config_static_selectorELNS0_4arch9wavefront6targetE0EEEvT1_.private_seg_size, 0
	.set _ZN7rocprim17ROCPRIM_400000_NS6detail17trampoline_kernelINS0_14default_configENS1_20scan_config_selectorIN3c104HalfEEEZZNS1_9scan_implILNS1_25lookback_scan_determinismE0ELb0ELb0ES3_PKS6_PS6_S6_ZZZN2at6native31launch_logcumsumexp_cuda_kernelERKNSD_10TensorBaseESH_lENKUlvE_clEvENKUlvE3_clEvEUlS6_S6_E_S6_EEDaPvRmT3_T4_T5_mT6_P12ihipStream_tbENKUlT_T0_E_clISt17integral_constantIbLb0EESX_IbLb1EEEEDaST_SU_EUlST_E_NS1_11comp_targetILNS1_3genE5ELNS1_11target_archE942ELNS1_3gpuE9ELNS1_3repE0EEENS1_30default_config_static_selectorELNS0_4arch9wavefront6targetE0EEEvT1_.uses_vcc, 0
	.set _ZN7rocprim17ROCPRIM_400000_NS6detail17trampoline_kernelINS0_14default_configENS1_20scan_config_selectorIN3c104HalfEEEZZNS1_9scan_implILNS1_25lookback_scan_determinismE0ELb0ELb0ES3_PKS6_PS6_S6_ZZZN2at6native31launch_logcumsumexp_cuda_kernelERKNSD_10TensorBaseESH_lENKUlvE_clEvENKUlvE3_clEvEUlS6_S6_E_S6_EEDaPvRmT3_T4_T5_mT6_P12ihipStream_tbENKUlT_T0_E_clISt17integral_constantIbLb0EESX_IbLb1EEEEDaST_SU_EUlST_E_NS1_11comp_targetILNS1_3genE5ELNS1_11target_archE942ELNS1_3gpuE9ELNS1_3repE0EEENS1_30default_config_static_selectorELNS0_4arch9wavefront6targetE0EEEvT1_.uses_flat_scratch, 0
	.set _ZN7rocprim17ROCPRIM_400000_NS6detail17trampoline_kernelINS0_14default_configENS1_20scan_config_selectorIN3c104HalfEEEZZNS1_9scan_implILNS1_25lookback_scan_determinismE0ELb0ELb0ES3_PKS6_PS6_S6_ZZZN2at6native31launch_logcumsumexp_cuda_kernelERKNSD_10TensorBaseESH_lENKUlvE_clEvENKUlvE3_clEvEUlS6_S6_E_S6_EEDaPvRmT3_T4_T5_mT6_P12ihipStream_tbENKUlT_T0_E_clISt17integral_constantIbLb0EESX_IbLb1EEEEDaST_SU_EUlST_E_NS1_11comp_targetILNS1_3genE5ELNS1_11target_archE942ELNS1_3gpuE9ELNS1_3repE0EEENS1_30default_config_static_selectorELNS0_4arch9wavefront6targetE0EEEvT1_.has_dyn_sized_stack, 0
	.set _ZN7rocprim17ROCPRIM_400000_NS6detail17trampoline_kernelINS0_14default_configENS1_20scan_config_selectorIN3c104HalfEEEZZNS1_9scan_implILNS1_25lookback_scan_determinismE0ELb0ELb0ES3_PKS6_PS6_S6_ZZZN2at6native31launch_logcumsumexp_cuda_kernelERKNSD_10TensorBaseESH_lENKUlvE_clEvENKUlvE3_clEvEUlS6_S6_E_S6_EEDaPvRmT3_T4_T5_mT6_P12ihipStream_tbENKUlT_T0_E_clISt17integral_constantIbLb0EESX_IbLb1EEEEDaST_SU_EUlST_E_NS1_11comp_targetILNS1_3genE5ELNS1_11target_archE942ELNS1_3gpuE9ELNS1_3repE0EEENS1_30default_config_static_selectorELNS0_4arch9wavefront6targetE0EEEvT1_.has_recursion, 0
	.set _ZN7rocprim17ROCPRIM_400000_NS6detail17trampoline_kernelINS0_14default_configENS1_20scan_config_selectorIN3c104HalfEEEZZNS1_9scan_implILNS1_25lookback_scan_determinismE0ELb0ELb0ES3_PKS6_PS6_S6_ZZZN2at6native31launch_logcumsumexp_cuda_kernelERKNSD_10TensorBaseESH_lENKUlvE_clEvENKUlvE3_clEvEUlS6_S6_E_S6_EEDaPvRmT3_T4_T5_mT6_P12ihipStream_tbENKUlT_T0_E_clISt17integral_constantIbLb0EESX_IbLb1EEEEDaST_SU_EUlST_E_NS1_11comp_targetILNS1_3genE5ELNS1_11target_archE942ELNS1_3gpuE9ELNS1_3repE0EEENS1_30default_config_static_selectorELNS0_4arch9wavefront6targetE0EEEvT1_.has_indirect_call, 0
	.section	.AMDGPU.csdata,"",@progbits
; Kernel info:
; codeLenInByte = 0
; TotalNumSgprs: 0
; NumVgprs: 0
; ScratchSize: 0
; MemoryBound: 0
; FloatMode: 240
; IeeeMode: 1
; LDSByteSize: 0 bytes/workgroup (compile time only)
; SGPRBlocks: 0
; VGPRBlocks: 0
; NumSGPRsForWavesPerEU: 1
; NumVGPRsForWavesPerEU: 1
; Occupancy: 16
; WaveLimiterHint : 0
; COMPUTE_PGM_RSRC2:SCRATCH_EN: 0
; COMPUTE_PGM_RSRC2:USER_SGPR: 2
; COMPUTE_PGM_RSRC2:TRAP_HANDLER: 0
; COMPUTE_PGM_RSRC2:TGID_X_EN: 1
; COMPUTE_PGM_RSRC2:TGID_Y_EN: 0
; COMPUTE_PGM_RSRC2:TGID_Z_EN: 0
; COMPUTE_PGM_RSRC2:TIDIG_COMP_CNT: 0
	.section	.text._ZN7rocprim17ROCPRIM_400000_NS6detail17trampoline_kernelINS0_14default_configENS1_20scan_config_selectorIN3c104HalfEEEZZNS1_9scan_implILNS1_25lookback_scan_determinismE0ELb0ELb0ES3_PKS6_PS6_S6_ZZZN2at6native31launch_logcumsumexp_cuda_kernelERKNSD_10TensorBaseESH_lENKUlvE_clEvENKUlvE3_clEvEUlS6_S6_E_S6_EEDaPvRmT3_T4_T5_mT6_P12ihipStream_tbENKUlT_T0_E_clISt17integral_constantIbLb0EESX_IbLb1EEEEDaST_SU_EUlST_E_NS1_11comp_targetILNS1_3genE4ELNS1_11target_archE910ELNS1_3gpuE8ELNS1_3repE0EEENS1_30default_config_static_selectorELNS0_4arch9wavefront6targetE0EEEvT1_,"axG",@progbits,_ZN7rocprim17ROCPRIM_400000_NS6detail17trampoline_kernelINS0_14default_configENS1_20scan_config_selectorIN3c104HalfEEEZZNS1_9scan_implILNS1_25lookback_scan_determinismE0ELb0ELb0ES3_PKS6_PS6_S6_ZZZN2at6native31launch_logcumsumexp_cuda_kernelERKNSD_10TensorBaseESH_lENKUlvE_clEvENKUlvE3_clEvEUlS6_S6_E_S6_EEDaPvRmT3_T4_T5_mT6_P12ihipStream_tbENKUlT_T0_E_clISt17integral_constantIbLb0EESX_IbLb1EEEEDaST_SU_EUlST_E_NS1_11comp_targetILNS1_3genE4ELNS1_11target_archE910ELNS1_3gpuE8ELNS1_3repE0EEENS1_30default_config_static_selectorELNS0_4arch9wavefront6targetE0EEEvT1_,comdat
	.globl	_ZN7rocprim17ROCPRIM_400000_NS6detail17trampoline_kernelINS0_14default_configENS1_20scan_config_selectorIN3c104HalfEEEZZNS1_9scan_implILNS1_25lookback_scan_determinismE0ELb0ELb0ES3_PKS6_PS6_S6_ZZZN2at6native31launch_logcumsumexp_cuda_kernelERKNSD_10TensorBaseESH_lENKUlvE_clEvENKUlvE3_clEvEUlS6_S6_E_S6_EEDaPvRmT3_T4_T5_mT6_P12ihipStream_tbENKUlT_T0_E_clISt17integral_constantIbLb0EESX_IbLb1EEEEDaST_SU_EUlST_E_NS1_11comp_targetILNS1_3genE4ELNS1_11target_archE910ELNS1_3gpuE8ELNS1_3repE0EEENS1_30default_config_static_selectorELNS0_4arch9wavefront6targetE0EEEvT1_ ; -- Begin function _ZN7rocprim17ROCPRIM_400000_NS6detail17trampoline_kernelINS0_14default_configENS1_20scan_config_selectorIN3c104HalfEEEZZNS1_9scan_implILNS1_25lookback_scan_determinismE0ELb0ELb0ES3_PKS6_PS6_S6_ZZZN2at6native31launch_logcumsumexp_cuda_kernelERKNSD_10TensorBaseESH_lENKUlvE_clEvENKUlvE3_clEvEUlS6_S6_E_S6_EEDaPvRmT3_T4_T5_mT6_P12ihipStream_tbENKUlT_T0_E_clISt17integral_constantIbLb0EESX_IbLb1EEEEDaST_SU_EUlST_E_NS1_11comp_targetILNS1_3genE4ELNS1_11target_archE910ELNS1_3gpuE8ELNS1_3repE0EEENS1_30default_config_static_selectorELNS0_4arch9wavefront6targetE0EEEvT1_
	.p2align	8
	.type	_ZN7rocprim17ROCPRIM_400000_NS6detail17trampoline_kernelINS0_14default_configENS1_20scan_config_selectorIN3c104HalfEEEZZNS1_9scan_implILNS1_25lookback_scan_determinismE0ELb0ELb0ES3_PKS6_PS6_S6_ZZZN2at6native31launch_logcumsumexp_cuda_kernelERKNSD_10TensorBaseESH_lENKUlvE_clEvENKUlvE3_clEvEUlS6_S6_E_S6_EEDaPvRmT3_T4_T5_mT6_P12ihipStream_tbENKUlT_T0_E_clISt17integral_constantIbLb0EESX_IbLb1EEEEDaST_SU_EUlST_E_NS1_11comp_targetILNS1_3genE4ELNS1_11target_archE910ELNS1_3gpuE8ELNS1_3repE0EEENS1_30default_config_static_selectorELNS0_4arch9wavefront6targetE0EEEvT1_,@function
_ZN7rocprim17ROCPRIM_400000_NS6detail17trampoline_kernelINS0_14default_configENS1_20scan_config_selectorIN3c104HalfEEEZZNS1_9scan_implILNS1_25lookback_scan_determinismE0ELb0ELb0ES3_PKS6_PS6_S6_ZZZN2at6native31launch_logcumsumexp_cuda_kernelERKNSD_10TensorBaseESH_lENKUlvE_clEvENKUlvE3_clEvEUlS6_S6_E_S6_EEDaPvRmT3_T4_T5_mT6_P12ihipStream_tbENKUlT_T0_E_clISt17integral_constantIbLb0EESX_IbLb1EEEEDaST_SU_EUlST_E_NS1_11comp_targetILNS1_3genE4ELNS1_11target_archE910ELNS1_3gpuE8ELNS1_3repE0EEENS1_30default_config_static_selectorELNS0_4arch9wavefront6targetE0EEEvT1_: ; @_ZN7rocprim17ROCPRIM_400000_NS6detail17trampoline_kernelINS0_14default_configENS1_20scan_config_selectorIN3c104HalfEEEZZNS1_9scan_implILNS1_25lookback_scan_determinismE0ELb0ELb0ES3_PKS6_PS6_S6_ZZZN2at6native31launch_logcumsumexp_cuda_kernelERKNSD_10TensorBaseESH_lENKUlvE_clEvENKUlvE3_clEvEUlS6_S6_E_S6_EEDaPvRmT3_T4_T5_mT6_P12ihipStream_tbENKUlT_T0_E_clISt17integral_constantIbLb0EESX_IbLb1EEEEDaST_SU_EUlST_E_NS1_11comp_targetILNS1_3genE4ELNS1_11target_archE910ELNS1_3gpuE8ELNS1_3repE0EEENS1_30default_config_static_selectorELNS0_4arch9wavefront6targetE0EEEvT1_
; %bb.0:
	.section	.rodata,"a",@progbits
	.p2align	6, 0x0
	.amdhsa_kernel _ZN7rocprim17ROCPRIM_400000_NS6detail17trampoline_kernelINS0_14default_configENS1_20scan_config_selectorIN3c104HalfEEEZZNS1_9scan_implILNS1_25lookback_scan_determinismE0ELb0ELb0ES3_PKS6_PS6_S6_ZZZN2at6native31launch_logcumsumexp_cuda_kernelERKNSD_10TensorBaseESH_lENKUlvE_clEvENKUlvE3_clEvEUlS6_S6_E_S6_EEDaPvRmT3_T4_T5_mT6_P12ihipStream_tbENKUlT_T0_E_clISt17integral_constantIbLb0EESX_IbLb1EEEEDaST_SU_EUlST_E_NS1_11comp_targetILNS1_3genE4ELNS1_11target_archE910ELNS1_3gpuE8ELNS1_3repE0EEENS1_30default_config_static_selectorELNS0_4arch9wavefront6targetE0EEEvT1_
		.amdhsa_group_segment_fixed_size 0
		.amdhsa_private_segment_fixed_size 0
		.amdhsa_kernarg_size 96
		.amdhsa_user_sgpr_count 2
		.amdhsa_user_sgpr_dispatch_ptr 0
		.amdhsa_user_sgpr_queue_ptr 0
		.amdhsa_user_sgpr_kernarg_segment_ptr 1
		.amdhsa_user_sgpr_dispatch_id 0
		.amdhsa_user_sgpr_private_segment_size 0
		.amdhsa_wavefront_size32 1
		.amdhsa_uses_dynamic_stack 0
		.amdhsa_enable_private_segment 0
		.amdhsa_system_sgpr_workgroup_id_x 1
		.amdhsa_system_sgpr_workgroup_id_y 0
		.amdhsa_system_sgpr_workgroup_id_z 0
		.amdhsa_system_sgpr_workgroup_info 0
		.amdhsa_system_vgpr_workitem_id 0
		.amdhsa_next_free_vgpr 1
		.amdhsa_next_free_sgpr 1
		.amdhsa_reserve_vcc 0
		.amdhsa_float_round_mode_32 0
		.amdhsa_float_round_mode_16_64 0
		.amdhsa_float_denorm_mode_32 3
		.amdhsa_float_denorm_mode_16_64 3
		.amdhsa_fp16_overflow 0
		.amdhsa_workgroup_processor_mode 1
		.amdhsa_memory_ordered 1
		.amdhsa_forward_progress 1
		.amdhsa_inst_pref_size 0
		.amdhsa_round_robin_scheduling 0
		.amdhsa_exception_fp_ieee_invalid_op 0
		.amdhsa_exception_fp_denorm_src 0
		.amdhsa_exception_fp_ieee_div_zero 0
		.amdhsa_exception_fp_ieee_overflow 0
		.amdhsa_exception_fp_ieee_underflow 0
		.amdhsa_exception_fp_ieee_inexact 0
		.amdhsa_exception_int_div_zero 0
	.end_amdhsa_kernel
	.section	.text._ZN7rocprim17ROCPRIM_400000_NS6detail17trampoline_kernelINS0_14default_configENS1_20scan_config_selectorIN3c104HalfEEEZZNS1_9scan_implILNS1_25lookback_scan_determinismE0ELb0ELb0ES3_PKS6_PS6_S6_ZZZN2at6native31launch_logcumsumexp_cuda_kernelERKNSD_10TensorBaseESH_lENKUlvE_clEvENKUlvE3_clEvEUlS6_S6_E_S6_EEDaPvRmT3_T4_T5_mT6_P12ihipStream_tbENKUlT_T0_E_clISt17integral_constantIbLb0EESX_IbLb1EEEEDaST_SU_EUlST_E_NS1_11comp_targetILNS1_3genE4ELNS1_11target_archE910ELNS1_3gpuE8ELNS1_3repE0EEENS1_30default_config_static_selectorELNS0_4arch9wavefront6targetE0EEEvT1_,"axG",@progbits,_ZN7rocprim17ROCPRIM_400000_NS6detail17trampoline_kernelINS0_14default_configENS1_20scan_config_selectorIN3c104HalfEEEZZNS1_9scan_implILNS1_25lookback_scan_determinismE0ELb0ELb0ES3_PKS6_PS6_S6_ZZZN2at6native31launch_logcumsumexp_cuda_kernelERKNSD_10TensorBaseESH_lENKUlvE_clEvENKUlvE3_clEvEUlS6_S6_E_S6_EEDaPvRmT3_T4_T5_mT6_P12ihipStream_tbENKUlT_T0_E_clISt17integral_constantIbLb0EESX_IbLb1EEEEDaST_SU_EUlST_E_NS1_11comp_targetILNS1_3genE4ELNS1_11target_archE910ELNS1_3gpuE8ELNS1_3repE0EEENS1_30default_config_static_selectorELNS0_4arch9wavefront6targetE0EEEvT1_,comdat
.Lfunc_end418:
	.size	_ZN7rocprim17ROCPRIM_400000_NS6detail17trampoline_kernelINS0_14default_configENS1_20scan_config_selectorIN3c104HalfEEEZZNS1_9scan_implILNS1_25lookback_scan_determinismE0ELb0ELb0ES3_PKS6_PS6_S6_ZZZN2at6native31launch_logcumsumexp_cuda_kernelERKNSD_10TensorBaseESH_lENKUlvE_clEvENKUlvE3_clEvEUlS6_S6_E_S6_EEDaPvRmT3_T4_T5_mT6_P12ihipStream_tbENKUlT_T0_E_clISt17integral_constantIbLb0EESX_IbLb1EEEEDaST_SU_EUlST_E_NS1_11comp_targetILNS1_3genE4ELNS1_11target_archE910ELNS1_3gpuE8ELNS1_3repE0EEENS1_30default_config_static_selectorELNS0_4arch9wavefront6targetE0EEEvT1_, .Lfunc_end418-_ZN7rocprim17ROCPRIM_400000_NS6detail17trampoline_kernelINS0_14default_configENS1_20scan_config_selectorIN3c104HalfEEEZZNS1_9scan_implILNS1_25lookback_scan_determinismE0ELb0ELb0ES3_PKS6_PS6_S6_ZZZN2at6native31launch_logcumsumexp_cuda_kernelERKNSD_10TensorBaseESH_lENKUlvE_clEvENKUlvE3_clEvEUlS6_S6_E_S6_EEDaPvRmT3_T4_T5_mT6_P12ihipStream_tbENKUlT_T0_E_clISt17integral_constantIbLb0EESX_IbLb1EEEEDaST_SU_EUlST_E_NS1_11comp_targetILNS1_3genE4ELNS1_11target_archE910ELNS1_3gpuE8ELNS1_3repE0EEENS1_30default_config_static_selectorELNS0_4arch9wavefront6targetE0EEEvT1_
                                        ; -- End function
	.set _ZN7rocprim17ROCPRIM_400000_NS6detail17trampoline_kernelINS0_14default_configENS1_20scan_config_selectorIN3c104HalfEEEZZNS1_9scan_implILNS1_25lookback_scan_determinismE0ELb0ELb0ES3_PKS6_PS6_S6_ZZZN2at6native31launch_logcumsumexp_cuda_kernelERKNSD_10TensorBaseESH_lENKUlvE_clEvENKUlvE3_clEvEUlS6_S6_E_S6_EEDaPvRmT3_T4_T5_mT6_P12ihipStream_tbENKUlT_T0_E_clISt17integral_constantIbLb0EESX_IbLb1EEEEDaST_SU_EUlST_E_NS1_11comp_targetILNS1_3genE4ELNS1_11target_archE910ELNS1_3gpuE8ELNS1_3repE0EEENS1_30default_config_static_selectorELNS0_4arch9wavefront6targetE0EEEvT1_.num_vgpr, 0
	.set _ZN7rocprim17ROCPRIM_400000_NS6detail17trampoline_kernelINS0_14default_configENS1_20scan_config_selectorIN3c104HalfEEEZZNS1_9scan_implILNS1_25lookback_scan_determinismE0ELb0ELb0ES3_PKS6_PS6_S6_ZZZN2at6native31launch_logcumsumexp_cuda_kernelERKNSD_10TensorBaseESH_lENKUlvE_clEvENKUlvE3_clEvEUlS6_S6_E_S6_EEDaPvRmT3_T4_T5_mT6_P12ihipStream_tbENKUlT_T0_E_clISt17integral_constantIbLb0EESX_IbLb1EEEEDaST_SU_EUlST_E_NS1_11comp_targetILNS1_3genE4ELNS1_11target_archE910ELNS1_3gpuE8ELNS1_3repE0EEENS1_30default_config_static_selectorELNS0_4arch9wavefront6targetE0EEEvT1_.num_agpr, 0
	.set _ZN7rocprim17ROCPRIM_400000_NS6detail17trampoline_kernelINS0_14default_configENS1_20scan_config_selectorIN3c104HalfEEEZZNS1_9scan_implILNS1_25lookback_scan_determinismE0ELb0ELb0ES3_PKS6_PS6_S6_ZZZN2at6native31launch_logcumsumexp_cuda_kernelERKNSD_10TensorBaseESH_lENKUlvE_clEvENKUlvE3_clEvEUlS6_S6_E_S6_EEDaPvRmT3_T4_T5_mT6_P12ihipStream_tbENKUlT_T0_E_clISt17integral_constantIbLb0EESX_IbLb1EEEEDaST_SU_EUlST_E_NS1_11comp_targetILNS1_3genE4ELNS1_11target_archE910ELNS1_3gpuE8ELNS1_3repE0EEENS1_30default_config_static_selectorELNS0_4arch9wavefront6targetE0EEEvT1_.numbered_sgpr, 0
	.set _ZN7rocprim17ROCPRIM_400000_NS6detail17trampoline_kernelINS0_14default_configENS1_20scan_config_selectorIN3c104HalfEEEZZNS1_9scan_implILNS1_25lookback_scan_determinismE0ELb0ELb0ES3_PKS6_PS6_S6_ZZZN2at6native31launch_logcumsumexp_cuda_kernelERKNSD_10TensorBaseESH_lENKUlvE_clEvENKUlvE3_clEvEUlS6_S6_E_S6_EEDaPvRmT3_T4_T5_mT6_P12ihipStream_tbENKUlT_T0_E_clISt17integral_constantIbLb0EESX_IbLb1EEEEDaST_SU_EUlST_E_NS1_11comp_targetILNS1_3genE4ELNS1_11target_archE910ELNS1_3gpuE8ELNS1_3repE0EEENS1_30default_config_static_selectorELNS0_4arch9wavefront6targetE0EEEvT1_.num_named_barrier, 0
	.set _ZN7rocprim17ROCPRIM_400000_NS6detail17trampoline_kernelINS0_14default_configENS1_20scan_config_selectorIN3c104HalfEEEZZNS1_9scan_implILNS1_25lookback_scan_determinismE0ELb0ELb0ES3_PKS6_PS6_S6_ZZZN2at6native31launch_logcumsumexp_cuda_kernelERKNSD_10TensorBaseESH_lENKUlvE_clEvENKUlvE3_clEvEUlS6_S6_E_S6_EEDaPvRmT3_T4_T5_mT6_P12ihipStream_tbENKUlT_T0_E_clISt17integral_constantIbLb0EESX_IbLb1EEEEDaST_SU_EUlST_E_NS1_11comp_targetILNS1_3genE4ELNS1_11target_archE910ELNS1_3gpuE8ELNS1_3repE0EEENS1_30default_config_static_selectorELNS0_4arch9wavefront6targetE0EEEvT1_.private_seg_size, 0
	.set _ZN7rocprim17ROCPRIM_400000_NS6detail17trampoline_kernelINS0_14default_configENS1_20scan_config_selectorIN3c104HalfEEEZZNS1_9scan_implILNS1_25lookback_scan_determinismE0ELb0ELb0ES3_PKS6_PS6_S6_ZZZN2at6native31launch_logcumsumexp_cuda_kernelERKNSD_10TensorBaseESH_lENKUlvE_clEvENKUlvE3_clEvEUlS6_S6_E_S6_EEDaPvRmT3_T4_T5_mT6_P12ihipStream_tbENKUlT_T0_E_clISt17integral_constantIbLb0EESX_IbLb1EEEEDaST_SU_EUlST_E_NS1_11comp_targetILNS1_3genE4ELNS1_11target_archE910ELNS1_3gpuE8ELNS1_3repE0EEENS1_30default_config_static_selectorELNS0_4arch9wavefront6targetE0EEEvT1_.uses_vcc, 0
	.set _ZN7rocprim17ROCPRIM_400000_NS6detail17trampoline_kernelINS0_14default_configENS1_20scan_config_selectorIN3c104HalfEEEZZNS1_9scan_implILNS1_25lookback_scan_determinismE0ELb0ELb0ES3_PKS6_PS6_S6_ZZZN2at6native31launch_logcumsumexp_cuda_kernelERKNSD_10TensorBaseESH_lENKUlvE_clEvENKUlvE3_clEvEUlS6_S6_E_S6_EEDaPvRmT3_T4_T5_mT6_P12ihipStream_tbENKUlT_T0_E_clISt17integral_constantIbLb0EESX_IbLb1EEEEDaST_SU_EUlST_E_NS1_11comp_targetILNS1_3genE4ELNS1_11target_archE910ELNS1_3gpuE8ELNS1_3repE0EEENS1_30default_config_static_selectorELNS0_4arch9wavefront6targetE0EEEvT1_.uses_flat_scratch, 0
	.set _ZN7rocprim17ROCPRIM_400000_NS6detail17trampoline_kernelINS0_14default_configENS1_20scan_config_selectorIN3c104HalfEEEZZNS1_9scan_implILNS1_25lookback_scan_determinismE0ELb0ELb0ES3_PKS6_PS6_S6_ZZZN2at6native31launch_logcumsumexp_cuda_kernelERKNSD_10TensorBaseESH_lENKUlvE_clEvENKUlvE3_clEvEUlS6_S6_E_S6_EEDaPvRmT3_T4_T5_mT6_P12ihipStream_tbENKUlT_T0_E_clISt17integral_constantIbLb0EESX_IbLb1EEEEDaST_SU_EUlST_E_NS1_11comp_targetILNS1_3genE4ELNS1_11target_archE910ELNS1_3gpuE8ELNS1_3repE0EEENS1_30default_config_static_selectorELNS0_4arch9wavefront6targetE0EEEvT1_.has_dyn_sized_stack, 0
	.set _ZN7rocprim17ROCPRIM_400000_NS6detail17trampoline_kernelINS0_14default_configENS1_20scan_config_selectorIN3c104HalfEEEZZNS1_9scan_implILNS1_25lookback_scan_determinismE0ELb0ELb0ES3_PKS6_PS6_S6_ZZZN2at6native31launch_logcumsumexp_cuda_kernelERKNSD_10TensorBaseESH_lENKUlvE_clEvENKUlvE3_clEvEUlS6_S6_E_S6_EEDaPvRmT3_T4_T5_mT6_P12ihipStream_tbENKUlT_T0_E_clISt17integral_constantIbLb0EESX_IbLb1EEEEDaST_SU_EUlST_E_NS1_11comp_targetILNS1_3genE4ELNS1_11target_archE910ELNS1_3gpuE8ELNS1_3repE0EEENS1_30default_config_static_selectorELNS0_4arch9wavefront6targetE0EEEvT1_.has_recursion, 0
	.set _ZN7rocprim17ROCPRIM_400000_NS6detail17trampoline_kernelINS0_14default_configENS1_20scan_config_selectorIN3c104HalfEEEZZNS1_9scan_implILNS1_25lookback_scan_determinismE0ELb0ELb0ES3_PKS6_PS6_S6_ZZZN2at6native31launch_logcumsumexp_cuda_kernelERKNSD_10TensorBaseESH_lENKUlvE_clEvENKUlvE3_clEvEUlS6_S6_E_S6_EEDaPvRmT3_T4_T5_mT6_P12ihipStream_tbENKUlT_T0_E_clISt17integral_constantIbLb0EESX_IbLb1EEEEDaST_SU_EUlST_E_NS1_11comp_targetILNS1_3genE4ELNS1_11target_archE910ELNS1_3gpuE8ELNS1_3repE0EEENS1_30default_config_static_selectorELNS0_4arch9wavefront6targetE0EEEvT1_.has_indirect_call, 0
	.section	.AMDGPU.csdata,"",@progbits
; Kernel info:
; codeLenInByte = 0
; TotalNumSgprs: 0
; NumVgprs: 0
; ScratchSize: 0
; MemoryBound: 0
; FloatMode: 240
; IeeeMode: 1
; LDSByteSize: 0 bytes/workgroup (compile time only)
; SGPRBlocks: 0
; VGPRBlocks: 0
; NumSGPRsForWavesPerEU: 1
; NumVGPRsForWavesPerEU: 1
; Occupancy: 16
; WaveLimiterHint : 0
; COMPUTE_PGM_RSRC2:SCRATCH_EN: 0
; COMPUTE_PGM_RSRC2:USER_SGPR: 2
; COMPUTE_PGM_RSRC2:TRAP_HANDLER: 0
; COMPUTE_PGM_RSRC2:TGID_X_EN: 1
; COMPUTE_PGM_RSRC2:TGID_Y_EN: 0
; COMPUTE_PGM_RSRC2:TGID_Z_EN: 0
; COMPUTE_PGM_RSRC2:TIDIG_COMP_CNT: 0
	.section	.text._ZN7rocprim17ROCPRIM_400000_NS6detail17trampoline_kernelINS0_14default_configENS1_20scan_config_selectorIN3c104HalfEEEZZNS1_9scan_implILNS1_25lookback_scan_determinismE0ELb0ELb0ES3_PKS6_PS6_S6_ZZZN2at6native31launch_logcumsumexp_cuda_kernelERKNSD_10TensorBaseESH_lENKUlvE_clEvENKUlvE3_clEvEUlS6_S6_E_S6_EEDaPvRmT3_T4_T5_mT6_P12ihipStream_tbENKUlT_T0_E_clISt17integral_constantIbLb0EESX_IbLb1EEEEDaST_SU_EUlST_E_NS1_11comp_targetILNS1_3genE3ELNS1_11target_archE908ELNS1_3gpuE7ELNS1_3repE0EEENS1_30default_config_static_selectorELNS0_4arch9wavefront6targetE0EEEvT1_,"axG",@progbits,_ZN7rocprim17ROCPRIM_400000_NS6detail17trampoline_kernelINS0_14default_configENS1_20scan_config_selectorIN3c104HalfEEEZZNS1_9scan_implILNS1_25lookback_scan_determinismE0ELb0ELb0ES3_PKS6_PS6_S6_ZZZN2at6native31launch_logcumsumexp_cuda_kernelERKNSD_10TensorBaseESH_lENKUlvE_clEvENKUlvE3_clEvEUlS6_S6_E_S6_EEDaPvRmT3_T4_T5_mT6_P12ihipStream_tbENKUlT_T0_E_clISt17integral_constantIbLb0EESX_IbLb1EEEEDaST_SU_EUlST_E_NS1_11comp_targetILNS1_3genE3ELNS1_11target_archE908ELNS1_3gpuE7ELNS1_3repE0EEENS1_30default_config_static_selectorELNS0_4arch9wavefront6targetE0EEEvT1_,comdat
	.globl	_ZN7rocprim17ROCPRIM_400000_NS6detail17trampoline_kernelINS0_14default_configENS1_20scan_config_selectorIN3c104HalfEEEZZNS1_9scan_implILNS1_25lookback_scan_determinismE0ELb0ELb0ES3_PKS6_PS6_S6_ZZZN2at6native31launch_logcumsumexp_cuda_kernelERKNSD_10TensorBaseESH_lENKUlvE_clEvENKUlvE3_clEvEUlS6_S6_E_S6_EEDaPvRmT3_T4_T5_mT6_P12ihipStream_tbENKUlT_T0_E_clISt17integral_constantIbLb0EESX_IbLb1EEEEDaST_SU_EUlST_E_NS1_11comp_targetILNS1_3genE3ELNS1_11target_archE908ELNS1_3gpuE7ELNS1_3repE0EEENS1_30default_config_static_selectorELNS0_4arch9wavefront6targetE0EEEvT1_ ; -- Begin function _ZN7rocprim17ROCPRIM_400000_NS6detail17trampoline_kernelINS0_14default_configENS1_20scan_config_selectorIN3c104HalfEEEZZNS1_9scan_implILNS1_25lookback_scan_determinismE0ELb0ELb0ES3_PKS6_PS6_S6_ZZZN2at6native31launch_logcumsumexp_cuda_kernelERKNSD_10TensorBaseESH_lENKUlvE_clEvENKUlvE3_clEvEUlS6_S6_E_S6_EEDaPvRmT3_T4_T5_mT6_P12ihipStream_tbENKUlT_T0_E_clISt17integral_constantIbLb0EESX_IbLb1EEEEDaST_SU_EUlST_E_NS1_11comp_targetILNS1_3genE3ELNS1_11target_archE908ELNS1_3gpuE7ELNS1_3repE0EEENS1_30default_config_static_selectorELNS0_4arch9wavefront6targetE0EEEvT1_
	.p2align	8
	.type	_ZN7rocprim17ROCPRIM_400000_NS6detail17trampoline_kernelINS0_14default_configENS1_20scan_config_selectorIN3c104HalfEEEZZNS1_9scan_implILNS1_25lookback_scan_determinismE0ELb0ELb0ES3_PKS6_PS6_S6_ZZZN2at6native31launch_logcumsumexp_cuda_kernelERKNSD_10TensorBaseESH_lENKUlvE_clEvENKUlvE3_clEvEUlS6_S6_E_S6_EEDaPvRmT3_T4_T5_mT6_P12ihipStream_tbENKUlT_T0_E_clISt17integral_constantIbLb0EESX_IbLb1EEEEDaST_SU_EUlST_E_NS1_11comp_targetILNS1_3genE3ELNS1_11target_archE908ELNS1_3gpuE7ELNS1_3repE0EEENS1_30default_config_static_selectorELNS0_4arch9wavefront6targetE0EEEvT1_,@function
_ZN7rocprim17ROCPRIM_400000_NS6detail17trampoline_kernelINS0_14default_configENS1_20scan_config_selectorIN3c104HalfEEEZZNS1_9scan_implILNS1_25lookback_scan_determinismE0ELb0ELb0ES3_PKS6_PS6_S6_ZZZN2at6native31launch_logcumsumexp_cuda_kernelERKNSD_10TensorBaseESH_lENKUlvE_clEvENKUlvE3_clEvEUlS6_S6_E_S6_EEDaPvRmT3_T4_T5_mT6_P12ihipStream_tbENKUlT_T0_E_clISt17integral_constantIbLb0EESX_IbLb1EEEEDaST_SU_EUlST_E_NS1_11comp_targetILNS1_3genE3ELNS1_11target_archE908ELNS1_3gpuE7ELNS1_3repE0EEENS1_30default_config_static_selectorELNS0_4arch9wavefront6targetE0EEEvT1_: ; @_ZN7rocprim17ROCPRIM_400000_NS6detail17trampoline_kernelINS0_14default_configENS1_20scan_config_selectorIN3c104HalfEEEZZNS1_9scan_implILNS1_25lookback_scan_determinismE0ELb0ELb0ES3_PKS6_PS6_S6_ZZZN2at6native31launch_logcumsumexp_cuda_kernelERKNSD_10TensorBaseESH_lENKUlvE_clEvENKUlvE3_clEvEUlS6_S6_E_S6_EEDaPvRmT3_T4_T5_mT6_P12ihipStream_tbENKUlT_T0_E_clISt17integral_constantIbLb0EESX_IbLb1EEEEDaST_SU_EUlST_E_NS1_11comp_targetILNS1_3genE3ELNS1_11target_archE908ELNS1_3gpuE7ELNS1_3repE0EEENS1_30default_config_static_selectorELNS0_4arch9wavefront6targetE0EEEvT1_
; %bb.0:
	.section	.rodata,"a",@progbits
	.p2align	6, 0x0
	.amdhsa_kernel _ZN7rocprim17ROCPRIM_400000_NS6detail17trampoline_kernelINS0_14default_configENS1_20scan_config_selectorIN3c104HalfEEEZZNS1_9scan_implILNS1_25lookback_scan_determinismE0ELb0ELb0ES3_PKS6_PS6_S6_ZZZN2at6native31launch_logcumsumexp_cuda_kernelERKNSD_10TensorBaseESH_lENKUlvE_clEvENKUlvE3_clEvEUlS6_S6_E_S6_EEDaPvRmT3_T4_T5_mT6_P12ihipStream_tbENKUlT_T0_E_clISt17integral_constantIbLb0EESX_IbLb1EEEEDaST_SU_EUlST_E_NS1_11comp_targetILNS1_3genE3ELNS1_11target_archE908ELNS1_3gpuE7ELNS1_3repE0EEENS1_30default_config_static_selectorELNS0_4arch9wavefront6targetE0EEEvT1_
		.amdhsa_group_segment_fixed_size 0
		.amdhsa_private_segment_fixed_size 0
		.amdhsa_kernarg_size 96
		.amdhsa_user_sgpr_count 2
		.amdhsa_user_sgpr_dispatch_ptr 0
		.amdhsa_user_sgpr_queue_ptr 0
		.amdhsa_user_sgpr_kernarg_segment_ptr 1
		.amdhsa_user_sgpr_dispatch_id 0
		.amdhsa_user_sgpr_private_segment_size 0
		.amdhsa_wavefront_size32 1
		.amdhsa_uses_dynamic_stack 0
		.amdhsa_enable_private_segment 0
		.amdhsa_system_sgpr_workgroup_id_x 1
		.amdhsa_system_sgpr_workgroup_id_y 0
		.amdhsa_system_sgpr_workgroup_id_z 0
		.amdhsa_system_sgpr_workgroup_info 0
		.amdhsa_system_vgpr_workitem_id 0
		.amdhsa_next_free_vgpr 1
		.amdhsa_next_free_sgpr 1
		.amdhsa_reserve_vcc 0
		.amdhsa_float_round_mode_32 0
		.amdhsa_float_round_mode_16_64 0
		.amdhsa_float_denorm_mode_32 3
		.amdhsa_float_denorm_mode_16_64 3
		.amdhsa_fp16_overflow 0
		.amdhsa_workgroup_processor_mode 1
		.amdhsa_memory_ordered 1
		.amdhsa_forward_progress 1
		.amdhsa_inst_pref_size 0
		.amdhsa_round_robin_scheduling 0
		.amdhsa_exception_fp_ieee_invalid_op 0
		.amdhsa_exception_fp_denorm_src 0
		.amdhsa_exception_fp_ieee_div_zero 0
		.amdhsa_exception_fp_ieee_overflow 0
		.amdhsa_exception_fp_ieee_underflow 0
		.amdhsa_exception_fp_ieee_inexact 0
		.amdhsa_exception_int_div_zero 0
	.end_amdhsa_kernel
	.section	.text._ZN7rocprim17ROCPRIM_400000_NS6detail17trampoline_kernelINS0_14default_configENS1_20scan_config_selectorIN3c104HalfEEEZZNS1_9scan_implILNS1_25lookback_scan_determinismE0ELb0ELb0ES3_PKS6_PS6_S6_ZZZN2at6native31launch_logcumsumexp_cuda_kernelERKNSD_10TensorBaseESH_lENKUlvE_clEvENKUlvE3_clEvEUlS6_S6_E_S6_EEDaPvRmT3_T4_T5_mT6_P12ihipStream_tbENKUlT_T0_E_clISt17integral_constantIbLb0EESX_IbLb1EEEEDaST_SU_EUlST_E_NS1_11comp_targetILNS1_3genE3ELNS1_11target_archE908ELNS1_3gpuE7ELNS1_3repE0EEENS1_30default_config_static_selectorELNS0_4arch9wavefront6targetE0EEEvT1_,"axG",@progbits,_ZN7rocprim17ROCPRIM_400000_NS6detail17trampoline_kernelINS0_14default_configENS1_20scan_config_selectorIN3c104HalfEEEZZNS1_9scan_implILNS1_25lookback_scan_determinismE0ELb0ELb0ES3_PKS6_PS6_S6_ZZZN2at6native31launch_logcumsumexp_cuda_kernelERKNSD_10TensorBaseESH_lENKUlvE_clEvENKUlvE3_clEvEUlS6_S6_E_S6_EEDaPvRmT3_T4_T5_mT6_P12ihipStream_tbENKUlT_T0_E_clISt17integral_constantIbLb0EESX_IbLb1EEEEDaST_SU_EUlST_E_NS1_11comp_targetILNS1_3genE3ELNS1_11target_archE908ELNS1_3gpuE7ELNS1_3repE0EEENS1_30default_config_static_selectorELNS0_4arch9wavefront6targetE0EEEvT1_,comdat
.Lfunc_end419:
	.size	_ZN7rocprim17ROCPRIM_400000_NS6detail17trampoline_kernelINS0_14default_configENS1_20scan_config_selectorIN3c104HalfEEEZZNS1_9scan_implILNS1_25lookback_scan_determinismE0ELb0ELb0ES3_PKS6_PS6_S6_ZZZN2at6native31launch_logcumsumexp_cuda_kernelERKNSD_10TensorBaseESH_lENKUlvE_clEvENKUlvE3_clEvEUlS6_S6_E_S6_EEDaPvRmT3_T4_T5_mT6_P12ihipStream_tbENKUlT_T0_E_clISt17integral_constantIbLb0EESX_IbLb1EEEEDaST_SU_EUlST_E_NS1_11comp_targetILNS1_3genE3ELNS1_11target_archE908ELNS1_3gpuE7ELNS1_3repE0EEENS1_30default_config_static_selectorELNS0_4arch9wavefront6targetE0EEEvT1_, .Lfunc_end419-_ZN7rocprim17ROCPRIM_400000_NS6detail17trampoline_kernelINS0_14default_configENS1_20scan_config_selectorIN3c104HalfEEEZZNS1_9scan_implILNS1_25lookback_scan_determinismE0ELb0ELb0ES3_PKS6_PS6_S6_ZZZN2at6native31launch_logcumsumexp_cuda_kernelERKNSD_10TensorBaseESH_lENKUlvE_clEvENKUlvE3_clEvEUlS6_S6_E_S6_EEDaPvRmT3_T4_T5_mT6_P12ihipStream_tbENKUlT_T0_E_clISt17integral_constantIbLb0EESX_IbLb1EEEEDaST_SU_EUlST_E_NS1_11comp_targetILNS1_3genE3ELNS1_11target_archE908ELNS1_3gpuE7ELNS1_3repE0EEENS1_30default_config_static_selectorELNS0_4arch9wavefront6targetE0EEEvT1_
                                        ; -- End function
	.set _ZN7rocprim17ROCPRIM_400000_NS6detail17trampoline_kernelINS0_14default_configENS1_20scan_config_selectorIN3c104HalfEEEZZNS1_9scan_implILNS1_25lookback_scan_determinismE0ELb0ELb0ES3_PKS6_PS6_S6_ZZZN2at6native31launch_logcumsumexp_cuda_kernelERKNSD_10TensorBaseESH_lENKUlvE_clEvENKUlvE3_clEvEUlS6_S6_E_S6_EEDaPvRmT3_T4_T5_mT6_P12ihipStream_tbENKUlT_T0_E_clISt17integral_constantIbLb0EESX_IbLb1EEEEDaST_SU_EUlST_E_NS1_11comp_targetILNS1_3genE3ELNS1_11target_archE908ELNS1_3gpuE7ELNS1_3repE0EEENS1_30default_config_static_selectorELNS0_4arch9wavefront6targetE0EEEvT1_.num_vgpr, 0
	.set _ZN7rocprim17ROCPRIM_400000_NS6detail17trampoline_kernelINS0_14default_configENS1_20scan_config_selectorIN3c104HalfEEEZZNS1_9scan_implILNS1_25lookback_scan_determinismE0ELb0ELb0ES3_PKS6_PS6_S6_ZZZN2at6native31launch_logcumsumexp_cuda_kernelERKNSD_10TensorBaseESH_lENKUlvE_clEvENKUlvE3_clEvEUlS6_S6_E_S6_EEDaPvRmT3_T4_T5_mT6_P12ihipStream_tbENKUlT_T0_E_clISt17integral_constantIbLb0EESX_IbLb1EEEEDaST_SU_EUlST_E_NS1_11comp_targetILNS1_3genE3ELNS1_11target_archE908ELNS1_3gpuE7ELNS1_3repE0EEENS1_30default_config_static_selectorELNS0_4arch9wavefront6targetE0EEEvT1_.num_agpr, 0
	.set _ZN7rocprim17ROCPRIM_400000_NS6detail17trampoline_kernelINS0_14default_configENS1_20scan_config_selectorIN3c104HalfEEEZZNS1_9scan_implILNS1_25lookback_scan_determinismE0ELb0ELb0ES3_PKS6_PS6_S6_ZZZN2at6native31launch_logcumsumexp_cuda_kernelERKNSD_10TensorBaseESH_lENKUlvE_clEvENKUlvE3_clEvEUlS6_S6_E_S6_EEDaPvRmT3_T4_T5_mT6_P12ihipStream_tbENKUlT_T0_E_clISt17integral_constantIbLb0EESX_IbLb1EEEEDaST_SU_EUlST_E_NS1_11comp_targetILNS1_3genE3ELNS1_11target_archE908ELNS1_3gpuE7ELNS1_3repE0EEENS1_30default_config_static_selectorELNS0_4arch9wavefront6targetE0EEEvT1_.numbered_sgpr, 0
	.set _ZN7rocprim17ROCPRIM_400000_NS6detail17trampoline_kernelINS0_14default_configENS1_20scan_config_selectorIN3c104HalfEEEZZNS1_9scan_implILNS1_25lookback_scan_determinismE0ELb0ELb0ES3_PKS6_PS6_S6_ZZZN2at6native31launch_logcumsumexp_cuda_kernelERKNSD_10TensorBaseESH_lENKUlvE_clEvENKUlvE3_clEvEUlS6_S6_E_S6_EEDaPvRmT3_T4_T5_mT6_P12ihipStream_tbENKUlT_T0_E_clISt17integral_constantIbLb0EESX_IbLb1EEEEDaST_SU_EUlST_E_NS1_11comp_targetILNS1_3genE3ELNS1_11target_archE908ELNS1_3gpuE7ELNS1_3repE0EEENS1_30default_config_static_selectorELNS0_4arch9wavefront6targetE0EEEvT1_.num_named_barrier, 0
	.set _ZN7rocprim17ROCPRIM_400000_NS6detail17trampoline_kernelINS0_14default_configENS1_20scan_config_selectorIN3c104HalfEEEZZNS1_9scan_implILNS1_25lookback_scan_determinismE0ELb0ELb0ES3_PKS6_PS6_S6_ZZZN2at6native31launch_logcumsumexp_cuda_kernelERKNSD_10TensorBaseESH_lENKUlvE_clEvENKUlvE3_clEvEUlS6_S6_E_S6_EEDaPvRmT3_T4_T5_mT6_P12ihipStream_tbENKUlT_T0_E_clISt17integral_constantIbLb0EESX_IbLb1EEEEDaST_SU_EUlST_E_NS1_11comp_targetILNS1_3genE3ELNS1_11target_archE908ELNS1_3gpuE7ELNS1_3repE0EEENS1_30default_config_static_selectorELNS0_4arch9wavefront6targetE0EEEvT1_.private_seg_size, 0
	.set _ZN7rocprim17ROCPRIM_400000_NS6detail17trampoline_kernelINS0_14default_configENS1_20scan_config_selectorIN3c104HalfEEEZZNS1_9scan_implILNS1_25lookback_scan_determinismE0ELb0ELb0ES3_PKS6_PS6_S6_ZZZN2at6native31launch_logcumsumexp_cuda_kernelERKNSD_10TensorBaseESH_lENKUlvE_clEvENKUlvE3_clEvEUlS6_S6_E_S6_EEDaPvRmT3_T4_T5_mT6_P12ihipStream_tbENKUlT_T0_E_clISt17integral_constantIbLb0EESX_IbLb1EEEEDaST_SU_EUlST_E_NS1_11comp_targetILNS1_3genE3ELNS1_11target_archE908ELNS1_3gpuE7ELNS1_3repE0EEENS1_30default_config_static_selectorELNS0_4arch9wavefront6targetE0EEEvT1_.uses_vcc, 0
	.set _ZN7rocprim17ROCPRIM_400000_NS6detail17trampoline_kernelINS0_14default_configENS1_20scan_config_selectorIN3c104HalfEEEZZNS1_9scan_implILNS1_25lookback_scan_determinismE0ELb0ELb0ES3_PKS6_PS6_S6_ZZZN2at6native31launch_logcumsumexp_cuda_kernelERKNSD_10TensorBaseESH_lENKUlvE_clEvENKUlvE3_clEvEUlS6_S6_E_S6_EEDaPvRmT3_T4_T5_mT6_P12ihipStream_tbENKUlT_T0_E_clISt17integral_constantIbLb0EESX_IbLb1EEEEDaST_SU_EUlST_E_NS1_11comp_targetILNS1_3genE3ELNS1_11target_archE908ELNS1_3gpuE7ELNS1_3repE0EEENS1_30default_config_static_selectorELNS0_4arch9wavefront6targetE0EEEvT1_.uses_flat_scratch, 0
	.set _ZN7rocprim17ROCPRIM_400000_NS6detail17trampoline_kernelINS0_14default_configENS1_20scan_config_selectorIN3c104HalfEEEZZNS1_9scan_implILNS1_25lookback_scan_determinismE0ELb0ELb0ES3_PKS6_PS6_S6_ZZZN2at6native31launch_logcumsumexp_cuda_kernelERKNSD_10TensorBaseESH_lENKUlvE_clEvENKUlvE3_clEvEUlS6_S6_E_S6_EEDaPvRmT3_T4_T5_mT6_P12ihipStream_tbENKUlT_T0_E_clISt17integral_constantIbLb0EESX_IbLb1EEEEDaST_SU_EUlST_E_NS1_11comp_targetILNS1_3genE3ELNS1_11target_archE908ELNS1_3gpuE7ELNS1_3repE0EEENS1_30default_config_static_selectorELNS0_4arch9wavefront6targetE0EEEvT1_.has_dyn_sized_stack, 0
	.set _ZN7rocprim17ROCPRIM_400000_NS6detail17trampoline_kernelINS0_14default_configENS1_20scan_config_selectorIN3c104HalfEEEZZNS1_9scan_implILNS1_25lookback_scan_determinismE0ELb0ELb0ES3_PKS6_PS6_S6_ZZZN2at6native31launch_logcumsumexp_cuda_kernelERKNSD_10TensorBaseESH_lENKUlvE_clEvENKUlvE3_clEvEUlS6_S6_E_S6_EEDaPvRmT3_T4_T5_mT6_P12ihipStream_tbENKUlT_T0_E_clISt17integral_constantIbLb0EESX_IbLb1EEEEDaST_SU_EUlST_E_NS1_11comp_targetILNS1_3genE3ELNS1_11target_archE908ELNS1_3gpuE7ELNS1_3repE0EEENS1_30default_config_static_selectorELNS0_4arch9wavefront6targetE0EEEvT1_.has_recursion, 0
	.set _ZN7rocprim17ROCPRIM_400000_NS6detail17trampoline_kernelINS0_14default_configENS1_20scan_config_selectorIN3c104HalfEEEZZNS1_9scan_implILNS1_25lookback_scan_determinismE0ELb0ELb0ES3_PKS6_PS6_S6_ZZZN2at6native31launch_logcumsumexp_cuda_kernelERKNSD_10TensorBaseESH_lENKUlvE_clEvENKUlvE3_clEvEUlS6_S6_E_S6_EEDaPvRmT3_T4_T5_mT6_P12ihipStream_tbENKUlT_T0_E_clISt17integral_constantIbLb0EESX_IbLb1EEEEDaST_SU_EUlST_E_NS1_11comp_targetILNS1_3genE3ELNS1_11target_archE908ELNS1_3gpuE7ELNS1_3repE0EEENS1_30default_config_static_selectorELNS0_4arch9wavefront6targetE0EEEvT1_.has_indirect_call, 0
	.section	.AMDGPU.csdata,"",@progbits
; Kernel info:
; codeLenInByte = 0
; TotalNumSgprs: 0
; NumVgprs: 0
; ScratchSize: 0
; MemoryBound: 0
; FloatMode: 240
; IeeeMode: 1
; LDSByteSize: 0 bytes/workgroup (compile time only)
; SGPRBlocks: 0
; VGPRBlocks: 0
; NumSGPRsForWavesPerEU: 1
; NumVGPRsForWavesPerEU: 1
; Occupancy: 16
; WaveLimiterHint : 0
; COMPUTE_PGM_RSRC2:SCRATCH_EN: 0
; COMPUTE_PGM_RSRC2:USER_SGPR: 2
; COMPUTE_PGM_RSRC2:TRAP_HANDLER: 0
; COMPUTE_PGM_RSRC2:TGID_X_EN: 1
; COMPUTE_PGM_RSRC2:TGID_Y_EN: 0
; COMPUTE_PGM_RSRC2:TGID_Z_EN: 0
; COMPUTE_PGM_RSRC2:TIDIG_COMP_CNT: 0
	.section	.text._ZN7rocprim17ROCPRIM_400000_NS6detail17trampoline_kernelINS0_14default_configENS1_20scan_config_selectorIN3c104HalfEEEZZNS1_9scan_implILNS1_25lookback_scan_determinismE0ELb0ELb0ES3_PKS6_PS6_S6_ZZZN2at6native31launch_logcumsumexp_cuda_kernelERKNSD_10TensorBaseESH_lENKUlvE_clEvENKUlvE3_clEvEUlS6_S6_E_S6_EEDaPvRmT3_T4_T5_mT6_P12ihipStream_tbENKUlT_T0_E_clISt17integral_constantIbLb0EESX_IbLb1EEEEDaST_SU_EUlST_E_NS1_11comp_targetILNS1_3genE2ELNS1_11target_archE906ELNS1_3gpuE6ELNS1_3repE0EEENS1_30default_config_static_selectorELNS0_4arch9wavefront6targetE0EEEvT1_,"axG",@progbits,_ZN7rocprim17ROCPRIM_400000_NS6detail17trampoline_kernelINS0_14default_configENS1_20scan_config_selectorIN3c104HalfEEEZZNS1_9scan_implILNS1_25lookback_scan_determinismE0ELb0ELb0ES3_PKS6_PS6_S6_ZZZN2at6native31launch_logcumsumexp_cuda_kernelERKNSD_10TensorBaseESH_lENKUlvE_clEvENKUlvE3_clEvEUlS6_S6_E_S6_EEDaPvRmT3_T4_T5_mT6_P12ihipStream_tbENKUlT_T0_E_clISt17integral_constantIbLb0EESX_IbLb1EEEEDaST_SU_EUlST_E_NS1_11comp_targetILNS1_3genE2ELNS1_11target_archE906ELNS1_3gpuE6ELNS1_3repE0EEENS1_30default_config_static_selectorELNS0_4arch9wavefront6targetE0EEEvT1_,comdat
	.globl	_ZN7rocprim17ROCPRIM_400000_NS6detail17trampoline_kernelINS0_14default_configENS1_20scan_config_selectorIN3c104HalfEEEZZNS1_9scan_implILNS1_25lookback_scan_determinismE0ELb0ELb0ES3_PKS6_PS6_S6_ZZZN2at6native31launch_logcumsumexp_cuda_kernelERKNSD_10TensorBaseESH_lENKUlvE_clEvENKUlvE3_clEvEUlS6_S6_E_S6_EEDaPvRmT3_T4_T5_mT6_P12ihipStream_tbENKUlT_T0_E_clISt17integral_constantIbLb0EESX_IbLb1EEEEDaST_SU_EUlST_E_NS1_11comp_targetILNS1_3genE2ELNS1_11target_archE906ELNS1_3gpuE6ELNS1_3repE0EEENS1_30default_config_static_selectorELNS0_4arch9wavefront6targetE0EEEvT1_ ; -- Begin function _ZN7rocprim17ROCPRIM_400000_NS6detail17trampoline_kernelINS0_14default_configENS1_20scan_config_selectorIN3c104HalfEEEZZNS1_9scan_implILNS1_25lookback_scan_determinismE0ELb0ELb0ES3_PKS6_PS6_S6_ZZZN2at6native31launch_logcumsumexp_cuda_kernelERKNSD_10TensorBaseESH_lENKUlvE_clEvENKUlvE3_clEvEUlS6_S6_E_S6_EEDaPvRmT3_T4_T5_mT6_P12ihipStream_tbENKUlT_T0_E_clISt17integral_constantIbLb0EESX_IbLb1EEEEDaST_SU_EUlST_E_NS1_11comp_targetILNS1_3genE2ELNS1_11target_archE906ELNS1_3gpuE6ELNS1_3repE0EEENS1_30default_config_static_selectorELNS0_4arch9wavefront6targetE0EEEvT1_
	.p2align	8
	.type	_ZN7rocprim17ROCPRIM_400000_NS6detail17trampoline_kernelINS0_14default_configENS1_20scan_config_selectorIN3c104HalfEEEZZNS1_9scan_implILNS1_25lookback_scan_determinismE0ELb0ELb0ES3_PKS6_PS6_S6_ZZZN2at6native31launch_logcumsumexp_cuda_kernelERKNSD_10TensorBaseESH_lENKUlvE_clEvENKUlvE3_clEvEUlS6_S6_E_S6_EEDaPvRmT3_T4_T5_mT6_P12ihipStream_tbENKUlT_T0_E_clISt17integral_constantIbLb0EESX_IbLb1EEEEDaST_SU_EUlST_E_NS1_11comp_targetILNS1_3genE2ELNS1_11target_archE906ELNS1_3gpuE6ELNS1_3repE0EEENS1_30default_config_static_selectorELNS0_4arch9wavefront6targetE0EEEvT1_,@function
_ZN7rocprim17ROCPRIM_400000_NS6detail17trampoline_kernelINS0_14default_configENS1_20scan_config_selectorIN3c104HalfEEEZZNS1_9scan_implILNS1_25lookback_scan_determinismE0ELb0ELb0ES3_PKS6_PS6_S6_ZZZN2at6native31launch_logcumsumexp_cuda_kernelERKNSD_10TensorBaseESH_lENKUlvE_clEvENKUlvE3_clEvEUlS6_S6_E_S6_EEDaPvRmT3_T4_T5_mT6_P12ihipStream_tbENKUlT_T0_E_clISt17integral_constantIbLb0EESX_IbLb1EEEEDaST_SU_EUlST_E_NS1_11comp_targetILNS1_3genE2ELNS1_11target_archE906ELNS1_3gpuE6ELNS1_3repE0EEENS1_30default_config_static_selectorELNS0_4arch9wavefront6targetE0EEEvT1_: ; @_ZN7rocprim17ROCPRIM_400000_NS6detail17trampoline_kernelINS0_14default_configENS1_20scan_config_selectorIN3c104HalfEEEZZNS1_9scan_implILNS1_25lookback_scan_determinismE0ELb0ELb0ES3_PKS6_PS6_S6_ZZZN2at6native31launch_logcumsumexp_cuda_kernelERKNSD_10TensorBaseESH_lENKUlvE_clEvENKUlvE3_clEvEUlS6_S6_E_S6_EEDaPvRmT3_T4_T5_mT6_P12ihipStream_tbENKUlT_T0_E_clISt17integral_constantIbLb0EESX_IbLb1EEEEDaST_SU_EUlST_E_NS1_11comp_targetILNS1_3genE2ELNS1_11target_archE906ELNS1_3gpuE6ELNS1_3repE0EEENS1_30default_config_static_selectorELNS0_4arch9wavefront6targetE0EEEvT1_
; %bb.0:
	.section	.rodata,"a",@progbits
	.p2align	6, 0x0
	.amdhsa_kernel _ZN7rocprim17ROCPRIM_400000_NS6detail17trampoline_kernelINS0_14default_configENS1_20scan_config_selectorIN3c104HalfEEEZZNS1_9scan_implILNS1_25lookback_scan_determinismE0ELb0ELb0ES3_PKS6_PS6_S6_ZZZN2at6native31launch_logcumsumexp_cuda_kernelERKNSD_10TensorBaseESH_lENKUlvE_clEvENKUlvE3_clEvEUlS6_S6_E_S6_EEDaPvRmT3_T4_T5_mT6_P12ihipStream_tbENKUlT_T0_E_clISt17integral_constantIbLb0EESX_IbLb1EEEEDaST_SU_EUlST_E_NS1_11comp_targetILNS1_3genE2ELNS1_11target_archE906ELNS1_3gpuE6ELNS1_3repE0EEENS1_30default_config_static_selectorELNS0_4arch9wavefront6targetE0EEEvT1_
		.amdhsa_group_segment_fixed_size 0
		.amdhsa_private_segment_fixed_size 0
		.amdhsa_kernarg_size 96
		.amdhsa_user_sgpr_count 2
		.amdhsa_user_sgpr_dispatch_ptr 0
		.amdhsa_user_sgpr_queue_ptr 0
		.amdhsa_user_sgpr_kernarg_segment_ptr 1
		.amdhsa_user_sgpr_dispatch_id 0
		.amdhsa_user_sgpr_private_segment_size 0
		.amdhsa_wavefront_size32 1
		.amdhsa_uses_dynamic_stack 0
		.amdhsa_enable_private_segment 0
		.amdhsa_system_sgpr_workgroup_id_x 1
		.amdhsa_system_sgpr_workgroup_id_y 0
		.amdhsa_system_sgpr_workgroup_id_z 0
		.amdhsa_system_sgpr_workgroup_info 0
		.amdhsa_system_vgpr_workitem_id 0
		.amdhsa_next_free_vgpr 1
		.amdhsa_next_free_sgpr 1
		.amdhsa_reserve_vcc 0
		.amdhsa_float_round_mode_32 0
		.amdhsa_float_round_mode_16_64 0
		.amdhsa_float_denorm_mode_32 3
		.amdhsa_float_denorm_mode_16_64 3
		.amdhsa_fp16_overflow 0
		.amdhsa_workgroup_processor_mode 1
		.amdhsa_memory_ordered 1
		.amdhsa_forward_progress 1
		.amdhsa_inst_pref_size 0
		.amdhsa_round_robin_scheduling 0
		.amdhsa_exception_fp_ieee_invalid_op 0
		.amdhsa_exception_fp_denorm_src 0
		.amdhsa_exception_fp_ieee_div_zero 0
		.amdhsa_exception_fp_ieee_overflow 0
		.amdhsa_exception_fp_ieee_underflow 0
		.amdhsa_exception_fp_ieee_inexact 0
		.amdhsa_exception_int_div_zero 0
	.end_amdhsa_kernel
	.section	.text._ZN7rocprim17ROCPRIM_400000_NS6detail17trampoline_kernelINS0_14default_configENS1_20scan_config_selectorIN3c104HalfEEEZZNS1_9scan_implILNS1_25lookback_scan_determinismE0ELb0ELb0ES3_PKS6_PS6_S6_ZZZN2at6native31launch_logcumsumexp_cuda_kernelERKNSD_10TensorBaseESH_lENKUlvE_clEvENKUlvE3_clEvEUlS6_S6_E_S6_EEDaPvRmT3_T4_T5_mT6_P12ihipStream_tbENKUlT_T0_E_clISt17integral_constantIbLb0EESX_IbLb1EEEEDaST_SU_EUlST_E_NS1_11comp_targetILNS1_3genE2ELNS1_11target_archE906ELNS1_3gpuE6ELNS1_3repE0EEENS1_30default_config_static_selectorELNS0_4arch9wavefront6targetE0EEEvT1_,"axG",@progbits,_ZN7rocprim17ROCPRIM_400000_NS6detail17trampoline_kernelINS0_14default_configENS1_20scan_config_selectorIN3c104HalfEEEZZNS1_9scan_implILNS1_25lookback_scan_determinismE0ELb0ELb0ES3_PKS6_PS6_S6_ZZZN2at6native31launch_logcumsumexp_cuda_kernelERKNSD_10TensorBaseESH_lENKUlvE_clEvENKUlvE3_clEvEUlS6_S6_E_S6_EEDaPvRmT3_T4_T5_mT6_P12ihipStream_tbENKUlT_T0_E_clISt17integral_constantIbLb0EESX_IbLb1EEEEDaST_SU_EUlST_E_NS1_11comp_targetILNS1_3genE2ELNS1_11target_archE906ELNS1_3gpuE6ELNS1_3repE0EEENS1_30default_config_static_selectorELNS0_4arch9wavefront6targetE0EEEvT1_,comdat
.Lfunc_end420:
	.size	_ZN7rocprim17ROCPRIM_400000_NS6detail17trampoline_kernelINS0_14default_configENS1_20scan_config_selectorIN3c104HalfEEEZZNS1_9scan_implILNS1_25lookback_scan_determinismE0ELb0ELb0ES3_PKS6_PS6_S6_ZZZN2at6native31launch_logcumsumexp_cuda_kernelERKNSD_10TensorBaseESH_lENKUlvE_clEvENKUlvE3_clEvEUlS6_S6_E_S6_EEDaPvRmT3_T4_T5_mT6_P12ihipStream_tbENKUlT_T0_E_clISt17integral_constantIbLb0EESX_IbLb1EEEEDaST_SU_EUlST_E_NS1_11comp_targetILNS1_3genE2ELNS1_11target_archE906ELNS1_3gpuE6ELNS1_3repE0EEENS1_30default_config_static_selectorELNS0_4arch9wavefront6targetE0EEEvT1_, .Lfunc_end420-_ZN7rocprim17ROCPRIM_400000_NS6detail17trampoline_kernelINS0_14default_configENS1_20scan_config_selectorIN3c104HalfEEEZZNS1_9scan_implILNS1_25lookback_scan_determinismE0ELb0ELb0ES3_PKS6_PS6_S6_ZZZN2at6native31launch_logcumsumexp_cuda_kernelERKNSD_10TensorBaseESH_lENKUlvE_clEvENKUlvE3_clEvEUlS6_S6_E_S6_EEDaPvRmT3_T4_T5_mT6_P12ihipStream_tbENKUlT_T0_E_clISt17integral_constantIbLb0EESX_IbLb1EEEEDaST_SU_EUlST_E_NS1_11comp_targetILNS1_3genE2ELNS1_11target_archE906ELNS1_3gpuE6ELNS1_3repE0EEENS1_30default_config_static_selectorELNS0_4arch9wavefront6targetE0EEEvT1_
                                        ; -- End function
	.set _ZN7rocprim17ROCPRIM_400000_NS6detail17trampoline_kernelINS0_14default_configENS1_20scan_config_selectorIN3c104HalfEEEZZNS1_9scan_implILNS1_25lookback_scan_determinismE0ELb0ELb0ES3_PKS6_PS6_S6_ZZZN2at6native31launch_logcumsumexp_cuda_kernelERKNSD_10TensorBaseESH_lENKUlvE_clEvENKUlvE3_clEvEUlS6_S6_E_S6_EEDaPvRmT3_T4_T5_mT6_P12ihipStream_tbENKUlT_T0_E_clISt17integral_constantIbLb0EESX_IbLb1EEEEDaST_SU_EUlST_E_NS1_11comp_targetILNS1_3genE2ELNS1_11target_archE906ELNS1_3gpuE6ELNS1_3repE0EEENS1_30default_config_static_selectorELNS0_4arch9wavefront6targetE0EEEvT1_.num_vgpr, 0
	.set _ZN7rocprim17ROCPRIM_400000_NS6detail17trampoline_kernelINS0_14default_configENS1_20scan_config_selectorIN3c104HalfEEEZZNS1_9scan_implILNS1_25lookback_scan_determinismE0ELb0ELb0ES3_PKS6_PS6_S6_ZZZN2at6native31launch_logcumsumexp_cuda_kernelERKNSD_10TensorBaseESH_lENKUlvE_clEvENKUlvE3_clEvEUlS6_S6_E_S6_EEDaPvRmT3_T4_T5_mT6_P12ihipStream_tbENKUlT_T0_E_clISt17integral_constantIbLb0EESX_IbLb1EEEEDaST_SU_EUlST_E_NS1_11comp_targetILNS1_3genE2ELNS1_11target_archE906ELNS1_3gpuE6ELNS1_3repE0EEENS1_30default_config_static_selectorELNS0_4arch9wavefront6targetE0EEEvT1_.num_agpr, 0
	.set _ZN7rocprim17ROCPRIM_400000_NS6detail17trampoline_kernelINS0_14default_configENS1_20scan_config_selectorIN3c104HalfEEEZZNS1_9scan_implILNS1_25lookback_scan_determinismE0ELb0ELb0ES3_PKS6_PS6_S6_ZZZN2at6native31launch_logcumsumexp_cuda_kernelERKNSD_10TensorBaseESH_lENKUlvE_clEvENKUlvE3_clEvEUlS6_S6_E_S6_EEDaPvRmT3_T4_T5_mT6_P12ihipStream_tbENKUlT_T0_E_clISt17integral_constantIbLb0EESX_IbLb1EEEEDaST_SU_EUlST_E_NS1_11comp_targetILNS1_3genE2ELNS1_11target_archE906ELNS1_3gpuE6ELNS1_3repE0EEENS1_30default_config_static_selectorELNS0_4arch9wavefront6targetE0EEEvT1_.numbered_sgpr, 0
	.set _ZN7rocprim17ROCPRIM_400000_NS6detail17trampoline_kernelINS0_14default_configENS1_20scan_config_selectorIN3c104HalfEEEZZNS1_9scan_implILNS1_25lookback_scan_determinismE0ELb0ELb0ES3_PKS6_PS6_S6_ZZZN2at6native31launch_logcumsumexp_cuda_kernelERKNSD_10TensorBaseESH_lENKUlvE_clEvENKUlvE3_clEvEUlS6_S6_E_S6_EEDaPvRmT3_T4_T5_mT6_P12ihipStream_tbENKUlT_T0_E_clISt17integral_constantIbLb0EESX_IbLb1EEEEDaST_SU_EUlST_E_NS1_11comp_targetILNS1_3genE2ELNS1_11target_archE906ELNS1_3gpuE6ELNS1_3repE0EEENS1_30default_config_static_selectorELNS0_4arch9wavefront6targetE0EEEvT1_.num_named_barrier, 0
	.set _ZN7rocprim17ROCPRIM_400000_NS6detail17trampoline_kernelINS0_14default_configENS1_20scan_config_selectorIN3c104HalfEEEZZNS1_9scan_implILNS1_25lookback_scan_determinismE0ELb0ELb0ES3_PKS6_PS6_S6_ZZZN2at6native31launch_logcumsumexp_cuda_kernelERKNSD_10TensorBaseESH_lENKUlvE_clEvENKUlvE3_clEvEUlS6_S6_E_S6_EEDaPvRmT3_T4_T5_mT6_P12ihipStream_tbENKUlT_T0_E_clISt17integral_constantIbLb0EESX_IbLb1EEEEDaST_SU_EUlST_E_NS1_11comp_targetILNS1_3genE2ELNS1_11target_archE906ELNS1_3gpuE6ELNS1_3repE0EEENS1_30default_config_static_selectorELNS0_4arch9wavefront6targetE0EEEvT1_.private_seg_size, 0
	.set _ZN7rocprim17ROCPRIM_400000_NS6detail17trampoline_kernelINS0_14default_configENS1_20scan_config_selectorIN3c104HalfEEEZZNS1_9scan_implILNS1_25lookback_scan_determinismE0ELb0ELb0ES3_PKS6_PS6_S6_ZZZN2at6native31launch_logcumsumexp_cuda_kernelERKNSD_10TensorBaseESH_lENKUlvE_clEvENKUlvE3_clEvEUlS6_S6_E_S6_EEDaPvRmT3_T4_T5_mT6_P12ihipStream_tbENKUlT_T0_E_clISt17integral_constantIbLb0EESX_IbLb1EEEEDaST_SU_EUlST_E_NS1_11comp_targetILNS1_3genE2ELNS1_11target_archE906ELNS1_3gpuE6ELNS1_3repE0EEENS1_30default_config_static_selectorELNS0_4arch9wavefront6targetE0EEEvT1_.uses_vcc, 0
	.set _ZN7rocprim17ROCPRIM_400000_NS6detail17trampoline_kernelINS0_14default_configENS1_20scan_config_selectorIN3c104HalfEEEZZNS1_9scan_implILNS1_25lookback_scan_determinismE0ELb0ELb0ES3_PKS6_PS6_S6_ZZZN2at6native31launch_logcumsumexp_cuda_kernelERKNSD_10TensorBaseESH_lENKUlvE_clEvENKUlvE3_clEvEUlS6_S6_E_S6_EEDaPvRmT3_T4_T5_mT6_P12ihipStream_tbENKUlT_T0_E_clISt17integral_constantIbLb0EESX_IbLb1EEEEDaST_SU_EUlST_E_NS1_11comp_targetILNS1_3genE2ELNS1_11target_archE906ELNS1_3gpuE6ELNS1_3repE0EEENS1_30default_config_static_selectorELNS0_4arch9wavefront6targetE0EEEvT1_.uses_flat_scratch, 0
	.set _ZN7rocprim17ROCPRIM_400000_NS6detail17trampoline_kernelINS0_14default_configENS1_20scan_config_selectorIN3c104HalfEEEZZNS1_9scan_implILNS1_25lookback_scan_determinismE0ELb0ELb0ES3_PKS6_PS6_S6_ZZZN2at6native31launch_logcumsumexp_cuda_kernelERKNSD_10TensorBaseESH_lENKUlvE_clEvENKUlvE3_clEvEUlS6_S6_E_S6_EEDaPvRmT3_T4_T5_mT6_P12ihipStream_tbENKUlT_T0_E_clISt17integral_constantIbLb0EESX_IbLb1EEEEDaST_SU_EUlST_E_NS1_11comp_targetILNS1_3genE2ELNS1_11target_archE906ELNS1_3gpuE6ELNS1_3repE0EEENS1_30default_config_static_selectorELNS0_4arch9wavefront6targetE0EEEvT1_.has_dyn_sized_stack, 0
	.set _ZN7rocprim17ROCPRIM_400000_NS6detail17trampoline_kernelINS0_14default_configENS1_20scan_config_selectorIN3c104HalfEEEZZNS1_9scan_implILNS1_25lookback_scan_determinismE0ELb0ELb0ES3_PKS6_PS6_S6_ZZZN2at6native31launch_logcumsumexp_cuda_kernelERKNSD_10TensorBaseESH_lENKUlvE_clEvENKUlvE3_clEvEUlS6_S6_E_S6_EEDaPvRmT3_T4_T5_mT6_P12ihipStream_tbENKUlT_T0_E_clISt17integral_constantIbLb0EESX_IbLb1EEEEDaST_SU_EUlST_E_NS1_11comp_targetILNS1_3genE2ELNS1_11target_archE906ELNS1_3gpuE6ELNS1_3repE0EEENS1_30default_config_static_selectorELNS0_4arch9wavefront6targetE0EEEvT1_.has_recursion, 0
	.set _ZN7rocprim17ROCPRIM_400000_NS6detail17trampoline_kernelINS0_14default_configENS1_20scan_config_selectorIN3c104HalfEEEZZNS1_9scan_implILNS1_25lookback_scan_determinismE0ELb0ELb0ES3_PKS6_PS6_S6_ZZZN2at6native31launch_logcumsumexp_cuda_kernelERKNSD_10TensorBaseESH_lENKUlvE_clEvENKUlvE3_clEvEUlS6_S6_E_S6_EEDaPvRmT3_T4_T5_mT6_P12ihipStream_tbENKUlT_T0_E_clISt17integral_constantIbLb0EESX_IbLb1EEEEDaST_SU_EUlST_E_NS1_11comp_targetILNS1_3genE2ELNS1_11target_archE906ELNS1_3gpuE6ELNS1_3repE0EEENS1_30default_config_static_selectorELNS0_4arch9wavefront6targetE0EEEvT1_.has_indirect_call, 0
	.section	.AMDGPU.csdata,"",@progbits
; Kernel info:
; codeLenInByte = 0
; TotalNumSgprs: 0
; NumVgprs: 0
; ScratchSize: 0
; MemoryBound: 0
; FloatMode: 240
; IeeeMode: 1
; LDSByteSize: 0 bytes/workgroup (compile time only)
; SGPRBlocks: 0
; VGPRBlocks: 0
; NumSGPRsForWavesPerEU: 1
; NumVGPRsForWavesPerEU: 1
; Occupancy: 16
; WaveLimiterHint : 0
; COMPUTE_PGM_RSRC2:SCRATCH_EN: 0
; COMPUTE_PGM_RSRC2:USER_SGPR: 2
; COMPUTE_PGM_RSRC2:TRAP_HANDLER: 0
; COMPUTE_PGM_RSRC2:TGID_X_EN: 1
; COMPUTE_PGM_RSRC2:TGID_Y_EN: 0
; COMPUTE_PGM_RSRC2:TGID_Z_EN: 0
; COMPUTE_PGM_RSRC2:TIDIG_COMP_CNT: 0
	.section	.text._ZN7rocprim17ROCPRIM_400000_NS6detail17trampoline_kernelINS0_14default_configENS1_20scan_config_selectorIN3c104HalfEEEZZNS1_9scan_implILNS1_25lookback_scan_determinismE0ELb0ELb0ES3_PKS6_PS6_S6_ZZZN2at6native31launch_logcumsumexp_cuda_kernelERKNSD_10TensorBaseESH_lENKUlvE_clEvENKUlvE3_clEvEUlS6_S6_E_S6_EEDaPvRmT3_T4_T5_mT6_P12ihipStream_tbENKUlT_T0_E_clISt17integral_constantIbLb0EESX_IbLb1EEEEDaST_SU_EUlST_E_NS1_11comp_targetILNS1_3genE10ELNS1_11target_archE1201ELNS1_3gpuE5ELNS1_3repE0EEENS1_30default_config_static_selectorELNS0_4arch9wavefront6targetE0EEEvT1_,"axG",@progbits,_ZN7rocprim17ROCPRIM_400000_NS6detail17trampoline_kernelINS0_14default_configENS1_20scan_config_selectorIN3c104HalfEEEZZNS1_9scan_implILNS1_25lookback_scan_determinismE0ELb0ELb0ES3_PKS6_PS6_S6_ZZZN2at6native31launch_logcumsumexp_cuda_kernelERKNSD_10TensorBaseESH_lENKUlvE_clEvENKUlvE3_clEvEUlS6_S6_E_S6_EEDaPvRmT3_T4_T5_mT6_P12ihipStream_tbENKUlT_T0_E_clISt17integral_constantIbLb0EESX_IbLb1EEEEDaST_SU_EUlST_E_NS1_11comp_targetILNS1_3genE10ELNS1_11target_archE1201ELNS1_3gpuE5ELNS1_3repE0EEENS1_30default_config_static_selectorELNS0_4arch9wavefront6targetE0EEEvT1_,comdat
	.globl	_ZN7rocprim17ROCPRIM_400000_NS6detail17trampoline_kernelINS0_14default_configENS1_20scan_config_selectorIN3c104HalfEEEZZNS1_9scan_implILNS1_25lookback_scan_determinismE0ELb0ELb0ES3_PKS6_PS6_S6_ZZZN2at6native31launch_logcumsumexp_cuda_kernelERKNSD_10TensorBaseESH_lENKUlvE_clEvENKUlvE3_clEvEUlS6_S6_E_S6_EEDaPvRmT3_T4_T5_mT6_P12ihipStream_tbENKUlT_T0_E_clISt17integral_constantIbLb0EESX_IbLb1EEEEDaST_SU_EUlST_E_NS1_11comp_targetILNS1_3genE10ELNS1_11target_archE1201ELNS1_3gpuE5ELNS1_3repE0EEENS1_30default_config_static_selectorELNS0_4arch9wavefront6targetE0EEEvT1_ ; -- Begin function _ZN7rocprim17ROCPRIM_400000_NS6detail17trampoline_kernelINS0_14default_configENS1_20scan_config_selectorIN3c104HalfEEEZZNS1_9scan_implILNS1_25lookback_scan_determinismE0ELb0ELb0ES3_PKS6_PS6_S6_ZZZN2at6native31launch_logcumsumexp_cuda_kernelERKNSD_10TensorBaseESH_lENKUlvE_clEvENKUlvE3_clEvEUlS6_S6_E_S6_EEDaPvRmT3_T4_T5_mT6_P12ihipStream_tbENKUlT_T0_E_clISt17integral_constantIbLb0EESX_IbLb1EEEEDaST_SU_EUlST_E_NS1_11comp_targetILNS1_3genE10ELNS1_11target_archE1201ELNS1_3gpuE5ELNS1_3repE0EEENS1_30default_config_static_selectorELNS0_4arch9wavefront6targetE0EEEvT1_
	.p2align	8
	.type	_ZN7rocprim17ROCPRIM_400000_NS6detail17trampoline_kernelINS0_14default_configENS1_20scan_config_selectorIN3c104HalfEEEZZNS1_9scan_implILNS1_25lookback_scan_determinismE0ELb0ELb0ES3_PKS6_PS6_S6_ZZZN2at6native31launch_logcumsumexp_cuda_kernelERKNSD_10TensorBaseESH_lENKUlvE_clEvENKUlvE3_clEvEUlS6_S6_E_S6_EEDaPvRmT3_T4_T5_mT6_P12ihipStream_tbENKUlT_T0_E_clISt17integral_constantIbLb0EESX_IbLb1EEEEDaST_SU_EUlST_E_NS1_11comp_targetILNS1_3genE10ELNS1_11target_archE1201ELNS1_3gpuE5ELNS1_3repE0EEENS1_30default_config_static_selectorELNS0_4arch9wavefront6targetE0EEEvT1_,@function
_ZN7rocprim17ROCPRIM_400000_NS6detail17trampoline_kernelINS0_14default_configENS1_20scan_config_selectorIN3c104HalfEEEZZNS1_9scan_implILNS1_25lookback_scan_determinismE0ELb0ELb0ES3_PKS6_PS6_S6_ZZZN2at6native31launch_logcumsumexp_cuda_kernelERKNSD_10TensorBaseESH_lENKUlvE_clEvENKUlvE3_clEvEUlS6_S6_E_S6_EEDaPvRmT3_T4_T5_mT6_P12ihipStream_tbENKUlT_T0_E_clISt17integral_constantIbLb0EESX_IbLb1EEEEDaST_SU_EUlST_E_NS1_11comp_targetILNS1_3genE10ELNS1_11target_archE1201ELNS1_3gpuE5ELNS1_3repE0EEENS1_30default_config_static_selectorELNS0_4arch9wavefront6targetE0EEEvT1_: ; @_ZN7rocprim17ROCPRIM_400000_NS6detail17trampoline_kernelINS0_14default_configENS1_20scan_config_selectorIN3c104HalfEEEZZNS1_9scan_implILNS1_25lookback_scan_determinismE0ELb0ELb0ES3_PKS6_PS6_S6_ZZZN2at6native31launch_logcumsumexp_cuda_kernelERKNSD_10TensorBaseESH_lENKUlvE_clEvENKUlvE3_clEvEUlS6_S6_E_S6_EEDaPvRmT3_T4_T5_mT6_P12ihipStream_tbENKUlT_T0_E_clISt17integral_constantIbLb0EESX_IbLb1EEEEDaST_SU_EUlST_E_NS1_11comp_targetILNS1_3genE10ELNS1_11target_archE1201ELNS1_3gpuE5ELNS1_3repE0EEENS1_30default_config_static_selectorELNS0_4arch9wavefront6targetE0EEEvT1_
; %bb.0:
	s_load_b64 s[28:29], s[0:1], 0x28
	v_cmp_ne_u32_e64 s2, 0, v0
	v_cmp_eq_u32_e64 s3, 0, v0
	s_and_saveexec_b32 s4, s3
	s_cbranch_execz .LBB421_4
; %bb.1:
	s_mov_b32 s6, exec_lo
	s_mov_b32 s5, exec_lo
	v_mbcnt_lo_u32_b32 v1, s6, 0
                                        ; implicit-def: $vgpr2
	s_delay_alu instid0(VALU_DEP_1)
	v_cmpx_eq_u32_e32 0, v1
	s_cbranch_execz .LBB421_3
; %bb.2:
	s_load_b64 s[8:9], s[0:1], 0x58
	s_bcnt1_i32_b32 s6, s6
	s_wait_alu 0xfffe
	v_dual_mov_b32 v2, 0 :: v_dual_mov_b32 v3, s6
	s_wait_kmcnt 0x0
	global_atomic_add_u32 v2, v2, v3, s[8:9] th:TH_ATOMIC_RETURN scope:SCOPE_DEV
.LBB421_3:
	s_or_b32 exec_lo, exec_lo, s5
	s_wait_loadcnt 0x0
	v_readfirstlane_b32 s5, v2
	s_delay_alu instid0(VALU_DEP_1)
	v_dual_mov_b32 v2, 0 :: v_dual_add_nc_u32 v1, s5, v1
	ds_store_b32 v2, v1
.LBB421_4:
	s_or_b32 exec_lo, exec_lo, s4
	v_mov_b32_e32 v1, 0
	s_clause 0x2
	s_load_b256 s[36:43], s[0:1], 0x0
	s_load_b32 s4, s[0:1], 0x30
	s_load_b256 s[20:27], s[0:1], 0x38
	s_wait_dscnt 0x0
	s_barrier_signal -1
	s_barrier_wait -1
	global_inv scope:SCOPE_SE
	ds_load_b32 v1, v1
	s_mov_b32 s7, 0
	v_lshlrev_b32_e32 v11, 1, v0
	s_wait_alu 0xfffe
	s_mov_b32 s11, s7
	s_mov_b32 s8, -1
	s_wait_loadcnt_dscnt 0x0
	s_barrier_signal -1
	s_barrier_wait -1
	global_inv scope:SCOPE_SE
	s_wait_kmcnt 0x0
	s_lshl_b64 s[30:31], s[38:39], 1
	s_add_co_i32 s0, s4, -1
	s_add_nc_u64 s[4:5], s[36:37], s[30:31]
	s_mul_i32 s6, s0, 0xc00
	v_readfirstlane_b32 s33, v1
	v_cmp_ne_u32_e64 s0, s0, v1
	s_mul_i32 s10, s33, 0xc00
	s_and_b32 vcc_lo, exec_lo, s0
	s_lshl_b64 s[34:35], s[10:11], 1
	s_wait_alu 0xfffe
	s_add_nc_u64 s[4:5], s[4:5], s[34:35]
	s_cbranch_vccz .LBB421_6
; %bb.5:
	s_clause 0xb
	global_load_u16 v1, v11, s[4:5]
	global_load_u16 v2, v11, s[4:5] offset:512
	global_load_u16 v3, v11, s[4:5] offset:1024
	;; [unrolled: 1-line block ×11, first 2 shown]
	s_mov_b32 s8, s7
	s_wait_loadcnt 0xb
	ds_store_b16 v11, v1
	s_wait_loadcnt 0xa
	ds_store_b16 v11, v2 offset:512
	s_wait_loadcnt 0x9
	ds_store_b16 v11, v3 offset:1024
	;; [unrolled: 2-line block ×11, first 2 shown]
	s_wait_dscnt 0x0
	s_barrier_signal -1
	s_barrier_wait -1
.LBB421_6:
	s_sub_nc_u64 s[18:19], s[42:43], s[6:7]
	s_and_not1_b32 vcc_lo, exec_lo, s8
	v_cmp_gt_u32_e64 s1, s18, v0
	s_cbranch_vccnz .LBB421_32
; %bb.7:
	v_mov_b32_e32 v1, 0
	global_load_u16 v1, v1, s[4:5]
	s_wait_loadcnt 0x0
	v_mov_b32_e32 v2, v1
	s_and_saveexec_b32 s6, s1
	s_cbranch_execz .LBB421_9
; %bb.8:
	global_load_u16 v2, v11, s[4:5]
.LBB421_9:
	s_wait_alu 0xfffe
	s_or_b32 exec_lo, exec_lo, s6
	v_or_b32_e32 v3, 0x100, v0
	s_delay_alu instid0(VALU_DEP_1)
	v_cmp_gt_u32_e32 vcc_lo, s18, v3
	v_mov_b32_e32 v3, v1
	s_and_saveexec_b32 s1, vcc_lo
	s_cbranch_execz .LBB421_11
; %bb.10:
	global_load_u16 v3, v11, s[4:5] offset:512
.LBB421_11:
	s_wait_alu 0xfffe
	s_or_b32 exec_lo, exec_lo, s1
	v_or_b32_e32 v4, 0x200, v0
	s_delay_alu instid0(VALU_DEP_1)
	v_cmp_gt_u32_e32 vcc_lo, s18, v4
	v_mov_b32_e32 v4, v1
	s_and_saveexec_b32 s1, vcc_lo
	s_cbranch_execz .LBB421_13
; %bb.12:
	global_load_u16 v4, v11, s[4:5] offset:1024
.LBB421_13:
	;; [unrolled: 11-line block ×10, first 2 shown]
	s_wait_alu 0xfffe
	s_or_b32 exec_lo, exec_lo, s1
	v_or_b32_e32 v14, 0xb00, v0
	s_mov_b32 s1, exec_lo
	s_delay_alu instid0(VALU_DEP_1)
	v_cmpx_gt_u32_e64 s18, v14
	s_cbranch_execz .LBB421_31
; %bb.30:
	global_load_u16 v1, v11, s[4:5] offset:5632
.LBB421_31:
	s_wait_alu 0xfffe
	s_or_b32 exec_lo, exec_lo, s1
	s_wait_loadcnt 0x0
	ds_store_b16 v11, v2
	ds_store_b16 v11, v3 offset:512
	ds_store_b16 v11, v4 offset:1024
	;; [unrolled: 1-line block ×11, first 2 shown]
	s_wait_dscnt 0x0
	s_barrier_signal -1
	s_barrier_wait -1
.LBB421_32:
	v_mul_u32_u24_e32 v12, 24, v0
	s_wait_loadcnt 0x0
	global_inv scope:SCOPE_SE
	s_cmp_lg_u32 s33, 0
	ds_load_2addr_b64 v[1:4], v12 offset1:1
	ds_load_b64 v[5:6], v12 offset:16
	s_wait_loadcnt_dscnt 0x0
	s_barrier_signal -1
	s_barrier_wait -1
	global_inv scope:SCOPE_SE
	v_lshrrev_b32_e32 v19, 16, v1
	v_lshrrev_b32_e32 v18, 16, v2
	;; [unrolled: 1-line block ×6, first 2 shown]
	v_cvt_f32_f16_e32 v13, v19
	v_cmp_u_f16_e64 s1, v19, v19
	s_cbranch_scc0 .LBB421_166
; %bb.33:
	v_cvt_f32_f16_e32 v30, v1
	v_cmp_u_f16_e64 s14, v1, v1
	v_mov_b32_e32 v31, v1
	s_delay_alu instid0(VALU_DEP_3) | instskip(SKIP_1) | instid1(VALU_DEP_2)
	v_min_num_f32_e32 v7, v30, v13
	v_max_num_f32_e32 v8, v30, v13
	v_cndmask_b32_e64 v7, v7, v30, s14
	s_wait_alu 0xf1ff
	s_delay_alu instid0(VALU_DEP_1) | instskip(SKIP_2) | instid1(VALU_DEP_3)
	v_cndmask_b32_e64 v10, v7, v13, s1
	v_mov_b32_e32 v7, v1
	v_cndmask_b32_e64 v8, v8, v30, s14
	v_cmp_class_f32_e64 s4, v10, 0x1f8
	s_delay_alu instid0(VALU_DEP_2) | instskip(SKIP_1) | instid1(VALU_DEP_2)
	v_cndmask_b32_e64 v9, v8, v13, s1
	v_mov_b32_e32 v8, v30
	v_cmp_neq_f32_e32 vcc_lo, v10, v9
	s_wait_alu 0xfffe
	s_or_b32 s5, vcc_lo, s4
	s_wait_alu 0xfffe
	s_and_saveexec_b32 s4, s5
	s_cbranch_execz .LBB421_35
; %bb.34:
	v_sub_f32_e32 v7, v10, v9
	s_mov_b32 s5, 0x3e9b6dac
	s_delay_alu instid0(VALU_DEP_1) | instskip(NEXT) | instid1(VALU_DEP_1)
	v_mul_f32_e32 v8, 0x3fb8aa3b, v7
	v_fma_f32 v10, 0x3fb8aa3b, v7, -v8
	v_rndne_f32_e32 v20, v8
	s_delay_alu instid0(VALU_DEP_1) | instskip(NEXT) | instid1(VALU_DEP_3)
	v_sub_f32_e32 v8, v8, v20
	v_fmamk_f32 v10, v7, 0x32a5705f, v10
	v_cmp_ngt_f32_e32 vcc_lo, 0xc2ce8ed0, v7
	s_delay_alu instid0(VALU_DEP_2) | instskip(SKIP_1) | instid1(VALU_DEP_2)
	v_add_f32_e32 v8, v8, v10
	v_cvt_i32_f32_e32 v10, v20
	v_exp_f32_e32 v8, v8
	s_delay_alu instid0(TRANS32_DEP_1) | instskip(NEXT) | instid1(VALU_DEP_1)
	v_ldexp_f32 v8, v8, v10
	v_cndmask_b32_e32 v8, 0, v8, vcc_lo
	v_cmp_nlt_f32_e32 vcc_lo, 0x42b17218, v7
	s_wait_alu 0xfffd
	s_delay_alu instid0(VALU_DEP_2) | instskip(NEXT) | instid1(VALU_DEP_1)
	v_cndmask_b32_e32 v10, 0x7f800000, v8, vcc_lo
	v_add_f32_e32 v20, 1.0, v10
	s_delay_alu instid0(VALU_DEP_1) | instskip(NEXT) | instid1(VALU_DEP_1)
	v_cvt_f64_f32_e32 v[7:8], v20
	v_frexp_exp_i32_f64_e32 v7, v[7:8]
	v_frexp_mant_f32_e32 v8, v20
	s_delay_alu instid0(VALU_DEP_1) | instskip(SKIP_1) | instid1(VALU_DEP_1)
	v_cmp_gt_f32_e32 vcc_lo, 0x3f2aaaab, v8
	v_add_f32_e32 v8, -1.0, v20
	v_sub_f32_e32 v22, v8, v20
	v_sub_f32_e32 v8, v10, v8
	s_delay_alu instid0(VALU_DEP_2) | instskip(NEXT) | instid1(VALU_DEP_1)
	v_add_f32_e32 v22, 1.0, v22
	v_add_f32_e32 v8, v8, v22
	s_wait_alu 0xfffd
	v_subrev_co_ci_u32_e64 v7, null, 0, v7, vcc_lo
	s_delay_alu instid0(VALU_DEP_1) | instskip(SKIP_1) | instid1(VALU_DEP_2)
	v_sub_nc_u32_e32 v21, 0, v7
	v_cvt_f32_i32_e32 v7, v7
	v_ldexp_f32 v20, v20, v21
	v_ldexp_f32 v8, v8, v21
	s_delay_alu instid0(VALU_DEP_2) | instskip(NEXT) | instid1(VALU_DEP_1)
	v_add_f32_e32 v23, 1.0, v20
	v_dual_add_f32 v21, -1.0, v20 :: v_dual_add_f32 v22, -1.0, v23
	s_delay_alu instid0(VALU_DEP_1) | instskip(NEXT) | instid1(VALU_DEP_2)
	v_add_f32_e32 v24, 1.0, v21
	v_sub_f32_e32 v22, v20, v22
	s_delay_alu instid0(VALU_DEP_2) | instskip(NEXT) | instid1(VALU_DEP_2)
	v_sub_f32_e32 v20, v20, v24
	v_add_f32_e32 v22, v8, v22
	s_delay_alu instid0(VALU_DEP_2) | instskip(NEXT) | instid1(VALU_DEP_1)
	v_add_f32_e32 v8, v8, v20
	v_dual_add_f32 v24, v23, v22 :: v_dual_add_f32 v25, v21, v8
	s_delay_alu instid0(VALU_DEP_1) | instskip(SKIP_1) | instid1(VALU_DEP_1)
	v_rcp_f32_e32 v20, v24
	v_sub_f32_e32 v23, v23, v24
	v_dual_sub_f32 v21, v21, v25 :: v_dual_add_f32 v22, v22, v23
	s_delay_alu instid0(TRANS32_DEP_1) | instskip(NEXT) | instid1(VALU_DEP_2)
	v_mul_f32_e32 v26, v25, v20
	v_add_f32_e32 v8, v8, v21
	s_delay_alu instid0(VALU_DEP_2) | instskip(NEXT) | instid1(VALU_DEP_1)
	v_mul_f32_e32 v27, v24, v26
	v_fma_f32 v23, v26, v24, -v27
	s_delay_alu instid0(VALU_DEP_1) | instskip(SKIP_1) | instid1(VALU_DEP_2)
	v_fmac_f32_e32 v23, v26, v22
	v_cmp_neq_f32_e32 vcc_lo, 0x7f800000, v10
	v_add_f32_e32 v28, v27, v23
	s_delay_alu instid0(VALU_DEP_1) | instskip(SKIP_1) | instid1(VALU_DEP_2)
	v_sub_f32_e32 v29, v25, v28
	v_sub_f32_e32 v21, v28, v27
	;; [unrolled: 1-line block ×3, first 2 shown]
	s_delay_alu instid0(VALU_DEP_2) | instskip(NEXT) | instid1(VALU_DEP_2)
	v_sub_f32_e32 v21, v21, v23
	v_sub_f32_e32 v25, v25, v28
	s_delay_alu instid0(VALU_DEP_1) | instskip(NEXT) | instid1(VALU_DEP_1)
	v_add_f32_e32 v8, v8, v25
	v_add_f32_e32 v8, v21, v8
	s_delay_alu instid0(VALU_DEP_1) | instskip(NEXT) | instid1(VALU_DEP_1)
	v_add_f32_e32 v21, v29, v8
	v_mul_f32_e32 v23, v20, v21
	s_delay_alu instid0(VALU_DEP_1) | instskip(NEXT) | instid1(VALU_DEP_1)
	v_dual_sub_f32 v28, v29, v21 :: v_dual_mul_f32 v25, v24, v23
	v_add_f32_e32 v8, v8, v28
	s_delay_alu instid0(VALU_DEP_2) | instskip(NEXT) | instid1(VALU_DEP_1)
	v_fma_f32 v24, v23, v24, -v25
	v_fmac_f32_e32 v24, v23, v22
	s_delay_alu instid0(VALU_DEP_1) | instskip(NEXT) | instid1(VALU_DEP_1)
	v_add_f32_e32 v22, v25, v24
	v_sub_f32_e32 v27, v21, v22
	v_sub_f32_e32 v25, v22, v25
	s_delay_alu instid0(VALU_DEP_2) | instskip(NEXT) | instid1(VALU_DEP_1)
	v_sub_f32_e32 v21, v21, v27
	v_sub_f32_e32 v21, v21, v22
	s_delay_alu instid0(VALU_DEP_3) | instskip(NEXT) | instid1(VALU_DEP_2)
	v_sub_f32_e32 v22, v25, v24
	v_dual_add_f32 v8, v8, v21 :: v_dual_add_f32 v21, v26, v23
	s_delay_alu instid0(VALU_DEP_1) | instskip(NEXT) | instid1(VALU_DEP_2)
	v_add_f32_e32 v8, v22, v8
	v_sub_f32_e32 v22, v21, v26
	s_delay_alu instid0(VALU_DEP_2) | instskip(NEXT) | instid1(VALU_DEP_2)
	v_add_f32_e32 v8, v27, v8
	v_sub_f32_e32 v22, v23, v22
	s_delay_alu instid0(VALU_DEP_2) | instskip(NEXT) | instid1(VALU_DEP_1)
	v_mul_f32_e32 v8, v20, v8
	v_add_f32_e32 v8, v22, v8
	s_delay_alu instid0(VALU_DEP_1) | instskip(NEXT) | instid1(VALU_DEP_1)
	v_add_f32_e32 v20, v21, v8
	v_mul_f32_e32 v22, v20, v20
	s_wait_alu 0xfffe
	s_delay_alu instid0(VALU_DEP_1) | instskip(SKIP_1) | instid1(VALU_DEP_2)
	v_fmaak_f32 v23, s5, v22, 0x3ecc95a3
	v_mul_f32_e32 v24, v20, v22
	v_fmaak_f32 v22, v22, v23, 0x3f2aaada
	v_ldexp_f32 v23, v20, 1
	v_sub_f32_e32 v20, v20, v21
	s_delay_alu instid0(VALU_DEP_3) | instskip(SKIP_1) | instid1(VALU_DEP_2)
	v_mul_f32_e32 v22, v24, v22
	v_mul_f32_e32 v24, 0x3f317218, v7
	v_dual_sub_f32 v8, v8, v20 :: v_dual_add_f32 v21, v23, v22
	s_delay_alu instid0(VALU_DEP_1) | instskip(NEXT) | instid1(VALU_DEP_2)
	v_ldexp_f32 v8, v8, 1
	v_sub_f32_e32 v20, v21, v23
	s_delay_alu instid0(VALU_DEP_4) | instskip(NEXT) | instid1(VALU_DEP_1)
	v_fma_f32 v23, 0x3f317218, v7, -v24
	v_dual_sub_f32 v20, v22, v20 :: v_dual_fmamk_f32 v7, v7, 0xb102e308, v23
	s_delay_alu instid0(VALU_DEP_1) | instskip(NEXT) | instid1(VALU_DEP_2)
	v_add_f32_e32 v8, v8, v20
	v_add_f32_e32 v20, v24, v7
	s_delay_alu instid0(VALU_DEP_2) | instskip(NEXT) | instid1(VALU_DEP_2)
	v_add_f32_e32 v22, v21, v8
	v_sub_f32_e32 v24, v20, v24
	s_delay_alu instid0(VALU_DEP_2) | instskip(SKIP_1) | instid1(VALU_DEP_3)
	v_add_f32_e32 v23, v20, v22
	v_sub_f32_e32 v21, v22, v21
	v_sub_f32_e32 v7, v7, v24
	s_delay_alu instid0(VALU_DEP_2) | instskip(NEXT) | instid1(VALU_DEP_1)
	v_dual_sub_f32 v25, v23, v20 :: v_dual_sub_f32 v8, v8, v21
	v_sub_f32_e32 v26, v23, v25
	s_delay_alu instid0(VALU_DEP_2) | instskip(NEXT) | instid1(VALU_DEP_2)
	v_dual_sub_f32 v21, v22, v25 :: v_dual_add_f32 v22, v7, v8
	v_sub_f32_e32 v20, v20, v26
	s_delay_alu instid0(VALU_DEP_1) | instskip(NEXT) | instid1(VALU_DEP_1)
	v_dual_add_f32 v20, v21, v20 :: v_dual_sub_f32 v21, v22, v7
	v_add_f32_e32 v20, v22, v20
	s_delay_alu instid0(VALU_DEP_2) | instskip(SKIP_1) | instid1(VALU_DEP_3)
	v_sub_f32_e32 v22, v22, v21
	v_sub_f32_e32 v8, v8, v21
	v_add_f32_e32 v24, v23, v20
	s_delay_alu instid0(VALU_DEP_3) | instskip(NEXT) | instid1(VALU_DEP_2)
	v_sub_f32_e32 v7, v7, v22
	v_sub_f32_e32 v21, v24, v23
	s_delay_alu instid0(VALU_DEP_2) | instskip(NEXT) | instid1(VALU_DEP_2)
	v_add_f32_e32 v7, v8, v7
	v_sub_f32_e32 v8, v20, v21
	s_delay_alu instid0(VALU_DEP_1) | instskip(NEXT) | instid1(VALU_DEP_1)
	v_add_f32_e32 v7, v7, v8
	v_add_f32_e32 v7, v24, v7
	s_wait_alu 0xfffd
	s_delay_alu instid0(VALU_DEP_1) | instskip(SKIP_2) | instid1(VALU_DEP_2)
	v_cndmask_b32_e32 v7, 0x7f800000, v7, vcc_lo
	v_cmp_gt_f32_e64 vcc_lo, 0x33800000, |v10|
	s_wait_alu 0xfffd
	v_cndmask_b32_e32 v7, v7, v10, vcc_lo
	s_delay_alu instid0(VALU_DEP_1) | instskip(NEXT) | instid1(VALU_DEP_1)
	v_add_f32_e32 v7, v9, v7
	v_cvt_f16_f32_e32 v7, v7
	s_delay_alu instid0(VALU_DEP_1)
	v_cvt_f32_f16_e32 v8, v7
	v_mov_b32_e32 v31, v7
.LBB421_35:
	s_wait_alu 0xfffe
	s_or_b32 exec_lo, exec_lo, s4
	v_cvt_f32_f16_e32 v20, v2
	v_max_num_f32_e32 v9, v8, v8
	v_cmp_u_f16_e32 vcc_lo, v7, v7
	v_cmp_u_f16_e64 s4, v2, v2
	s_delay_alu instid0(VALU_DEP_3) | instskip(SKIP_2) | instid1(VALU_DEP_2)
	v_min_num_f32_e32 v10, v9, v20
	v_max_num_f32_e32 v9, v9, v20
	s_wait_alu 0xfffd
	v_cndmask_b32_e32 v10, v10, v8, vcc_lo
	s_delay_alu instid0(VALU_DEP_2) | instskip(SKIP_1) | instid1(VALU_DEP_2)
	v_cndmask_b32_e32 v9, v9, v8, vcc_lo
	s_wait_alu 0xf1ff
	v_cndmask_b32_e64 v10, v10, v20, s4
	s_delay_alu instid0(VALU_DEP_2) | instskip(NEXT) | instid1(VALU_DEP_2)
	v_cndmask_b32_e64 v9, v9, v20, s4
	v_cmp_class_f32_e64 s5, v10, 0x1f8
	s_delay_alu instid0(VALU_DEP_2)
	v_cmp_neq_f32_e32 vcc_lo, v10, v9
	s_or_b32 s6, vcc_lo, s5
	s_wait_alu 0xfffe
	s_and_saveexec_b32 s5, s6
	s_cbranch_execz .LBB421_37
; %bb.36:
	v_sub_f32_e32 v7, v10, v9
	s_mov_b32 s6, 0x3e9b6dac
	s_delay_alu instid0(VALU_DEP_1) | instskip(NEXT) | instid1(VALU_DEP_1)
	v_mul_f32_e32 v8, 0x3fb8aa3b, v7
	v_fma_f32 v10, 0x3fb8aa3b, v7, -v8
	v_rndne_f32_e32 v21, v8
	s_delay_alu instid0(VALU_DEP_2) | instskip(NEXT) | instid1(VALU_DEP_2)
	v_fmamk_f32 v10, v7, 0x32a5705f, v10
	v_sub_f32_e32 v8, v8, v21
	s_delay_alu instid0(VALU_DEP_1) | instskip(SKIP_2) | instid1(VALU_DEP_3)
	v_add_f32_e32 v8, v8, v10
	v_cvt_i32_f32_e32 v10, v21
	v_cmp_ngt_f32_e32 vcc_lo, 0xc2ce8ed0, v7
	v_exp_f32_e32 v8, v8
	s_delay_alu instid0(TRANS32_DEP_1) | instskip(SKIP_1) | instid1(VALU_DEP_1)
	v_ldexp_f32 v8, v8, v10
	s_wait_alu 0xfffd
	v_cndmask_b32_e32 v8, 0, v8, vcc_lo
	v_cmp_nlt_f32_e32 vcc_lo, 0x42b17218, v7
	s_wait_alu 0xfffd
	s_delay_alu instid0(VALU_DEP_2) | instskip(NEXT) | instid1(VALU_DEP_1)
	v_cndmask_b32_e32 v10, 0x7f800000, v8, vcc_lo
	v_add_f32_e32 v21, 1.0, v10
	s_delay_alu instid0(VALU_DEP_1) | instskip(NEXT) | instid1(VALU_DEP_1)
	v_cvt_f64_f32_e32 v[7:8], v21
	v_frexp_exp_i32_f64_e32 v7, v[7:8]
	v_frexp_mant_f32_e32 v8, v21
	s_delay_alu instid0(VALU_DEP_1) | instskip(SKIP_1) | instid1(VALU_DEP_1)
	v_cmp_gt_f32_e32 vcc_lo, 0x3f2aaaab, v8
	v_add_f32_e32 v8, -1.0, v21
	v_sub_f32_e32 v23, v8, v21
	s_delay_alu instid0(VALU_DEP_1) | instskip(SKIP_2) | instid1(VALU_DEP_1)
	v_add_f32_e32 v23, 1.0, v23
	s_wait_alu 0xfffd
	v_subrev_co_ci_u32_e64 v7, null, 0, v7, vcc_lo
	v_sub_nc_u32_e32 v22, 0, v7
	v_cvt_f32_i32_e32 v7, v7
	s_delay_alu instid0(VALU_DEP_2) | instskip(SKIP_1) | instid1(VALU_DEP_1)
	v_ldexp_f32 v21, v21, v22
	v_sub_f32_e32 v8, v10, v8
	v_add_f32_e32 v8, v8, v23
	s_delay_alu instid0(VALU_DEP_1) | instskip(NEXT) | instid1(VALU_DEP_4)
	v_ldexp_f32 v8, v8, v22
	v_add_f32_e32 v24, 1.0, v21
	s_delay_alu instid0(VALU_DEP_1) | instskip(NEXT) | instid1(VALU_DEP_1)
	v_add_f32_e32 v23, -1.0, v24
	v_sub_f32_e32 v23, v21, v23
	s_delay_alu instid0(VALU_DEP_1) | instskip(NEXT) | instid1(VALU_DEP_1)
	v_dual_add_f32 v23, v8, v23 :: v_dual_add_f32 v22, -1.0, v21
	v_add_f32_e32 v25, 1.0, v22
	v_cmp_neq_f32_e32 vcc_lo, 0x7f800000, v10
	s_delay_alu instid0(VALU_DEP_2) | instskip(NEXT) | instid1(VALU_DEP_4)
	v_sub_f32_e32 v21, v21, v25
	v_add_f32_e32 v25, v24, v23
	s_delay_alu instid0(VALU_DEP_1) | instskip(NEXT) | instid1(VALU_DEP_3)
	v_sub_f32_e32 v24, v24, v25
	v_add_f32_e32 v8, v8, v21
	v_rcp_f32_e32 v21, v25
	s_delay_alu instid0(VALU_DEP_2) | instskip(NEXT) | instid1(VALU_DEP_2)
	v_add_f32_e32 v23, v23, v24
	v_add_f32_e32 v26, v22, v8
	s_delay_alu instid0(VALU_DEP_1)
	v_sub_f32_e32 v22, v22, v26
	s_delay_alu instid0(TRANS32_DEP_1) | instid1(VALU_DEP_1)
	v_dual_mul_f32 v27, v26, v21 :: v_dual_add_f32 v8, v8, v22
	s_delay_alu instid0(VALU_DEP_1) | instskip(NEXT) | instid1(VALU_DEP_1)
	v_mul_f32_e32 v28, v25, v27
	v_fma_f32 v24, v27, v25, -v28
	s_delay_alu instid0(VALU_DEP_1) | instskip(NEXT) | instid1(VALU_DEP_1)
	v_fmac_f32_e32 v24, v27, v23
	v_add_f32_e32 v29, v28, v24
	s_delay_alu instid0(VALU_DEP_1) | instskip(NEXT) | instid1(VALU_DEP_1)
	v_dual_sub_f32 v31, v26, v29 :: v_dual_sub_f32 v22, v29, v28
	v_sub_f32_e32 v26, v26, v31
	s_delay_alu instid0(VALU_DEP_2) | instskip(NEXT) | instid1(VALU_DEP_2)
	v_sub_f32_e32 v22, v22, v24
	v_sub_f32_e32 v26, v26, v29
	s_delay_alu instid0(VALU_DEP_1) | instskip(NEXT) | instid1(VALU_DEP_1)
	v_add_f32_e32 v8, v8, v26
	v_add_f32_e32 v8, v22, v8
	s_delay_alu instid0(VALU_DEP_1) | instskip(NEXT) | instid1(VALU_DEP_1)
	v_add_f32_e32 v22, v31, v8
	v_mul_f32_e32 v24, v21, v22
	s_delay_alu instid0(VALU_DEP_1) | instskip(NEXT) | instid1(VALU_DEP_1)
	v_dual_sub_f32 v29, v31, v22 :: v_dual_mul_f32 v26, v25, v24
	v_add_f32_e32 v8, v8, v29
	s_delay_alu instid0(VALU_DEP_2) | instskip(NEXT) | instid1(VALU_DEP_1)
	v_fma_f32 v25, v24, v25, -v26
	v_fmac_f32_e32 v25, v24, v23
	s_delay_alu instid0(VALU_DEP_1) | instskip(NEXT) | instid1(VALU_DEP_1)
	v_add_f32_e32 v23, v26, v25
	v_sub_f32_e32 v28, v22, v23
	v_sub_f32_e32 v26, v23, v26
	s_delay_alu instid0(VALU_DEP_2) | instskip(NEXT) | instid1(VALU_DEP_1)
	v_sub_f32_e32 v22, v22, v28
	v_sub_f32_e32 v22, v22, v23
	s_delay_alu instid0(VALU_DEP_1) | instskip(SKIP_1) | instid1(VALU_DEP_1)
	v_dual_sub_f32 v23, v26, v25 :: v_dual_add_f32 v8, v8, v22
	v_add_f32_e32 v22, v27, v24
	v_dual_add_f32 v8, v23, v8 :: v_dual_sub_f32 v23, v22, v27
	s_delay_alu instid0(VALU_DEP_1) | instskip(NEXT) | instid1(VALU_DEP_1)
	v_add_f32_e32 v8, v28, v8
	v_dual_sub_f32 v23, v24, v23 :: v_dual_mul_f32 v8, v21, v8
	s_delay_alu instid0(VALU_DEP_1) | instskip(NEXT) | instid1(VALU_DEP_1)
	v_add_f32_e32 v8, v23, v8
	v_add_f32_e32 v21, v22, v8
	s_delay_alu instid0(VALU_DEP_1) | instskip(SKIP_1) | instid1(VALU_DEP_1)
	v_mul_f32_e32 v23, v21, v21
	s_wait_alu 0xfffe
	v_fmaak_f32 v24, s6, v23, 0x3ecc95a3
	v_mul_f32_e32 v25, v21, v23
	s_delay_alu instid0(VALU_DEP_2) | instskip(SKIP_2) | instid1(VALU_DEP_3)
	v_fmaak_f32 v23, v23, v24, 0x3f2aaada
	v_ldexp_f32 v24, v21, 1
	v_sub_f32_e32 v21, v21, v22
	v_mul_f32_e32 v23, v25, v23
	s_delay_alu instid0(VALU_DEP_2) | instskip(NEXT) | instid1(VALU_DEP_2)
	v_dual_mul_f32 v25, 0x3f317218, v7 :: v_dual_sub_f32 v8, v8, v21
	v_add_f32_e32 v22, v24, v23
	s_delay_alu instid0(VALU_DEP_2) | instskip(NEXT) | instid1(VALU_DEP_2)
	v_ldexp_f32 v8, v8, 1
	v_sub_f32_e32 v21, v22, v24
	s_delay_alu instid0(VALU_DEP_4) | instskip(NEXT) | instid1(VALU_DEP_2)
	v_fma_f32 v24, 0x3f317218, v7, -v25
	v_sub_f32_e32 v21, v23, v21
	s_delay_alu instid0(VALU_DEP_1) | instskip(NEXT) | instid1(VALU_DEP_1)
	v_dual_fmamk_f32 v7, v7, 0xb102e308, v24 :: v_dual_add_f32 v8, v8, v21
	v_add_f32_e32 v21, v25, v7
	s_delay_alu instid0(VALU_DEP_2) | instskip(NEXT) | instid1(VALU_DEP_2)
	v_add_f32_e32 v23, v22, v8
	v_sub_f32_e32 v25, v21, v25
	s_delay_alu instid0(VALU_DEP_2) | instskip(SKIP_1) | instid1(VALU_DEP_3)
	v_add_f32_e32 v24, v21, v23
	v_sub_f32_e32 v22, v23, v22
	v_sub_f32_e32 v7, v7, v25
	s_delay_alu instid0(VALU_DEP_3) | instskip(NEXT) | instid1(VALU_DEP_3)
	v_sub_f32_e32 v26, v24, v21
	v_sub_f32_e32 v8, v8, v22
	s_delay_alu instid0(VALU_DEP_2) | instskip(SKIP_1) | instid1(VALU_DEP_3)
	v_sub_f32_e32 v27, v24, v26
	v_sub_f32_e32 v22, v23, v26
	v_add_f32_e32 v23, v7, v8
	s_delay_alu instid0(VALU_DEP_3) | instskip(NEXT) | instid1(VALU_DEP_1)
	v_sub_f32_e32 v21, v21, v27
	v_dual_add_f32 v21, v22, v21 :: v_dual_sub_f32 v22, v23, v7
	s_delay_alu instid0(VALU_DEP_1) | instskip(NEXT) | instid1(VALU_DEP_2)
	v_add_f32_e32 v21, v23, v21
	v_sub_f32_e32 v23, v23, v22
	v_sub_f32_e32 v8, v8, v22
	s_delay_alu instid0(VALU_DEP_3) | instskip(NEXT) | instid1(VALU_DEP_1)
	v_add_f32_e32 v25, v24, v21
	v_dual_sub_f32 v7, v7, v23 :: v_dual_sub_f32 v22, v25, v24
	s_delay_alu instid0(VALU_DEP_1) | instskip(NEXT) | instid1(VALU_DEP_1)
	v_dual_add_f32 v7, v8, v7 :: v_dual_sub_f32 v8, v21, v22
	v_add_f32_e32 v7, v7, v8
	s_delay_alu instid0(VALU_DEP_1) | instskip(SKIP_1) | instid1(VALU_DEP_1)
	v_add_f32_e32 v7, v25, v7
	s_wait_alu 0xfffd
	v_cndmask_b32_e32 v7, 0x7f800000, v7, vcc_lo
	v_cmp_gt_f32_e64 vcc_lo, 0x33800000, |v10|
	s_wait_alu 0xfffd
	s_delay_alu instid0(VALU_DEP_2) | instskip(NEXT) | instid1(VALU_DEP_1)
	v_cndmask_b32_e32 v7, v7, v10, vcc_lo
	v_add_f32_e32 v7, v9, v7
	s_delay_alu instid0(VALU_DEP_1) | instskip(NEXT) | instid1(VALU_DEP_1)
	v_cvt_f16_f32_e32 v7, v7
	v_cvt_f32_f16_e32 v8, v7
	v_mov_b32_e32 v31, v7
.LBB421_37:
	s_wait_alu 0xfffe
	s_or_b32 exec_lo, exec_lo, s5
	v_cvt_f32_f16_e32 v21, v18
	v_max_num_f32_e32 v9, v8, v8
	v_cmp_u_f16_e32 vcc_lo, v7, v7
	v_cmp_u_f16_e64 s5, v18, v18
	s_delay_alu instid0(VALU_DEP_3) | instskip(SKIP_1) | instid1(VALU_DEP_1)
	v_min_num_f32_e32 v10, v9, v21
	s_wait_alu 0xfffd
	v_dual_max_num_f32 v9, v9, v21 :: v_dual_cndmask_b32 v10, v10, v8
	s_delay_alu instid0(VALU_DEP_1) | instskip(SKIP_1) | instid1(VALU_DEP_2)
	v_cndmask_b32_e32 v9, v9, v8, vcc_lo
	s_wait_alu 0xf1ff
	v_cndmask_b32_e64 v10, v10, v21, s5
	s_delay_alu instid0(VALU_DEP_2) | instskip(NEXT) | instid1(VALU_DEP_2)
	v_cndmask_b32_e64 v9, v9, v21, s5
	v_cmp_class_f32_e64 s6, v10, 0x1f8
	s_delay_alu instid0(VALU_DEP_2)
	v_cmp_neq_f32_e32 vcc_lo, v10, v9
	s_or_b32 s7, vcc_lo, s6
	s_wait_alu 0xfffe
	s_and_saveexec_b32 s6, s7
	s_cbranch_execz .LBB421_39
; %bb.38:
	v_sub_f32_e32 v7, v10, v9
	s_mov_b32 s7, 0x3e9b6dac
	s_delay_alu instid0(VALU_DEP_1) | instskip(NEXT) | instid1(VALU_DEP_1)
	v_mul_f32_e32 v8, 0x3fb8aa3b, v7
	v_fma_f32 v10, 0x3fb8aa3b, v7, -v8
	v_rndne_f32_e32 v22, v8
	s_delay_alu instid0(VALU_DEP_1) | instskip(NEXT) | instid1(VALU_DEP_3)
	v_sub_f32_e32 v8, v8, v22
	v_fmamk_f32 v10, v7, 0x32a5705f, v10
	v_cmp_ngt_f32_e32 vcc_lo, 0xc2ce8ed0, v7
	s_delay_alu instid0(VALU_DEP_2) | instskip(SKIP_1) | instid1(VALU_DEP_2)
	v_add_f32_e32 v8, v8, v10
	v_cvt_i32_f32_e32 v10, v22
	v_exp_f32_e32 v8, v8
	s_delay_alu instid0(TRANS32_DEP_1) | instskip(SKIP_1) | instid1(VALU_DEP_1)
	v_ldexp_f32 v8, v8, v10
	s_wait_alu 0xfffd
	v_cndmask_b32_e32 v8, 0, v8, vcc_lo
	v_cmp_nlt_f32_e32 vcc_lo, 0x42b17218, v7
	s_wait_alu 0xfffd
	s_delay_alu instid0(VALU_DEP_2) | instskip(NEXT) | instid1(VALU_DEP_1)
	v_cndmask_b32_e32 v10, 0x7f800000, v8, vcc_lo
	v_add_f32_e32 v22, 1.0, v10
	s_delay_alu instid0(VALU_DEP_1) | instskip(NEXT) | instid1(VALU_DEP_1)
	v_cvt_f64_f32_e32 v[7:8], v22
	v_frexp_exp_i32_f64_e32 v7, v[7:8]
	v_frexp_mant_f32_e32 v8, v22
	s_delay_alu instid0(VALU_DEP_1) | instskip(SKIP_1) | instid1(VALU_DEP_1)
	v_cmp_gt_f32_e32 vcc_lo, 0x3f2aaaab, v8
	v_add_f32_e32 v8, -1.0, v22
	v_sub_f32_e32 v24, v8, v22
	v_sub_f32_e32 v8, v10, v8
	s_delay_alu instid0(VALU_DEP_2) | instskip(NEXT) | instid1(VALU_DEP_1)
	v_add_f32_e32 v24, 1.0, v24
	v_add_f32_e32 v8, v8, v24
	s_wait_alu 0xfffd
	v_subrev_co_ci_u32_e64 v7, null, 0, v7, vcc_lo
	s_delay_alu instid0(VALU_DEP_1) | instskip(SKIP_1) | instid1(VALU_DEP_2)
	v_sub_nc_u32_e32 v23, 0, v7
	v_cvt_f32_i32_e32 v7, v7
	v_ldexp_f32 v22, v22, v23
	v_ldexp_f32 v8, v8, v23
	s_delay_alu instid0(VALU_DEP_2) | instskip(NEXT) | instid1(VALU_DEP_1)
	v_add_f32_e32 v25, 1.0, v22
	v_dual_add_f32 v23, -1.0, v22 :: v_dual_add_f32 v24, -1.0, v25
	s_delay_alu instid0(VALU_DEP_1) | instskip(NEXT) | instid1(VALU_DEP_2)
	v_add_f32_e32 v26, 1.0, v23
	v_sub_f32_e32 v24, v22, v24
	s_delay_alu instid0(VALU_DEP_2) | instskip(NEXT) | instid1(VALU_DEP_2)
	v_sub_f32_e32 v22, v22, v26
	v_add_f32_e32 v24, v8, v24
	s_delay_alu instid0(VALU_DEP_1) | instskip(NEXT) | instid1(VALU_DEP_3)
	v_add_f32_e32 v26, v25, v24
	v_add_f32_e32 v8, v8, v22
	s_delay_alu instid0(VALU_DEP_2) | instskip(NEXT) | instid1(VALU_DEP_1)
	v_rcp_f32_e32 v22, v26
	v_add_f32_e32 v27, v23, v8
	v_sub_f32_e32 v25, v25, v26
	s_delay_alu instid0(VALU_DEP_1) | instskip(NEXT) | instid1(TRANS32_DEP_1)
	v_dual_sub_f32 v23, v23, v27 :: v_dual_add_f32 v24, v24, v25
	v_mul_f32_e32 v28, v27, v22
	s_delay_alu instid0(VALU_DEP_1) | instskip(NEXT) | instid1(VALU_DEP_1)
	v_dual_add_f32 v8, v8, v23 :: v_dual_mul_f32 v29, v26, v28
	v_fma_f32 v25, v28, v26, -v29
	s_delay_alu instid0(VALU_DEP_1) | instskip(NEXT) | instid1(VALU_DEP_1)
	v_fmac_f32_e32 v25, v28, v24
	v_add_f32_e32 v31, v29, v25
	v_cmp_neq_f32_e32 vcc_lo, 0x7f800000, v10
	s_delay_alu instid0(VALU_DEP_2) | instskip(SKIP_1) | instid1(VALU_DEP_2)
	v_sub_f32_e32 v32, v27, v31
	v_sub_f32_e32 v23, v31, v29
	;; [unrolled: 1-line block ×3, first 2 shown]
	s_delay_alu instid0(VALU_DEP_2) | instskip(NEXT) | instid1(VALU_DEP_2)
	v_sub_f32_e32 v23, v23, v25
	v_sub_f32_e32 v27, v27, v31
	s_delay_alu instid0(VALU_DEP_1) | instskip(NEXT) | instid1(VALU_DEP_1)
	v_add_f32_e32 v8, v8, v27
	v_add_f32_e32 v8, v23, v8
	s_delay_alu instid0(VALU_DEP_1) | instskip(NEXT) | instid1(VALU_DEP_1)
	v_add_f32_e32 v23, v32, v8
	v_mul_f32_e32 v25, v22, v23
	v_sub_f32_e32 v31, v32, v23
	s_delay_alu instid0(VALU_DEP_1) | instskip(NEXT) | instid1(VALU_DEP_1)
	v_dual_mul_f32 v27, v26, v25 :: v_dual_add_f32 v8, v8, v31
	v_fma_f32 v26, v25, v26, -v27
	s_delay_alu instid0(VALU_DEP_1) | instskip(NEXT) | instid1(VALU_DEP_1)
	v_fmac_f32_e32 v26, v25, v24
	v_add_f32_e32 v24, v27, v26
	s_delay_alu instid0(VALU_DEP_1) | instskip(SKIP_1) | instid1(VALU_DEP_2)
	v_sub_f32_e32 v29, v23, v24
	v_sub_f32_e32 v27, v24, v27
	;; [unrolled: 1-line block ×3, first 2 shown]
	s_delay_alu instid0(VALU_DEP_1) | instskip(NEXT) | instid1(VALU_DEP_3)
	v_sub_f32_e32 v23, v23, v24
	v_sub_f32_e32 v24, v27, v26
	s_delay_alu instid0(VALU_DEP_2) | instskip(SKIP_1) | instid1(VALU_DEP_2)
	v_add_f32_e32 v8, v8, v23
	v_add_f32_e32 v23, v28, v25
	;; [unrolled: 1-line block ×3, first 2 shown]
	s_delay_alu instid0(VALU_DEP_2) | instskip(NEXT) | instid1(VALU_DEP_2)
	v_sub_f32_e32 v24, v23, v28
	v_add_f32_e32 v8, v29, v8
	s_delay_alu instid0(VALU_DEP_2) | instskip(NEXT) | instid1(VALU_DEP_2)
	v_sub_f32_e32 v24, v25, v24
	v_mul_f32_e32 v8, v22, v8
	s_delay_alu instid0(VALU_DEP_1) | instskip(NEXT) | instid1(VALU_DEP_1)
	v_add_f32_e32 v8, v24, v8
	v_add_f32_e32 v22, v23, v8
	s_delay_alu instid0(VALU_DEP_1) | instskip(SKIP_1) | instid1(VALU_DEP_1)
	v_mul_f32_e32 v24, v22, v22
	s_wait_alu 0xfffe
	v_fmaak_f32 v25, s7, v24, 0x3ecc95a3
	v_mul_f32_e32 v26, v22, v24
	s_delay_alu instid0(VALU_DEP_2) | instskip(SKIP_2) | instid1(VALU_DEP_3)
	v_fmaak_f32 v24, v24, v25, 0x3f2aaada
	v_ldexp_f32 v25, v22, 1
	v_sub_f32_e32 v22, v22, v23
	v_mul_f32_e32 v24, v26, v24
	v_mul_f32_e32 v26, 0x3f317218, v7
	s_delay_alu instid0(VALU_DEP_2) | instskip(NEXT) | instid1(VALU_DEP_1)
	v_dual_sub_f32 v8, v8, v22 :: v_dual_add_f32 v23, v25, v24
	v_ldexp_f32 v8, v8, 1
	s_delay_alu instid0(VALU_DEP_2) | instskip(NEXT) | instid1(VALU_DEP_4)
	v_sub_f32_e32 v22, v23, v25
	v_fma_f32 v25, 0x3f317218, v7, -v26
	s_delay_alu instid0(VALU_DEP_1) | instskip(NEXT) | instid1(VALU_DEP_1)
	v_dual_sub_f32 v22, v24, v22 :: v_dual_fmamk_f32 v7, v7, 0xb102e308, v25
	v_add_f32_e32 v8, v8, v22
	s_delay_alu instid0(VALU_DEP_2) | instskip(NEXT) | instid1(VALU_DEP_2)
	v_add_f32_e32 v22, v26, v7
	v_add_f32_e32 v24, v23, v8
	s_delay_alu instid0(VALU_DEP_2) | instskip(NEXT) | instid1(VALU_DEP_2)
	v_sub_f32_e32 v26, v22, v26
	v_add_f32_e32 v25, v22, v24
	v_sub_f32_e32 v23, v24, v23
	s_delay_alu instid0(VALU_DEP_3) | instskip(NEXT) | instid1(VALU_DEP_2)
	v_sub_f32_e32 v7, v7, v26
	v_dual_sub_f32 v27, v25, v22 :: v_dual_sub_f32 v8, v8, v23
	s_delay_alu instid0(VALU_DEP_1) | instskip(NEXT) | instid1(VALU_DEP_2)
	v_sub_f32_e32 v28, v25, v27
	v_dual_sub_f32 v23, v24, v27 :: v_dual_add_f32 v24, v7, v8
	s_delay_alu instid0(VALU_DEP_2) | instskip(NEXT) | instid1(VALU_DEP_1)
	v_sub_f32_e32 v22, v22, v28
	v_dual_add_f32 v22, v23, v22 :: v_dual_sub_f32 v23, v24, v7
	s_delay_alu instid0(VALU_DEP_1) | instskip(NEXT) | instid1(VALU_DEP_2)
	v_add_f32_e32 v22, v24, v22
	v_sub_f32_e32 v24, v24, v23
	v_sub_f32_e32 v8, v8, v23
	s_delay_alu instid0(VALU_DEP_2) | instskip(NEXT) | instid1(VALU_DEP_1)
	v_dual_add_f32 v26, v25, v22 :: v_dual_sub_f32 v7, v7, v24
	v_sub_f32_e32 v23, v26, v25
	s_delay_alu instid0(VALU_DEP_2) | instskip(NEXT) | instid1(VALU_DEP_2)
	v_add_f32_e32 v7, v8, v7
	v_sub_f32_e32 v8, v22, v23
	s_delay_alu instid0(VALU_DEP_1) | instskip(NEXT) | instid1(VALU_DEP_1)
	v_add_f32_e32 v7, v7, v8
	v_add_f32_e32 v7, v26, v7
	s_wait_alu 0xfffd
	s_delay_alu instid0(VALU_DEP_1) | instskip(SKIP_2) | instid1(VALU_DEP_2)
	v_cndmask_b32_e32 v7, 0x7f800000, v7, vcc_lo
	v_cmp_gt_f32_e64 vcc_lo, 0x33800000, |v10|
	s_wait_alu 0xfffd
	v_cndmask_b32_e32 v7, v7, v10, vcc_lo
	s_delay_alu instid0(VALU_DEP_1) | instskip(NEXT) | instid1(VALU_DEP_1)
	v_add_f32_e32 v7, v9, v7
	v_cvt_f16_f32_e32 v7, v7
	s_delay_alu instid0(VALU_DEP_1)
	v_cvt_f32_f16_e32 v8, v7
	v_mov_b32_e32 v31, v7
.LBB421_39:
	s_wait_alu 0xfffe
	s_or_b32 exec_lo, exec_lo, s6
	v_cvt_f32_f16_e32 v22, v3
	v_max_num_f32_e32 v9, v8, v8
	v_cmp_u_f16_e32 vcc_lo, v7, v7
	v_cmp_u_f16_e64 s6, v3, v3
	s_delay_alu instid0(VALU_DEP_3) | instskip(SKIP_1) | instid1(VALU_DEP_1)
	v_min_num_f32_e32 v10, v9, v22
	s_wait_alu 0xfffd
	v_dual_max_num_f32 v9, v9, v22 :: v_dual_cndmask_b32 v10, v10, v8
	s_delay_alu instid0(VALU_DEP_1) | instskip(SKIP_1) | instid1(VALU_DEP_2)
	v_cndmask_b32_e32 v9, v9, v8, vcc_lo
	s_wait_alu 0xf1ff
	v_cndmask_b32_e64 v10, v10, v22, s6
	s_delay_alu instid0(VALU_DEP_2) | instskip(NEXT) | instid1(VALU_DEP_2)
	v_cndmask_b32_e64 v9, v9, v22, s6
	v_cmp_class_f32_e64 s7, v10, 0x1f8
	s_delay_alu instid0(VALU_DEP_2) | instskip(SKIP_1) | instid1(SALU_CYCLE_1)
	v_cmp_neq_f32_e32 vcc_lo, v10, v9
	s_or_b32 s8, vcc_lo, s7
	s_and_saveexec_b32 s7, s8
	s_cbranch_execz .LBB421_41
; %bb.40:
	v_sub_f32_e32 v7, v10, v9
	s_mov_b32 s8, 0x3e9b6dac
	s_delay_alu instid0(VALU_DEP_1) | instskip(NEXT) | instid1(VALU_DEP_1)
	v_mul_f32_e32 v8, 0x3fb8aa3b, v7
	v_fma_f32 v10, 0x3fb8aa3b, v7, -v8
	v_rndne_f32_e32 v23, v8
	s_delay_alu instid0(VALU_DEP_1) | instskip(NEXT) | instid1(VALU_DEP_3)
	v_sub_f32_e32 v8, v8, v23
	v_fmamk_f32 v10, v7, 0x32a5705f, v10
	v_cmp_ngt_f32_e32 vcc_lo, 0xc2ce8ed0, v7
	s_delay_alu instid0(VALU_DEP_2) | instskip(SKIP_1) | instid1(VALU_DEP_2)
	v_add_f32_e32 v8, v8, v10
	v_cvt_i32_f32_e32 v10, v23
	v_exp_f32_e32 v8, v8
	s_delay_alu instid0(TRANS32_DEP_1) | instskip(SKIP_1) | instid1(VALU_DEP_1)
	v_ldexp_f32 v8, v8, v10
	s_wait_alu 0xfffd
	v_cndmask_b32_e32 v8, 0, v8, vcc_lo
	v_cmp_nlt_f32_e32 vcc_lo, 0x42b17218, v7
	s_wait_alu 0xfffd
	s_delay_alu instid0(VALU_DEP_2) | instskip(NEXT) | instid1(VALU_DEP_1)
	v_cndmask_b32_e32 v10, 0x7f800000, v8, vcc_lo
	v_add_f32_e32 v23, 1.0, v10
	s_delay_alu instid0(VALU_DEP_1) | instskip(NEXT) | instid1(VALU_DEP_1)
	v_cvt_f64_f32_e32 v[7:8], v23
	v_frexp_exp_i32_f64_e32 v7, v[7:8]
	v_frexp_mant_f32_e32 v8, v23
	s_delay_alu instid0(VALU_DEP_1) | instskip(SKIP_1) | instid1(VALU_DEP_1)
	v_cmp_gt_f32_e32 vcc_lo, 0x3f2aaaab, v8
	v_add_f32_e32 v8, -1.0, v23
	v_sub_f32_e32 v25, v8, v23
	s_delay_alu instid0(VALU_DEP_1) | instskip(SKIP_2) | instid1(VALU_DEP_1)
	v_add_f32_e32 v25, 1.0, v25
	s_wait_alu 0xfffd
	v_subrev_co_ci_u32_e64 v7, null, 0, v7, vcc_lo
	v_sub_nc_u32_e32 v24, 0, v7
	v_cvt_f32_i32_e32 v7, v7
	s_delay_alu instid0(VALU_DEP_2) | instskip(SKIP_1) | instid1(VALU_DEP_1)
	v_ldexp_f32 v23, v23, v24
	v_sub_f32_e32 v8, v10, v8
	v_add_f32_e32 v8, v8, v25
	s_delay_alu instid0(VALU_DEP_1) | instskip(NEXT) | instid1(VALU_DEP_4)
	v_ldexp_f32 v8, v8, v24
	v_add_f32_e32 v26, 1.0, v23
	s_delay_alu instid0(VALU_DEP_1) | instskip(NEXT) | instid1(VALU_DEP_1)
	v_add_f32_e32 v25, -1.0, v26
	v_sub_f32_e32 v25, v23, v25
	v_cmp_neq_f32_e32 vcc_lo, 0x7f800000, v10
	s_delay_alu instid0(VALU_DEP_2) | instskip(NEXT) | instid1(VALU_DEP_1)
	v_dual_add_f32 v25, v8, v25 :: v_dual_add_f32 v24, -1.0, v23
	v_add_f32_e32 v27, 1.0, v24
	s_delay_alu instid0(VALU_DEP_1) | instskip(NEXT) | instid1(VALU_DEP_1)
	v_sub_f32_e32 v23, v23, v27
	v_dual_add_f32 v27, v26, v25 :: v_dual_add_f32 v8, v8, v23
	s_delay_alu instid0(VALU_DEP_1) | instskip(SKIP_1) | instid1(VALU_DEP_1)
	v_rcp_f32_e32 v23, v27
	v_sub_f32_e32 v26, v26, v27
	v_dual_add_f32 v25, v25, v26 :: v_dual_add_f32 v28, v24, v8
	s_delay_alu instid0(TRANS32_DEP_1) | instid1(VALU_DEP_1)
	v_mul_f32_e32 v29, v28, v23
	s_delay_alu instid0(VALU_DEP_1) | instskip(NEXT) | instid1(VALU_DEP_1)
	v_dual_sub_f32 v24, v24, v28 :: v_dual_mul_f32 v31, v27, v29
	v_add_f32_e32 v8, v8, v24
	s_delay_alu instid0(VALU_DEP_2) | instskip(NEXT) | instid1(VALU_DEP_1)
	v_fma_f32 v26, v29, v27, -v31
	v_fmac_f32_e32 v26, v29, v25
	s_delay_alu instid0(VALU_DEP_1) | instskip(NEXT) | instid1(VALU_DEP_1)
	v_add_f32_e32 v32, v31, v26
	v_sub_f32_e32 v33, v28, v32
	v_sub_f32_e32 v24, v32, v31
	s_delay_alu instid0(VALU_DEP_2) | instskip(NEXT) | instid1(VALU_DEP_2)
	v_sub_f32_e32 v28, v28, v33
	v_sub_f32_e32 v24, v24, v26
	s_delay_alu instid0(VALU_DEP_2) | instskip(NEXT) | instid1(VALU_DEP_1)
	v_sub_f32_e32 v28, v28, v32
	v_add_f32_e32 v8, v8, v28
	s_delay_alu instid0(VALU_DEP_1) | instskip(NEXT) | instid1(VALU_DEP_1)
	v_add_f32_e32 v8, v24, v8
	v_add_f32_e32 v24, v33, v8
	s_delay_alu instid0(VALU_DEP_1) | instskip(SKIP_1) | instid1(VALU_DEP_2)
	v_mul_f32_e32 v26, v23, v24
	v_sub_f32_e32 v32, v33, v24
	v_mul_f32_e32 v28, v27, v26
	s_delay_alu instid0(VALU_DEP_2) | instskip(NEXT) | instid1(VALU_DEP_2)
	v_add_f32_e32 v8, v8, v32
	v_fma_f32 v27, v26, v27, -v28
	s_delay_alu instid0(VALU_DEP_1) | instskip(NEXT) | instid1(VALU_DEP_1)
	v_fmac_f32_e32 v27, v26, v25
	v_add_f32_e32 v25, v28, v27
	s_delay_alu instid0(VALU_DEP_1) | instskip(NEXT) | instid1(VALU_DEP_1)
	v_dual_sub_f32 v31, v24, v25 :: v_dual_sub_f32 v28, v25, v28
	v_sub_f32_e32 v24, v24, v31
	s_delay_alu instid0(VALU_DEP_1) | instskip(NEXT) | instid1(VALU_DEP_3)
	v_sub_f32_e32 v24, v24, v25
	v_sub_f32_e32 v25, v28, v27
	s_delay_alu instid0(VALU_DEP_2) | instskip(SKIP_1) | instid1(VALU_DEP_1)
	v_add_f32_e32 v8, v8, v24
	v_add_f32_e32 v24, v29, v26
	v_dual_add_f32 v8, v25, v8 :: v_dual_sub_f32 v25, v24, v29
	s_delay_alu instid0(VALU_DEP_1) | instskip(NEXT) | instid1(VALU_DEP_1)
	v_dual_add_f32 v8, v31, v8 :: v_dual_sub_f32 v25, v26, v25
	v_mul_f32_e32 v8, v23, v8
	s_delay_alu instid0(VALU_DEP_1) | instskip(NEXT) | instid1(VALU_DEP_1)
	v_add_f32_e32 v8, v25, v8
	v_add_f32_e32 v23, v24, v8
	s_delay_alu instid0(VALU_DEP_1) | instskip(NEXT) | instid1(VALU_DEP_1)
	v_mul_f32_e32 v25, v23, v23
	v_fmaak_f32 v26, s8, v25, 0x3ecc95a3
	v_mul_f32_e32 v27, v23, v25
	s_delay_alu instid0(VALU_DEP_2) | instskip(SKIP_1) | instid1(VALU_DEP_2)
	v_fmaak_f32 v25, v25, v26, 0x3f2aaada
	v_ldexp_f32 v26, v23, 1
	v_mul_f32_e32 v25, v27, v25
	v_sub_f32_e32 v23, v23, v24
	s_delay_alu instid0(VALU_DEP_2) | instskip(NEXT) | instid1(VALU_DEP_2)
	v_dual_mul_f32 v27, 0x3f317218, v7 :: v_dual_add_f32 v24, v26, v25
	v_sub_f32_e32 v8, v8, v23
	s_delay_alu instid0(VALU_DEP_2) | instskip(NEXT) | instid1(VALU_DEP_3)
	v_sub_f32_e32 v23, v24, v26
	v_fma_f32 v26, 0x3f317218, v7, -v27
	s_delay_alu instid0(VALU_DEP_3) | instskip(NEXT) | instid1(VALU_DEP_3)
	v_ldexp_f32 v8, v8, 1
	v_sub_f32_e32 v23, v25, v23
	s_delay_alu instid0(VALU_DEP_1) | instskip(NEXT) | instid1(VALU_DEP_1)
	v_dual_fmamk_f32 v7, v7, 0xb102e308, v26 :: v_dual_add_f32 v8, v8, v23
	v_add_f32_e32 v23, v27, v7
	s_delay_alu instid0(VALU_DEP_2) | instskip(NEXT) | instid1(VALU_DEP_2)
	v_add_f32_e32 v25, v24, v8
	v_sub_f32_e32 v27, v23, v27
	s_delay_alu instid0(VALU_DEP_2) | instskip(NEXT) | instid1(VALU_DEP_2)
	v_add_f32_e32 v26, v23, v25
	v_sub_f32_e32 v7, v7, v27
	s_delay_alu instid0(VALU_DEP_2) | instskip(SKIP_1) | instid1(VALU_DEP_2)
	v_sub_f32_e32 v28, v26, v23
	v_sub_f32_e32 v24, v25, v24
	;; [unrolled: 1-line block ×3, first 2 shown]
	s_delay_alu instid0(VALU_DEP_2) | instskip(NEXT) | instid1(VALU_DEP_2)
	v_sub_f32_e32 v8, v8, v24
	v_dual_sub_f32 v24, v25, v28 :: v_dual_sub_f32 v23, v23, v29
	s_delay_alu instid0(VALU_DEP_2) | instskip(NEXT) | instid1(VALU_DEP_2)
	v_add_f32_e32 v25, v7, v8
	v_add_f32_e32 v23, v24, v23
	s_delay_alu instid0(VALU_DEP_2) | instskip(NEXT) | instid1(VALU_DEP_2)
	v_sub_f32_e32 v24, v25, v7
	v_add_f32_e32 v23, v25, v23
	s_delay_alu instid0(VALU_DEP_2) | instskip(NEXT) | instid1(VALU_DEP_1)
	v_sub_f32_e32 v25, v25, v24
	v_dual_sub_f32 v8, v8, v24 :: v_dual_sub_f32 v7, v7, v25
	s_delay_alu instid0(VALU_DEP_1) | instskip(NEXT) | instid1(VALU_DEP_4)
	v_add_f32_e32 v7, v8, v7
	v_add_f32_e32 v27, v26, v23
	s_delay_alu instid0(VALU_DEP_1) | instskip(NEXT) | instid1(VALU_DEP_1)
	v_sub_f32_e32 v24, v27, v26
	v_sub_f32_e32 v8, v23, v24
	s_delay_alu instid0(VALU_DEP_1) | instskip(NEXT) | instid1(VALU_DEP_1)
	v_add_f32_e32 v7, v7, v8
	v_add_f32_e32 v7, v27, v7
	s_wait_alu 0xfffd
	s_delay_alu instid0(VALU_DEP_1) | instskip(SKIP_2) | instid1(VALU_DEP_2)
	v_cndmask_b32_e32 v7, 0x7f800000, v7, vcc_lo
	v_cmp_gt_f32_e64 vcc_lo, 0x33800000, |v10|
	s_wait_alu 0xfffd
	v_cndmask_b32_e32 v7, v7, v10, vcc_lo
	s_delay_alu instid0(VALU_DEP_1) | instskip(NEXT) | instid1(VALU_DEP_1)
	v_add_f32_e32 v7, v9, v7
	v_cvt_f16_f32_e32 v7, v7
	s_delay_alu instid0(VALU_DEP_1)
	v_cvt_f32_f16_e32 v8, v7
	v_mov_b32_e32 v31, v7
.LBB421_41:
	s_wait_alu 0xfffe
	s_or_b32 exec_lo, exec_lo, s7
	v_cvt_f32_f16_e32 v23, v17
	v_max_num_f32_e32 v9, v8, v8
	v_cmp_u_f16_e32 vcc_lo, v7, v7
	v_cmp_u_f16_e64 s7, v17, v17
	s_delay_alu instid0(VALU_DEP_3) | instskip(SKIP_1) | instid1(VALU_DEP_1)
	v_min_num_f32_e32 v10, v9, v23
	s_wait_alu 0xfffd
	v_dual_max_num_f32 v9, v9, v23 :: v_dual_cndmask_b32 v10, v10, v8
	s_delay_alu instid0(VALU_DEP_1) | instskip(SKIP_1) | instid1(VALU_DEP_2)
	v_cndmask_b32_e32 v9, v9, v8, vcc_lo
	s_wait_alu 0xf1ff
	v_cndmask_b32_e64 v10, v10, v23, s7
	s_delay_alu instid0(VALU_DEP_2) | instskip(NEXT) | instid1(VALU_DEP_2)
	v_cndmask_b32_e64 v9, v9, v23, s7
	v_cmp_class_f32_e64 s8, v10, 0x1f8
	s_delay_alu instid0(VALU_DEP_2)
	v_cmp_neq_f32_e32 vcc_lo, v10, v9
	s_or_b32 s9, vcc_lo, s8
	s_wait_alu 0xfffe
	s_and_saveexec_b32 s8, s9
	s_cbranch_execz .LBB421_43
; %bb.42:
	v_sub_f32_e32 v7, v10, v9
	s_mov_b32 s9, 0x3e9b6dac
	s_delay_alu instid0(VALU_DEP_1) | instskip(NEXT) | instid1(VALU_DEP_1)
	v_mul_f32_e32 v8, 0x3fb8aa3b, v7
	v_fma_f32 v10, 0x3fb8aa3b, v7, -v8
	v_rndne_f32_e32 v24, v8
	s_delay_alu instid0(VALU_DEP_1) | instskip(NEXT) | instid1(VALU_DEP_3)
	v_sub_f32_e32 v8, v8, v24
	v_fmamk_f32 v10, v7, 0x32a5705f, v10
	v_cmp_ngt_f32_e32 vcc_lo, 0xc2ce8ed0, v7
	s_delay_alu instid0(VALU_DEP_2) | instskip(SKIP_1) | instid1(VALU_DEP_2)
	v_add_f32_e32 v8, v8, v10
	v_cvt_i32_f32_e32 v10, v24
	v_exp_f32_e32 v8, v8
	s_delay_alu instid0(TRANS32_DEP_1) | instskip(SKIP_1) | instid1(VALU_DEP_1)
	v_ldexp_f32 v8, v8, v10
	s_wait_alu 0xfffd
	v_cndmask_b32_e32 v8, 0, v8, vcc_lo
	v_cmp_nlt_f32_e32 vcc_lo, 0x42b17218, v7
	s_wait_alu 0xfffd
	s_delay_alu instid0(VALU_DEP_2) | instskip(NEXT) | instid1(VALU_DEP_1)
	v_cndmask_b32_e32 v10, 0x7f800000, v8, vcc_lo
	v_add_f32_e32 v24, 1.0, v10
	s_delay_alu instid0(VALU_DEP_1) | instskip(NEXT) | instid1(VALU_DEP_1)
	v_cvt_f64_f32_e32 v[7:8], v24
	v_frexp_exp_i32_f64_e32 v7, v[7:8]
	v_frexp_mant_f32_e32 v8, v24
	s_delay_alu instid0(VALU_DEP_1) | instskip(SKIP_1) | instid1(VALU_DEP_1)
	v_cmp_gt_f32_e32 vcc_lo, 0x3f2aaaab, v8
	v_add_f32_e32 v8, -1.0, v24
	v_sub_f32_e32 v26, v8, v24
	v_sub_f32_e32 v8, v10, v8
	s_wait_alu 0xfffd
	v_subrev_co_ci_u32_e64 v7, null, 0, v7, vcc_lo
	s_delay_alu instid0(VALU_DEP_1) | instskip(SKIP_1) | instid1(VALU_DEP_2)
	v_sub_nc_u32_e32 v25, 0, v7
	v_cvt_f32_i32_e32 v7, v7
	v_ldexp_f32 v24, v24, v25
	s_delay_alu instid0(VALU_DEP_1) | instskip(NEXT) | instid1(VALU_DEP_1)
	v_dual_add_f32 v27, 1.0, v24 :: v_dual_add_f32 v26, 1.0, v26
	v_add_f32_e32 v8, v8, v26
	s_delay_alu instid0(VALU_DEP_2) | instskip(NEXT) | instid1(VALU_DEP_2)
	v_add_f32_e32 v26, -1.0, v27
	v_ldexp_f32 v8, v8, v25
	s_delay_alu instid0(VALU_DEP_2) | instskip(NEXT) | instid1(VALU_DEP_1)
	v_dual_add_f32 v25, -1.0, v24 :: v_dual_sub_f32 v26, v24, v26
	v_add_f32_e32 v28, 1.0, v25
	s_delay_alu instid0(VALU_DEP_2) | instskip(NEXT) | instid1(VALU_DEP_2)
	v_add_f32_e32 v26, v8, v26
	v_sub_f32_e32 v24, v24, v28
	s_delay_alu instid0(VALU_DEP_2) | instskip(NEXT) | instid1(VALU_DEP_2)
	v_add_f32_e32 v28, v27, v26
	v_add_f32_e32 v8, v8, v24
	s_delay_alu instid0(VALU_DEP_2) | instskip(SKIP_1) | instid1(VALU_DEP_1)
	v_rcp_f32_e32 v24, v28
	v_sub_f32_e32 v27, v27, v28
	v_dual_add_f32 v29, v25, v8 :: v_dual_add_f32 v26, v26, v27
	s_delay_alu instid0(VALU_DEP_1)
	v_sub_f32_e32 v25, v25, v29
	s_delay_alu instid0(TRANS32_DEP_1) | instid1(VALU_DEP_1)
	v_dual_mul_f32 v31, v29, v24 :: v_dual_add_f32 v8, v8, v25
	s_delay_alu instid0(VALU_DEP_1) | instskip(NEXT) | instid1(VALU_DEP_1)
	v_mul_f32_e32 v32, v28, v31
	v_fma_f32 v27, v31, v28, -v32
	s_delay_alu instid0(VALU_DEP_1) | instskip(NEXT) | instid1(VALU_DEP_1)
	v_fmac_f32_e32 v27, v31, v26
	v_add_f32_e32 v33, v32, v27
	v_cmp_neq_f32_e32 vcc_lo, 0x7f800000, v10
	s_delay_alu instid0(VALU_DEP_2) | instskip(SKIP_1) | instid1(VALU_DEP_2)
	v_sub_f32_e32 v34, v29, v33
	v_sub_f32_e32 v25, v33, v32
	;; [unrolled: 1-line block ×3, first 2 shown]
	s_delay_alu instid0(VALU_DEP_2) | instskip(NEXT) | instid1(VALU_DEP_2)
	v_sub_f32_e32 v25, v25, v27
	v_sub_f32_e32 v29, v29, v33
	s_delay_alu instid0(VALU_DEP_1) | instskip(NEXT) | instid1(VALU_DEP_1)
	v_add_f32_e32 v8, v8, v29
	v_add_f32_e32 v8, v25, v8
	s_delay_alu instid0(VALU_DEP_1) | instskip(NEXT) | instid1(VALU_DEP_1)
	v_add_f32_e32 v25, v34, v8
	v_mul_f32_e32 v27, v24, v25
	s_delay_alu instid0(VALU_DEP_1) | instskip(SKIP_1) | instid1(VALU_DEP_2)
	v_mul_f32_e32 v29, v28, v27
	v_sub_f32_e32 v33, v34, v25
	v_fma_f32 v28, v27, v28, -v29
	s_delay_alu instid0(VALU_DEP_2) | instskip(NEXT) | instid1(VALU_DEP_2)
	v_add_f32_e32 v8, v8, v33
	v_fmac_f32_e32 v28, v27, v26
	s_delay_alu instid0(VALU_DEP_1) | instskip(NEXT) | instid1(VALU_DEP_1)
	v_add_f32_e32 v26, v29, v28
	v_dual_sub_f32 v32, v25, v26 :: v_dual_sub_f32 v29, v26, v29
	s_delay_alu instid0(VALU_DEP_1) | instskip(NEXT) | instid1(VALU_DEP_1)
	v_sub_f32_e32 v25, v25, v32
	v_sub_f32_e32 v25, v25, v26
	s_delay_alu instid0(VALU_DEP_3) | instskip(NEXT) | instid1(VALU_DEP_2)
	v_sub_f32_e32 v26, v29, v28
	v_dual_add_f32 v8, v8, v25 :: v_dual_add_f32 v25, v31, v27
	s_delay_alu instid0(VALU_DEP_1) | instskip(NEXT) | instid1(VALU_DEP_2)
	v_add_f32_e32 v8, v26, v8
	v_sub_f32_e32 v26, v25, v31
	s_delay_alu instid0(VALU_DEP_2) | instskip(NEXT) | instid1(VALU_DEP_2)
	v_add_f32_e32 v8, v32, v8
	v_sub_f32_e32 v26, v27, v26
	s_delay_alu instid0(VALU_DEP_2) | instskip(NEXT) | instid1(VALU_DEP_1)
	v_mul_f32_e32 v8, v24, v8
	v_add_f32_e32 v8, v26, v8
	s_delay_alu instid0(VALU_DEP_1) | instskip(NEXT) | instid1(VALU_DEP_1)
	v_add_f32_e32 v24, v25, v8
	v_mul_f32_e32 v26, v24, v24
	s_wait_alu 0xfffe
	s_delay_alu instid0(VALU_DEP_1) | instskip(SKIP_1) | instid1(VALU_DEP_2)
	v_fmaak_f32 v27, s9, v26, 0x3ecc95a3
	v_mul_f32_e32 v28, v24, v26
	v_fmaak_f32 v26, v26, v27, 0x3f2aaada
	v_ldexp_f32 v27, v24, 1
	v_sub_f32_e32 v24, v24, v25
	s_delay_alu instid0(VALU_DEP_3) | instskip(SKIP_1) | instid1(VALU_DEP_2)
	v_mul_f32_e32 v26, v28, v26
	v_mul_f32_e32 v28, 0x3f317218, v7
	v_dual_sub_f32 v8, v8, v24 :: v_dual_add_f32 v25, v27, v26
	s_delay_alu instid0(VALU_DEP_1) | instskip(NEXT) | instid1(VALU_DEP_2)
	v_ldexp_f32 v8, v8, 1
	v_sub_f32_e32 v24, v25, v27
	s_delay_alu instid0(VALU_DEP_4) | instskip(NEXT) | instid1(VALU_DEP_1)
	v_fma_f32 v27, 0x3f317218, v7, -v28
	v_dual_sub_f32 v24, v26, v24 :: v_dual_fmamk_f32 v7, v7, 0xb102e308, v27
	s_delay_alu instid0(VALU_DEP_1) | instskip(NEXT) | instid1(VALU_DEP_2)
	v_add_f32_e32 v8, v8, v24
	v_add_f32_e32 v24, v28, v7
	s_delay_alu instid0(VALU_DEP_2) | instskip(NEXT) | instid1(VALU_DEP_2)
	v_add_f32_e32 v26, v25, v8
	v_sub_f32_e32 v28, v24, v28
	s_delay_alu instid0(VALU_DEP_2) | instskip(SKIP_1) | instid1(VALU_DEP_3)
	v_add_f32_e32 v27, v24, v26
	v_sub_f32_e32 v25, v26, v25
	v_sub_f32_e32 v7, v7, v28
	s_delay_alu instid0(VALU_DEP_2) | instskip(NEXT) | instid1(VALU_DEP_1)
	v_dual_sub_f32 v29, v27, v24 :: v_dual_sub_f32 v8, v8, v25
	v_sub_f32_e32 v31, v27, v29
	s_delay_alu instid0(VALU_DEP_2) | instskip(NEXT) | instid1(VALU_DEP_2)
	v_dual_sub_f32 v25, v26, v29 :: v_dual_add_f32 v26, v7, v8
	v_sub_f32_e32 v24, v24, v31
	s_delay_alu instid0(VALU_DEP_1) | instskip(NEXT) | instid1(VALU_DEP_1)
	v_dual_add_f32 v24, v25, v24 :: v_dual_sub_f32 v25, v26, v7
	v_add_f32_e32 v24, v26, v24
	s_delay_alu instid0(VALU_DEP_2) | instskip(SKIP_1) | instid1(VALU_DEP_3)
	v_sub_f32_e32 v26, v26, v25
	v_sub_f32_e32 v8, v8, v25
	v_add_f32_e32 v28, v27, v24
	s_delay_alu instid0(VALU_DEP_3) | instskip(NEXT) | instid1(VALU_DEP_2)
	v_sub_f32_e32 v7, v7, v26
	v_sub_f32_e32 v25, v28, v27
	s_delay_alu instid0(VALU_DEP_2) | instskip(NEXT) | instid1(VALU_DEP_2)
	v_add_f32_e32 v7, v8, v7
	v_sub_f32_e32 v8, v24, v25
	s_delay_alu instid0(VALU_DEP_1) | instskip(NEXT) | instid1(VALU_DEP_1)
	v_add_f32_e32 v7, v7, v8
	v_add_f32_e32 v7, v28, v7
	s_wait_alu 0xfffd
	s_delay_alu instid0(VALU_DEP_1) | instskip(SKIP_2) | instid1(VALU_DEP_2)
	v_cndmask_b32_e32 v7, 0x7f800000, v7, vcc_lo
	v_cmp_gt_f32_e64 vcc_lo, 0x33800000, |v10|
	s_wait_alu 0xfffd
	v_cndmask_b32_e32 v7, v7, v10, vcc_lo
	s_delay_alu instid0(VALU_DEP_1) | instskip(NEXT) | instid1(VALU_DEP_1)
	v_add_f32_e32 v7, v9, v7
	v_cvt_f16_f32_e32 v7, v7
	s_delay_alu instid0(VALU_DEP_1)
	v_cvt_f32_f16_e32 v8, v7
	v_mov_b32_e32 v31, v7
.LBB421_43:
	s_wait_alu 0xfffe
	s_or_b32 exec_lo, exec_lo, s8
	v_cvt_f32_f16_e32 v24, v4
	v_max_num_f32_e32 v9, v8, v8
	v_cmp_u_f16_e32 vcc_lo, v7, v7
	v_cmp_u_f16_e64 s8, v4, v4
	s_delay_alu instid0(VALU_DEP_3) | instskip(SKIP_2) | instid1(VALU_DEP_2)
	v_min_num_f32_e32 v10, v9, v24
	v_max_num_f32_e32 v9, v9, v24
	s_wait_alu 0xfffd
	v_cndmask_b32_e32 v10, v10, v8, vcc_lo
	s_delay_alu instid0(VALU_DEP_2) | instskip(SKIP_1) | instid1(VALU_DEP_2)
	v_cndmask_b32_e32 v9, v9, v8, vcc_lo
	s_wait_alu 0xf1ff
	v_cndmask_b32_e64 v10, v10, v24, s8
	s_delay_alu instid0(VALU_DEP_2) | instskip(NEXT) | instid1(VALU_DEP_2)
	v_cndmask_b32_e64 v9, v9, v24, s8
	v_cmp_class_f32_e64 s9, v10, 0x1f8
	s_delay_alu instid0(VALU_DEP_2) | instskip(SKIP_1) | instid1(SALU_CYCLE_1)
	v_cmp_neq_f32_e32 vcc_lo, v10, v9
	s_or_b32 s10, vcc_lo, s9
	s_and_saveexec_b32 s9, s10
	s_cbranch_execz .LBB421_45
; %bb.44:
	v_sub_f32_e32 v7, v10, v9
	s_mov_b32 s10, 0x3e9b6dac
	s_delay_alu instid0(VALU_DEP_1) | instskip(NEXT) | instid1(VALU_DEP_1)
	v_mul_f32_e32 v8, 0x3fb8aa3b, v7
	v_fma_f32 v10, 0x3fb8aa3b, v7, -v8
	v_rndne_f32_e32 v25, v8
	s_delay_alu instid0(VALU_DEP_2) | instskip(NEXT) | instid1(VALU_DEP_2)
	v_fmamk_f32 v10, v7, 0x32a5705f, v10
	v_sub_f32_e32 v8, v8, v25
	s_delay_alu instid0(VALU_DEP_1) | instskip(SKIP_2) | instid1(VALU_DEP_3)
	v_add_f32_e32 v8, v8, v10
	v_cvt_i32_f32_e32 v10, v25
	v_cmp_ngt_f32_e32 vcc_lo, 0xc2ce8ed0, v7
	v_exp_f32_e32 v8, v8
	s_delay_alu instid0(TRANS32_DEP_1) | instskip(SKIP_1) | instid1(VALU_DEP_1)
	v_ldexp_f32 v8, v8, v10
	s_wait_alu 0xfffd
	v_cndmask_b32_e32 v8, 0, v8, vcc_lo
	v_cmp_nlt_f32_e32 vcc_lo, 0x42b17218, v7
	s_wait_alu 0xfffd
	s_delay_alu instid0(VALU_DEP_2) | instskip(NEXT) | instid1(VALU_DEP_1)
	v_cndmask_b32_e32 v10, 0x7f800000, v8, vcc_lo
	v_add_f32_e32 v25, 1.0, v10
	s_delay_alu instid0(VALU_DEP_1) | instskip(NEXT) | instid1(VALU_DEP_1)
	v_cvt_f64_f32_e32 v[7:8], v25
	v_frexp_exp_i32_f64_e32 v7, v[7:8]
	v_frexp_mant_f32_e32 v8, v25
	s_delay_alu instid0(VALU_DEP_1) | instskip(SKIP_1) | instid1(VALU_DEP_1)
	v_cmp_gt_f32_e32 vcc_lo, 0x3f2aaaab, v8
	v_add_f32_e32 v8, -1.0, v25
	v_sub_f32_e32 v27, v8, v25
	s_delay_alu instid0(VALU_DEP_1) | instskip(SKIP_2) | instid1(VALU_DEP_1)
	v_add_f32_e32 v27, 1.0, v27
	s_wait_alu 0xfffd
	v_subrev_co_ci_u32_e64 v7, null, 0, v7, vcc_lo
	v_sub_nc_u32_e32 v26, 0, v7
	v_cvt_f32_i32_e32 v7, v7
	s_delay_alu instid0(VALU_DEP_2) | instskip(SKIP_1) | instid1(VALU_DEP_1)
	v_ldexp_f32 v25, v25, v26
	v_sub_f32_e32 v8, v10, v8
	v_add_f32_e32 v8, v8, v27
	s_delay_alu instid0(VALU_DEP_1) | instskip(NEXT) | instid1(VALU_DEP_4)
	v_ldexp_f32 v8, v8, v26
	v_add_f32_e32 v28, 1.0, v25
	s_delay_alu instid0(VALU_DEP_1) | instskip(NEXT) | instid1(VALU_DEP_1)
	v_add_f32_e32 v27, -1.0, v28
	v_sub_f32_e32 v27, v25, v27
	s_delay_alu instid0(VALU_DEP_1) | instskip(NEXT) | instid1(VALU_DEP_1)
	v_dual_add_f32 v27, v8, v27 :: v_dual_add_f32 v26, -1.0, v25
	v_add_f32_e32 v29, 1.0, v26
	v_cmp_neq_f32_e32 vcc_lo, 0x7f800000, v10
	s_delay_alu instid0(VALU_DEP_2) | instskip(NEXT) | instid1(VALU_DEP_4)
	v_sub_f32_e32 v25, v25, v29
	v_add_f32_e32 v29, v28, v27
	s_delay_alu instid0(VALU_DEP_1) | instskip(NEXT) | instid1(VALU_DEP_3)
	v_sub_f32_e32 v28, v28, v29
	v_add_f32_e32 v8, v8, v25
	v_rcp_f32_e32 v25, v29
	s_delay_alu instid0(VALU_DEP_2) | instskip(NEXT) | instid1(VALU_DEP_2)
	v_add_f32_e32 v27, v27, v28
	v_add_f32_e32 v31, v26, v8
	s_delay_alu instid0(TRANS32_DEP_1) | instid1(VALU_DEP_1)
	v_mul_f32_e32 v32, v31, v25
	s_delay_alu instid0(VALU_DEP_1) | instskip(NEXT) | instid1(VALU_DEP_1)
	v_mul_f32_e32 v33, v29, v32
	v_fma_f32 v28, v32, v29, -v33
	s_delay_alu instid0(VALU_DEP_1) | instskip(NEXT) | instid1(VALU_DEP_1)
	v_fmac_f32_e32 v28, v32, v27
	v_add_f32_e32 v34, v33, v28
	s_delay_alu instid0(VALU_DEP_1) | instskip(NEXT) | instid1(VALU_DEP_1)
	v_dual_sub_f32 v26, v26, v31 :: v_dual_sub_f32 v35, v31, v34
	v_sub_f32_e32 v31, v31, v35
	s_delay_alu instid0(VALU_DEP_1) | instskip(NEXT) | instid1(VALU_DEP_3)
	v_sub_f32_e32 v31, v31, v34
	v_add_f32_e32 v8, v8, v26
	v_sub_f32_e32 v26, v34, v33
	s_delay_alu instid0(VALU_DEP_2) | instskip(NEXT) | instid1(VALU_DEP_2)
	v_add_f32_e32 v8, v8, v31
	v_sub_f32_e32 v26, v26, v28
	s_delay_alu instid0(VALU_DEP_1) | instskip(NEXT) | instid1(VALU_DEP_1)
	v_add_f32_e32 v8, v26, v8
	v_add_f32_e32 v26, v35, v8
	s_delay_alu instid0(VALU_DEP_1) | instskip(NEXT) | instid1(VALU_DEP_1)
	v_mul_f32_e32 v28, v25, v26
	v_dual_mul_f32 v31, v29, v28 :: v_dual_sub_f32 v34, v35, v26
	s_delay_alu instid0(VALU_DEP_1) | instskip(NEXT) | instid1(VALU_DEP_2)
	v_fma_f32 v29, v28, v29, -v31
	v_add_f32_e32 v8, v8, v34
	s_delay_alu instid0(VALU_DEP_2) | instskip(NEXT) | instid1(VALU_DEP_1)
	v_fmac_f32_e32 v29, v28, v27
	v_add_f32_e32 v27, v31, v29
	s_delay_alu instid0(VALU_DEP_1) | instskip(NEXT) | instid1(VALU_DEP_1)
	v_sub_f32_e32 v33, v26, v27
	v_dual_sub_f32 v31, v27, v31 :: v_dual_sub_f32 v26, v26, v33
	s_delay_alu instid0(VALU_DEP_1) | instskip(NEXT) | instid1(VALU_DEP_1)
	v_dual_sub_f32 v26, v26, v27 :: v_dual_sub_f32 v27, v31, v29
	v_add_f32_e32 v8, v8, v26
	v_add_f32_e32 v26, v32, v28
	s_delay_alu instid0(VALU_DEP_2) | instskip(NEXT) | instid1(VALU_DEP_2)
	v_add_f32_e32 v8, v27, v8
	v_sub_f32_e32 v27, v26, v32
	s_delay_alu instid0(VALU_DEP_1) | instskip(NEXT) | instid1(VALU_DEP_1)
	v_dual_add_f32 v8, v33, v8 :: v_dual_sub_f32 v27, v28, v27
	v_mul_f32_e32 v8, v25, v8
	s_delay_alu instid0(VALU_DEP_1) | instskip(NEXT) | instid1(VALU_DEP_1)
	v_add_f32_e32 v8, v27, v8
	v_add_f32_e32 v25, v26, v8
	s_delay_alu instid0(VALU_DEP_1) | instskip(NEXT) | instid1(VALU_DEP_1)
	v_mul_f32_e32 v27, v25, v25
	v_fmaak_f32 v28, s10, v27, 0x3ecc95a3
	v_mul_f32_e32 v29, v25, v27
	s_delay_alu instid0(VALU_DEP_2) | instskip(SKIP_1) | instid1(VALU_DEP_2)
	v_fmaak_f32 v27, v27, v28, 0x3f2aaada
	v_ldexp_f32 v28, v25, 1
	v_mul_f32_e32 v27, v29, v27
	v_mul_f32_e32 v29, 0x3f317218, v7
	s_delay_alu instid0(VALU_DEP_2) | instskip(NEXT) | instid1(VALU_DEP_1)
	v_dual_sub_f32 v25, v25, v26 :: v_dual_add_f32 v26, v28, v27
	v_dual_sub_f32 v8, v8, v25 :: v_dual_sub_f32 v25, v26, v28
	s_delay_alu instid0(VALU_DEP_3) | instskip(NEXT) | instid1(VALU_DEP_2)
	v_fma_f32 v28, 0x3f317218, v7, -v29
	v_ldexp_f32 v8, v8, 1
	s_delay_alu instid0(VALU_DEP_3) | instskip(NEXT) | instid1(VALU_DEP_1)
	v_sub_f32_e32 v25, v27, v25
	v_dual_fmamk_f32 v7, v7, 0xb102e308, v28 :: v_dual_add_f32 v8, v8, v25
	s_delay_alu instid0(VALU_DEP_1) | instskip(NEXT) | instid1(VALU_DEP_1)
	v_add_f32_e32 v25, v29, v7
	v_sub_f32_e32 v29, v25, v29
	s_delay_alu instid0(VALU_DEP_3) | instskip(NEXT) | instid1(VALU_DEP_1)
	v_add_f32_e32 v27, v26, v8
	v_dual_sub_f32 v7, v7, v29 :: v_dual_add_f32 v28, v25, v27
	s_delay_alu instid0(VALU_DEP_1) | instskip(NEXT) | instid1(VALU_DEP_1)
	v_sub_f32_e32 v31, v28, v25
	v_sub_f32_e32 v32, v28, v31
	s_delay_alu instid0(VALU_DEP_1) | instskip(NEXT) | instid1(VALU_DEP_1)
	v_dual_sub_f32 v26, v27, v26 :: v_dual_sub_f32 v25, v25, v32
	v_sub_f32_e32 v8, v8, v26
	v_sub_f32_e32 v26, v27, v31
	s_delay_alu instid0(VALU_DEP_1) | instskip(NEXT) | instid1(VALU_DEP_3)
	v_add_f32_e32 v25, v26, v25
	v_add_f32_e32 v27, v7, v8
	s_delay_alu instid0(VALU_DEP_1) | instskip(NEXT) | instid1(VALU_DEP_1)
	v_sub_f32_e32 v26, v27, v7
	v_dual_sub_f32 v8, v8, v26 :: v_dual_add_f32 v25, v27, v25
	v_sub_f32_e32 v27, v27, v26
	s_delay_alu instid0(VALU_DEP_2) | instskip(NEXT) | instid1(VALU_DEP_1)
	v_add_f32_e32 v29, v28, v25
	v_dual_sub_f32 v26, v29, v28 :: v_dual_sub_f32 v7, v7, v27
	s_delay_alu instid0(VALU_DEP_1) | instskip(NEXT) | instid1(VALU_DEP_1)
	v_dual_add_f32 v7, v8, v7 :: v_dual_sub_f32 v8, v25, v26
	v_add_f32_e32 v7, v7, v8
	s_delay_alu instid0(VALU_DEP_1) | instskip(SKIP_1) | instid1(VALU_DEP_1)
	v_add_f32_e32 v7, v29, v7
	s_wait_alu 0xfffd
	v_cndmask_b32_e32 v7, 0x7f800000, v7, vcc_lo
	v_cmp_gt_f32_e64 vcc_lo, 0x33800000, |v10|
	s_wait_alu 0xfffd
	s_delay_alu instid0(VALU_DEP_2) | instskip(NEXT) | instid1(VALU_DEP_1)
	v_cndmask_b32_e32 v7, v7, v10, vcc_lo
	v_add_f32_e32 v7, v9, v7
	s_delay_alu instid0(VALU_DEP_1) | instskip(NEXT) | instid1(VALU_DEP_1)
	v_cvt_f16_f32_e32 v7, v7
	v_cvt_f32_f16_e32 v8, v7
	v_mov_b32_e32 v31, v7
.LBB421_45:
	s_wait_alu 0xfffe
	s_or_b32 exec_lo, exec_lo, s9
	v_cvt_f32_f16_e32 v25, v16
	v_max_num_f32_e32 v9, v8, v8
	v_cmp_u_f16_e32 vcc_lo, v7, v7
	v_cmp_u_f16_e64 s9, v16, v16
	s_delay_alu instid0(VALU_DEP_3) | instskip(SKIP_1) | instid1(VALU_DEP_1)
	v_min_num_f32_e32 v10, v9, v25
	s_wait_alu 0xfffd
	v_dual_max_num_f32 v9, v9, v25 :: v_dual_cndmask_b32 v10, v10, v8
	s_delay_alu instid0(VALU_DEP_1) | instskip(SKIP_1) | instid1(VALU_DEP_2)
	v_cndmask_b32_e32 v9, v9, v8, vcc_lo
	s_wait_alu 0xf1ff
	v_cndmask_b32_e64 v10, v10, v25, s9
	s_delay_alu instid0(VALU_DEP_2) | instskip(NEXT) | instid1(VALU_DEP_2)
	v_cndmask_b32_e64 v9, v9, v25, s9
	v_cmp_class_f32_e64 s10, v10, 0x1f8
	s_delay_alu instid0(VALU_DEP_2)
	v_cmp_neq_f32_e32 vcc_lo, v10, v9
	s_or_b32 s11, vcc_lo, s10
	s_wait_alu 0xfffe
	s_and_saveexec_b32 s10, s11
	s_cbranch_execz .LBB421_47
; %bb.46:
	v_sub_f32_e32 v7, v10, v9
	s_mov_b32 s11, 0x3e9b6dac
	s_delay_alu instid0(VALU_DEP_1) | instskip(NEXT) | instid1(VALU_DEP_1)
	v_mul_f32_e32 v8, 0x3fb8aa3b, v7
	v_fma_f32 v10, 0x3fb8aa3b, v7, -v8
	v_rndne_f32_e32 v26, v8
	s_delay_alu instid0(VALU_DEP_1) | instskip(NEXT) | instid1(VALU_DEP_3)
	v_sub_f32_e32 v8, v8, v26
	v_fmamk_f32 v10, v7, 0x32a5705f, v10
	v_cmp_ngt_f32_e32 vcc_lo, 0xc2ce8ed0, v7
	s_delay_alu instid0(VALU_DEP_2) | instskip(SKIP_1) | instid1(VALU_DEP_2)
	v_add_f32_e32 v8, v8, v10
	v_cvt_i32_f32_e32 v10, v26
	v_exp_f32_e32 v8, v8
	s_delay_alu instid0(TRANS32_DEP_1) | instskip(SKIP_1) | instid1(VALU_DEP_1)
	v_ldexp_f32 v8, v8, v10
	s_wait_alu 0xfffd
	v_cndmask_b32_e32 v8, 0, v8, vcc_lo
	v_cmp_nlt_f32_e32 vcc_lo, 0x42b17218, v7
	s_wait_alu 0xfffd
	s_delay_alu instid0(VALU_DEP_2) | instskip(NEXT) | instid1(VALU_DEP_1)
	v_cndmask_b32_e32 v10, 0x7f800000, v8, vcc_lo
	v_add_f32_e32 v26, 1.0, v10
	s_delay_alu instid0(VALU_DEP_1) | instskip(NEXT) | instid1(VALU_DEP_1)
	v_cvt_f64_f32_e32 v[7:8], v26
	v_frexp_exp_i32_f64_e32 v7, v[7:8]
	v_frexp_mant_f32_e32 v8, v26
	s_delay_alu instid0(VALU_DEP_1) | instskip(SKIP_1) | instid1(VALU_DEP_1)
	v_cmp_gt_f32_e32 vcc_lo, 0x3f2aaaab, v8
	v_add_f32_e32 v8, -1.0, v26
	v_sub_f32_e32 v28, v8, v26
	v_sub_f32_e32 v8, v10, v8
	s_delay_alu instid0(VALU_DEP_2) | instskip(NEXT) | instid1(VALU_DEP_1)
	v_add_f32_e32 v28, 1.0, v28
	v_add_f32_e32 v8, v8, v28
	s_wait_alu 0xfffd
	v_subrev_co_ci_u32_e64 v7, null, 0, v7, vcc_lo
	s_delay_alu instid0(VALU_DEP_1) | instskip(SKIP_1) | instid1(VALU_DEP_2)
	v_sub_nc_u32_e32 v27, 0, v7
	v_cvt_f32_i32_e32 v7, v7
	v_ldexp_f32 v26, v26, v27
	v_ldexp_f32 v8, v8, v27
	s_delay_alu instid0(VALU_DEP_2) | instskip(NEXT) | instid1(VALU_DEP_1)
	v_add_f32_e32 v29, 1.0, v26
	v_dual_add_f32 v27, -1.0, v26 :: v_dual_add_f32 v28, -1.0, v29
	s_delay_alu instid0(VALU_DEP_1) | instskip(NEXT) | instid1(VALU_DEP_1)
	v_dual_add_f32 v31, 1.0, v27 :: v_dual_sub_f32 v28, v26, v28
	v_sub_f32_e32 v26, v26, v31
	s_delay_alu instid0(VALU_DEP_2) | instskip(NEXT) | instid1(VALU_DEP_1)
	v_add_f32_e32 v28, v8, v28
	v_add_f32_e32 v31, v29, v28
	s_delay_alu instid0(VALU_DEP_1) | instskip(SKIP_1) | instid1(VALU_DEP_2)
	v_sub_f32_e32 v29, v29, v31
	v_cmp_neq_f32_e32 vcc_lo, 0x7f800000, v10
	v_add_f32_e32 v28, v28, v29
	v_add_f32_e32 v8, v8, v26
	v_rcp_f32_e32 v26, v31
	s_delay_alu instid0(VALU_DEP_1) | instskip(NEXT) | instid1(VALU_DEP_1)
	v_add_f32_e32 v32, v27, v8
	v_sub_f32_e32 v27, v27, v32
	s_delay_alu instid0(TRANS32_DEP_1) | instskip(NEXT) | instid1(VALU_DEP_2)
	v_mul_f32_e32 v33, v32, v26
	v_add_f32_e32 v8, v8, v27
	s_delay_alu instid0(VALU_DEP_2) | instskip(NEXT) | instid1(VALU_DEP_1)
	v_mul_f32_e32 v34, v31, v33
	v_fma_f32 v29, v33, v31, -v34
	s_delay_alu instid0(VALU_DEP_1) | instskip(NEXT) | instid1(VALU_DEP_1)
	v_fmac_f32_e32 v29, v33, v28
	v_add_f32_e32 v35, v34, v29
	s_delay_alu instid0(VALU_DEP_1) | instskip(NEXT) | instid1(VALU_DEP_1)
	v_dual_sub_f32 v36, v32, v35 :: v_dual_sub_f32 v27, v35, v34
	v_dual_sub_f32 v32, v32, v36 :: v_dual_sub_f32 v27, v27, v29
	s_delay_alu instid0(VALU_DEP_1) | instskip(NEXT) | instid1(VALU_DEP_1)
	v_sub_f32_e32 v32, v32, v35
	v_add_f32_e32 v8, v8, v32
	s_delay_alu instid0(VALU_DEP_1) | instskip(NEXT) | instid1(VALU_DEP_1)
	v_add_f32_e32 v8, v27, v8
	v_add_f32_e32 v27, v36, v8
	s_delay_alu instid0(VALU_DEP_1) | instskip(NEXT) | instid1(VALU_DEP_1)
	v_mul_f32_e32 v29, v26, v27
	v_dual_sub_f32 v35, v36, v27 :: v_dual_mul_f32 v32, v31, v29
	s_delay_alu instid0(VALU_DEP_1) | instskip(NEXT) | instid1(VALU_DEP_2)
	v_add_f32_e32 v8, v8, v35
	v_fma_f32 v31, v29, v31, -v32
	s_delay_alu instid0(VALU_DEP_1) | instskip(NEXT) | instid1(VALU_DEP_1)
	v_fmac_f32_e32 v31, v29, v28
	v_add_f32_e32 v28, v32, v31
	s_delay_alu instid0(VALU_DEP_1) | instskip(NEXT) | instid1(VALU_DEP_1)
	v_sub_f32_e32 v34, v27, v28
	v_dual_sub_f32 v32, v28, v32 :: v_dual_sub_f32 v27, v27, v34
	s_delay_alu instid0(VALU_DEP_1) | instskip(NEXT) | instid1(VALU_DEP_1)
	v_dual_sub_f32 v27, v27, v28 :: v_dual_sub_f32 v28, v32, v31
	v_dual_add_f32 v8, v8, v27 :: v_dual_add_f32 v27, v33, v29
	s_delay_alu instid0(VALU_DEP_1) | instskip(NEXT) | instid1(VALU_DEP_2)
	v_add_f32_e32 v8, v28, v8
	v_sub_f32_e32 v28, v27, v33
	s_delay_alu instid0(VALU_DEP_2) | instskip(NEXT) | instid1(VALU_DEP_2)
	v_add_f32_e32 v8, v34, v8
	v_sub_f32_e32 v28, v29, v28
	s_delay_alu instid0(VALU_DEP_2) | instskip(NEXT) | instid1(VALU_DEP_1)
	v_mul_f32_e32 v8, v26, v8
	v_add_f32_e32 v8, v28, v8
	s_delay_alu instid0(VALU_DEP_1) | instskip(NEXT) | instid1(VALU_DEP_1)
	v_add_f32_e32 v26, v27, v8
	v_mul_f32_e32 v28, v26, v26
	s_wait_alu 0xfffe
	s_delay_alu instid0(VALU_DEP_1) | instskip(NEXT) | instid1(VALU_DEP_1)
	v_fmaak_f32 v29, s11, v28, 0x3ecc95a3
	v_dual_mul_f32 v31, v26, v28 :: v_dual_fmaak_f32 v28, v28, v29, 0x3f2aaada
	v_ldexp_f32 v29, v26, 1
	v_sub_f32_e32 v26, v26, v27
	s_delay_alu instid0(VALU_DEP_3) | instskip(NEXT) | instid1(VALU_DEP_1)
	v_dual_mul_f32 v28, v31, v28 :: v_dual_mul_f32 v31, 0x3f317218, v7
	v_dual_sub_f32 v8, v8, v26 :: v_dual_add_f32 v27, v29, v28
	s_delay_alu instid0(VALU_DEP_1) | instskip(NEXT) | instid1(VALU_DEP_2)
	v_ldexp_f32 v8, v8, 1
	v_sub_f32_e32 v26, v27, v29
	s_delay_alu instid0(VALU_DEP_4) | instskip(NEXT) | instid1(VALU_DEP_1)
	v_fma_f32 v29, 0x3f317218, v7, -v31
	v_dual_sub_f32 v26, v28, v26 :: v_dual_fmamk_f32 v7, v7, 0xb102e308, v29
	s_delay_alu instid0(VALU_DEP_1) | instskip(NEXT) | instid1(VALU_DEP_2)
	v_add_f32_e32 v8, v8, v26
	v_add_f32_e32 v26, v31, v7
	s_delay_alu instid0(VALU_DEP_1) | instskip(NEXT) | instid1(VALU_DEP_1)
	v_dual_add_f32 v28, v27, v8 :: v_dual_sub_f32 v31, v26, v31
	v_add_f32_e32 v29, v26, v28
	v_sub_f32_e32 v27, v28, v27
	s_delay_alu instid0(VALU_DEP_2) | instskip(NEXT) | instid1(VALU_DEP_1)
	v_dual_sub_f32 v7, v7, v31 :: v_dual_sub_f32 v32, v29, v26
	v_dual_sub_f32 v8, v8, v27 :: v_dual_sub_f32 v33, v29, v32
	v_sub_f32_e32 v27, v28, v32
	s_delay_alu instid0(VALU_DEP_2) | instskip(NEXT) | instid1(VALU_DEP_3)
	v_add_f32_e32 v28, v7, v8
	v_sub_f32_e32 v26, v26, v33
	s_delay_alu instid0(VALU_DEP_1) | instskip(NEXT) | instid1(VALU_DEP_1)
	v_dual_add_f32 v26, v27, v26 :: v_dual_sub_f32 v27, v28, v7
	v_add_f32_e32 v26, v28, v26
	s_delay_alu instid0(VALU_DEP_2) | instskip(NEXT) | instid1(VALU_DEP_2)
	v_sub_f32_e32 v28, v28, v27
	v_dual_sub_f32 v8, v8, v27 :: v_dual_add_f32 v31, v29, v26
	s_delay_alu instid0(VALU_DEP_2) | instskip(NEXT) | instid1(VALU_DEP_2)
	v_sub_f32_e32 v7, v7, v28
	v_sub_f32_e32 v27, v31, v29
	s_delay_alu instid0(VALU_DEP_2) | instskip(NEXT) | instid1(VALU_DEP_2)
	v_add_f32_e32 v7, v8, v7
	v_sub_f32_e32 v8, v26, v27
	s_delay_alu instid0(VALU_DEP_1) | instskip(NEXT) | instid1(VALU_DEP_1)
	v_add_f32_e32 v7, v7, v8
	v_add_f32_e32 v7, v31, v7
	s_wait_alu 0xfffd
	s_delay_alu instid0(VALU_DEP_1) | instskip(SKIP_2) | instid1(VALU_DEP_2)
	v_cndmask_b32_e32 v7, 0x7f800000, v7, vcc_lo
	v_cmp_gt_f32_e64 vcc_lo, 0x33800000, |v10|
	s_wait_alu 0xfffd
	v_cndmask_b32_e32 v7, v7, v10, vcc_lo
	s_delay_alu instid0(VALU_DEP_1) | instskip(NEXT) | instid1(VALU_DEP_1)
	v_add_f32_e32 v7, v9, v7
	v_cvt_f16_f32_e32 v7, v7
	s_delay_alu instid0(VALU_DEP_1)
	v_cvt_f32_f16_e32 v8, v7
	v_mov_b32_e32 v31, v7
.LBB421_47:
	s_wait_alu 0xfffe
	s_or_b32 exec_lo, exec_lo, s10
	v_cvt_f32_f16_e32 v26, v5
	v_max_num_f32_e32 v9, v8, v8
	v_cmp_u_f16_e32 vcc_lo, v7, v7
	v_cmp_u_f16_e64 s10, v5, v5
	s_delay_alu instid0(VALU_DEP_3) | instskip(SKIP_1) | instid1(VALU_DEP_1)
	v_min_num_f32_e32 v10, v9, v26
	s_wait_alu 0xfffd
	v_dual_max_num_f32 v9, v9, v26 :: v_dual_cndmask_b32 v10, v10, v8
	s_delay_alu instid0(VALU_DEP_1) | instskip(SKIP_1) | instid1(VALU_DEP_2)
	v_cndmask_b32_e32 v9, v9, v8, vcc_lo
	s_wait_alu 0xf1ff
	v_cndmask_b32_e64 v10, v10, v26, s10
	s_delay_alu instid0(VALU_DEP_2) | instskip(NEXT) | instid1(VALU_DEP_2)
	v_cndmask_b32_e64 v9, v9, v26, s10
	v_cmp_class_f32_e64 s11, v10, 0x1f8
	s_delay_alu instid0(VALU_DEP_2) | instskip(SKIP_1) | instid1(SALU_CYCLE_1)
	v_cmp_neq_f32_e32 vcc_lo, v10, v9
	s_or_b32 s12, vcc_lo, s11
	s_and_saveexec_b32 s11, s12
	s_cbranch_execz .LBB421_49
; %bb.48:
	v_sub_f32_e32 v7, v10, v9
	s_mov_b32 s12, 0x3e9b6dac
	s_delay_alu instid0(VALU_DEP_1) | instskip(NEXT) | instid1(VALU_DEP_1)
	v_mul_f32_e32 v8, 0x3fb8aa3b, v7
	v_fma_f32 v10, 0x3fb8aa3b, v7, -v8
	v_rndne_f32_e32 v27, v8
	s_delay_alu instid0(VALU_DEP_1) | instskip(NEXT) | instid1(VALU_DEP_3)
	v_sub_f32_e32 v8, v8, v27
	v_fmamk_f32 v10, v7, 0x32a5705f, v10
	v_cmp_ngt_f32_e32 vcc_lo, 0xc2ce8ed0, v7
	s_delay_alu instid0(VALU_DEP_2) | instskip(SKIP_1) | instid1(VALU_DEP_2)
	v_add_f32_e32 v8, v8, v10
	v_cvt_i32_f32_e32 v10, v27
	v_exp_f32_e32 v8, v8
	s_delay_alu instid0(TRANS32_DEP_1) | instskip(SKIP_1) | instid1(VALU_DEP_1)
	v_ldexp_f32 v8, v8, v10
	s_wait_alu 0xfffd
	v_cndmask_b32_e32 v8, 0, v8, vcc_lo
	v_cmp_nlt_f32_e32 vcc_lo, 0x42b17218, v7
	s_wait_alu 0xfffd
	s_delay_alu instid0(VALU_DEP_2) | instskip(NEXT) | instid1(VALU_DEP_1)
	v_cndmask_b32_e32 v10, 0x7f800000, v8, vcc_lo
	v_add_f32_e32 v27, 1.0, v10
	s_delay_alu instid0(VALU_DEP_1) | instskip(NEXT) | instid1(VALU_DEP_1)
	v_cvt_f64_f32_e32 v[7:8], v27
	v_frexp_exp_i32_f64_e32 v7, v[7:8]
	v_frexp_mant_f32_e32 v8, v27
	s_delay_alu instid0(VALU_DEP_1) | instskip(SKIP_1) | instid1(VALU_DEP_1)
	v_cmp_gt_f32_e32 vcc_lo, 0x3f2aaaab, v8
	v_add_f32_e32 v8, -1.0, v27
	v_dual_sub_f32 v29, v8, v27 :: v_dual_sub_f32 v8, v10, v8
	s_delay_alu instid0(VALU_DEP_1) | instskip(SKIP_2) | instid1(VALU_DEP_1)
	v_add_f32_e32 v29, 1.0, v29
	s_wait_alu 0xfffd
	v_subrev_co_ci_u32_e64 v7, null, 0, v7, vcc_lo
	v_sub_nc_u32_e32 v28, 0, v7
	v_cvt_f32_i32_e32 v7, v7
	s_delay_alu instid0(VALU_DEP_2) | instskip(NEXT) | instid1(VALU_DEP_1)
	v_ldexp_f32 v27, v27, v28
	v_dual_add_f32 v8, v8, v29 :: v_dual_add_f32 v31, 1.0, v27
	s_delay_alu instid0(VALU_DEP_1) | instskip(NEXT) | instid1(VALU_DEP_2)
	v_ldexp_f32 v8, v8, v28
	v_add_f32_e32 v29, -1.0, v31
	v_cmp_neq_f32_e32 vcc_lo, 0x7f800000, v10
	s_delay_alu instid0(VALU_DEP_2) | instskip(NEXT) | instid1(VALU_DEP_1)
	v_dual_sub_f32 v29, v27, v29 :: v_dual_add_f32 v28, -1.0, v27
	v_dual_add_f32 v29, v8, v29 :: v_dual_add_f32 v32, 1.0, v28
	s_delay_alu instid0(VALU_DEP_1) | instskip(NEXT) | instid1(VALU_DEP_1)
	v_sub_f32_e32 v27, v27, v32
	v_add_f32_e32 v8, v8, v27
	s_delay_alu instid0(VALU_DEP_1) | instskip(NEXT) | instid1(VALU_DEP_1)
	v_dual_add_f32 v32, v31, v29 :: v_dual_add_f32 v33, v28, v8
	v_rcp_f32_e32 v27, v32
	s_delay_alu instid0(VALU_DEP_1) | instskip(NEXT) | instid1(VALU_DEP_1)
	v_dual_sub_f32 v31, v31, v32 :: v_dual_sub_f32 v28, v28, v33
	v_dual_add_f32 v29, v29, v31 :: v_dual_add_f32 v8, v8, v28
	s_delay_alu instid0(TRANS32_DEP_1) | instskip(NEXT) | instid1(VALU_DEP_1)
	v_mul_f32_e32 v34, v33, v27
	v_mul_f32_e32 v35, v32, v34
	s_delay_alu instid0(VALU_DEP_1) | instskip(NEXT) | instid1(VALU_DEP_1)
	v_fma_f32 v31, v34, v32, -v35
	v_fmac_f32_e32 v31, v34, v29
	s_delay_alu instid0(VALU_DEP_1) | instskip(NEXT) | instid1(VALU_DEP_1)
	v_add_f32_e32 v36, v35, v31
	v_sub_f32_e32 v37, v33, v36
	s_delay_alu instid0(VALU_DEP_1) | instskip(NEXT) | instid1(VALU_DEP_1)
	v_dual_sub_f32 v33, v33, v37 :: v_dual_sub_f32 v28, v36, v35
	v_dual_sub_f32 v33, v33, v36 :: v_dual_sub_f32 v28, v28, v31
	s_delay_alu instid0(VALU_DEP_1) | instskip(NEXT) | instid1(VALU_DEP_1)
	v_add_f32_e32 v8, v8, v33
	v_add_f32_e32 v8, v28, v8
	s_delay_alu instid0(VALU_DEP_1) | instskip(NEXT) | instid1(VALU_DEP_1)
	v_add_f32_e32 v28, v37, v8
	v_mul_f32_e32 v31, v27, v28
	s_delay_alu instid0(VALU_DEP_1) | instskip(NEXT) | instid1(VALU_DEP_1)
	v_dual_mul_f32 v33, v32, v31 :: v_dual_sub_f32 v36, v37, v28
	v_fma_f32 v32, v31, v32, -v33
	s_delay_alu instid0(VALU_DEP_1) | instskip(NEXT) | instid1(VALU_DEP_1)
	v_fmac_f32_e32 v32, v31, v29
	v_add_f32_e32 v29, v33, v32
	s_delay_alu instid0(VALU_DEP_1) | instskip(SKIP_1) | instid1(VALU_DEP_2)
	v_sub_f32_e32 v35, v28, v29
	v_dual_sub_f32 v33, v29, v33 :: v_dual_add_f32 v8, v8, v36
	v_sub_f32_e32 v28, v28, v35
	s_delay_alu instid0(VALU_DEP_1) | instskip(NEXT) | instid1(VALU_DEP_1)
	v_dual_sub_f32 v28, v28, v29 :: v_dual_sub_f32 v29, v33, v32
	v_add_f32_e32 v8, v8, v28
	v_add_f32_e32 v28, v34, v31
	s_delay_alu instid0(VALU_DEP_1) | instskip(NEXT) | instid1(VALU_DEP_1)
	v_dual_add_f32 v8, v29, v8 :: v_dual_sub_f32 v29, v28, v34
	v_add_f32_e32 v8, v35, v8
	s_delay_alu instid0(VALU_DEP_2) | instskip(NEXT) | instid1(VALU_DEP_2)
	v_sub_f32_e32 v29, v31, v29
	v_mul_f32_e32 v8, v27, v8
	s_delay_alu instid0(VALU_DEP_1) | instskip(NEXT) | instid1(VALU_DEP_1)
	v_add_f32_e32 v8, v29, v8
	v_add_f32_e32 v27, v28, v8
	s_delay_alu instid0(VALU_DEP_1) | instskip(NEXT) | instid1(VALU_DEP_1)
	v_mul_f32_e32 v29, v27, v27
	v_fmaak_f32 v31, s12, v29, 0x3ecc95a3
	s_delay_alu instid0(VALU_DEP_1) | instskip(SKIP_1) | instid1(VALU_DEP_2)
	v_dual_mul_f32 v32, v27, v29 :: v_dual_fmaak_f32 v29, v29, v31, 0x3f2aaada
	v_ldexp_f32 v31, v27, 1
	v_mul_f32_e32 v29, v32, v29
	v_dual_sub_f32 v27, v27, v28 :: v_dual_mul_f32 v32, 0x3f317218, v7
	s_delay_alu instid0(VALU_DEP_2) | instskip(NEXT) | instid1(VALU_DEP_2)
	v_add_f32_e32 v28, v31, v29
	v_sub_f32_e32 v8, v8, v27
	s_delay_alu instid0(VALU_DEP_2) | instskip(NEXT) | instid1(VALU_DEP_4)
	v_sub_f32_e32 v27, v28, v31
	v_fma_f32 v31, 0x3f317218, v7, -v32
	s_delay_alu instid0(VALU_DEP_3) | instskip(NEXT) | instid1(VALU_DEP_3)
	v_ldexp_f32 v8, v8, 1
	v_sub_f32_e32 v27, v29, v27
	s_delay_alu instid0(VALU_DEP_1) | instskip(NEXT) | instid1(VALU_DEP_1)
	v_dual_fmamk_f32 v7, v7, 0xb102e308, v31 :: v_dual_add_f32 v8, v8, v27
	v_add_f32_e32 v27, v32, v7
	s_delay_alu instid0(VALU_DEP_1) | instskip(NEXT) | instid1(VALU_DEP_1)
	v_sub_f32_e32 v32, v27, v32
	v_sub_f32_e32 v7, v7, v32
	s_delay_alu instid0(VALU_DEP_4) | instskip(NEXT) | instid1(VALU_DEP_1)
	v_add_f32_e32 v29, v28, v8
	v_dual_add_f32 v31, v27, v29 :: v_dual_sub_f32 v28, v29, v28
	s_delay_alu instid0(VALU_DEP_1) | instskip(NEXT) | instid1(VALU_DEP_1)
	v_dual_sub_f32 v33, v31, v27 :: v_dual_sub_f32 v8, v8, v28
	v_dual_sub_f32 v28, v29, v33 :: v_dual_add_f32 v29, v7, v8
	v_sub_f32_e32 v34, v31, v33
	s_delay_alu instid0(VALU_DEP_1) | instskip(NEXT) | instid1(VALU_DEP_1)
	v_sub_f32_e32 v27, v27, v34
	v_add_f32_e32 v27, v28, v27
	s_delay_alu instid0(VALU_DEP_4) | instskip(NEXT) | instid1(VALU_DEP_2)
	v_sub_f32_e32 v28, v29, v7
	v_add_f32_e32 v27, v29, v27
	s_delay_alu instid0(VALU_DEP_1) | instskip(NEXT) | instid1(VALU_DEP_1)
	v_dual_sub_f32 v29, v29, v28 :: v_dual_add_f32 v32, v31, v27
	v_dual_sub_f32 v7, v7, v29 :: v_dual_sub_f32 v8, v8, v28
	s_delay_alu instid0(VALU_DEP_1) | instskip(NEXT) | instid1(VALU_DEP_3)
	v_add_f32_e32 v7, v8, v7
	v_sub_f32_e32 v28, v32, v31
	s_delay_alu instid0(VALU_DEP_1) | instskip(NEXT) | instid1(VALU_DEP_1)
	v_sub_f32_e32 v8, v27, v28
	v_add_f32_e32 v7, v7, v8
	s_delay_alu instid0(VALU_DEP_1) | instskip(SKIP_1) | instid1(VALU_DEP_1)
	v_add_f32_e32 v7, v32, v7
	s_wait_alu 0xfffd
	v_cndmask_b32_e32 v7, 0x7f800000, v7, vcc_lo
	v_cmp_gt_f32_e64 vcc_lo, 0x33800000, |v10|
	s_wait_alu 0xfffd
	s_delay_alu instid0(VALU_DEP_2) | instskip(NEXT) | instid1(VALU_DEP_1)
	v_cndmask_b32_e32 v7, v7, v10, vcc_lo
	v_add_f32_e32 v7, v9, v7
	s_delay_alu instid0(VALU_DEP_1) | instskip(NEXT) | instid1(VALU_DEP_1)
	v_cvt_f16_f32_e32 v7, v7
	v_cvt_f32_f16_e32 v8, v7
	v_mov_b32_e32 v31, v7
.LBB421_49:
	s_wait_alu 0xfffe
	s_or_b32 exec_lo, exec_lo, s11
	v_cvt_f32_f16_e32 v27, v15
	v_max_num_f32_e32 v9, v8, v8
	v_cmp_u_f16_e32 vcc_lo, v7, v7
	v_cmp_u_f16_e64 s11, v15, v15
	s_delay_alu instid0(VALU_DEP_3) | instskip(SKIP_1) | instid1(VALU_DEP_1)
	v_min_num_f32_e32 v10, v9, v27
	s_wait_alu 0xfffd
	v_dual_max_num_f32 v9, v9, v27 :: v_dual_cndmask_b32 v10, v10, v8
	s_delay_alu instid0(VALU_DEP_1) | instskip(SKIP_1) | instid1(VALU_DEP_2)
	v_cndmask_b32_e32 v9, v9, v8, vcc_lo
	s_wait_alu 0xf1ff
	v_cndmask_b32_e64 v10, v10, v27, s11
	s_delay_alu instid0(VALU_DEP_2) | instskip(NEXT) | instid1(VALU_DEP_2)
	v_cndmask_b32_e64 v9, v9, v27, s11
	v_cmp_class_f32_e64 s12, v10, 0x1f8
	s_delay_alu instid0(VALU_DEP_2)
	v_cmp_neq_f32_e32 vcc_lo, v10, v9
	s_or_b32 s13, vcc_lo, s12
	s_wait_alu 0xfffe
	s_and_saveexec_b32 s12, s13
	s_cbranch_execz .LBB421_51
; %bb.50:
	v_sub_f32_e32 v7, v10, v9
	s_mov_b32 s13, 0x3e9b6dac
	s_delay_alu instid0(VALU_DEP_1) | instskip(NEXT) | instid1(VALU_DEP_1)
	v_mul_f32_e32 v8, 0x3fb8aa3b, v7
	v_fma_f32 v10, 0x3fb8aa3b, v7, -v8
	v_rndne_f32_e32 v28, v8
	s_delay_alu instid0(VALU_DEP_1) | instskip(NEXT) | instid1(VALU_DEP_3)
	v_sub_f32_e32 v8, v8, v28
	v_fmamk_f32 v10, v7, 0x32a5705f, v10
	v_cmp_ngt_f32_e32 vcc_lo, 0xc2ce8ed0, v7
	s_delay_alu instid0(VALU_DEP_2) | instskip(SKIP_1) | instid1(VALU_DEP_2)
	v_add_f32_e32 v8, v8, v10
	v_cvt_i32_f32_e32 v10, v28
	v_exp_f32_e32 v8, v8
	s_delay_alu instid0(TRANS32_DEP_1) | instskip(SKIP_1) | instid1(VALU_DEP_1)
	v_ldexp_f32 v8, v8, v10
	s_wait_alu 0xfffd
	v_cndmask_b32_e32 v8, 0, v8, vcc_lo
	v_cmp_nlt_f32_e32 vcc_lo, 0x42b17218, v7
	s_wait_alu 0xfffd
	s_delay_alu instid0(VALU_DEP_2) | instskip(NEXT) | instid1(VALU_DEP_1)
	v_cndmask_b32_e32 v10, 0x7f800000, v8, vcc_lo
	v_add_f32_e32 v28, 1.0, v10
	s_delay_alu instid0(VALU_DEP_1) | instskip(NEXT) | instid1(VALU_DEP_1)
	v_cvt_f64_f32_e32 v[7:8], v28
	v_frexp_exp_i32_f64_e32 v7, v[7:8]
	v_frexp_mant_f32_e32 v8, v28
	s_delay_alu instid0(VALU_DEP_1) | instskip(SKIP_1) | instid1(VALU_DEP_1)
	v_cmp_gt_f32_e32 vcc_lo, 0x3f2aaaab, v8
	v_add_f32_e32 v8, -1.0, v28
	v_sub_f32_e32 v31, v8, v28
	s_delay_alu instid0(VALU_DEP_1) | instskip(SKIP_2) | instid1(VALU_DEP_1)
	v_dual_sub_f32 v8, v10, v8 :: v_dual_add_f32 v31, 1.0, v31
	s_wait_alu 0xfffd
	v_subrev_co_ci_u32_e64 v7, null, 0, v7, vcc_lo
	v_sub_nc_u32_e32 v29, 0, v7
	v_cvt_f32_i32_e32 v7, v7
	s_delay_alu instid0(VALU_DEP_2) | instskip(SKIP_1) | instid1(VALU_DEP_2)
	v_ldexp_f32 v28, v28, v29
	v_add_f32_e32 v8, v8, v31
	v_add_f32_e32 v32, 1.0, v28
	s_delay_alu instid0(VALU_DEP_2) | instskip(SKIP_1) | instid1(VALU_DEP_3)
	v_ldexp_f32 v8, v8, v29
	v_add_f32_e32 v29, -1.0, v28
	v_add_f32_e32 v31, -1.0, v32
	s_delay_alu instid0(VALU_DEP_2) | instskip(SKIP_1) | instid1(VALU_DEP_3)
	v_add_f32_e32 v33, 1.0, v29
	v_cmp_neq_f32_e32 vcc_lo, 0x7f800000, v10
	v_sub_f32_e32 v31, v28, v31
	s_delay_alu instid0(VALU_DEP_1) | instskip(NEXT) | instid1(VALU_DEP_4)
	v_add_f32_e32 v31, v8, v31
	v_sub_f32_e32 v28, v28, v33
	s_delay_alu instid0(VALU_DEP_2) | instskip(NEXT) | instid1(VALU_DEP_1)
	v_add_f32_e32 v33, v32, v31
	v_sub_f32_e32 v32, v32, v33
	s_delay_alu instid0(VALU_DEP_1) | instskip(NEXT) | instid1(VALU_DEP_4)
	v_add_f32_e32 v31, v31, v32
	v_add_f32_e32 v8, v8, v28
	v_rcp_f32_e32 v28, v33
	s_delay_alu instid0(VALU_DEP_1) | instskip(NEXT) | instid1(VALU_DEP_1)
	v_add_f32_e32 v34, v29, v8
	v_sub_f32_e32 v29, v29, v34
	s_delay_alu instid0(TRANS32_DEP_1) | instid1(VALU_DEP_1)
	v_dual_mul_f32 v35, v34, v28 :: v_dual_add_f32 v8, v8, v29
	s_delay_alu instid0(VALU_DEP_1) | instskip(NEXT) | instid1(VALU_DEP_1)
	v_mul_f32_e32 v36, v33, v35
	v_fma_f32 v32, v35, v33, -v36
	s_delay_alu instid0(VALU_DEP_1) | instskip(NEXT) | instid1(VALU_DEP_1)
	v_fmac_f32_e32 v32, v35, v31
	v_add_f32_e32 v37, v36, v32
	s_delay_alu instid0(VALU_DEP_1) | instskip(NEXT) | instid1(VALU_DEP_1)
	v_sub_f32_e32 v38, v34, v37
	v_dual_sub_f32 v34, v34, v38 :: v_dual_sub_f32 v29, v37, v36
	s_delay_alu instid0(VALU_DEP_1) | instskip(NEXT) | instid1(VALU_DEP_1)
	v_dual_sub_f32 v34, v34, v37 :: v_dual_sub_f32 v29, v29, v32
	v_add_f32_e32 v8, v8, v34
	s_delay_alu instid0(VALU_DEP_1) | instskip(NEXT) | instid1(VALU_DEP_1)
	v_add_f32_e32 v8, v29, v8
	v_add_f32_e32 v29, v38, v8
	s_delay_alu instid0(VALU_DEP_1) | instskip(NEXT) | instid1(VALU_DEP_1)
	v_mul_f32_e32 v32, v28, v29
	v_dual_sub_f32 v37, v38, v29 :: v_dual_mul_f32 v34, v33, v32
	s_delay_alu instid0(VALU_DEP_1) | instskip(NEXT) | instid1(VALU_DEP_2)
	v_add_f32_e32 v8, v8, v37
	v_fma_f32 v33, v32, v33, -v34
	s_delay_alu instid0(VALU_DEP_1) | instskip(NEXT) | instid1(VALU_DEP_1)
	v_fmac_f32_e32 v33, v32, v31
	v_add_f32_e32 v31, v34, v33
	s_delay_alu instid0(VALU_DEP_1) | instskip(NEXT) | instid1(VALU_DEP_1)
	v_sub_f32_e32 v36, v29, v31
	v_dual_sub_f32 v34, v31, v34 :: v_dual_sub_f32 v29, v29, v36
	s_delay_alu instid0(VALU_DEP_1) | instskip(NEXT) | instid1(VALU_DEP_2)
	v_sub_f32_e32 v29, v29, v31
	v_sub_f32_e32 v31, v34, v33
	s_delay_alu instid0(VALU_DEP_2) | instskip(NEXT) | instid1(VALU_DEP_1)
	v_dual_add_f32 v8, v8, v29 :: v_dual_add_f32 v29, v35, v32
	v_dual_add_f32 v8, v31, v8 :: v_dual_sub_f32 v31, v29, v35
	s_delay_alu instid0(VALU_DEP_1) | instskip(NEXT) | instid1(VALU_DEP_2)
	v_add_f32_e32 v8, v36, v8
	v_sub_f32_e32 v31, v32, v31
	s_delay_alu instid0(VALU_DEP_2) | instskip(NEXT) | instid1(VALU_DEP_1)
	v_mul_f32_e32 v8, v28, v8
	v_add_f32_e32 v8, v31, v8
	s_delay_alu instid0(VALU_DEP_1) | instskip(NEXT) | instid1(VALU_DEP_1)
	v_add_f32_e32 v28, v29, v8
	v_mul_f32_e32 v31, v28, v28
	s_wait_alu 0xfffe
	s_delay_alu instid0(VALU_DEP_1) | instskip(SKIP_1) | instid1(VALU_DEP_2)
	v_fmaak_f32 v32, s13, v31, 0x3ecc95a3
	v_mul_f32_e32 v33, v28, v31
	v_fmaak_f32 v31, v31, v32, 0x3f2aaada
	v_ldexp_f32 v32, v28, 1
	s_delay_alu instid0(VALU_DEP_2) | instskip(NEXT) | instid1(VALU_DEP_1)
	v_dual_sub_f32 v28, v28, v29 :: v_dual_mul_f32 v31, v33, v31
	v_dual_mul_f32 v33, 0x3f317218, v7 :: v_dual_sub_f32 v8, v8, v28
	s_delay_alu instid0(VALU_DEP_2) | instskip(NEXT) | instid1(VALU_DEP_2)
	v_add_f32_e32 v29, v32, v31
	v_ldexp_f32 v8, v8, 1
	s_delay_alu instid0(VALU_DEP_2) | instskip(NEXT) | instid1(VALU_DEP_4)
	v_sub_f32_e32 v28, v29, v32
	v_fma_f32 v32, 0x3f317218, v7, -v33
	s_delay_alu instid0(VALU_DEP_2) | instskip(NEXT) | instid1(VALU_DEP_1)
	v_sub_f32_e32 v28, v31, v28
	v_dual_fmamk_f32 v7, v7, 0xb102e308, v32 :: v_dual_add_f32 v8, v8, v28
	s_delay_alu instid0(VALU_DEP_1) | instskip(NEXT) | instid1(VALU_DEP_1)
	v_add_f32_e32 v31, v29, v8
	v_sub_f32_e32 v29, v31, v29
	s_delay_alu instid0(VALU_DEP_1) | instskip(NEXT) | instid1(VALU_DEP_4)
	v_sub_f32_e32 v8, v8, v29
	v_add_f32_e32 v28, v33, v7
	s_delay_alu instid0(VALU_DEP_1) | instskip(SKIP_1) | instid1(VALU_DEP_1)
	v_add_f32_e32 v32, v28, v31
	v_sub_f32_e32 v33, v28, v33
	v_dual_sub_f32 v7, v7, v33 :: v_dual_sub_f32 v34, v32, v28
	s_delay_alu instid0(VALU_DEP_1) | instskip(SKIP_1) | instid1(VALU_DEP_2)
	v_sub_f32_e32 v35, v32, v34
	v_sub_f32_e32 v29, v31, v34
	v_dual_add_f32 v31, v7, v8 :: v_dual_sub_f32 v28, v28, v35
	s_delay_alu instid0(VALU_DEP_1) | instskip(NEXT) | instid1(VALU_DEP_1)
	v_dual_add_f32 v28, v29, v28 :: v_dual_sub_f32 v29, v31, v7
	v_add_f32_e32 v28, v31, v28
	s_delay_alu instid0(VALU_DEP_2) | instskip(SKIP_1) | instid1(VALU_DEP_3)
	v_sub_f32_e32 v31, v31, v29
	v_sub_f32_e32 v8, v8, v29
	v_add_f32_e32 v33, v32, v28
	s_delay_alu instid0(VALU_DEP_3) | instskip(NEXT) | instid1(VALU_DEP_2)
	v_sub_f32_e32 v7, v7, v31
	v_sub_f32_e32 v29, v33, v32
	s_delay_alu instid0(VALU_DEP_2) | instskip(NEXT) | instid1(VALU_DEP_2)
	v_add_f32_e32 v7, v8, v7
	v_sub_f32_e32 v8, v28, v29
	s_delay_alu instid0(VALU_DEP_1) | instskip(NEXT) | instid1(VALU_DEP_1)
	v_add_f32_e32 v7, v7, v8
	v_add_f32_e32 v7, v33, v7
	s_wait_alu 0xfffd
	s_delay_alu instid0(VALU_DEP_1) | instskip(SKIP_2) | instid1(VALU_DEP_2)
	v_cndmask_b32_e32 v7, 0x7f800000, v7, vcc_lo
	v_cmp_gt_f32_e64 vcc_lo, 0x33800000, |v10|
	s_wait_alu 0xfffd
	v_cndmask_b32_e32 v7, v7, v10, vcc_lo
	s_delay_alu instid0(VALU_DEP_1) | instskip(NEXT) | instid1(VALU_DEP_1)
	v_add_f32_e32 v7, v9, v7
	v_cvt_f16_f32_e32 v7, v7
	s_delay_alu instid0(VALU_DEP_1)
	v_cvt_f32_f16_e32 v8, v7
	v_mov_b32_e32 v31, v7
.LBB421_51:
	s_wait_alu 0xfffe
	s_or_b32 exec_lo, exec_lo, s12
	v_cvt_f32_f16_e32 v28, v6
	v_max_num_f32_e32 v9, v8, v8
	v_cmp_u_f16_e32 vcc_lo, v7, v7
	v_cmp_u_f16_e64 s12, v6, v6
	s_delay_alu instid0(VALU_DEP_3) | instskip(SKIP_2) | instid1(VALU_DEP_2)
	v_min_num_f32_e32 v10, v9, v28
	v_max_num_f32_e32 v9, v9, v28
	s_wait_alu 0xfffd
	v_cndmask_b32_e32 v10, v10, v8, vcc_lo
	s_delay_alu instid0(VALU_DEP_2) | instskip(SKIP_1) | instid1(VALU_DEP_2)
	v_cndmask_b32_e32 v9, v9, v8, vcc_lo
	s_wait_alu 0xf1ff
	v_cndmask_b32_e64 v10, v10, v28, s12
	s_delay_alu instid0(VALU_DEP_2) | instskip(NEXT) | instid1(VALU_DEP_2)
	v_cndmask_b32_e64 v9, v9, v28, s12
	v_cmp_class_f32_e64 s13, v10, 0x1f8
	s_delay_alu instid0(VALU_DEP_2)
	v_cmp_neq_f32_e32 vcc_lo, v10, v9
	s_or_b32 s15, vcc_lo, s13
	s_wait_alu 0xfffe
	s_and_saveexec_b32 s13, s15
	s_cbranch_execz .LBB421_53
; %bb.52:
	v_sub_f32_e32 v7, v10, v9
	s_mov_b32 s15, 0x3e9b6dac
	s_delay_alu instid0(VALU_DEP_1) | instskip(NEXT) | instid1(VALU_DEP_1)
	v_mul_f32_e32 v8, 0x3fb8aa3b, v7
	v_fma_f32 v10, 0x3fb8aa3b, v7, -v8
	v_rndne_f32_e32 v29, v8
	s_delay_alu instid0(VALU_DEP_2) | instskip(NEXT) | instid1(VALU_DEP_2)
	v_fmamk_f32 v10, v7, 0x32a5705f, v10
	v_sub_f32_e32 v8, v8, v29
	s_delay_alu instid0(VALU_DEP_1) | instskip(SKIP_2) | instid1(VALU_DEP_3)
	v_add_f32_e32 v8, v8, v10
	v_cvt_i32_f32_e32 v10, v29
	v_cmp_ngt_f32_e32 vcc_lo, 0xc2ce8ed0, v7
	v_exp_f32_e32 v8, v8
	s_delay_alu instid0(TRANS32_DEP_1) | instskip(SKIP_1) | instid1(VALU_DEP_1)
	v_ldexp_f32 v8, v8, v10
	s_wait_alu 0xfffd
	v_cndmask_b32_e32 v8, 0, v8, vcc_lo
	v_cmp_nlt_f32_e32 vcc_lo, 0x42b17218, v7
	s_wait_alu 0xfffd
	s_delay_alu instid0(VALU_DEP_2) | instskip(NEXT) | instid1(VALU_DEP_1)
	v_cndmask_b32_e32 v10, 0x7f800000, v8, vcc_lo
	v_add_f32_e32 v29, 1.0, v10
	s_delay_alu instid0(VALU_DEP_1) | instskip(NEXT) | instid1(VALU_DEP_1)
	v_cvt_f64_f32_e32 v[7:8], v29
	v_frexp_exp_i32_f64_e32 v7, v[7:8]
	v_frexp_mant_f32_e32 v8, v29
	s_delay_alu instid0(VALU_DEP_1) | instskip(SKIP_1) | instid1(VALU_DEP_1)
	v_cmp_gt_f32_e32 vcc_lo, 0x3f2aaaab, v8
	v_add_f32_e32 v8, -1.0, v29
	v_sub_f32_e32 v32, v8, v29
	v_sub_f32_e32 v8, v10, v8
	s_delay_alu instid0(VALU_DEP_2) | instskip(NEXT) | instid1(VALU_DEP_1)
	v_add_f32_e32 v32, 1.0, v32
	v_add_f32_e32 v8, v8, v32
	s_wait_alu 0xfffd
	v_subrev_co_ci_u32_e64 v7, null, 0, v7, vcc_lo
	s_delay_alu instid0(VALU_DEP_1) | instskip(SKIP_1) | instid1(VALU_DEP_2)
	v_sub_nc_u32_e32 v31, 0, v7
	v_cvt_f32_i32_e32 v7, v7
	v_ldexp_f32 v29, v29, v31
	v_ldexp_f32 v8, v8, v31
	s_delay_alu instid0(VALU_DEP_2) | instskip(SKIP_1) | instid1(VALU_DEP_2)
	v_add_f32_e32 v33, 1.0, v29
	v_add_f32_e32 v31, -1.0, v29
	v_add_f32_e32 v32, -1.0, v33
	s_delay_alu instid0(VALU_DEP_2) | instskip(NEXT) | instid1(VALU_DEP_2)
	v_add_f32_e32 v34, 1.0, v31
	v_sub_f32_e32 v32, v29, v32
	s_delay_alu instid0(VALU_DEP_1) | instskip(NEXT) | instid1(VALU_DEP_1)
	v_dual_sub_f32 v29, v29, v34 :: v_dual_add_f32 v32, v8, v32
	v_add_f32_e32 v8, v8, v29
	s_delay_alu instid0(VALU_DEP_2) | instskip(NEXT) | instid1(VALU_DEP_2)
	v_add_f32_e32 v34, v33, v32
	v_add_f32_e32 v35, v31, v8
	s_delay_alu instid0(VALU_DEP_2) | instskip(SKIP_1) | instid1(VALU_DEP_2)
	v_rcp_f32_e32 v29, v34
	v_sub_f32_e32 v33, v33, v34
	v_sub_f32_e32 v31, v31, v35
	v_cmp_neq_f32_e32 vcc_lo, 0x7f800000, v10
	s_delay_alu instid0(VALU_DEP_3) | instskip(NEXT) | instid1(VALU_DEP_3)
	v_add_f32_e32 v32, v32, v33
	v_add_f32_e32 v8, v8, v31
	s_delay_alu instid0(TRANS32_DEP_1) | instskip(NEXT) | instid1(VALU_DEP_1)
	v_mul_f32_e32 v36, v35, v29
	v_mul_f32_e32 v37, v34, v36
	s_delay_alu instid0(VALU_DEP_1) | instskip(NEXT) | instid1(VALU_DEP_1)
	v_fma_f32 v33, v36, v34, -v37
	v_fmac_f32_e32 v33, v36, v32
	s_delay_alu instid0(VALU_DEP_1) | instskip(NEXT) | instid1(VALU_DEP_1)
	v_add_f32_e32 v38, v37, v33
	v_sub_f32_e32 v39, v35, v38
	v_sub_f32_e32 v31, v38, v37
	s_delay_alu instid0(VALU_DEP_2) | instskip(NEXT) | instid1(VALU_DEP_2)
	v_sub_f32_e32 v35, v35, v39
	v_sub_f32_e32 v31, v31, v33
	s_delay_alu instid0(VALU_DEP_2) | instskip(NEXT) | instid1(VALU_DEP_1)
	v_sub_f32_e32 v35, v35, v38
	v_add_f32_e32 v8, v8, v35
	s_delay_alu instid0(VALU_DEP_1) | instskip(NEXT) | instid1(VALU_DEP_1)
	v_add_f32_e32 v8, v31, v8
	v_add_f32_e32 v31, v39, v8
	s_delay_alu instid0(VALU_DEP_1) | instskip(NEXT) | instid1(VALU_DEP_1)
	v_mul_f32_e32 v33, v29, v31
	v_dual_sub_f32 v38, v39, v31 :: v_dual_mul_f32 v35, v34, v33
	s_delay_alu instid0(VALU_DEP_1) | instskip(NEXT) | instid1(VALU_DEP_2)
	v_add_f32_e32 v8, v8, v38
	v_fma_f32 v34, v33, v34, -v35
	s_delay_alu instid0(VALU_DEP_1) | instskip(NEXT) | instid1(VALU_DEP_1)
	v_fmac_f32_e32 v34, v33, v32
	v_add_f32_e32 v32, v35, v34
	s_delay_alu instid0(VALU_DEP_1) | instskip(SKIP_1) | instid1(VALU_DEP_2)
	v_sub_f32_e32 v37, v31, v32
	v_sub_f32_e32 v35, v32, v35
	;; [unrolled: 1-line block ×3, first 2 shown]
	s_delay_alu instid0(VALU_DEP_1) | instskip(NEXT) | instid1(VALU_DEP_3)
	v_sub_f32_e32 v31, v31, v32
	v_sub_f32_e32 v32, v35, v34
	s_delay_alu instid0(VALU_DEP_2) | instskip(SKIP_1) | instid1(VALU_DEP_2)
	v_add_f32_e32 v8, v8, v31
	v_add_f32_e32 v31, v36, v33
	;; [unrolled: 1-line block ×3, first 2 shown]
	s_delay_alu instid0(VALU_DEP_2) | instskip(NEXT) | instid1(VALU_DEP_2)
	v_sub_f32_e32 v32, v31, v36
	v_add_f32_e32 v8, v37, v8
	s_delay_alu instid0(VALU_DEP_2) | instskip(NEXT) | instid1(VALU_DEP_2)
	v_sub_f32_e32 v32, v33, v32
	v_mul_f32_e32 v8, v29, v8
	s_delay_alu instid0(VALU_DEP_1) | instskip(NEXT) | instid1(VALU_DEP_1)
	v_add_f32_e32 v8, v32, v8
	v_add_f32_e32 v29, v31, v8
	s_delay_alu instid0(VALU_DEP_1) | instskip(SKIP_1) | instid1(VALU_DEP_1)
	v_mul_f32_e32 v32, v29, v29
	s_wait_alu 0xfffe
	v_fmaak_f32 v33, s15, v32, 0x3ecc95a3
	v_mul_f32_e32 v34, v29, v32
	s_delay_alu instid0(VALU_DEP_2) | instskip(SKIP_1) | instid1(VALU_DEP_2)
	v_fmaak_f32 v32, v32, v33, 0x3f2aaada
	v_ldexp_f32 v33, v29, 1
	v_dual_sub_f32 v29, v29, v31 :: v_dual_mul_f32 v32, v34, v32
	s_delay_alu instid0(VALU_DEP_1) | instskip(NEXT) | instid1(VALU_DEP_1)
	v_dual_sub_f32 v8, v8, v29 :: v_dual_add_f32 v31, v33, v32
	v_ldexp_f32 v8, v8, 1
	s_delay_alu instid0(VALU_DEP_2) | instskip(NEXT) | instid1(VALU_DEP_1)
	v_sub_f32_e32 v29, v31, v33
	v_sub_f32_e32 v29, v32, v29
	s_delay_alu instid0(VALU_DEP_1) | instskip(NEXT) | instid1(VALU_DEP_1)
	v_add_f32_e32 v8, v8, v29
	v_add_f32_e32 v32, v31, v8
	v_mul_f32_e32 v34, 0x3f317218, v7
	s_delay_alu instid0(VALU_DEP_2) | instskip(NEXT) | instid1(VALU_DEP_2)
	v_sub_f32_e32 v31, v32, v31
	v_fma_f32 v33, 0x3f317218, v7, -v34
	s_delay_alu instid0(VALU_DEP_1) | instskip(NEXT) | instid1(VALU_DEP_1)
	v_dual_sub_f32 v8, v8, v31 :: v_dual_fmamk_f32 v7, v7, 0xb102e308, v33
	v_add_f32_e32 v29, v34, v7
	s_delay_alu instid0(VALU_DEP_1) | instskip(SKIP_1) | instid1(VALU_DEP_2)
	v_add_f32_e32 v33, v29, v32
	v_sub_f32_e32 v34, v29, v34
	v_sub_f32_e32 v35, v33, v29
	s_delay_alu instid0(VALU_DEP_2) | instskip(NEXT) | instid1(VALU_DEP_1)
	v_sub_f32_e32 v7, v7, v34
	v_dual_sub_f32 v31, v32, v35 :: v_dual_add_f32 v32, v7, v8
	v_sub_f32_e32 v36, v33, v35
	s_delay_alu instid0(VALU_DEP_1) | instskip(NEXT) | instid1(VALU_DEP_1)
	v_sub_f32_e32 v29, v29, v36
	v_add_f32_e32 v29, v31, v29
	s_delay_alu instid0(VALU_DEP_4) | instskip(NEXT) | instid1(VALU_DEP_2)
	v_sub_f32_e32 v31, v32, v7
	v_add_f32_e32 v29, v32, v29
	s_delay_alu instid0(VALU_DEP_2) | instskip(SKIP_1) | instid1(VALU_DEP_2)
	v_sub_f32_e32 v32, v32, v31
	v_sub_f32_e32 v8, v8, v31
	v_dual_add_f32 v34, v33, v29 :: v_dual_sub_f32 v7, v7, v32
	s_delay_alu instid0(VALU_DEP_1) | instskip(NEXT) | instid1(VALU_DEP_2)
	v_sub_f32_e32 v31, v34, v33
	v_add_f32_e32 v7, v8, v7
	s_delay_alu instid0(VALU_DEP_2) | instskip(NEXT) | instid1(VALU_DEP_1)
	v_sub_f32_e32 v8, v29, v31
	v_add_f32_e32 v7, v7, v8
	s_delay_alu instid0(VALU_DEP_1) | instskip(SKIP_1) | instid1(VALU_DEP_1)
	v_add_f32_e32 v7, v34, v7
	s_wait_alu 0xfffd
	v_cndmask_b32_e32 v7, 0x7f800000, v7, vcc_lo
	v_cmp_gt_f32_e64 vcc_lo, 0x33800000, |v10|
	s_wait_alu 0xfffd
	s_delay_alu instid0(VALU_DEP_2) | instskip(NEXT) | instid1(VALU_DEP_1)
	v_cndmask_b32_e32 v7, v7, v10, vcc_lo
	v_add_f32_e32 v7, v9, v7
	s_delay_alu instid0(VALU_DEP_1) | instskip(NEXT) | instid1(VALU_DEP_1)
	v_cvt_f16_f32_e32 v7, v7
	v_cvt_f32_f16_e32 v8, v7
	v_mov_b32_e32 v31, v7
.LBB421_53:
	s_wait_alu 0xfffe
	s_or_b32 exec_lo, exec_lo, s13
	v_cvt_f32_f16_e32 v29, v14
	v_max_num_f32_e32 v9, v8, v8
	v_cmp_u_f16_e32 vcc_lo, v7, v7
	v_cmp_u_f16_e64 s13, v14, v14
	s_delay_alu instid0(VALU_DEP_3) | instskip(SKIP_2) | instid1(VALU_DEP_2)
	v_min_num_f32_e32 v10, v9, v29
	v_max_num_f32_e32 v9, v9, v29
	s_wait_alu 0xfffd
	v_cndmask_b32_e32 v7, v10, v8, vcc_lo
	s_delay_alu instid0(VALU_DEP_2) | instskip(SKIP_1) | instid1(VALU_DEP_2)
	v_cndmask_b32_e32 v9, v9, v8, vcc_lo
	s_wait_alu 0xf1ff
	v_cndmask_b32_e64 v8, v7, v29, s13
	s_delay_alu instid0(VALU_DEP_2) | instskip(NEXT) | instid1(VALU_DEP_2)
	v_cndmask_b32_e64 v7, v9, v29, s13
	v_cmp_class_f32_e64 s15, v8, 0x1f8
	s_delay_alu instid0(VALU_DEP_2) | instskip(SKIP_1) | instid1(SALU_CYCLE_1)
	v_cmp_neq_f32_e32 vcc_lo, v8, v7
	s_or_b32 s16, vcc_lo, s15
	s_and_saveexec_b32 s15, s16
	s_cbranch_execz .LBB421_55
; %bb.54:
	v_sub_f32_e32 v8, v8, v7
	s_mov_b32 s16, 0x3e9b6dac
	s_delay_alu instid0(VALU_DEP_1) | instskip(NEXT) | instid1(VALU_DEP_1)
	v_mul_f32_e32 v9, 0x3fb8aa3b, v8
	v_fma_f32 v10, 0x3fb8aa3b, v8, -v9
	v_rndne_f32_e32 v31, v9
	s_delay_alu instid0(VALU_DEP_1) | instskip(NEXT) | instid1(VALU_DEP_1)
	v_dual_fmamk_f32 v10, v8, 0x32a5705f, v10 :: v_dual_sub_f32 v9, v9, v31
	v_add_f32_e32 v9, v9, v10
	v_cvt_i32_f32_e32 v10, v31
	v_cmp_ngt_f32_e32 vcc_lo, 0xc2ce8ed0, v8
	s_delay_alu instid0(VALU_DEP_3) | instskip(NEXT) | instid1(TRANS32_DEP_1)
	v_exp_f32_e32 v9, v9
	v_ldexp_f32 v9, v9, v10
	s_wait_alu 0xfffd
	s_delay_alu instid0(VALU_DEP_1) | instskip(SKIP_2) | instid1(VALU_DEP_2)
	v_cndmask_b32_e32 v9, 0, v9, vcc_lo
	v_cmp_nlt_f32_e32 vcc_lo, 0x42b17218, v8
	s_wait_alu 0xfffd
	v_cndmask_b32_e32 v10, 0x7f800000, v9, vcc_lo
	s_delay_alu instid0(VALU_DEP_1) | instskip(NEXT) | instid1(VALU_DEP_1)
	v_add_f32_e32 v31, 1.0, v10
	v_cvt_f64_f32_e32 v[8:9], v31
	s_delay_alu instid0(VALU_DEP_1) | instskip(SKIP_1) | instid1(VALU_DEP_1)
	v_frexp_exp_i32_f64_e32 v8, v[8:9]
	v_frexp_mant_f32_e32 v9, v31
	v_cmp_gt_f32_e32 vcc_lo, 0x3f2aaaab, v9
	v_add_f32_e32 v9, -1.0, v31
	s_delay_alu instid0(VALU_DEP_1) | instskip(SKIP_4) | instid1(VALU_DEP_2)
	v_sub_f32_e32 v33, v9, v31
	v_sub_f32_e32 v9, v10, v9
	s_wait_alu 0xfffd
	v_subrev_co_ci_u32_e64 v8, null, 0, v8, vcc_lo
	v_cmp_neq_f32_e32 vcc_lo, 0x7f800000, v10
	v_sub_nc_u32_e32 v32, 0, v8
	v_cvt_f32_i32_e32 v8, v8
	s_delay_alu instid0(VALU_DEP_2) | instskip(NEXT) | instid1(VALU_DEP_1)
	v_ldexp_f32 v31, v31, v32
	v_dual_add_f32 v34, 1.0, v31 :: v_dual_add_f32 v33, 1.0, v33
	s_delay_alu instid0(VALU_DEP_1) | instskip(NEXT) | instid1(VALU_DEP_2)
	v_add_f32_e32 v9, v9, v33
	v_add_f32_e32 v33, -1.0, v34
	s_delay_alu instid0(VALU_DEP_2) | instskip(NEXT) | instid1(VALU_DEP_2)
	v_ldexp_f32 v9, v9, v32
	v_dual_add_f32 v32, -1.0, v31 :: v_dual_sub_f32 v33, v31, v33
	s_delay_alu instid0(VALU_DEP_1) | instskip(NEXT) | instid1(VALU_DEP_2)
	v_add_f32_e32 v35, 1.0, v32
	v_add_f32_e32 v33, v9, v33
	s_delay_alu instid0(VALU_DEP_2) | instskip(NEXT) | instid1(VALU_DEP_2)
	v_sub_f32_e32 v31, v31, v35
	v_add_f32_e32 v35, v34, v33
	s_delay_alu instid0(VALU_DEP_2) | instskip(NEXT) | instid1(VALU_DEP_2)
	v_add_f32_e32 v9, v9, v31
	v_rcp_f32_e32 v31, v35
	v_sub_f32_e32 v34, v34, v35
	s_delay_alu instid0(VALU_DEP_1) | instskip(NEXT) | instid1(VALU_DEP_1)
	v_dual_add_f32 v36, v32, v9 :: v_dual_add_f32 v33, v33, v34
	v_sub_f32_e32 v32, v32, v36
	s_delay_alu instid0(TRANS32_DEP_1) | instskip(NEXT) | instid1(VALU_DEP_1)
	v_mul_f32_e32 v37, v36, v31
	v_dual_add_f32 v9, v9, v32 :: v_dual_mul_f32 v38, v35, v37
	s_delay_alu instid0(VALU_DEP_1) | instskip(NEXT) | instid1(VALU_DEP_1)
	v_fma_f32 v34, v37, v35, -v38
	v_fmac_f32_e32 v34, v37, v33
	s_delay_alu instid0(VALU_DEP_1) | instskip(NEXT) | instid1(VALU_DEP_1)
	v_add_f32_e32 v39, v38, v34
	v_sub_f32_e32 v40, v36, v39
	v_sub_f32_e32 v32, v39, v38
	s_delay_alu instid0(VALU_DEP_2) | instskip(NEXT) | instid1(VALU_DEP_2)
	v_sub_f32_e32 v36, v36, v40
	v_sub_f32_e32 v32, v32, v34
	s_delay_alu instid0(VALU_DEP_2) | instskip(NEXT) | instid1(VALU_DEP_1)
	v_sub_f32_e32 v36, v36, v39
	v_add_f32_e32 v9, v9, v36
	s_delay_alu instid0(VALU_DEP_1) | instskip(NEXT) | instid1(VALU_DEP_1)
	v_add_f32_e32 v9, v32, v9
	v_add_f32_e32 v32, v40, v9
	s_delay_alu instid0(VALU_DEP_1) | instskip(NEXT) | instid1(VALU_DEP_1)
	v_mul_f32_e32 v34, v31, v32
	v_dual_sub_f32 v39, v40, v32 :: v_dual_mul_f32 v36, v35, v34
	s_delay_alu instid0(VALU_DEP_1) | instskip(NEXT) | instid1(VALU_DEP_2)
	v_add_f32_e32 v9, v9, v39
	v_fma_f32 v35, v34, v35, -v36
	s_delay_alu instid0(VALU_DEP_1) | instskip(NEXT) | instid1(VALU_DEP_1)
	v_fmac_f32_e32 v35, v34, v33
	v_add_f32_e32 v33, v36, v35
	s_delay_alu instid0(VALU_DEP_1) | instskip(SKIP_1) | instid1(VALU_DEP_2)
	v_sub_f32_e32 v38, v32, v33
	v_sub_f32_e32 v36, v33, v36
	;; [unrolled: 1-line block ×3, first 2 shown]
	s_delay_alu instid0(VALU_DEP_1) | instskip(NEXT) | instid1(VALU_DEP_3)
	v_sub_f32_e32 v32, v32, v33
	v_sub_f32_e32 v33, v36, v35
	s_delay_alu instid0(VALU_DEP_2) | instskip(SKIP_1) | instid1(VALU_DEP_2)
	v_add_f32_e32 v9, v9, v32
	v_add_f32_e32 v32, v37, v34
	;; [unrolled: 1-line block ×3, first 2 shown]
	s_delay_alu instid0(VALU_DEP_2) | instskip(NEXT) | instid1(VALU_DEP_2)
	v_sub_f32_e32 v33, v32, v37
	v_add_f32_e32 v9, v38, v9
	s_delay_alu instid0(VALU_DEP_2) | instskip(NEXT) | instid1(VALU_DEP_2)
	v_sub_f32_e32 v33, v34, v33
	v_mul_f32_e32 v9, v31, v9
	s_delay_alu instid0(VALU_DEP_1) | instskip(NEXT) | instid1(VALU_DEP_1)
	v_add_f32_e32 v9, v33, v9
	v_add_f32_e32 v31, v32, v9
	s_delay_alu instid0(VALU_DEP_1) | instskip(NEXT) | instid1(VALU_DEP_1)
	v_mul_f32_e32 v33, v31, v31
	v_fmaak_f32 v34, s16, v33, 0x3ecc95a3
	v_mul_f32_e32 v35, v31, v33
	s_delay_alu instid0(VALU_DEP_2) | instskip(SKIP_2) | instid1(VALU_DEP_3)
	v_fmaak_f32 v33, v33, v34, 0x3f2aaada
	v_ldexp_f32 v34, v31, 1
	v_sub_f32_e32 v31, v31, v32
	v_mul_f32_e32 v33, v35, v33
	v_mul_f32_e32 v35, 0x3f317218, v8
	s_delay_alu instid0(VALU_DEP_2) | instskip(NEXT) | instid1(VALU_DEP_1)
	v_dual_sub_f32 v9, v9, v31 :: v_dual_add_f32 v32, v34, v33
	v_ldexp_f32 v9, v9, 1
	s_delay_alu instid0(VALU_DEP_2) | instskip(NEXT) | instid1(VALU_DEP_4)
	v_sub_f32_e32 v31, v32, v34
	v_fma_f32 v34, 0x3f317218, v8, -v35
	s_delay_alu instid0(VALU_DEP_1) | instskip(NEXT) | instid1(VALU_DEP_1)
	v_dual_sub_f32 v31, v33, v31 :: v_dual_fmamk_f32 v8, v8, 0xb102e308, v34
	v_add_f32_e32 v9, v9, v31
	s_delay_alu instid0(VALU_DEP_2) | instskip(NEXT) | instid1(VALU_DEP_2)
	v_add_f32_e32 v31, v35, v8
	v_add_f32_e32 v33, v32, v9
	s_delay_alu instid0(VALU_DEP_2) | instskip(NEXT) | instid1(VALU_DEP_2)
	v_sub_f32_e32 v35, v31, v35
	v_add_f32_e32 v34, v31, v33
	v_sub_f32_e32 v32, v33, v32
	s_delay_alu instid0(VALU_DEP_3) | instskip(NEXT) | instid1(VALU_DEP_2)
	v_sub_f32_e32 v8, v8, v35
	v_dual_sub_f32 v36, v34, v31 :: v_dual_sub_f32 v9, v9, v32
	s_delay_alu instid0(VALU_DEP_1) | instskip(NEXT) | instid1(VALU_DEP_2)
	v_sub_f32_e32 v37, v34, v36
	v_dual_sub_f32 v32, v33, v36 :: v_dual_add_f32 v33, v8, v9
	s_delay_alu instid0(VALU_DEP_2) | instskip(NEXT) | instid1(VALU_DEP_1)
	v_sub_f32_e32 v31, v31, v37
	v_dual_add_f32 v31, v32, v31 :: v_dual_sub_f32 v32, v33, v8
	s_delay_alu instid0(VALU_DEP_1) | instskip(NEXT) | instid1(VALU_DEP_2)
	v_add_f32_e32 v31, v33, v31
	v_sub_f32_e32 v33, v33, v32
	v_sub_f32_e32 v9, v9, v32
	s_delay_alu instid0(VALU_DEP_2) | instskip(NEXT) | instid1(VALU_DEP_1)
	v_dual_add_f32 v35, v34, v31 :: v_dual_sub_f32 v8, v8, v33
	v_sub_f32_e32 v32, v35, v34
	s_delay_alu instid0(VALU_DEP_2) | instskip(NEXT) | instid1(VALU_DEP_2)
	v_add_f32_e32 v8, v9, v8
	v_sub_f32_e32 v9, v31, v32
	s_delay_alu instid0(VALU_DEP_1) | instskip(NEXT) | instid1(VALU_DEP_1)
	v_add_f32_e32 v8, v8, v9
	v_add_f32_e32 v8, v35, v8
	s_wait_alu 0xfffd
	s_delay_alu instid0(VALU_DEP_1) | instskip(SKIP_2) | instid1(VALU_DEP_2)
	v_cndmask_b32_e32 v8, 0x7f800000, v8, vcc_lo
	v_cmp_gt_f32_e64 vcc_lo, 0x33800000, |v10|
	s_wait_alu 0xfffd
	v_cndmask_b32_e32 v8, v8, v10, vcc_lo
	s_delay_alu instid0(VALU_DEP_1) | instskip(NEXT) | instid1(VALU_DEP_1)
	v_add_f32_e32 v7, v7, v8
	v_cvt_f16_f32_e32 v31, v7
.LBB421_55:
	s_wait_alu 0xfffe
	s_or_b32 exec_lo, exec_lo, s15
	v_lshrrev_b32_e32 v7, 4, v0
	v_cmp_gt_u32_e32 vcc_lo, 32, v0
	s_delay_alu instid0(VALU_DEP_2) | instskip(NEXT) | instid1(VALU_DEP_1)
	v_and_b32_e32 v7, 14, v7
	v_lshl_add_u32 v7, v0, 1, v7
	ds_store_b16 v7, v31
	s_wait_loadcnt_dscnt 0x0
	s_barrier_signal -1
	s_barrier_wait -1
	global_inv scope:SCOPE_SE
	s_and_saveexec_b32 s17, vcc_lo
	s_cbranch_execz .LBB421_107
; %bb.56:
	v_lshrrev_b32_e32 v7, 1, v0
	v_lshlrev_b32_e32 v8, 4, v0
	s_delay_alu instid0(VALU_DEP_2) | instskip(NEXT) | instid1(VALU_DEP_1)
	v_and_b32_e32 v7, 0x7e, v7
	v_add_nc_u32_e32 v7, v7, v8
	ds_load_u16 v32, v7
	ds_load_u16 v9, v7 offset:2
	s_wait_dscnt 0x1
	v_cvt_f32_f16_e32 v8, v32
	s_wait_dscnt 0x0
	v_cvt_f32_f16_e32 v10, v9
	v_cmp_u_f16_e64 s15, v32, v32
	v_cmp_u_f16_e64 s16, v9, v9
	v_mov_b32_e32 v9, v8
	s_delay_alu instid0(VALU_DEP_4) | instskip(SKIP_2) | instid1(VALU_DEP_2)
	v_min_num_f32_e32 v33, v8, v10
	v_max_num_f32_e32 v34, v8, v10
	s_wait_alu 0xf1ff
	v_cndmask_b32_e64 v33, v33, v8, s15
	s_delay_alu instid0(VALU_DEP_2) | instskip(NEXT) | instid1(VALU_DEP_2)
	v_cndmask_b32_e64 v34, v34, v8, s15
	v_cndmask_b32_e64 v33, v33, v10, s16
	s_delay_alu instid0(VALU_DEP_2) | instskip(NEXT) | instid1(VALU_DEP_2)
	v_cndmask_b32_e64 v10, v34, v10, s16
	v_cmp_class_f32_e64 s36, v33, 0x1f8
	s_delay_alu instid0(VALU_DEP_2)
	v_cmp_neq_f32_e64 s16, v33, v10
	s_or_b32 s16, s16, s36
	s_wait_alu 0xfffe
	s_and_saveexec_b32 s36, s16
	s_cbranch_execz .LBB421_58
; %bb.57:
	v_sub_f32_e32 v9, v33, v10
	s_delay_alu instid0(VALU_DEP_1) | instskip(NEXT) | instid1(VALU_DEP_1)
	v_mul_f32_e32 v32, 0x3fb8aa3b, v9
	v_fma_f32 v33, 0x3fb8aa3b, v9, -v32
	v_rndne_f32_e32 v34, v32
	s_delay_alu instid0(VALU_DEP_1) | instskip(NEXT) | instid1(VALU_DEP_1)
	v_dual_fmamk_f32 v33, v9, 0x32a5705f, v33 :: v_dual_sub_f32 v32, v32, v34
	v_add_f32_e32 v32, v32, v33
	v_cvt_i32_f32_e32 v33, v34
	v_cmp_ngt_f32_e64 s16, 0xc2ce8ed0, v9
	s_delay_alu instid0(VALU_DEP_3) | instskip(NEXT) | instid1(TRANS32_DEP_1)
	v_exp_f32_e32 v32, v32
	v_ldexp_f32 v32, v32, v33
	s_wait_alu 0xf1ff
	s_delay_alu instid0(VALU_DEP_1) | instskip(SKIP_2) | instid1(VALU_DEP_1)
	v_cndmask_b32_e64 v32, 0, v32, s16
	v_cmp_nlt_f32_e64 s16, 0x42b17218, v9
	s_wait_alu 0xf1ff
	v_cndmask_b32_e64 v9, 0x7f800000, v32, s16
	s_delay_alu instid0(VALU_DEP_1) | instskip(NEXT) | instid1(VALU_DEP_1)
	v_add_f32_e32 v34, 1.0, v9
	v_cvt_f64_f32_e32 v[32:33], v34
	s_delay_alu instid0(VALU_DEP_1) | instskip(SKIP_1) | instid1(VALU_DEP_1)
	v_frexp_exp_i32_f64_e32 v32, v[32:33]
	v_frexp_mant_f32_e32 v33, v34
	v_cmp_gt_f32_e64 s16, 0x3f2aaaab, v33
	v_add_f32_e32 v33, -1.0, v34
	s_delay_alu instid0(VALU_DEP_1) | instskip(NEXT) | instid1(VALU_DEP_1)
	v_sub_f32_e32 v36, v33, v34
	v_dual_sub_f32 v33, v9, v33 :: v_dual_add_f32 v36, 1.0, v36
	s_delay_alu instid0(VALU_DEP_1)
	v_add_f32_e32 v33, v33, v36
	s_wait_alu 0xf1ff
	v_subrev_co_ci_u32_e64 v32, null, 0, v32, s16
	s_mov_b32 s16, 0x3e9b6dac
	v_sub_nc_u32_e32 v35, 0, v32
	v_cvt_f32_i32_e32 v32, v32
	s_delay_alu instid0(VALU_DEP_2) | instskip(SKIP_1) | instid1(VALU_DEP_2)
	v_ldexp_f32 v34, v34, v35
	v_ldexp_f32 v33, v33, v35
	v_add_f32_e32 v37, 1.0, v34
	s_delay_alu instid0(VALU_DEP_1) | instskip(NEXT) | instid1(VALU_DEP_1)
	v_dual_add_f32 v35, -1.0, v34 :: v_dual_add_f32 v36, -1.0, v37
	v_add_f32_e32 v38, 1.0, v35
	s_delay_alu instid0(VALU_DEP_2) | instskip(NEXT) | instid1(VALU_DEP_2)
	v_sub_f32_e32 v36, v34, v36
	v_sub_f32_e32 v34, v34, v38
	s_delay_alu instid0(VALU_DEP_2) | instskip(NEXT) | instid1(VALU_DEP_2)
	v_add_f32_e32 v36, v33, v36
	v_add_f32_e32 v33, v33, v34
	s_delay_alu instid0(VALU_DEP_1) | instskip(NEXT) | instid1(VALU_DEP_1)
	v_dual_add_f32 v39, v35, v33 :: v_dual_add_f32 v38, v37, v36
	v_sub_f32_e32 v35, v35, v39
	s_delay_alu instid0(VALU_DEP_2) | instskip(SKIP_1) | instid1(VALU_DEP_1)
	v_rcp_f32_e32 v34, v38
	v_sub_f32_e32 v37, v37, v38
	v_dual_add_f32 v33, v33, v35 :: v_dual_add_f32 v36, v36, v37
	s_delay_alu instid0(TRANS32_DEP_1) | instskip(NEXT) | instid1(VALU_DEP_1)
	v_mul_f32_e32 v40, v39, v34
	v_mul_f32_e32 v41, v38, v40
	s_delay_alu instid0(VALU_DEP_1) | instskip(NEXT) | instid1(VALU_DEP_1)
	v_fma_f32 v37, v40, v38, -v41
	v_fmac_f32_e32 v37, v40, v36
	s_delay_alu instid0(VALU_DEP_1) | instskip(NEXT) | instid1(VALU_DEP_1)
	v_add_f32_e32 v42, v41, v37
	v_sub_f32_e32 v43, v39, v42
	s_delay_alu instid0(VALU_DEP_1) | instskip(SKIP_1) | instid1(VALU_DEP_2)
	v_sub_f32_e32 v39, v39, v43
	v_sub_f32_e32 v35, v42, v41
	;; [unrolled: 1-line block ×3, first 2 shown]
	s_delay_alu instid0(VALU_DEP_2) | instskip(NEXT) | instid1(VALU_DEP_2)
	v_sub_f32_e32 v35, v35, v37
	v_add_f32_e32 v33, v33, v39
	s_delay_alu instid0(VALU_DEP_1) | instskip(NEXT) | instid1(VALU_DEP_1)
	v_add_f32_e32 v33, v35, v33
	v_add_f32_e32 v35, v43, v33
	s_delay_alu instid0(VALU_DEP_1) | instskip(NEXT) | instid1(VALU_DEP_1)
	v_mul_f32_e32 v37, v34, v35
	v_dual_sub_f32 v42, v43, v35 :: v_dual_mul_f32 v39, v38, v37
	s_delay_alu instid0(VALU_DEP_1) | instskip(NEXT) | instid1(VALU_DEP_2)
	v_add_f32_e32 v33, v33, v42
	v_fma_f32 v38, v37, v38, -v39
	s_delay_alu instid0(VALU_DEP_1) | instskip(NEXT) | instid1(VALU_DEP_1)
	v_fmac_f32_e32 v38, v37, v36
	v_add_f32_e32 v36, v39, v38
	s_delay_alu instid0(VALU_DEP_1) | instskip(SKIP_1) | instid1(VALU_DEP_2)
	v_sub_f32_e32 v41, v35, v36
	v_sub_f32_e32 v39, v36, v39
	;; [unrolled: 1-line block ×3, first 2 shown]
	s_delay_alu instid0(VALU_DEP_1) | instskip(NEXT) | instid1(VALU_DEP_1)
	v_sub_f32_e32 v35, v35, v36
	v_dual_sub_f32 v36, v39, v38 :: v_dual_add_f32 v33, v33, v35
	v_add_f32_e32 v35, v40, v37
	s_delay_alu instid0(VALU_DEP_1) | instskip(NEXT) | instid1(VALU_DEP_1)
	v_dual_add_f32 v33, v36, v33 :: v_dual_sub_f32 v36, v35, v40
	v_add_f32_e32 v33, v41, v33
	s_delay_alu instid0(VALU_DEP_1) | instskip(NEXT) | instid1(VALU_DEP_1)
	v_dual_sub_f32 v36, v37, v36 :: v_dual_mul_f32 v33, v34, v33
	v_add_f32_e32 v33, v36, v33
	s_delay_alu instid0(VALU_DEP_1) | instskip(NEXT) | instid1(VALU_DEP_1)
	v_add_f32_e32 v34, v35, v33
	v_mul_f32_e32 v36, v34, v34
	s_wait_alu 0xfffe
	s_delay_alu instid0(VALU_DEP_1) | instskip(SKIP_2) | instid1(VALU_DEP_3)
	v_fmaak_f32 v37, s16, v36, 0x3ecc95a3
	v_mul_f32_e32 v38, v34, v36
	v_cmp_neq_f32_e64 s16, 0x7f800000, v9
	v_fmaak_f32 v36, v36, v37, 0x3f2aaada
	v_ldexp_f32 v37, v34, 1
	v_sub_f32_e32 v34, v34, v35
	s_delay_alu instid0(VALU_DEP_3) | instskip(NEXT) | instid1(VALU_DEP_2)
	v_mul_f32_e32 v36, v38, v36
	v_dual_mul_f32 v38, 0x3f317218, v32 :: v_dual_sub_f32 v33, v33, v34
	s_delay_alu instid0(VALU_DEP_2) | instskip(NEXT) | instid1(VALU_DEP_2)
	v_add_f32_e32 v35, v37, v36
	v_ldexp_f32 v33, v33, 1
	s_delay_alu instid0(VALU_DEP_2) | instskip(NEXT) | instid1(VALU_DEP_4)
	v_sub_f32_e32 v34, v35, v37
	v_fma_f32 v37, 0x3f317218, v32, -v38
	s_delay_alu instid0(VALU_DEP_2) | instskip(NEXT) | instid1(VALU_DEP_1)
	v_sub_f32_e32 v34, v36, v34
	v_dual_fmamk_f32 v32, v32, 0xb102e308, v37 :: v_dual_add_f32 v33, v33, v34
	s_delay_alu instid0(VALU_DEP_1) | instskip(NEXT) | instid1(VALU_DEP_1)
	v_add_f32_e32 v34, v38, v32
	v_sub_f32_e32 v38, v34, v38
	s_delay_alu instid0(VALU_DEP_1) | instskip(NEXT) | instid1(VALU_DEP_4)
	v_sub_f32_e32 v32, v32, v38
	v_add_f32_e32 v36, v35, v33
	s_delay_alu instid0(VALU_DEP_1) | instskip(NEXT) | instid1(VALU_DEP_1)
	v_sub_f32_e32 v35, v36, v35
	v_sub_f32_e32 v33, v33, v35
	v_add_f32_e32 v37, v34, v36
	s_delay_alu instid0(VALU_DEP_1) | instskip(NEXT) | instid1(VALU_DEP_1)
	v_sub_f32_e32 v39, v37, v34
	v_sub_f32_e32 v35, v36, v39
	s_delay_alu instid0(VALU_DEP_4) | instskip(SKIP_1) | instid1(VALU_DEP_1)
	v_add_f32_e32 v36, v32, v33
	v_sub_f32_e32 v40, v37, v39
	v_sub_f32_e32 v34, v34, v40
	s_delay_alu instid0(VALU_DEP_1) | instskip(NEXT) | instid1(VALU_DEP_1)
	v_dual_add_f32 v34, v35, v34 :: v_dual_sub_f32 v35, v36, v32
	v_dual_add_f32 v34, v36, v34 :: v_dual_sub_f32 v33, v33, v35
	v_sub_f32_e32 v36, v36, v35
	s_delay_alu instid0(VALU_DEP_2) | instskip(NEXT) | instid1(VALU_DEP_1)
	v_add_f32_e32 v38, v37, v34
	v_dual_sub_f32 v32, v32, v36 :: v_dual_sub_f32 v35, v38, v37
	s_delay_alu instid0(VALU_DEP_1) | instskip(NEXT) | instid1(VALU_DEP_1)
	v_dual_add_f32 v32, v33, v32 :: v_dual_sub_f32 v33, v34, v35
	v_add_f32_e32 v32, v32, v33
	s_delay_alu instid0(VALU_DEP_1) | instskip(SKIP_1) | instid1(VALU_DEP_1)
	v_add_f32_e32 v32, v38, v32
	s_wait_alu 0xf1ff
	v_cndmask_b32_e64 v32, 0x7f800000, v32, s16
	v_cmp_gt_f32_e64 s16, 0x33800000, |v9|
	s_wait_alu 0xf1ff
	s_delay_alu instid0(VALU_DEP_1) | instskip(NEXT) | instid1(VALU_DEP_1)
	v_cndmask_b32_e64 v9, v32, v9, s16
	v_add_f32_e32 v9, v10, v9
	s_delay_alu instid0(VALU_DEP_1) | instskip(NEXT) | instid1(VALU_DEP_1)
	v_cvt_f16_f32_e32 v32, v9
	v_cvt_f32_f16_e32 v9, v32
.LBB421_58:
	s_or_b32 exec_lo, exec_lo, s36
	ds_load_u16 v10, v7 offset:4
	v_max_num_f32_e32 v33, v9, v9
	v_cmp_u_f16_e64 s16, v32, v32
	s_wait_dscnt 0x0
	v_cvt_f32_f16_e32 v34, v10
	s_delay_alu instid0(VALU_DEP_1) | instskip(SKIP_2) | instid1(VALU_DEP_2)
	v_min_num_f32_e32 v35, v33, v34
	v_max_num_f32_e32 v33, v33, v34
	s_wait_alu 0xf1ff
	v_cndmask_b32_e64 v35, v35, v9, s16
	s_delay_alu instid0(VALU_DEP_2) | instskip(SKIP_2) | instid1(VALU_DEP_1)
	v_cndmask_b32_e64 v36, v33, v9, s16
	v_cmp_u_f16_e64 s16, v10, v10
	s_wait_alu 0xf1ff
	v_cndmask_b32_e64 v33, v35, v34, s16
	s_delay_alu instid0(VALU_DEP_3) | instskip(NEXT) | instid1(VALU_DEP_2)
	v_cndmask_b32_e64 v10, v36, v34, s16
	v_cmp_class_f32_e64 s36, v33, 0x1f8
	s_delay_alu instid0(VALU_DEP_2)
	v_cmp_neq_f32_e64 s16, v33, v10
	s_or_b32 s16, s16, s36
	s_wait_alu 0xfffe
	s_and_saveexec_b32 s36, s16
	s_cbranch_execz .LBB421_60
; %bb.59:
	v_sub_f32_e32 v9, v33, v10
	s_delay_alu instid0(VALU_DEP_1) | instskip(NEXT) | instid1(VALU_DEP_1)
	v_mul_f32_e32 v32, 0x3fb8aa3b, v9
	v_fma_f32 v33, 0x3fb8aa3b, v9, -v32
	v_rndne_f32_e32 v34, v32
	s_delay_alu instid0(VALU_DEP_1) | instskip(NEXT) | instid1(VALU_DEP_1)
	v_dual_fmamk_f32 v33, v9, 0x32a5705f, v33 :: v_dual_sub_f32 v32, v32, v34
	v_add_f32_e32 v32, v32, v33
	v_cvt_i32_f32_e32 v33, v34
	v_cmp_ngt_f32_e64 s16, 0xc2ce8ed0, v9
	s_delay_alu instid0(VALU_DEP_3) | instskip(NEXT) | instid1(TRANS32_DEP_1)
	v_exp_f32_e32 v32, v32
	v_ldexp_f32 v32, v32, v33
	s_wait_alu 0xf1ff
	s_delay_alu instid0(VALU_DEP_1) | instskip(SKIP_2) | instid1(VALU_DEP_1)
	v_cndmask_b32_e64 v32, 0, v32, s16
	v_cmp_nlt_f32_e64 s16, 0x42b17218, v9
	s_wait_alu 0xf1ff
	v_cndmask_b32_e64 v9, 0x7f800000, v32, s16
	s_delay_alu instid0(VALU_DEP_1) | instskip(NEXT) | instid1(VALU_DEP_1)
	v_add_f32_e32 v34, 1.0, v9
	v_cvt_f64_f32_e32 v[32:33], v34
	s_delay_alu instid0(VALU_DEP_1) | instskip(SKIP_1) | instid1(VALU_DEP_1)
	v_frexp_exp_i32_f64_e32 v32, v[32:33]
	v_frexp_mant_f32_e32 v33, v34
	v_cmp_gt_f32_e64 s16, 0x3f2aaaab, v33
	v_add_f32_e32 v33, -1.0, v34
	s_delay_alu instid0(VALU_DEP_1) | instskip(NEXT) | instid1(VALU_DEP_1)
	v_sub_f32_e32 v36, v33, v34
	v_dual_sub_f32 v33, v9, v33 :: v_dual_add_f32 v36, 1.0, v36
	s_delay_alu instid0(VALU_DEP_1)
	v_add_f32_e32 v33, v33, v36
	s_wait_alu 0xf1ff
	v_subrev_co_ci_u32_e64 v32, null, 0, v32, s16
	s_mov_b32 s16, 0x3e9b6dac
	v_sub_nc_u32_e32 v35, 0, v32
	v_cvt_f32_i32_e32 v32, v32
	s_delay_alu instid0(VALU_DEP_2) | instskip(SKIP_1) | instid1(VALU_DEP_2)
	v_ldexp_f32 v34, v34, v35
	v_ldexp_f32 v33, v33, v35
	v_add_f32_e32 v37, 1.0, v34
	s_delay_alu instid0(VALU_DEP_1) | instskip(NEXT) | instid1(VALU_DEP_1)
	v_dual_add_f32 v35, -1.0, v34 :: v_dual_add_f32 v36, -1.0, v37
	v_add_f32_e32 v38, 1.0, v35
	s_delay_alu instid0(VALU_DEP_2) | instskip(NEXT) | instid1(VALU_DEP_2)
	v_sub_f32_e32 v36, v34, v36
	v_sub_f32_e32 v34, v34, v38
	s_delay_alu instid0(VALU_DEP_2) | instskip(NEXT) | instid1(VALU_DEP_2)
	v_add_f32_e32 v36, v33, v36
	v_add_f32_e32 v33, v33, v34
	s_delay_alu instid0(VALU_DEP_1) | instskip(NEXT) | instid1(VALU_DEP_1)
	v_dual_add_f32 v39, v35, v33 :: v_dual_add_f32 v38, v37, v36
	v_sub_f32_e32 v35, v35, v39
	s_delay_alu instid0(VALU_DEP_2) | instskip(SKIP_1) | instid1(VALU_DEP_1)
	v_rcp_f32_e32 v34, v38
	v_sub_f32_e32 v37, v37, v38
	v_dual_add_f32 v33, v33, v35 :: v_dual_add_f32 v36, v36, v37
	s_delay_alu instid0(TRANS32_DEP_1) | instskip(NEXT) | instid1(VALU_DEP_1)
	v_mul_f32_e32 v40, v39, v34
	v_mul_f32_e32 v41, v38, v40
	s_delay_alu instid0(VALU_DEP_1) | instskip(NEXT) | instid1(VALU_DEP_1)
	v_fma_f32 v37, v40, v38, -v41
	v_fmac_f32_e32 v37, v40, v36
	s_delay_alu instid0(VALU_DEP_1) | instskip(NEXT) | instid1(VALU_DEP_1)
	v_add_f32_e32 v42, v41, v37
	v_sub_f32_e32 v43, v39, v42
	s_delay_alu instid0(VALU_DEP_1) | instskip(SKIP_1) | instid1(VALU_DEP_2)
	v_sub_f32_e32 v39, v39, v43
	v_sub_f32_e32 v35, v42, v41
	;; [unrolled: 1-line block ×3, first 2 shown]
	s_delay_alu instid0(VALU_DEP_2) | instskip(NEXT) | instid1(VALU_DEP_2)
	v_sub_f32_e32 v35, v35, v37
	v_add_f32_e32 v33, v33, v39
	s_delay_alu instid0(VALU_DEP_1) | instskip(NEXT) | instid1(VALU_DEP_1)
	v_add_f32_e32 v33, v35, v33
	v_add_f32_e32 v35, v43, v33
	s_delay_alu instid0(VALU_DEP_1) | instskip(NEXT) | instid1(VALU_DEP_1)
	v_mul_f32_e32 v37, v34, v35
	v_dual_sub_f32 v42, v43, v35 :: v_dual_mul_f32 v39, v38, v37
	s_delay_alu instid0(VALU_DEP_1) | instskip(NEXT) | instid1(VALU_DEP_2)
	v_add_f32_e32 v33, v33, v42
	v_fma_f32 v38, v37, v38, -v39
	s_delay_alu instid0(VALU_DEP_1) | instskip(NEXT) | instid1(VALU_DEP_1)
	v_fmac_f32_e32 v38, v37, v36
	v_add_f32_e32 v36, v39, v38
	s_delay_alu instid0(VALU_DEP_1) | instskip(SKIP_1) | instid1(VALU_DEP_2)
	v_sub_f32_e32 v41, v35, v36
	v_sub_f32_e32 v39, v36, v39
	;; [unrolled: 1-line block ×3, first 2 shown]
	s_delay_alu instid0(VALU_DEP_1) | instskip(NEXT) | instid1(VALU_DEP_1)
	v_sub_f32_e32 v35, v35, v36
	v_dual_sub_f32 v36, v39, v38 :: v_dual_add_f32 v33, v33, v35
	v_add_f32_e32 v35, v40, v37
	s_delay_alu instid0(VALU_DEP_1) | instskip(NEXT) | instid1(VALU_DEP_1)
	v_dual_add_f32 v33, v36, v33 :: v_dual_sub_f32 v36, v35, v40
	v_add_f32_e32 v33, v41, v33
	s_delay_alu instid0(VALU_DEP_1) | instskip(NEXT) | instid1(VALU_DEP_1)
	v_dual_sub_f32 v36, v37, v36 :: v_dual_mul_f32 v33, v34, v33
	v_add_f32_e32 v33, v36, v33
	s_delay_alu instid0(VALU_DEP_1) | instskip(NEXT) | instid1(VALU_DEP_1)
	v_add_f32_e32 v34, v35, v33
	v_mul_f32_e32 v36, v34, v34
	s_wait_alu 0xfffe
	s_delay_alu instid0(VALU_DEP_1) | instskip(SKIP_2) | instid1(VALU_DEP_3)
	v_fmaak_f32 v37, s16, v36, 0x3ecc95a3
	v_mul_f32_e32 v38, v34, v36
	v_cmp_neq_f32_e64 s16, 0x7f800000, v9
	v_fmaak_f32 v36, v36, v37, 0x3f2aaada
	v_ldexp_f32 v37, v34, 1
	v_sub_f32_e32 v34, v34, v35
	s_delay_alu instid0(VALU_DEP_3) | instskip(NEXT) | instid1(VALU_DEP_2)
	v_mul_f32_e32 v36, v38, v36
	v_dual_mul_f32 v38, 0x3f317218, v32 :: v_dual_sub_f32 v33, v33, v34
	s_delay_alu instid0(VALU_DEP_2) | instskip(NEXT) | instid1(VALU_DEP_2)
	v_add_f32_e32 v35, v37, v36
	v_ldexp_f32 v33, v33, 1
	s_delay_alu instid0(VALU_DEP_2) | instskip(NEXT) | instid1(VALU_DEP_4)
	v_sub_f32_e32 v34, v35, v37
	v_fma_f32 v37, 0x3f317218, v32, -v38
	s_delay_alu instid0(VALU_DEP_2) | instskip(NEXT) | instid1(VALU_DEP_1)
	v_sub_f32_e32 v34, v36, v34
	v_dual_fmamk_f32 v32, v32, 0xb102e308, v37 :: v_dual_add_f32 v33, v33, v34
	s_delay_alu instid0(VALU_DEP_1) | instskip(NEXT) | instid1(VALU_DEP_1)
	v_add_f32_e32 v34, v38, v32
	v_sub_f32_e32 v38, v34, v38
	s_delay_alu instid0(VALU_DEP_1) | instskip(NEXT) | instid1(VALU_DEP_4)
	v_sub_f32_e32 v32, v32, v38
	v_add_f32_e32 v36, v35, v33
	s_delay_alu instid0(VALU_DEP_1) | instskip(NEXT) | instid1(VALU_DEP_1)
	v_sub_f32_e32 v35, v36, v35
	v_sub_f32_e32 v33, v33, v35
	v_add_f32_e32 v37, v34, v36
	s_delay_alu instid0(VALU_DEP_1) | instskip(NEXT) | instid1(VALU_DEP_1)
	v_sub_f32_e32 v39, v37, v34
	v_sub_f32_e32 v35, v36, v39
	s_delay_alu instid0(VALU_DEP_4) | instskip(SKIP_1) | instid1(VALU_DEP_1)
	v_add_f32_e32 v36, v32, v33
	v_sub_f32_e32 v40, v37, v39
	v_sub_f32_e32 v34, v34, v40
	s_delay_alu instid0(VALU_DEP_1) | instskip(NEXT) | instid1(VALU_DEP_1)
	v_dual_add_f32 v34, v35, v34 :: v_dual_sub_f32 v35, v36, v32
	v_dual_add_f32 v34, v36, v34 :: v_dual_sub_f32 v33, v33, v35
	v_sub_f32_e32 v36, v36, v35
	s_delay_alu instid0(VALU_DEP_2) | instskip(NEXT) | instid1(VALU_DEP_1)
	v_add_f32_e32 v38, v37, v34
	v_dual_sub_f32 v32, v32, v36 :: v_dual_sub_f32 v35, v38, v37
	s_delay_alu instid0(VALU_DEP_1) | instskip(NEXT) | instid1(VALU_DEP_1)
	v_dual_add_f32 v32, v33, v32 :: v_dual_sub_f32 v33, v34, v35
	v_add_f32_e32 v32, v32, v33
	s_delay_alu instid0(VALU_DEP_1) | instskip(SKIP_1) | instid1(VALU_DEP_1)
	v_add_f32_e32 v32, v38, v32
	s_wait_alu 0xf1ff
	v_cndmask_b32_e64 v32, 0x7f800000, v32, s16
	v_cmp_gt_f32_e64 s16, 0x33800000, |v9|
	s_wait_alu 0xf1ff
	s_delay_alu instid0(VALU_DEP_1) | instskip(NEXT) | instid1(VALU_DEP_1)
	v_cndmask_b32_e64 v9, v32, v9, s16
	v_add_f32_e32 v9, v10, v9
	s_delay_alu instid0(VALU_DEP_1) | instskip(NEXT) | instid1(VALU_DEP_1)
	v_cvt_f16_f32_e32 v32, v9
	v_cvt_f32_f16_e32 v9, v32
.LBB421_60:
	s_or_b32 exec_lo, exec_lo, s36
	ds_load_u16 v10, v7 offset:6
	v_max_num_f32_e32 v33, v9, v9
	v_cmp_u_f16_e64 s16, v32, v32
	s_wait_dscnt 0x0
	v_cvt_f32_f16_e32 v34, v10
	s_delay_alu instid0(VALU_DEP_1) | instskip(SKIP_2) | instid1(VALU_DEP_2)
	v_min_num_f32_e32 v35, v33, v34
	v_max_num_f32_e32 v33, v33, v34
	s_wait_alu 0xf1ff
	v_cndmask_b32_e64 v35, v35, v9, s16
	s_delay_alu instid0(VALU_DEP_2) | instskip(SKIP_2) | instid1(VALU_DEP_1)
	v_cndmask_b32_e64 v36, v33, v9, s16
	v_cmp_u_f16_e64 s16, v10, v10
	s_wait_alu 0xf1ff
	v_cndmask_b32_e64 v33, v35, v34, s16
	s_delay_alu instid0(VALU_DEP_3) | instskip(NEXT) | instid1(VALU_DEP_2)
	v_cndmask_b32_e64 v10, v36, v34, s16
	v_cmp_class_f32_e64 s36, v33, 0x1f8
	s_delay_alu instid0(VALU_DEP_2)
	v_cmp_neq_f32_e64 s16, v33, v10
	s_or_b32 s16, s16, s36
	s_wait_alu 0xfffe
	s_and_saveexec_b32 s36, s16
	s_cbranch_execz .LBB421_62
; %bb.61:
	v_sub_f32_e32 v9, v33, v10
	s_delay_alu instid0(VALU_DEP_1) | instskip(NEXT) | instid1(VALU_DEP_1)
	v_mul_f32_e32 v32, 0x3fb8aa3b, v9
	v_fma_f32 v33, 0x3fb8aa3b, v9, -v32
	v_rndne_f32_e32 v34, v32
	s_delay_alu instid0(VALU_DEP_1) | instskip(NEXT) | instid1(VALU_DEP_1)
	v_dual_fmamk_f32 v33, v9, 0x32a5705f, v33 :: v_dual_sub_f32 v32, v32, v34
	v_add_f32_e32 v32, v32, v33
	v_cvt_i32_f32_e32 v33, v34
	v_cmp_ngt_f32_e64 s16, 0xc2ce8ed0, v9
	s_delay_alu instid0(VALU_DEP_3) | instskip(NEXT) | instid1(TRANS32_DEP_1)
	v_exp_f32_e32 v32, v32
	v_ldexp_f32 v32, v32, v33
	s_wait_alu 0xf1ff
	s_delay_alu instid0(VALU_DEP_1) | instskip(SKIP_2) | instid1(VALU_DEP_1)
	v_cndmask_b32_e64 v32, 0, v32, s16
	v_cmp_nlt_f32_e64 s16, 0x42b17218, v9
	s_wait_alu 0xf1ff
	v_cndmask_b32_e64 v9, 0x7f800000, v32, s16
	s_delay_alu instid0(VALU_DEP_1) | instskip(NEXT) | instid1(VALU_DEP_1)
	v_add_f32_e32 v34, 1.0, v9
	v_cvt_f64_f32_e32 v[32:33], v34
	s_delay_alu instid0(VALU_DEP_1) | instskip(SKIP_1) | instid1(VALU_DEP_1)
	v_frexp_exp_i32_f64_e32 v32, v[32:33]
	v_frexp_mant_f32_e32 v33, v34
	v_cmp_gt_f32_e64 s16, 0x3f2aaaab, v33
	v_add_f32_e32 v33, -1.0, v34
	s_delay_alu instid0(VALU_DEP_1) | instskip(NEXT) | instid1(VALU_DEP_1)
	v_sub_f32_e32 v36, v33, v34
	v_dual_sub_f32 v33, v9, v33 :: v_dual_add_f32 v36, 1.0, v36
	s_delay_alu instid0(VALU_DEP_1)
	v_add_f32_e32 v33, v33, v36
	s_wait_alu 0xf1ff
	v_subrev_co_ci_u32_e64 v32, null, 0, v32, s16
	s_mov_b32 s16, 0x3e9b6dac
	v_sub_nc_u32_e32 v35, 0, v32
	v_cvt_f32_i32_e32 v32, v32
	s_delay_alu instid0(VALU_DEP_2) | instskip(SKIP_1) | instid1(VALU_DEP_2)
	v_ldexp_f32 v34, v34, v35
	v_ldexp_f32 v33, v33, v35
	v_add_f32_e32 v37, 1.0, v34
	s_delay_alu instid0(VALU_DEP_1) | instskip(NEXT) | instid1(VALU_DEP_1)
	v_dual_add_f32 v35, -1.0, v34 :: v_dual_add_f32 v36, -1.0, v37
	v_add_f32_e32 v38, 1.0, v35
	s_delay_alu instid0(VALU_DEP_2) | instskip(NEXT) | instid1(VALU_DEP_2)
	v_sub_f32_e32 v36, v34, v36
	v_sub_f32_e32 v34, v34, v38
	s_delay_alu instid0(VALU_DEP_2) | instskip(NEXT) | instid1(VALU_DEP_2)
	v_add_f32_e32 v36, v33, v36
	v_add_f32_e32 v33, v33, v34
	s_delay_alu instid0(VALU_DEP_1) | instskip(NEXT) | instid1(VALU_DEP_1)
	v_dual_add_f32 v39, v35, v33 :: v_dual_add_f32 v38, v37, v36
	v_sub_f32_e32 v35, v35, v39
	s_delay_alu instid0(VALU_DEP_2) | instskip(SKIP_1) | instid1(VALU_DEP_1)
	v_rcp_f32_e32 v34, v38
	v_sub_f32_e32 v37, v37, v38
	v_dual_add_f32 v33, v33, v35 :: v_dual_add_f32 v36, v36, v37
	s_delay_alu instid0(TRANS32_DEP_1) | instskip(NEXT) | instid1(VALU_DEP_1)
	v_mul_f32_e32 v40, v39, v34
	v_mul_f32_e32 v41, v38, v40
	s_delay_alu instid0(VALU_DEP_1) | instskip(NEXT) | instid1(VALU_DEP_1)
	v_fma_f32 v37, v40, v38, -v41
	v_fmac_f32_e32 v37, v40, v36
	s_delay_alu instid0(VALU_DEP_1) | instskip(NEXT) | instid1(VALU_DEP_1)
	v_add_f32_e32 v42, v41, v37
	v_sub_f32_e32 v43, v39, v42
	s_delay_alu instid0(VALU_DEP_1) | instskip(SKIP_1) | instid1(VALU_DEP_2)
	v_sub_f32_e32 v39, v39, v43
	v_sub_f32_e32 v35, v42, v41
	;; [unrolled: 1-line block ×3, first 2 shown]
	s_delay_alu instid0(VALU_DEP_2) | instskip(NEXT) | instid1(VALU_DEP_2)
	v_sub_f32_e32 v35, v35, v37
	v_add_f32_e32 v33, v33, v39
	s_delay_alu instid0(VALU_DEP_1) | instskip(NEXT) | instid1(VALU_DEP_1)
	v_add_f32_e32 v33, v35, v33
	v_add_f32_e32 v35, v43, v33
	s_delay_alu instid0(VALU_DEP_1) | instskip(NEXT) | instid1(VALU_DEP_1)
	v_mul_f32_e32 v37, v34, v35
	v_dual_sub_f32 v42, v43, v35 :: v_dual_mul_f32 v39, v38, v37
	s_delay_alu instid0(VALU_DEP_1) | instskip(NEXT) | instid1(VALU_DEP_2)
	v_add_f32_e32 v33, v33, v42
	v_fma_f32 v38, v37, v38, -v39
	s_delay_alu instid0(VALU_DEP_1) | instskip(NEXT) | instid1(VALU_DEP_1)
	v_fmac_f32_e32 v38, v37, v36
	v_add_f32_e32 v36, v39, v38
	s_delay_alu instid0(VALU_DEP_1) | instskip(SKIP_1) | instid1(VALU_DEP_2)
	v_sub_f32_e32 v41, v35, v36
	v_sub_f32_e32 v39, v36, v39
	;; [unrolled: 1-line block ×3, first 2 shown]
	s_delay_alu instid0(VALU_DEP_1) | instskip(NEXT) | instid1(VALU_DEP_1)
	v_sub_f32_e32 v35, v35, v36
	v_dual_sub_f32 v36, v39, v38 :: v_dual_add_f32 v33, v33, v35
	v_add_f32_e32 v35, v40, v37
	s_delay_alu instid0(VALU_DEP_1) | instskip(NEXT) | instid1(VALU_DEP_1)
	v_dual_add_f32 v33, v36, v33 :: v_dual_sub_f32 v36, v35, v40
	v_add_f32_e32 v33, v41, v33
	s_delay_alu instid0(VALU_DEP_1) | instskip(NEXT) | instid1(VALU_DEP_1)
	v_dual_sub_f32 v36, v37, v36 :: v_dual_mul_f32 v33, v34, v33
	v_add_f32_e32 v33, v36, v33
	s_delay_alu instid0(VALU_DEP_1) | instskip(NEXT) | instid1(VALU_DEP_1)
	v_add_f32_e32 v34, v35, v33
	v_mul_f32_e32 v36, v34, v34
	s_wait_alu 0xfffe
	s_delay_alu instid0(VALU_DEP_1) | instskip(SKIP_2) | instid1(VALU_DEP_3)
	v_fmaak_f32 v37, s16, v36, 0x3ecc95a3
	v_mul_f32_e32 v38, v34, v36
	v_cmp_neq_f32_e64 s16, 0x7f800000, v9
	v_fmaak_f32 v36, v36, v37, 0x3f2aaada
	v_ldexp_f32 v37, v34, 1
	v_sub_f32_e32 v34, v34, v35
	s_delay_alu instid0(VALU_DEP_3) | instskip(NEXT) | instid1(VALU_DEP_2)
	v_mul_f32_e32 v36, v38, v36
	v_dual_mul_f32 v38, 0x3f317218, v32 :: v_dual_sub_f32 v33, v33, v34
	s_delay_alu instid0(VALU_DEP_2) | instskip(NEXT) | instid1(VALU_DEP_2)
	v_add_f32_e32 v35, v37, v36
	v_ldexp_f32 v33, v33, 1
	s_delay_alu instid0(VALU_DEP_2) | instskip(NEXT) | instid1(VALU_DEP_4)
	v_sub_f32_e32 v34, v35, v37
	v_fma_f32 v37, 0x3f317218, v32, -v38
	s_delay_alu instid0(VALU_DEP_2) | instskip(NEXT) | instid1(VALU_DEP_1)
	v_sub_f32_e32 v34, v36, v34
	v_dual_fmamk_f32 v32, v32, 0xb102e308, v37 :: v_dual_add_f32 v33, v33, v34
	s_delay_alu instid0(VALU_DEP_1) | instskip(NEXT) | instid1(VALU_DEP_1)
	v_add_f32_e32 v34, v38, v32
	v_sub_f32_e32 v38, v34, v38
	s_delay_alu instid0(VALU_DEP_1) | instskip(NEXT) | instid1(VALU_DEP_4)
	v_sub_f32_e32 v32, v32, v38
	v_add_f32_e32 v36, v35, v33
	s_delay_alu instid0(VALU_DEP_1) | instskip(NEXT) | instid1(VALU_DEP_1)
	v_sub_f32_e32 v35, v36, v35
	v_sub_f32_e32 v33, v33, v35
	v_add_f32_e32 v37, v34, v36
	s_delay_alu instid0(VALU_DEP_1) | instskip(NEXT) | instid1(VALU_DEP_1)
	v_sub_f32_e32 v39, v37, v34
	v_sub_f32_e32 v35, v36, v39
	s_delay_alu instid0(VALU_DEP_4) | instskip(SKIP_1) | instid1(VALU_DEP_1)
	v_add_f32_e32 v36, v32, v33
	v_sub_f32_e32 v40, v37, v39
	v_sub_f32_e32 v34, v34, v40
	s_delay_alu instid0(VALU_DEP_1) | instskip(NEXT) | instid1(VALU_DEP_1)
	v_dual_add_f32 v34, v35, v34 :: v_dual_sub_f32 v35, v36, v32
	v_dual_add_f32 v34, v36, v34 :: v_dual_sub_f32 v33, v33, v35
	v_sub_f32_e32 v36, v36, v35
	s_delay_alu instid0(VALU_DEP_2) | instskip(NEXT) | instid1(VALU_DEP_1)
	v_add_f32_e32 v38, v37, v34
	v_dual_sub_f32 v32, v32, v36 :: v_dual_sub_f32 v35, v38, v37
	s_delay_alu instid0(VALU_DEP_1) | instskip(NEXT) | instid1(VALU_DEP_1)
	v_dual_add_f32 v32, v33, v32 :: v_dual_sub_f32 v33, v34, v35
	v_add_f32_e32 v32, v32, v33
	s_delay_alu instid0(VALU_DEP_1) | instskip(SKIP_1) | instid1(VALU_DEP_1)
	v_add_f32_e32 v32, v38, v32
	s_wait_alu 0xf1ff
	v_cndmask_b32_e64 v32, 0x7f800000, v32, s16
	v_cmp_gt_f32_e64 s16, 0x33800000, |v9|
	s_wait_alu 0xf1ff
	s_delay_alu instid0(VALU_DEP_1) | instskip(NEXT) | instid1(VALU_DEP_1)
	v_cndmask_b32_e64 v9, v32, v9, s16
	v_add_f32_e32 v9, v10, v9
	s_delay_alu instid0(VALU_DEP_1) | instskip(NEXT) | instid1(VALU_DEP_1)
	v_cvt_f16_f32_e32 v32, v9
	v_cvt_f32_f16_e32 v9, v32
.LBB421_62:
	s_or_b32 exec_lo, exec_lo, s36
	ds_load_u16 v10, v7 offset:8
	v_max_num_f32_e32 v33, v9, v9
	v_cmp_u_f16_e64 s16, v32, v32
	s_wait_dscnt 0x0
	v_cvt_f32_f16_e32 v34, v10
	s_delay_alu instid0(VALU_DEP_1) | instskip(SKIP_2) | instid1(VALU_DEP_2)
	v_min_num_f32_e32 v35, v33, v34
	v_max_num_f32_e32 v33, v33, v34
	s_wait_alu 0xf1ff
	v_cndmask_b32_e64 v35, v35, v9, s16
	s_delay_alu instid0(VALU_DEP_2) | instskip(SKIP_2) | instid1(VALU_DEP_1)
	v_cndmask_b32_e64 v36, v33, v9, s16
	v_cmp_u_f16_e64 s16, v10, v10
	s_wait_alu 0xf1ff
	v_cndmask_b32_e64 v33, v35, v34, s16
	s_delay_alu instid0(VALU_DEP_3) | instskip(NEXT) | instid1(VALU_DEP_2)
	v_cndmask_b32_e64 v10, v36, v34, s16
	v_cmp_class_f32_e64 s36, v33, 0x1f8
	s_delay_alu instid0(VALU_DEP_2)
	v_cmp_neq_f32_e64 s16, v33, v10
	s_or_b32 s16, s16, s36
	s_wait_alu 0xfffe
	s_and_saveexec_b32 s36, s16
	s_cbranch_execz .LBB421_64
; %bb.63:
	v_sub_f32_e32 v9, v33, v10
	s_delay_alu instid0(VALU_DEP_1) | instskip(NEXT) | instid1(VALU_DEP_1)
	v_mul_f32_e32 v32, 0x3fb8aa3b, v9
	v_fma_f32 v33, 0x3fb8aa3b, v9, -v32
	v_rndne_f32_e32 v34, v32
	s_delay_alu instid0(VALU_DEP_1) | instskip(NEXT) | instid1(VALU_DEP_1)
	v_dual_fmamk_f32 v33, v9, 0x32a5705f, v33 :: v_dual_sub_f32 v32, v32, v34
	v_add_f32_e32 v32, v32, v33
	v_cvt_i32_f32_e32 v33, v34
	v_cmp_ngt_f32_e64 s16, 0xc2ce8ed0, v9
	s_delay_alu instid0(VALU_DEP_3) | instskip(NEXT) | instid1(TRANS32_DEP_1)
	v_exp_f32_e32 v32, v32
	v_ldexp_f32 v32, v32, v33
	s_wait_alu 0xf1ff
	s_delay_alu instid0(VALU_DEP_1) | instskip(SKIP_2) | instid1(VALU_DEP_1)
	v_cndmask_b32_e64 v32, 0, v32, s16
	v_cmp_nlt_f32_e64 s16, 0x42b17218, v9
	s_wait_alu 0xf1ff
	v_cndmask_b32_e64 v9, 0x7f800000, v32, s16
	s_delay_alu instid0(VALU_DEP_1) | instskip(NEXT) | instid1(VALU_DEP_1)
	v_add_f32_e32 v34, 1.0, v9
	v_cvt_f64_f32_e32 v[32:33], v34
	s_delay_alu instid0(VALU_DEP_1) | instskip(SKIP_1) | instid1(VALU_DEP_1)
	v_frexp_exp_i32_f64_e32 v32, v[32:33]
	v_frexp_mant_f32_e32 v33, v34
	v_cmp_gt_f32_e64 s16, 0x3f2aaaab, v33
	v_add_f32_e32 v33, -1.0, v34
	s_delay_alu instid0(VALU_DEP_1) | instskip(NEXT) | instid1(VALU_DEP_1)
	v_sub_f32_e32 v36, v33, v34
	v_dual_sub_f32 v33, v9, v33 :: v_dual_add_f32 v36, 1.0, v36
	s_delay_alu instid0(VALU_DEP_1)
	v_add_f32_e32 v33, v33, v36
	s_wait_alu 0xf1ff
	v_subrev_co_ci_u32_e64 v32, null, 0, v32, s16
	s_mov_b32 s16, 0x3e9b6dac
	v_sub_nc_u32_e32 v35, 0, v32
	v_cvt_f32_i32_e32 v32, v32
	s_delay_alu instid0(VALU_DEP_2) | instskip(SKIP_1) | instid1(VALU_DEP_2)
	v_ldexp_f32 v34, v34, v35
	v_ldexp_f32 v33, v33, v35
	v_add_f32_e32 v37, 1.0, v34
	s_delay_alu instid0(VALU_DEP_1) | instskip(NEXT) | instid1(VALU_DEP_1)
	v_dual_add_f32 v35, -1.0, v34 :: v_dual_add_f32 v36, -1.0, v37
	v_add_f32_e32 v38, 1.0, v35
	s_delay_alu instid0(VALU_DEP_2) | instskip(NEXT) | instid1(VALU_DEP_2)
	v_sub_f32_e32 v36, v34, v36
	v_sub_f32_e32 v34, v34, v38
	s_delay_alu instid0(VALU_DEP_2) | instskip(NEXT) | instid1(VALU_DEP_2)
	v_add_f32_e32 v36, v33, v36
	v_add_f32_e32 v33, v33, v34
	s_delay_alu instid0(VALU_DEP_1) | instskip(NEXT) | instid1(VALU_DEP_1)
	v_dual_add_f32 v39, v35, v33 :: v_dual_add_f32 v38, v37, v36
	v_sub_f32_e32 v35, v35, v39
	s_delay_alu instid0(VALU_DEP_2) | instskip(SKIP_1) | instid1(VALU_DEP_1)
	v_rcp_f32_e32 v34, v38
	v_sub_f32_e32 v37, v37, v38
	v_dual_add_f32 v33, v33, v35 :: v_dual_add_f32 v36, v36, v37
	s_delay_alu instid0(TRANS32_DEP_1) | instskip(NEXT) | instid1(VALU_DEP_1)
	v_mul_f32_e32 v40, v39, v34
	v_mul_f32_e32 v41, v38, v40
	s_delay_alu instid0(VALU_DEP_1) | instskip(NEXT) | instid1(VALU_DEP_1)
	v_fma_f32 v37, v40, v38, -v41
	v_fmac_f32_e32 v37, v40, v36
	s_delay_alu instid0(VALU_DEP_1) | instskip(NEXT) | instid1(VALU_DEP_1)
	v_add_f32_e32 v42, v41, v37
	v_sub_f32_e32 v43, v39, v42
	s_delay_alu instid0(VALU_DEP_1) | instskip(SKIP_1) | instid1(VALU_DEP_2)
	v_sub_f32_e32 v39, v39, v43
	v_sub_f32_e32 v35, v42, v41
	v_sub_f32_e32 v39, v39, v42
	s_delay_alu instid0(VALU_DEP_2) | instskip(NEXT) | instid1(VALU_DEP_2)
	v_sub_f32_e32 v35, v35, v37
	v_add_f32_e32 v33, v33, v39
	s_delay_alu instid0(VALU_DEP_1) | instskip(NEXT) | instid1(VALU_DEP_1)
	v_add_f32_e32 v33, v35, v33
	v_add_f32_e32 v35, v43, v33
	s_delay_alu instid0(VALU_DEP_1) | instskip(NEXT) | instid1(VALU_DEP_1)
	v_mul_f32_e32 v37, v34, v35
	v_dual_sub_f32 v42, v43, v35 :: v_dual_mul_f32 v39, v38, v37
	s_delay_alu instid0(VALU_DEP_1) | instskip(NEXT) | instid1(VALU_DEP_2)
	v_add_f32_e32 v33, v33, v42
	v_fma_f32 v38, v37, v38, -v39
	s_delay_alu instid0(VALU_DEP_1) | instskip(NEXT) | instid1(VALU_DEP_1)
	v_fmac_f32_e32 v38, v37, v36
	v_add_f32_e32 v36, v39, v38
	s_delay_alu instid0(VALU_DEP_1) | instskip(SKIP_1) | instid1(VALU_DEP_2)
	v_sub_f32_e32 v41, v35, v36
	v_sub_f32_e32 v39, v36, v39
	v_sub_f32_e32 v35, v35, v41
	s_delay_alu instid0(VALU_DEP_1) | instskip(NEXT) | instid1(VALU_DEP_1)
	v_sub_f32_e32 v35, v35, v36
	v_dual_sub_f32 v36, v39, v38 :: v_dual_add_f32 v33, v33, v35
	v_add_f32_e32 v35, v40, v37
	s_delay_alu instid0(VALU_DEP_1) | instskip(NEXT) | instid1(VALU_DEP_1)
	v_dual_add_f32 v33, v36, v33 :: v_dual_sub_f32 v36, v35, v40
	v_add_f32_e32 v33, v41, v33
	s_delay_alu instid0(VALU_DEP_1) | instskip(NEXT) | instid1(VALU_DEP_1)
	v_dual_sub_f32 v36, v37, v36 :: v_dual_mul_f32 v33, v34, v33
	v_add_f32_e32 v33, v36, v33
	s_delay_alu instid0(VALU_DEP_1) | instskip(NEXT) | instid1(VALU_DEP_1)
	v_add_f32_e32 v34, v35, v33
	v_mul_f32_e32 v36, v34, v34
	s_wait_alu 0xfffe
	s_delay_alu instid0(VALU_DEP_1) | instskip(SKIP_2) | instid1(VALU_DEP_3)
	v_fmaak_f32 v37, s16, v36, 0x3ecc95a3
	v_mul_f32_e32 v38, v34, v36
	v_cmp_neq_f32_e64 s16, 0x7f800000, v9
	v_fmaak_f32 v36, v36, v37, 0x3f2aaada
	v_ldexp_f32 v37, v34, 1
	v_sub_f32_e32 v34, v34, v35
	s_delay_alu instid0(VALU_DEP_3) | instskip(NEXT) | instid1(VALU_DEP_2)
	v_mul_f32_e32 v36, v38, v36
	v_dual_mul_f32 v38, 0x3f317218, v32 :: v_dual_sub_f32 v33, v33, v34
	s_delay_alu instid0(VALU_DEP_2) | instskip(NEXT) | instid1(VALU_DEP_2)
	v_add_f32_e32 v35, v37, v36
	v_ldexp_f32 v33, v33, 1
	s_delay_alu instid0(VALU_DEP_2) | instskip(NEXT) | instid1(VALU_DEP_4)
	v_sub_f32_e32 v34, v35, v37
	v_fma_f32 v37, 0x3f317218, v32, -v38
	s_delay_alu instid0(VALU_DEP_2) | instskip(NEXT) | instid1(VALU_DEP_1)
	v_sub_f32_e32 v34, v36, v34
	v_dual_fmamk_f32 v32, v32, 0xb102e308, v37 :: v_dual_add_f32 v33, v33, v34
	s_delay_alu instid0(VALU_DEP_1) | instskip(NEXT) | instid1(VALU_DEP_1)
	v_add_f32_e32 v34, v38, v32
	v_sub_f32_e32 v38, v34, v38
	s_delay_alu instid0(VALU_DEP_1) | instskip(NEXT) | instid1(VALU_DEP_4)
	v_sub_f32_e32 v32, v32, v38
	v_add_f32_e32 v36, v35, v33
	s_delay_alu instid0(VALU_DEP_1) | instskip(NEXT) | instid1(VALU_DEP_1)
	v_sub_f32_e32 v35, v36, v35
	v_sub_f32_e32 v33, v33, v35
	v_add_f32_e32 v37, v34, v36
	s_delay_alu instid0(VALU_DEP_1) | instskip(NEXT) | instid1(VALU_DEP_1)
	v_sub_f32_e32 v39, v37, v34
	v_sub_f32_e32 v35, v36, v39
	s_delay_alu instid0(VALU_DEP_4) | instskip(SKIP_1) | instid1(VALU_DEP_1)
	v_add_f32_e32 v36, v32, v33
	v_sub_f32_e32 v40, v37, v39
	v_sub_f32_e32 v34, v34, v40
	s_delay_alu instid0(VALU_DEP_1) | instskip(NEXT) | instid1(VALU_DEP_1)
	v_dual_add_f32 v34, v35, v34 :: v_dual_sub_f32 v35, v36, v32
	v_dual_add_f32 v34, v36, v34 :: v_dual_sub_f32 v33, v33, v35
	v_sub_f32_e32 v36, v36, v35
	s_delay_alu instid0(VALU_DEP_2) | instskip(NEXT) | instid1(VALU_DEP_1)
	v_add_f32_e32 v38, v37, v34
	v_dual_sub_f32 v32, v32, v36 :: v_dual_sub_f32 v35, v38, v37
	s_delay_alu instid0(VALU_DEP_1) | instskip(NEXT) | instid1(VALU_DEP_1)
	v_dual_add_f32 v32, v33, v32 :: v_dual_sub_f32 v33, v34, v35
	v_add_f32_e32 v32, v32, v33
	s_delay_alu instid0(VALU_DEP_1) | instskip(SKIP_1) | instid1(VALU_DEP_1)
	v_add_f32_e32 v32, v38, v32
	s_wait_alu 0xf1ff
	v_cndmask_b32_e64 v32, 0x7f800000, v32, s16
	v_cmp_gt_f32_e64 s16, 0x33800000, |v9|
	s_wait_alu 0xf1ff
	s_delay_alu instid0(VALU_DEP_1) | instskip(NEXT) | instid1(VALU_DEP_1)
	v_cndmask_b32_e64 v9, v32, v9, s16
	v_add_f32_e32 v9, v10, v9
	s_delay_alu instid0(VALU_DEP_1) | instskip(NEXT) | instid1(VALU_DEP_1)
	v_cvt_f16_f32_e32 v32, v9
	v_cvt_f32_f16_e32 v9, v32
.LBB421_64:
	s_or_b32 exec_lo, exec_lo, s36
	ds_load_u16 v10, v7 offset:10
	v_max_num_f32_e32 v33, v9, v9
	v_cmp_u_f16_e64 s16, v32, v32
	s_wait_dscnt 0x0
	v_cvt_f32_f16_e32 v34, v10
	s_delay_alu instid0(VALU_DEP_1) | instskip(SKIP_2) | instid1(VALU_DEP_2)
	v_min_num_f32_e32 v35, v33, v34
	v_max_num_f32_e32 v33, v33, v34
	s_wait_alu 0xf1ff
	v_cndmask_b32_e64 v35, v35, v9, s16
	s_delay_alu instid0(VALU_DEP_2) | instskip(SKIP_2) | instid1(VALU_DEP_1)
	v_cndmask_b32_e64 v36, v33, v9, s16
	v_cmp_u_f16_e64 s16, v10, v10
	s_wait_alu 0xf1ff
	v_cndmask_b32_e64 v33, v35, v34, s16
	s_delay_alu instid0(VALU_DEP_3) | instskip(NEXT) | instid1(VALU_DEP_2)
	v_cndmask_b32_e64 v10, v36, v34, s16
	v_cmp_class_f32_e64 s36, v33, 0x1f8
	s_delay_alu instid0(VALU_DEP_2)
	v_cmp_neq_f32_e64 s16, v33, v10
	s_or_b32 s16, s16, s36
	s_wait_alu 0xfffe
	s_and_saveexec_b32 s36, s16
	s_cbranch_execz .LBB421_66
; %bb.65:
	v_sub_f32_e32 v9, v33, v10
	s_delay_alu instid0(VALU_DEP_1) | instskip(NEXT) | instid1(VALU_DEP_1)
	v_mul_f32_e32 v32, 0x3fb8aa3b, v9
	v_fma_f32 v33, 0x3fb8aa3b, v9, -v32
	v_rndne_f32_e32 v34, v32
	s_delay_alu instid0(VALU_DEP_1) | instskip(NEXT) | instid1(VALU_DEP_1)
	v_dual_fmamk_f32 v33, v9, 0x32a5705f, v33 :: v_dual_sub_f32 v32, v32, v34
	v_add_f32_e32 v32, v32, v33
	v_cvt_i32_f32_e32 v33, v34
	v_cmp_ngt_f32_e64 s16, 0xc2ce8ed0, v9
	s_delay_alu instid0(VALU_DEP_3) | instskip(NEXT) | instid1(TRANS32_DEP_1)
	v_exp_f32_e32 v32, v32
	v_ldexp_f32 v32, v32, v33
	s_wait_alu 0xf1ff
	s_delay_alu instid0(VALU_DEP_1) | instskip(SKIP_2) | instid1(VALU_DEP_1)
	v_cndmask_b32_e64 v32, 0, v32, s16
	v_cmp_nlt_f32_e64 s16, 0x42b17218, v9
	s_wait_alu 0xf1ff
	v_cndmask_b32_e64 v9, 0x7f800000, v32, s16
	s_delay_alu instid0(VALU_DEP_1) | instskip(NEXT) | instid1(VALU_DEP_1)
	v_add_f32_e32 v34, 1.0, v9
	v_cvt_f64_f32_e32 v[32:33], v34
	s_delay_alu instid0(VALU_DEP_1) | instskip(SKIP_1) | instid1(VALU_DEP_1)
	v_frexp_exp_i32_f64_e32 v32, v[32:33]
	v_frexp_mant_f32_e32 v33, v34
	v_cmp_gt_f32_e64 s16, 0x3f2aaaab, v33
	v_add_f32_e32 v33, -1.0, v34
	s_delay_alu instid0(VALU_DEP_1) | instskip(NEXT) | instid1(VALU_DEP_1)
	v_sub_f32_e32 v36, v33, v34
	v_dual_sub_f32 v33, v9, v33 :: v_dual_add_f32 v36, 1.0, v36
	s_delay_alu instid0(VALU_DEP_1)
	v_add_f32_e32 v33, v33, v36
	s_wait_alu 0xf1ff
	v_subrev_co_ci_u32_e64 v32, null, 0, v32, s16
	s_mov_b32 s16, 0x3e9b6dac
	v_sub_nc_u32_e32 v35, 0, v32
	v_cvt_f32_i32_e32 v32, v32
	s_delay_alu instid0(VALU_DEP_2) | instskip(SKIP_1) | instid1(VALU_DEP_2)
	v_ldexp_f32 v34, v34, v35
	v_ldexp_f32 v33, v33, v35
	v_add_f32_e32 v37, 1.0, v34
	s_delay_alu instid0(VALU_DEP_1) | instskip(NEXT) | instid1(VALU_DEP_1)
	v_dual_add_f32 v35, -1.0, v34 :: v_dual_add_f32 v36, -1.0, v37
	v_add_f32_e32 v38, 1.0, v35
	s_delay_alu instid0(VALU_DEP_2) | instskip(NEXT) | instid1(VALU_DEP_2)
	v_sub_f32_e32 v36, v34, v36
	v_sub_f32_e32 v34, v34, v38
	s_delay_alu instid0(VALU_DEP_2) | instskip(NEXT) | instid1(VALU_DEP_2)
	v_add_f32_e32 v36, v33, v36
	v_add_f32_e32 v33, v33, v34
	s_delay_alu instid0(VALU_DEP_1) | instskip(NEXT) | instid1(VALU_DEP_1)
	v_dual_add_f32 v39, v35, v33 :: v_dual_add_f32 v38, v37, v36
	v_sub_f32_e32 v35, v35, v39
	s_delay_alu instid0(VALU_DEP_2) | instskip(SKIP_1) | instid1(VALU_DEP_1)
	v_rcp_f32_e32 v34, v38
	v_sub_f32_e32 v37, v37, v38
	v_dual_add_f32 v33, v33, v35 :: v_dual_add_f32 v36, v36, v37
	s_delay_alu instid0(TRANS32_DEP_1) | instskip(NEXT) | instid1(VALU_DEP_1)
	v_mul_f32_e32 v40, v39, v34
	v_mul_f32_e32 v41, v38, v40
	s_delay_alu instid0(VALU_DEP_1) | instskip(NEXT) | instid1(VALU_DEP_1)
	v_fma_f32 v37, v40, v38, -v41
	v_fmac_f32_e32 v37, v40, v36
	s_delay_alu instid0(VALU_DEP_1) | instskip(NEXT) | instid1(VALU_DEP_1)
	v_add_f32_e32 v42, v41, v37
	v_sub_f32_e32 v43, v39, v42
	s_delay_alu instid0(VALU_DEP_1) | instskip(SKIP_1) | instid1(VALU_DEP_2)
	v_sub_f32_e32 v39, v39, v43
	v_sub_f32_e32 v35, v42, v41
	;; [unrolled: 1-line block ×3, first 2 shown]
	s_delay_alu instid0(VALU_DEP_2) | instskip(NEXT) | instid1(VALU_DEP_2)
	v_sub_f32_e32 v35, v35, v37
	v_add_f32_e32 v33, v33, v39
	s_delay_alu instid0(VALU_DEP_1) | instskip(NEXT) | instid1(VALU_DEP_1)
	v_add_f32_e32 v33, v35, v33
	v_add_f32_e32 v35, v43, v33
	s_delay_alu instid0(VALU_DEP_1) | instskip(NEXT) | instid1(VALU_DEP_1)
	v_mul_f32_e32 v37, v34, v35
	v_dual_sub_f32 v42, v43, v35 :: v_dual_mul_f32 v39, v38, v37
	s_delay_alu instid0(VALU_DEP_1) | instskip(NEXT) | instid1(VALU_DEP_2)
	v_add_f32_e32 v33, v33, v42
	v_fma_f32 v38, v37, v38, -v39
	s_delay_alu instid0(VALU_DEP_1) | instskip(NEXT) | instid1(VALU_DEP_1)
	v_fmac_f32_e32 v38, v37, v36
	v_add_f32_e32 v36, v39, v38
	s_delay_alu instid0(VALU_DEP_1) | instskip(SKIP_1) | instid1(VALU_DEP_2)
	v_sub_f32_e32 v41, v35, v36
	v_sub_f32_e32 v39, v36, v39
	;; [unrolled: 1-line block ×3, first 2 shown]
	s_delay_alu instid0(VALU_DEP_1) | instskip(NEXT) | instid1(VALU_DEP_1)
	v_sub_f32_e32 v35, v35, v36
	v_dual_sub_f32 v36, v39, v38 :: v_dual_add_f32 v33, v33, v35
	v_add_f32_e32 v35, v40, v37
	s_delay_alu instid0(VALU_DEP_1) | instskip(NEXT) | instid1(VALU_DEP_1)
	v_dual_add_f32 v33, v36, v33 :: v_dual_sub_f32 v36, v35, v40
	v_add_f32_e32 v33, v41, v33
	s_delay_alu instid0(VALU_DEP_1) | instskip(NEXT) | instid1(VALU_DEP_1)
	v_dual_sub_f32 v36, v37, v36 :: v_dual_mul_f32 v33, v34, v33
	v_add_f32_e32 v33, v36, v33
	s_delay_alu instid0(VALU_DEP_1) | instskip(NEXT) | instid1(VALU_DEP_1)
	v_add_f32_e32 v34, v35, v33
	v_mul_f32_e32 v36, v34, v34
	s_wait_alu 0xfffe
	s_delay_alu instid0(VALU_DEP_1) | instskip(SKIP_2) | instid1(VALU_DEP_3)
	v_fmaak_f32 v37, s16, v36, 0x3ecc95a3
	v_mul_f32_e32 v38, v34, v36
	v_cmp_neq_f32_e64 s16, 0x7f800000, v9
	v_fmaak_f32 v36, v36, v37, 0x3f2aaada
	v_ldexp_f32 v37, v34, 1
	v_sub_f32_e32 v34, v34, v35
	s_delay_alu instid0(VALU_DEP_3) | instskip(NEXT) | instid1(VALU_DEP_2)
	v_mul_f32_e32 v36, v38, v36
	v_dual_mul_f32 v38, 0x3f317218, v32 :: v_dual_sub_f32 v33, v33, v34
	s_delay_alu instid0(VALU_DEP_2) | instskip(NEXT) | instid1(VALU_DEP_2)
	v_add_f32_e32 v35, v37, v36
	v_ldexp_f32 v33, v33, 1
	s_delay_alu instid0(VALU_DEP_2) | instskip(NEXT) | instid1(VALU_DEP_4)
	v_sub_f32_e32 v34, v35, v37
	v_fma_f32 v37, 0x3f317218, v32, -v38
	s_delay_alu instid0(VALU_DEP_2) | instskip(NEXT) | instid1(VALU_DEP_1)
	v_sub_f32_e32 v34, v36, v34
	v_dual_fmamk_f32 v32, v32, 0xb102e308, v37 :: v_dual_add_f32 v33, v33, v34
	s_delay_alu instid0(VALU_DEP_1) | instskip(NEXT) | instid1(VALU_DEP_1)
	v_add_f32_e32 v34, v38, v32
	v_sub_f32_e32 v38, v34, v38
	s_delay_alu instid0(VALU_DEP_1) | instskip(NEXT) | instid1(VALU_DEP_4)
	v_sub_f32_e32 v32, v32, v38
	v_add_f32_e32 v36, v35, v33
	s_delay_alu instid0(VALU_DEP_1) | instskip(NEXT) | instid1(VALU_DEP_1)
	v_sub_f32_e32 v35, v36, v35
	v_sub_f32_e32 v33, v33, v35
	v_add_f32_e32 v37, v34, v36
	s_delay_alu instid0(VALU_DEP_1) | instskip(NEXT) | instid1(VALU_DEP_1)
	v_sub_f32_e32 v39, v37, v34
	v_sub_f32_e32 v35, v36, v39
	s_delay_alu instid0(VALU_DEP_4) | instskip(SKIP_1) | instid1(VALU_DEP_1)
	v_add_f32_e32 v36, v32, v33
	v_sub_f32_e32 v40, v37, v39
	v_sub_f32_e32 v34, v34, v40
	s_delay_alu instid0(VALU_DEP_1) | instskip(NEXT) | instid1(VALU_DEP_1)
	v_dual_add_f32 v34, v35, v34 :: v_dual_sub_f32 v35, v36, v32
	v_dual_add_f32 v34, v36, v34 :: v_dual_sub_f32 v33, v33, v35
	v_sub_f32_e32 v36, v36, v35
	s_delay_alu instid0(VALU_DEP_2) | instskip(NEXT) | instid1(VALU_DEP_1)
	v_add_f32_e32 v38, v37, v34
	v_dual_sub_f32 v32, v32, v36 :: v_dual_sub_f32 v35, v38, v37
	s_delay_alu instid0(VALU_DEP_1) | instskip(NEXT) | instid1(VALU_DEP_1)
	v_dual_add_f32 v32, v33, v32 :: v_dual_sub_f32 v33, v34, v35
	v_add_f32_e32 v32, v32, v33
	s_delay_alu instid0(VALU_DEP_1) | instskip(SKIP_1) | instid1(VALU_DEP_1)
	v_add_f32_e32 v32, v38, v32
	s_wait_alu 0xf1ff
	v_cndmask_b32_e64 v32, 0x7f800000, v32, s16
	v_cmp_gt_f32_e64 s16, 0x33800000, |v9|
	s_wait_alu 0xf1ff
	s_delay_alu instid0(VALU_DEP_1) | instskip(NEXT) | instid1(VALU_DEP_1)
	v_cndmask_b32_e64 v9, v32, v9, s16
	v_add_f32_e32 v9, v10, v9
	s_delay_alu instid0(VALU_DEP_1) | instskip(NEXT) | instid1(VALU_DEP_1)
	v_cvt_f16_f32_e32 v32, v9
	v_cvt_f32_f16_e32 v9, v32
.LBB421_66:
	s_or_b32 exec_lo, exec_lo, s36
	ds_load_u16 v10, v7 offset:12
	v_max_num_f32_e32 v33, v9, v9
	v_cmp_u_f16_e64 s16, v32, v32
	s_wait_dscnt 0x0
	v_cvt_f32_f16_e32 v34, v10
	s_delay_alu instid0(VALU_DEP_1) | instskip(SKIP_2) | instid1(VALU_DEP_2)
	v_min_num_f32_e32 v35, v33, v34
	v_max_num_f32_e32 v33, v33, v34
	s_wait_alu 0xf1ff
	v_cndmask_b32_e64 v35, v35, v9, s16
	s_delay_alu instid0(VALU_DEP_2) | instskip(SKIP_2) | instid1(VALU_DEP_1)
	v_cndmask_b32_e64 v36, v33, v9, s16
	v_cmp_u_f16_e64 s16, v10, v10
	s_wait_alu 0xf1ff
	v_cndmask_b32_e64 v33, v35, v34, s16
	s_delay_alu instid0(VALU_DEP_3) | instskip(NEXT) | instid1(VALU_DEP_2)
	v_cndmask_b32_e64 v10, v36, v34, s16
	v_cmp_class_f32_e64 s36, v33, 0x1f8
	s_delay_alu instid0(VALU_DEP_2)
	v_cmp_neq_f32_e64 s16, v33, v10
	s_or_b32 s16, s16, s36
	s_wait_alu 0xfffe
	s_and_saveexec_b32 s36, s16
	s_cbranch_execz .LBB421_68
; %bb.67:
	v_sub_f32_e32 v9, v33, v10
	s_delay_alu instid0(VALU_DEP_1) | instskip(NEXT) | instid1(VALU_DEP_1)
	v_mul_f32_e32 v32, 0x3fb8aa3b, v9
	v_fma_f32 v33, 0x3fb8aa3b, v9, -v32
	v_rndne_f32_e32 v34, v32
	s_delay_alu instid0(VALU_DEP_1) | instskip(NEXT) | instid1(VALU_DEP_1)
	v_dual_fmamk_f32 v33, v9, 0x32a5705f, v33 :: v_dual_sub_f32 v32, v32, v34
	v_add_f32_e32 v32, v32, v33
	v_cvt_i32_f32_e32 v33, v34
	v_cmp_ngt_f32_e64 s16, 0xc2ce8ed0, v9
	s_delay_alu instid0(VALU_DEP_3) | instskip(NEXT) | instid1(TRANS32_DEP_1)
	v_exp_f32_e32 v32, v32
	v_ldexp_f32 v32, v32, v33
	s_wait_alu 0xf1ff
	s_delay_alu instid0(VALU_DEP_1) | instskip(SKIP_2) | instid1(VALU_DEP_1)
	v_cndmask_b32_e64 v32, 0, v32, s16
	v_cmp_nlt_f32_e64 s16, 0x42b17218, v9
	s_wait_alu 0xf1ff
	v_cndmask_b32_e64 v9, 0x7f800000, v32, s16
	s_delay_alu instid0(VALU_DEP_1) | instskip(NEXT) | instid1(VALU_DEP_1)
	v_add_f32_e32 v34, 1.0, v9
	v_cvt_f64_f32_e32 v[32:33], v34
	s_delay_alu instid0(VALU_DEP_1) | instskip(SKIP_1) | instid1(VALU_DEP_1)
	v_frexp_exp_i32_f64_e32 v32, v[32:33]
	v_frexp_mant_f32_e32 v33, v34
	v_cmp_gt_f32_e64 s16, 0x3f2aaaab, v33
	v_add_f32_e32 v33, -1.0, v34
	s_delay_alu instid0(VALU_DEP_1) | instskip(NEXT) | instid1(VALU_DEP_1)
	v_sub_f32_e32 v36, v33, v34
	v_dual_sub_f32 v33, v9, v33 :: v_dual_add_f32 v36, 1.0, v36
	s_delay_alu instid0(VALU_DEP_1)
	v_add_f32_e32 v33, v33, v36
	s_wait_alu 0xf1ff
	v_subrev_co_ci_u32_e64 v32, null, 0, v32, s16
	s_mov_b32 s16, 0x3e9b6dac
	v_sub_nc_u32_e32 v35, 0, v32
	v_cvt_f32_i32_e32 v32, v32
	s_delay_alu instid0(VALU_DEP_2) | instskip(SKIP_1) | instid1(VALU_DEP_2)
	v_ldexp_f32 v34, v34, v35
	v_ldexp_f32 v33, v33, v35
	v_add_f32_e32 v37, 1.0, v34
	s_delay_alu instid0(VALU_DEP_1) | instskip(NEXT) | instid1(VALU_DEP_1)
	v_dual_add_f32 v35, -1.0, v34 :: v_dual_add_f32 v36, -1.0, v37
	v_add_f32_e32 v38, 1.0, v35
	s_delay_alu instid0(VALU_DEP_2) | instskip(NEXT) | instid1(VALU_DEP_2)
	v_sub_f32_e32 v36, v34, v36
	v_sub_f32_e32 v34, v34, v38
	s_delay_alu instid0(VALU_DEP_2) | instskip(NEXT) | instid1(VALU_DEP_2)
	v_add_f32_e32 v36, v33, v36
	v_add_f32_e32 v33, v33, v34
	s_delay_alu instid0(VALU_DEP_1) | instskip(NEXT) | instid1(VALU_DEP_1)
	v_dual_add_f32 v39, v35, v33 :: v_dual_add_f32 v38, v37, v36
	v_sub_f32_e32 v35, v35, v39
	s_delay_alu instid0(VALU_DEP_2) | instskip(SKIP_1) | instid1(VALU_DEP_1)
	v_rcp_f32_e32 v34, v38
	v_sub_f32_e32 v37, v37, v38
	v_dual_add_f32 v33, v33, v35 :: v_dual_add_f32 v36, v36, v37
	s_delay_alu instid0(TRANS32_DEP_1) | instskip(NEXT) | instid1(VALU_DEP_1)
	v_mul_f32_e32 v40, v39, v34
	v_mul_f32_e32 v41, v38, v40
	s_delay_alu instid0(VALU_DEP_1) | instskip(NEXT) | instid1(VALU_DEP_1)
	v_fma_f32 v37, v40, v38, -v41
	v_fmac_f32_e32 v37, v40, v36
	s_delay_alu instid0(VALU_DEP_1) | instskip(NEXT) | instid1(VALU_DEP_1)
	v_add_f32_e32 v42, v41, v37
	v_sub_f32_e32 v43, v39, v42
	s_delay_alu instid0(VALU_DEP_1) | instskip(SKIP_1) | instid1(VALU_DEP_2)
	v_sub_f32_e32 v39, v39, v43
	v_sub_f32_e32 v35, v42, v41
	v_sub_f32_e32 v39, v39, v42
	s_delay_alu instid0(VALU_DEP_2) | instskip(NEXT) | instid1(VALU_DEP_2)
	v_sub_f32_e32 v35, v35, v37
	v_add_f32_e32 v33, v33, v39
	s_delay_alu instid0(VALU_DEP_1) | instskip(NEXT) | instid1(VALU_DEP_1)
	v_add_f32_e32 v33, v35, v33
	v_add_f32_e32 v35, v43, v33
	s_delay_alu instid0(VALU_DEP_1) | instskip(NEXT) | instid1(VALU_DEP_1)
	v_mul_f32_e32 v37, v34, v35
	v_dual_sub_f32 v42, v43, v35 :: v_dual_mul_f32 v39, v38, v37
	s_delay_alu instid0(VALU_DEP_1) | instskip(NEXT) | instid1(VALU_DEP_2)
	v_add_f32_e32 v33, v33, v42
	v_fma_f32 v38, v37, v38, -v39
	s_delay_alu instid0(VALU_DEP_1) | instskip(NEXT) | instid1(VALU_DEP_1)
	v_fmac_f32_e32 v38, v37, v36
	v_add_f32_e32 v36, v39, v38
	s_delay_alu instid0(VALU_DEP_1) | instskip(SKIP_1) | instid1(VALU_DEP_2)
	v_sub_f32_e32 v41, v35, v36
	v_sub_f32_e32 v39, v36, v39
	;; [unrolled: 1-line block ×3, first 2 shown]
	s_delay_alu instid0(VALU_DEP_1) | instskip(NEXT) | instid1(VALU_DEP_1)
	v_sub_f32_e32 v35, v35, v36
	v_dual_sub_f32 v36, v39, v38 :: v_dual_add_f32 v33, v33, v35
	v_add_f32_e32 v35, v40, v37
	s_delay_alu instid0(VALU_DEP_1) | instskip(NEXT) | instid1(VALU_DEP_1)
	v_dual_add_f32 v33, v36, v33 :: v_dual_sub_f32 v36, v35, v40
	v_add_f32_e32 v33, v41, v33
	s_delay_alu instid0(VALU_DEP_1) | instskip(NEXT) | instid1(VALU_DEP_1)
	v_dual_sub_f32 v36, v37, v36 :: v_dual_mul_f32 v33, v34, v33
	v_add_f32_e32 v33, v36, v33
	s_delay_alu instid0(VALU_DEP_1) | instskip(NEXT) | instid1(VALU_DEP_1)
	v_add_f32_e32 v34, v35, v33
	v_mul_f32_e32 v36, v34, v34
	s_wait_alu 0xfffe
	s_delay_alu instid0(VALU_DEP_1) | instskip(SKIP_2) | instid1(VALU_DEP_3)
	v_fmaak_f32 v37, s16, v36, 0x3ecc95a3
	v_mul_f32_e32 v38, v34, v36
	v_cmp_neq_f32_e64 s16, 0x7f800000, v9
	v_fmaak_f32 v36, v36, v37, 0x3f2aaada
	v_ldexp_f32 v37, v34, 1
	v_sub_f32_e32 v34, v34, v35
	s_delay_alu instid0(VALU_DEP_3) | instskip(NEXT) | instid1(VALU_DEP_2)
	v_mul_f32_e32 v36, v38, v36
	v_dual_mul_f32 v38, 0x3f317218, v32 :: v_dual_sub_f32 v33, v33, v34
	s_delay_alu instid0(VALU_DEP_2) | instskip(NEXT) | instid1(VALU_DEP_2)
	v_add_f32_e32 v35, v37, v36
	v_ldexp_f32 v33, v33, 1
	s_delay_alu instid0(VALU_DEP_2) | instskip(NEXT) | instid1(VALU_DEP_4)
	v_sub_f32_e32 v34, v35, v37
	v_fma_f32 v37, 0x3f317218, v32, -v38
	s_delay_alu instid0(VALU_DEP_2) | instskip(NEXT) | instid1(VALU_DEP_1)
	v_sub_f32_e32 v34, v36, v34
	v_dual_fmamk_f32 v32, v32, 0xb102e308, v37 :: v_dual_add_f32 v33, v33, v34
	s_delay_alu instid0(VALU_DEP_1) | instskip(NEXT) | instid1(VALU_DEP_1)
	v_add_f32_e32 v34, v38, v32
	v_sub_f32_e32 v38, v34, v38
	s_delay_alu instid0(VALU_DEP_1) | instskip(NEXT) | instid1(VALU_DEP_4)
	v_sub_f32_e32 v32, v32, v38
	v_add_f32_e32 v36, v35, v33
	s_delay_alu instid0(VALU_DEP_1) | instskip(NEXT) | instid1(VALU_DEP_1)
	v_sub_f32_e32 v35, v36, v35
	v_sub_f32_e32 v33, v33, v35
	v_add_f32_e32 v37, v34, v36
	s_delay_alu instid0(VALU_DEP_1) | instskip(NEXT) | instid1(VALU_DEP_1)
	v_sub_f32_e32 v39, v37, v34
	v_sub_f32_e32 v35, v36, v39
	s_delay_alu instid0(VALU_DEP_4) | instskip(SKIP_1) | instid1(VALU_DEP_1)
	v_add_f32_e32 v36, v32, v33
	v_sub_f32_e32 v40, v37, v39
	v_sub_f32_e32 v34, v34, v40
	s_delay_alu instid0(VALU_DEP_1) | instskip(NEXT) | instid1(VALU_DEP_1)
	v_dual_add_f32 v34, v35, v34 :: v_dual_sub_f32 v35, v36, v32
	v_dual_add_f32 v34, v36, v34 :: v_dual_sub_f32 v33, v33, v35
	v_sub_f32_e32 v36, v36, v35
	s_delay_alu instid0(VALU_DEP_2) | instskip(NEXT) | instid1(VALU_DEP_1)
	v_add_f32_e32 v38, v37, v34
	v_dual_sub_f32 v32, v32, v36 :: v_dual_sub_f32 v35, v38, v37
	s_delay_alu instid0(VALU_DEP_1) | instskip(NEXT) | instid1(VALU_DEP_1)
	v_dual_add_f32 v32, v33, v32 :: v_dual_sub_f32 v33, v34, v35
	v_add_f32_e32 v32, v32, v33
	s_delay_alu instid0(VALU_DEP_1) | instskip(SKIP_1) | instid1(VALU_DEP_1)
	v_add_f32_e32 v32, v38, v32
	s_wait_alu 0xf1ff
	v_cndmask_b32_e64 v32, 0x7f800000, v32, s16
	v_cmp_gt_f32_e64 s16, 0x33800000, |v9|
	s_wait_alu 0xf1ff
	s_delay_alu instid0(VALU_DEP_1) | instskip(NEXT) | instid1(VALU_DEP_1)
	v_cndmask_b32_e64 v9, v32, v9, s16
	v_add_f32_e32 v9, v10, v9
	s_delay_alu instid0(VALU_DEP_1) | instskip(NEXT) | instid1(VALU_DEP_1)
	v_cvt_f16_f32_e32 v32, v9
	v_cvt_f32_f16_e32 v9, v32
.LBB421_68:
	s_or_b32 exec_lo, exec_lo, s36
	ds_load_u16 v10, v7 offset:14
	v_max_num_f32_e32 v33, v9, v9
	v_cmp_u_f16_e64 s16, v32, v32
	s_wait_dscnt 0x0
	v_cvt_f32_f16_e32 v34, v10
	s_delay_alu instid0(VALU_DEP_1) | instskip(SKIP_2) | instid1(VALU_DEP_2)
	v_min_num_f32_e32 v35, v33, v34
	v_max_num_f32_e32 v33, v33, v34
	s_wait_alu 0xf1ff
	v_cndmask_b32_e64 v35, v35, v9, s16
	s_delay_alu instid0(VALU_DEP_2) | instskip(SKIP_2) | instid1(VALU_DEP_1)
	v_cndmask_b32_e64 v9, v33, v9, s16
	v_cmp_u_f16_e64 s16, v10, v10
	s_wait_alu 0xf1ff
	v_cndmask_b32_e64 v10, v35, v34, s16
	s_delay_alu instid0(VALU_DEP_3) | instskip(NEXT) | instid1(VALU_DEP_2)
	v_cndmask_b32_e64 v9, v9, v34, s16
	v_cmp_class_f32_e64 s36, v10, 0x1f8
	s_delay_alu instid0(VALU_DEP_2)
	v_cmp_neq_f32_e64 s16, v10, v9
	s_or_b32 s16, s16, s36
	s_wait_alu 0xfffe
	s_and_saveexec_b32 s36, s16
	s_cbranch_execz .LBB421_70
; %bb.69:
	v_sub_f32_e32 v10, v10, v9
	s_delay_alu instid0(VALU_DEP_1) | instskip(SKIP_1) | instid1(VALU_DEP_2)
	v_mul_f32_e32 v32, 0x3fb8aa3b, v10
	v_cmp_ngt_f32_e64 s16, 0xc2ce8ed0, v10
	v_fma_f32 v33, 0x3fb8aa3b, v10, -v32
	v_rndne_f32_e32 v34, v32
	s_delay_alu instid0(VALU_DEP_1) | instskip(NEXT) | instid1(VALU_DEP_1)
	v_dual_fmamk_f32 v33, v10, 0x32a5705f, v33 :: v_dual_sub_f32 v32, v32, v34
	v_add_f32_e32 v32, v32, v33
	v_cvt_i32_f32_e32 v33, v34
	s_delay_alu instid0(VALU_DEP_2) | instskip(NEXT) | instid1(TRANS32_DEP_1)
	v_exp_f32_e32 v32, v32
	v_ldexp_f32 v32, v32, v33
	s_wait_alu 0xf1ff
	s_delay_alu instid0(VALU_DEP_1) | instskip(SKIP_2) | instid1(VALU_DEP_1)
	v_cndmask_b32_e64 v32, 0, v32, s16
	v_cmp_nlt_f32_e64 s16, 0x42b17218, v10
	s_wait_alu 0xf1ff
	v_cndmask_b32_e64 v10, 0x7f800000, v32, s16
	s_delay_alu instid0(VALU_DEP_1) | instskip(NEXT) | instid1(VALU_DEP_1)
	v_add_f32_e32 v34, 1.0, v10
	v_cvt_f64_f32_e32 v[32:33], v34
	s_delay_alu instid0(VALU_DEP_1) | instskip(SKIP_1) | instid1(VALU_DEP_1)
	v_frexp_exp_i32_f64_e32 v32, v[32:33]
	v_frexp_mant_f32_e32 v33, v34
	v_cmp_gt_f32_e64 s16, 0x3f2aaaab, v33
	v_add_f32_e32 v33, -1.0, v34
	s_delay_alu instid0(VALU_DEP_1) | instskip(NEXT) | instid1(VALU_DEP_1)
	v_dual_sub_f32 v36, v33, v34 :: v_dual_sub_f32 v33, v10, v33
	v_add_f32_e32 v36, 1.0, v36
	s_delay_alu instid0(VALU_DEP_1)
	v_add_f32_e32 v33, v33, v36
	s_wait_alu 0xf1ff
	v_subrev_co_ci_u32_e64 v32, null, 0, v32, s16
	s_mov_b32 s16, 0x3e9b6dac
	v_sub_nc_u32_e32 v35, 0, v32
	v_cvt_f32_i32_e32 v32, v32
	s_delay_alu instid0(VALU_DEP_2) | instskip(SKIP_1) | instid1(VALU_DEP_2)
	v_ldexp_f32 v34, v34, v35
	v_ldexp_f32 v33, v33, v35
	v_add_f32_e32 v37, 1.0, v34
	s_delay_alu instid0(VALU_DEP_1) | instskip(NEXT) | instid1(VALU_DEP_1)
	v_dual_add_f32 v35, -1.0, v34 :: v_dual_add_f32 v36, -1.0, v37
	v_add_f32_e32 v38, 1.0, v35
	s_delay_alu instid0(VALU_DEP_2) | instskip(NEXT) | instid1(VALU_DEP_2)
	v_sub_f32_e32 v36, v34, v36
	v_sub_f32_e32 v34, v34, v38
	s_delay_alu instid0(VALU_DEP_2) | instskip(NEXT) | instid1(VALU_DEP_2)
	v_add_f32_e32 v36, v33, v36
	v_add_f32_e32 v33, v33, v34
	s_delay_alu instid0(VALU_DEP_1) | instskip(NEXT) | instid1(VALU_DEP_1)
	v_dual_add_f32 v39, v35, v33 :: v_dual_add_f32 v38, v37, v36
	v_sub_f32_e32 v35, v35, v39
	s_delay_alu instid0(VALU_DEP_2) | instskip(SKIP_1) | instid1(VALU_DEP_1)
	v_rcp_f32_e32 v34, v38
	v_sub_f32_e32 v37, v37, v38
	v_dual_add_f32 v33, v33, v35 :: v_dual_add_f32 v36, v36, v37
	s_delay_alu instid0(TRANS32_DEP_1) | instskip(NEXT) | instid1(VALU_DEP_1)
	v_mul_f32_e32 v40, v39, v34
	v_mul_f32_e32 v41, v38, v40
	s_delay_alu instid0(VALU_DEP_1) | instskip(NEXT) | instid1(VALU_DEP_1)
	v_fma_f32 v37, v40, v38, -v41
	v_fmac_f32_e32 v37, v40, v36
	s_delay_alu instid0(VALU_DEP_1) | instskip(NEXT) | instid1(VALU_DEP_1)
	v_add_f32_e32 v42, v41, v37
	v_sub_f32_e32 v43, v39, v42
	v_sub_f32_e32 v35, v42, v41
	s_delay_alu instid0(VALU_DEP_2) | instskip(NEXT) | instid1(VALU_DEP_2)
	v_sub_f32_e32 v39, v39, v43
	v_sub_f32_e32 v35, v35, v37
	s_delay_alu instid0(VALU_DEP_2) | instskip(NEXT) | instid1(VALU_DEP_1)
	v_sub_f32_e32 v39, v39, v42
	v_add_f32_e32 v33, v33, v39
	s_delay_alu instid0(VALU_DEP_1) | instskip(NEXT) | instid1(VALU_DEP_1)
	v_add_f32_e32 v33, v35, v33
	v_add_f32_e32 v35, v43, v33
	s_delay_alu instid0(VALU_DEP_1) | instskip(NEXT) | instid1(VALU_DEP_1)
	v_mul_f32_e32 v37, v34, v35
	v_dual_sub_f32 v42, v43, v35 :: v_dual_mul_f32 v39, v38, v37
	s_delay_alu instid0(VALU_DEP_1) | instskip(NEXT) | instid1(VALU_DEP_2)
	v_add_f32_e32 v33, v33, v42
	v_fma_f32 v38, v37, v38, -v39
	s_delay_alu instid0(VALU_DEP_1) | instskip(NEXT) | instid1(VALU_DEP_1)
	v_fmac_f32_e32 v38, v37, v36
	v_add_f32_e32 v36, v39, v38
	s_delay_alu instid0(VALU_DEP_1) | instskip(NEXT) | instid1(VALU_DEP_1)
	v_sub_f32_e32 v41, v35, v36
	v_sub_f32_e32 v35, v35, v41
	s_delay_alu instid0(VALU_DEP_1) | instskip(NEXT) | instid1(VALU_DEP_1)
	v_sub_f32_e32 v35, v35, v36
	v_add_f32_e32 v33, v33, v35
	v_add_f32_e32 v35, v40, v37
	v_sub_f32_e32 v39, v36, v39
	s_delay_alu instid0(VALU_DEP_1) | instskip(NEXT) | instid1(VALU_DEP_1)
	v_sub_f32_e32 v36, v39, v38
	v_dual_add_f32 v33, v36, v33 :: v_dual_sub_f32 v36, v35, v40
	s_delay_alu instid0(VALU_DEP_1) | instskip(NEXT) | instid1(VALU_DEP_1)
	v_add_f32_e32 v33, v41, v33
	v_dual_sub_f32 v36, v37, v36 :: v_dual_mul_f32 v33, v34, v33
	s_delay_alu instid0(VALU_DEP_1) | instskip(NEXT) | instid1(VALU_DEP_1)
	v_add_f32_e32 v33, v36, v33
	v_add_f32_e32 v34, v35, v33
	s_delay_alu instid0(VALU_DEP_1) | instskip(SKIP_1) | instid1(VALU_DEP_1)
	v_mul_f32_e32 v36, v34, v34
	s_wait_alu 0xfffe
	v_fmaak_f32 v37, s16, v36, 0x3ecc95a3
	v_mul_f32_e32 v38, v34, v36
	v_cmp_neq_f32_e64 s16, 0x7f800000, v10
	s_delay_alu instid0(VALU_DEP_3) | instskip(SKIP_2) | instid1(VALU_DEP_3)
	v_fmaak_f32 v36, v36, v37, 0x3f2aaada
	v_ldexp_f32 v37, v34, 1
	v_sub_f32_e32 v34, v34, v35
	v_mul_f32_e32 v36, v38, v36
	s_delay_alu instid0(VALU_DEP_2) | instskip(NEXT) | instid1(VALU_DEP_2)
	v_dual_mul_f32 v38, 0x3f317218, v32 :: v_dual_sub_f32 v33, v33, v34
	v_add_f32_e32 v35, v37, v36
	s_delay_alu instid0(VALU_DEP_2) | instskip(NEXT) | instid1(VALU_DEP_2)
	v_ldexp_f32 v33, v33, 1
	v_sub_f32_e32 v34, v35, v37
	s_delay_alu instid0(VALU_DEP_4) | instskip(NEXT) | instid1(VALU_DEP_2)
	v_fma_f32 v37, 0x3f317218, v32, -v38
	v_sub_f32_e32 v34, v36, v34
	s_delay_alu instid0(VALU_DEP_1) | instskip(NEXT) | instid1(VALU_DEP_1)
	v_dual_fmamk_f32 v32, v32, 0xb102e308, v37 :: v_dual_add_f32 v33, v33, v34
	v_add_f32_e32 v34, v38, v32
	s_delay_alu instid0(VALU_DEP_1) | instskip(NEXT) | instid1(VALU_DEP_1)
	v_sub_f32_e32 v38, v34, v38
	v_sub_f32_e32 v32, v32, v38
	s_delay_alu instid0(VALU_DEP_4) | instskip(NEXT) | instid1(VALU_DEP_1)
	v_add_f32_e32 v36, v35, v33
	v_sub_f32_e32 v35, v36, v35
	s_delay_alu instid0(VALU_DEP_1) | instskip(SKIP_1) | instid1(VALU_DEP_1)
	v_sub_f32_e32 v33, v33, v35
	v_add_f32_e32 v37, v34, v36
	v_sub_f32_e32 v39, v37, v34
	s_delay_alu instid0(VALU_DEP_1) | instskip(NEXT) | instid1(VALU_DEP_4)
	v_sub_f32_e32 v35, v36, v39
	v_add_f32_e32 v36, v32, v33
	v_sub_f32_e32 v40, v37, v39
	s_delay_alu instid0(VALU_DEP_1) | instskip(NEXT) | instid1(VALU_DEP_1)
	v_sub_f32_e32 v34, v34, v40
	v_dual_add_f32 v34, v35, v34 :: v_dual_sub_f32 v35, v36, v32
	s_delay_alu instid0(VALU_DEP_1) | instskip(SKIP_1) | instid1(VALU_DEP_2)
	v_dual_add_f32 v34, v36, v34 :: v_dual_sub_f32 v33, v33, v35
	v_sub_f32_e32 v36, v36, v35
	v_add_f32_e32 v38, v37, v34
	s_delay_alu instid0(VALU_DEP_1) | instskip(NEXT) | instid1(VALU_DEP_1)
	v_dual_sub_f32 v32, v32, v36 :: v_dual_sub_f32 v35, v38, v37
	v_dual_add_f32 v32, v33, v32 :: v_dual_sub_f32 v33, v34, v35
	s_delay_alu instid0(VALU_DEP_1) | instskip(NEXT) | instid1(VALU_DEP_1)
	v_add_f32_e32 v32, v32, v33
	v_add_f32_e32 v32, v38, v32
	s_wait_alu 0xf1ff
	s_delay_alu instid0(VALU_DEP_1) | instskip(SKIP_2) | instid1(VALU_DEP_1)
	v_cndmask_b32_e64 v32, 0x7f800000, v32, s16
	v_cmp_gt_f32_e64 s16, 0x33800000, |v10|
	s_wait_alu 0xf1ff
	v_cndmask_b32_e64 v10, v32, v10, s16
	s_delay_alu instid0(VALU_DEP_1) | instskip(NEXT) | instid1(VALU_DEP_1)
	v_add_f32_e32 v9, v9, v10
	v_cvt_f16_f32_e32 v32, v9
.LBB421_70:
	s_or_b32 exec_lo, exec_lo, s36
	v_mbcnt_lo_u32_b32 v9, -1, 0
	s_delay_alu instid0(VALU_DEP_2) | instskip(SKIP_1) | instid1(VALU_DEP_2)
	v_and_b32_e32 v33, 0xffff, v32
	s_mov_b32 s36, exec_lo
	v_and_b32_e32 v10, 15, v9
	s_delay_alu instid0(VALU_DEP_2) | instskip(NEXT) | instid1(VALU_DEP_2)
	v_mov_b32_dpp v34, v33 row_shr:1 row_mask:0xf bank_mask:0xf
	v_cmpx_ne_u32_e32 0, v10
	s_xor_b32 s36, exec_lo, s36
	s_cbranch_execz .LBB421_74
; %bb.71:
	s_delay_alu instid0(VALU_DEP_2) | instskip(SKIP_2) | instid1(VALU_DEP_2)
	v_cvt_f32_f16_e32 v33, v34
	v_cvt_f32_f16_e32 v35, v32
	v_cmp_u_f16_e64 s16, v34, v34
	v_min_num_f32_e32 v36, v33, v35
	v_max_num_f32_e32 v37, v33, v35
	s_wait_alu 0xf1ff
	s_delay_alu instid0(VALU_DEP_2) | instskip(NEXT) | instid1(VALU_DEP_2)
	v_cndmask_b32_e64 v36, v36, v33, s16
	v_cndmask_b32_e64 v37, v37, v33, s16
	v_cmp_u_f16_e64 s16, v32, v32
	s_wait_alu 0xf1ff
	s_delay_alu instid0(VALU_DEP_1) | instskip(NEXT) | instid1(VALU_DEP_3)
	v_cndmask_b32_e64 v33, v36, v35, s16
	v_cndmask_b32_e64 v32, v37, v35, s16
	s_delay_alu instid0(VALU_DEP_2) | instskip(NEXT) | instid1(VALU_DEP_2)
	v_cmp_class_f32_e64 s37, v33, 0x1f8
	v_cmp_neq_f32_e64 s16, v33, v32
	s_or_b32 s16, s16, s37
	s_wait_alu 0xfffe
	s_and_saveexec_b32 s37, s16
	s_cbranch_execz .LBB421_73
; %bb.72:
	v_sub_f32_e32 v33, v33, v32
	s_delay_alu instid0(VALU_DEP_1) | instskip(NEXT) | instid1(VALU_DEP_1)
	v_mul_f32_e32 v34, 0x3fb8aa3b, v33
	v_fma_f32 v35, 0x3fb8aa3b, v33, -v34
	v_rndne_f32_e32 v36, v34
	s_delay_alu instid0(VALU_DEP_1) | instskip(NEXT) | instid1(VALU_DEP_1)
	v_dual_fmamk_f32 v35, v33, 0x32a5705f, v35 :: v_dual_sub_f32 v34, v34, v36
	v_add_f32_e32 v34, v34, v35
	v_cvt_i32_f32_e32 v35, v36
	v_cmp_ngt_f32_e64 s16, 0xc2ce8ed0, v33
	s_delay_alu instid0(VALU_DEP_3) | instskip(NEXT) | instid1(TRANS32_DEP_1)
	v_exp_f32_e32 v34, v34
	v_ldexp_f32 v34, v34, v35
	s_wait_alu 0xf1ff
	s_delay_alu instid0(VALU_DEP_1) | instskip(SKIP_2) | instid1(VALU_DEP_1)
	v_cndmask_b32_e64 v34, 0, v34, s16
	v_cmp_nlt_f32_e64 s16, 0x42b17218, v33
	s_wait_alu 0xf1ff
	v_cndmask_b32_e64 v35, 0x7f800000, v34, s16
	s_delay_alu instid0(VALU_DEP_1) | instskip(NEXT) | instid1(VALU_DEP_1)
	v_add_f32_e32 v36, 1.0, v35
	v_cvt_f64_f32_e32 v[33:34], v36
	s_delay_alu instid0(VALU_DEP_1) | instskip(SKIP_1) | instid1(VALU_DEP_1)
	v_frexp_exp_i32_f64_e32 v33, v[33:34]
	v_frexp_mant_f32_e32 v34, v36
	v_cmp_gt_f32_e64 s16, 0x3f2aaaab, v34
	v_add_f32_e32 v34, -1.0, v36
	s_delay_alu instid0(VALU_DEP_1) | instskip(SKIP_1) | instid1(VALU_DEP_3)
	v_sub_f32_e32 v38, v34, v36
	s_wait_alu 0xf1ff
	v_subrev_co_ci_u32_e64 v33, null, 0, v33, s16
	s_mov_b32 s16, 0x3e9b6dac
	v_sub_nc_u32_e32 v37, 0, v33
	v_cvt_f32_i32_e32 v33, v33
	s_delay_alu instid0(VALU_DEP_2) | instskip(NEXT) | instid1(VALU_DEP_1)
	v_ldexp_f32 v36, v36, v37
	v_dual_sub_f32 v34, v35, v34 :: v_dual_add_f32 v39, 1.0, v36
	v_add_f32_e32 v38, 1.0, v38
	s_delay_alu instid0(VALU_DEP_1) | instskip(NEXT) | instid1(VALU_DEP_3)
	v_add_f32_e32 v34, v34, v38
	v_add_f32_e32 v38, -1.0, v39
	s_delay_alu instid0(VALU_DEP_2) | instskip(NEXT) | instid1(VALU_DEP_2)
	v_ldexp_f32 v34, v34, v37
	v_dual_add_f32 v37, -1.0, v36 :: v_dual_sub_f32 v38, v36, v38
	s_delay_alu instid0(VALU_DEP_1) | instskip(NEXT) | instid1(VALU_DEP_2)
	v_add_f32_e32 v40, 1.0, v37
	v_add_f32_e32 v38, v34, v38
	s_delay_alu instid0(VALU_DEP_2) | instskip(NEXT) | instid1(VALU_DEP_2)
	v_sub_f32_e32 v36, v36, v40
	v_add_f32_e32 v40, v39, v38
	s_delay_alu instid0(VALU_DEP_2) | instskip(NEXT) | instid1(VALU_DEP_2)
	v_add_f32_e32 v34, v34, v36
	v_rcp_f32_e32 v36, v40
	v_sub_f32_e32 v39, v39, v40
	s_delay_alu instid0(VALU_DEP_1) | instskip(NEXT) | instid1(VALU_DEP_1)
	v_dual_add_f32 v41, v37, v34 :: v_dual_add_f32 v38, v38, v39
	v_sub_f32_e32 v37, v37, v41
	s_delay_alu instid0(TRANS32_DEP_1) | instskip(NEXT) | instid1(VALU_DEP_1)
	v_mul_f32_e32 v42, v41, v36
	v_dual_add_f32 v34, v34, v37 :: v_dual_mul_f32 v43, v40, v42
	s_delay_alu instid0(VALU_DEP_1) | instskip(NEXT) | instid1(VALU_DEP_1)
	v_fma_f32 v39, v42, v40, -v43
	v_fmac_f32_e32 v39, v42, v38
	s_delay_alu instid0(VALU_DEP_1) | instskip(NEXT) | instid1(VALU_DEP_1)
	v_add_f32_e32 v44, v43, v39
	v_sub_f32_e32 v45, v41, v44
	v_sub_f32_e32 v37, v44, v43
	s_delay_alu instid0(VALU_DEP_2) | instskip(NEXT) | instid1(VALU_DEP_2)
	v_sub_f32_e32 v41, v41, v45
	v_sub_f32_e32 v37, v37, v39
	s_delay_alu instid0(VALU_DEP_2) | instskip(NEXT) | instid1(VALU_DEP_1)
	v_sub_f32_e32 v41, v41, v44
	v_add_f32_e32 v34, v34, v41
	s_delay_alu instid0(VALU_DEP_1) | instskip(NEXT) | instid1(VALU_DEP_1)
	v_add_f32_e32 v34, v37, v34
	v_add_f32_e32 v37, v45, v34
	s_delay_alu instid0(VALU_DEP_1) | instskip(NEXT) | instid1(VALU_DEP_1)
	v_mul_f32_e32 v39, v36, v37
	v_dual_sub_f32 v44, v45, v37 :: v_dual_mul_f32 v41, v40, v39
	s_delay_alu instid0(VALU_DEP_1) | instskip(NEXT) | instid1(VALU_DEP_2)
	v_add_f32_e32 v34, v34, v44
	v_fma_f32 v40, v39, v40, -v41
	s_delay_alu instid0(VALU_DEP_1) | instskip(NEXT) | instid1(VALU_DEP_1)
	v_fmac_f32_e32 v40, v39, v38
	v_add_f32_e32 v38, v41, v40
	s_delay_alu instid0(VALU_DEP_1) | instskip(SKIP_1) | instid1(VALU_DEP_2)
	v_sub_f32_e32 v43, v37, v38
	v_sub_f32_e32 v41, v38, v41
	;; [unrolled: 1-line block ×3, first 2 shown]
	s_delay_alu instid0(VALU_DEP_1) | instskip(NEXT) | instid1(VALU_DEP_3)
	v_sub_f32_e32 v37, v37, v38
	v_sub_f32_e32 v38, v41, v40
	s_delay_alu instid0(VALU_DEP_2) | instskip(SKIP_1) | instid1(VALU_DEP_2)
	v_add_f32_e32 v34, v34, v37
	v_add_f32_e32 v37, v42, v39
	;; [unrolled: 1-line block ×3, first 2 shown]
	s_delay_alu instid0(VALU_DEP_2) | instskip(NEXT) | instid1(VALU_DEP_2)
	v_sub_f32_e32 v38, v37, v42
	v_add_f32_e32 v34, v43, v34
	s_delay_alu instid0(VALU_DEP_2) | instskip(NEXT) | instid1(VALU_DEP_2)
	v_sub_f32_e32 v38, v39, v38
	v_mul_f32_e32 v34, v36, v34
	s_delay_alu instid0(VALU_DEP_1) | instskip(NEXT) | instid1(VALU_DEP_1)
	v_add_f32_e32 v34, v38, v34
	v_add_f32_e32 v36, v37, v34
	s_delay_alu instid0(VALU_DEP_1) | instskip(SKIP_1) | instid1(VALU_DEP_1)
	v_mul_f32_e32 v38, v36, v36
	s_wait_alu 0xfffe
	v_fmaak_f32 v39, s16, v38, 0x3ecc95a3
	v_mul_f32_e32 v40, v36, v38
	v_cmp_neq_f32_e64 s16, 0x7f800000, v35
	s_delay_alu instid0(VALU_DEP_3) | instskip(SKIP_2) | instid1(VALU_DEP_3)
	v_fmaak_f32 v38, v38, v39, 0x3f2aaada
	v_ldexp_f32 v39, v36, 1
	v_sub_f32_e32 v36, v36, v37
	v_mul_f32_e32 v38, v40, v38
	v_mul_f32_e32 v40, 0x3f317218, v33
	s_delay_alu instid0(VALU_DEP_2) | instskip(NEXT) | instid1(VALU_DEP_1)
	v_dual_sub_f32 v34, v34, v36 :: v_dual_add_f32 v37, v39, v38
	v_ldexp_f32 v34, v34, 1
	s_delay_alu instid0(VALU_DEP_2) | instskip(NEXT) | instid1(VALU_DEP_4)
	v_sub_f32_e32 v36, v37, v39
	v_fma_f32 v39, 0x3f317218, v33, -v40
	s_delay_alu instid0(VALU_DEP_1) | instskip(NEXT) | instid1(VALU_DEP_1)
	v_dual_sub_f32 v36, v38, v36 :: v_dual_fmamk_f32 v33, v33, 0xb102e308, v39
	v_add_f32_e32 v34, v34, v36
	s_delay_alu instid0(VALU_DEP_2) | instskip(NEXT) | instid1(VALU_DEP_2)
	v_add_f32_e32 v36, v40, v33
	v_add_f32_e32 v38, v37, v34
	s_delay_alu instid0(VALU_DEP_2) | instskip(NEXT) | instid1(VALU_DEP_2)
	v_sub_f32_e32 v40, v36, v40
	v_add_f32_e32 v39, v36, v38
	v_sub_f32_e32 v37, v38, v37
	s_delay_alu instid0(VALU_DEP_3) | instskip(NEXT) | instid1(VALU_DEP_2)
	v_sub_f32_e32 v33, v33, v40
	v_dual_sub_f32 v41, v39, v36 :: v_dual_sub_f32 v34, v34, v37
	s_delay_alu instid0(VALU_DEP_1) | instskip(NEXT) | instid1(VALU_DEP_2)
	v_sub_f32_e32 v42, v39, v41
	v_dual_sub_f32 v37, v38, v41 :: v_dual_add_f32 v38, v33, v34
	s_delay_alu instid0(VALU_DEP_2) | instskip(NEXT) | instid1(VALU_DEP_1)
	v_sub_f32_e32 v36, v36, v42
	v_dual_add_f32 v36, v37, v36 :: v_dual_sub_f32 v37, v38, v33
	s_delay_alu instid0(VALU_DEP_1) | instskip(NEXT) | instid1(VALU_DEP_2)
	v_add_f32_e32 v36, v38, v36
	v_sub_f32_e32 v38, v38, v37
	v_sub_f32_e32 v34, v34, v37
	s_delay_alu instid0(VALU_DEP_2) | instskip(NEXT) | instid1(VALU_DEP_1)
	v_dual_add_f32 v40, v39, v36 :: v_dual_sub_f32 v33, v33, v38
	v_sub_f32_e32 v37, v40, v39
	s_delay_alu instid0(VALU_DEP_2) | instskip(NEXT) | instid1(VALU_DEP_2)
	v_add_f32_e32 v33, v34, v33
	v_sub_f32_e32 v34, v36, v37
	s_delay_alu instid0(VALU_DEP_1) | instskip(NEXT) | instid1(VALU_DEP_1)
	v_add_f32_e32 v33, v33, v34
	v_add_f32_e32 v33, v40, v33
	s_wait_alu 0xf1ff
	s_delay_alu instid0(VALU_DEP_1) | instskip(SKIP_2) | instid1(VALU_DEP_1)
	v_cndmask_b32_e64 v33, 0x7f800000, v33, s16
	v_cmp_gt_f32_e64 s16, 0x33800000, |v35|
	s_wait_alu 0xf1ff
	v_cndmask_b32_e64 v33, v33, v35, s16
	s_delay_alu instid0(VALU_DEP_1) | instskip(NEXT) | instid1(VALU_DEP_1)
	v_add_f32_e32 v32, v32, v33
	v_cvt_f16_f32_e32 v34, v32
.LBB421_73:
	s_or_b32 exec_lo, exec_lo, s37
	s_delay_alu instid0(VALU_DEP_1)
	v_dual_mov_b32 v32, v34 :: v_dual_and_b32 v33, 0xffff, v34
.LBB421_74:
	s_or_b32 exec_lo, exec_lo, s36
	s_delay_alu instid0(VALU_DEP_1)
	v_mov_b32_dpp v34, v33 row_shr:2 row_mask:0xf bank_mask:0xf
	s_mov_b32 s36, exec_lo
	v_cmpx_lt_u32_e32 1, v10
	s_cbranch_execz .LBB421_78
; %bb.75:
	s_delay_alu instid0(VALU_DEP_2) | instskip(SKIP_2) | instid1(VALU_DEP_2)
	v_cvt_f32_f16_e32 v33, v34
	v_cvt_f32_f16_e32 v35, v32
	v_cmp_u_f16_e64 s16, v34, v34
	v_min_num_f32_e32 v36, v33, v35
	v_max_num_f32_e32 v37, v33, v35
	s_wait_alu 0xf1ff
	s_delay_alu instid0(VALU_DEP_2) | instskip(NEXT) | instid1(VALU_DEP_2)
	v_cndmask_b32_e64 v36, v36, v33, s16
	v_cndmask_b32_e64 v37, v37, v33, s16
	v_cmp_u_f16_e64 s16, v32, v32
	s_wait_alu 0xf1ff
	s_delay_alu instid0(VALU_DEP_1) | instskip(NEXT) | instid1(VALU_DEP_3)
	v_cndmask_b32_e64 v33, v36, v35, s16
	v_cndmask_b32_e64 v32, v37, v35, s16
	s_delay_alu instid0(VALU_DEP_2) | instskip(NEXT) | instid1(VALU_DEP_2)
	v_cmp_class_f32_e64 s37, v33, 0x1f8
	v_cmp_neq_f32_e64 s16, v33, v32
	s_or_b32 s16, s16, s37
	s_wait_alu 0xfffe
	s_and_saveexec_b32 s37, s16
	s_cbranch_execz .LBB421_77
; %bb.76:
	v_sub_f32_e32 v33, v33, v32
	s_delay_alu instid0(VALU_DEP_1) | instskip(NEXT) | instid1(VALU_DEP_1)
	v_mul_f32_e32 v34, 0x3fb8aa3b, v33
	v_fma_f32 v35, 0x3fb8aa3b, v33, -v34
	v_rndne_f32_e32 v36, v34
	s_delay_alu instid0(VALU_DEP_1) | instskip(NEXT) | instid1(VALU_DEP_1)
	v_dual_fmamk_f32 v35, v33, 0x32a5705f, v35 :: v_dual_sub_f32 v34, v34, v36
	v_add_f32_e32 v34, v34, v35
	v_cvt_i32_f32_e32 v35, v36
	v_cmp_ngt_f32_e64 s16, 0xc2ce8ed0, v33
	s_delay_alu instid0(VALU_DEP_3) | instskip(NEXT) | instid1(TRANS32_DEP_1)
	v_exp_f32_e32 v34, v34
	v_ldexp_f32 v34, v34, v35
	s_wait_alu 0xf1ff
	s_delay_alu instid0(VALU_DEP_1) | instskip(SKIP_2) | instid1(VALU_DEP_1)
	v_cndmask_b32_e64 v34, 0, v34, s16
	v_cmp_nlt_f32_e64 s16, 0x42b17218, v33
	s_wait_alu 0xf1ff
	v_cndmask_b32_e64 v35, 0x7f800000, v34, s16
	s_delay_alu instid0(VALU_DEP_1) | instskip(NEXT) | instid1(VALU_DEP_1)
	v_add_f32_e32 v36, 1.0, v35
	v_cvt_f64_f32_e32 v[33:34], v36
	s_delay_alu instid0(VALU_DEP_1) | instskip(SKIP_1) | instid1(VALU_DEP_1)
	v_frexp_exp_i32_f64_e32 v33, v[33:34]
	v_frexp_mant_f32_e32 v34, v36
	v_cmp_gt_f32_e64 s16, 0x3f2aaaab, v34
	v_add_f32_e32 v34, -1.0, v36
	s_delay_alu instid0(VALU_DEP_1) | instskip(SKIP_1) | instid1(VALU_DEP_3)
	v_sub_f32_e32 v38, v34, v36
	s_wait_alu 0xf1ff
	v_subrev_co_ci_u32_e64 v33, null, 0, v33, s16
	s_mov_b32 s16, 0x3e9b6dac
	v_sub_nc_u32_e32 v37, 0, v33
	v_cvt_f32_i32_e32 v33, v33
	s_delay_alu instid0(VALU_DEP_2) | instskip(NEXT) | instid1(VALU_DEP_1)
	v_ldexp_f32 v36, v36, v37
	v_dual_sub_f32 v34, v35, v34 :: v_dual_add_f32 v39, 1.0, v36
	v_add_f32_e32 v38, 1.0, v38
	s_delay_alu instid0(VALU_DEP_1) | instskip(NEXT) | instid1(VALU_DEP_3)
	v_add_f32_e32 v34, v34, v38
	v_add_f32_e32 v38, -1.0, v39
	s_delay_alu instid0(VALU_DEP_2) | instskip(NEXT) | instid1(VALU_DEP_2)
	v_ldexp_f32 v34, v34, v37
	v_dual_add_f32 v37, -1.0, v36 :: v_dual_sub_f32 v38, v36, v38
	s_delay_alu instid0(VALU_DEP_1) | instskip(NEXT) | instid1(VALU_DEP_2)
	v_add_f32_e32 v40, 1.0, v37
	v_add_f32_e32 v38, v34, v38
	s_delay_alu instid0(VALU_DEP_2) | instskip(NEXT) | instid1(VALU_DEP_2)
	v_sub_f32_e32 v36, v36, v40
	v_add_f32_e32 v40, v39, v38
	s_delay_alu instid0(VALU_DEP_2) | instskip(NEXT) | instid1(VALU_DEP_2)
	v_add_f32_e32 v34, v34, v36
	v_rcp_f32_e32 v36, v40
	v_sub_f32_e32 v39, v39, v40
	s_delay_alu instid0(VALU_DEP_1) | instskip(NEXT) | instid1(VALU_DEP_1)
	v_dual_add_f32 v41, v37, v34 :: v_dual_add_f32 v38, v38, v39
	v_sub_f32_e32 v37, v37, v41
	s_delay_alu instid0(TRANS32_DEP_1) | instskip(NEXT) | instid1(VALU_DEP_1)
	v_mul_f32_e32 v42, v41, v36
	v_dual_add_f32 v34, v34, v37 :: v_dual_mul_f32 v43, v40, v42
	s_delay_alu instid0(VALU_DEP_1) | instskip(NEXT) | instid1(VALU_DEP_1)
	v_fma_f32 v39, v42, v40, -v43
	v_fmac_f32_e32 v39, v42, v38
	s_delay_alu instid0(VALU_DEP_1) | instskip(NEXT) | instid1(VALU_DEP_1)
	v_add_f32_e32 v44, v43, v39
	v_sub_f32_e32 v45, v41, v44
	v_sub_f32_e32 v37, v44, v43
	s_delay_alu instid0(VALU_DEP_2) | instskip(NEXT) | instid1(VALU_DEP_2)
	v_sub_f32_e32 v41, v41, v45
	v_sub_f32_e32 v37, v37, v39
	s_delay_alu instid0(VALU_DEP_2) | instskip(NEXT) | instid1(VALU_DEP_1)
	v_sub_f32_e32 v41, v41, v44
	v_add_f32_e32 v34, v34, v41
	s_delay_alu instid0(VALU_DEP_1) | instskip(NEXT) | instid1(VALU_DEP_1)
	v_add_f32_e32 v34, v37, v34
	v_add_f32_e32 v37, v45, v34
	s_delay_alu instid0(VALU_DEP_1) | instskip(NEXT) | instid1(VALU_DEP_1)
	v_mul_f32_e32 v39, v36, v37
	v_dual_sub_f32 v44, v45, v37 :: v_dual_mul_f32 v41, v40, v39
	s_delay_alu instid0(VALU_DEP_1) | instskip(NEXT) | instid1(VALU_DEP_2)
	v_add_f32_e32 v34, v34, v44
	v_fma_f32 v40, v39, v40, -v41
	s_delay_alu instid0(VALU_DEP_1) | instskip(NEXT) | instid1(VALU_DEP_1)
	v_fmac_f32_e32 v40, v39, v38
	v_add_f32_e32 v38, v41, v40
	s_delay_alu instid0(VALU_DEP_1) | instskip(SKIP_1) | instid1(VALU_DEP_2)
	v_sub_f32_e32 v43, v37, v38
	v_sub_f32_e32 v41, v38, v41
	;; [unrolled: 1-line block ×3, first 2 shown]
	s_delay_alu instid0(VALU_DEP_1) | instskip(NEXT) | instid1(VALU_DEP_3)
	v_sub_f32_e32 v37, v37, v38
	v_sub_f32_e32 v38, v41, v40
	s_delay_alu instid0(VALU_DEP_2) | instskip(SKIP_1) | instid1(VALU_DEP_2)
	v_add_f32_e32 v34, v34, v37
	v_add_f32_e32 v37, v42, v39
	;; [unrolled: 1-line block ×3, first 2 shown]
	s_delay_alu instid0(VALU_DEP_2) | instskip(NEXT) | instid1(VALU_DEP_2)
	v_sub_f32_e32 v38, v37, v42
	v_add_f32_e32 v34, v43, v34
	s_delay_alu instid0(VALU_DEP_2) | instskip(NEXT) | instid1(VALU_DEP_2)
	v_sub_f32_e32 v38, v39, v38
	v_mul_f32_e32 v34, v36, v34
	s_delay_alu instid0(VALU_DEP_1) | instskip(NEXT) | instid1(VALU_DEP_1)
	v_add_f32_e32 v34, v38, v34
	v_add_f32_e32 v36, v37, v34
	s_delay_alu instid0(VALU_DEP_1) | instskip(SKIP_1) | instid1(VALU_DEP_1)
	v_mul_f32_e32 v38, v36, v36
	s_wait_alu 0xfffe
	v_fmaak_f32 v39, s16, v38, 0x3ecc95a3
	v_mul_f32_e32 v40, v36, v38
	v_cmp_neq_f32_e64 s16, 0x7f800000, v35
	s_delay_alu instid0(VALU_DEP_3) | instskip(SKIP_2) | instid1(VALU_DEP_3)
	v_fmaak_f32 v38, v38, v39, 0x3f2aaada
	v_ldexp_f32 v39, v36, 1
	v_sub_f32_e32 v36, v36, v37
	v_mul_f32_e32 v38, v40, v38
	v_mul_f32_e32 v40, 0x3f317218, v33
	s_delay_alu instid0(VALU_DEP_2) | instskip(NEXT) | instid1(VALU_DEP_1)
	v_dual_sub_f32 v34, v34, v36 :: v_dual_add_f32 v37, v39, v38
	v_ldexp_f32 v34, v34, 1
	s_delay_alu instid0(VALU_DEP_2) | instskip(NEXT) | instid1(VALU_DEP_4)
	v_sub_f32_e32 v36, v37, v39
	v_fma_f32 v39, 0x3f317218, v33, -v40
	s_delay_alu instid0(VALU_DEP_1) | instskip(NEXT) | instid1(VALU_DEP_1)
	v_dual_sub_f32 v36, v38, v36 :: v_dual_fmamk_f32 v33, v33, 0xb102e308, v39
	v_add_f32_e32 v34, v34, v36
	s_delay_alu instid0(VALU_DEP_2) | instskip(NEXT) | instid1(VALU_DEP_2)
	v_add_f32_e32 v36, v40, v33
	v_add_f32_e32 v38, v37, v34
	s_delay_alu instid0(VALU_DEP_2) | instskip(NEXT) | instid1(VALU_DEP_2)
	v_sub_f32_e32 v40, v36, v40
	v_add_f32_e32 v39, v36, v38
	v_sub_f32_e32 v37, v38, v37
	s_delay_alu instid0(VALU_DEP_3) | instskip(NEXT) | instid1(VALU_DEP_2)
	v_sub_f32_e32 v33, v33, v40
	v_dual_sub_f32 v41, v39, v36 :: v_dual_sub_f32 v34, v34, v37
	s_delay_alu instid0(VALU_DEP_1) | instskip(NEXT) | instid1(VALU_DEP_2)
	v_sub_f32_e32 v42, v39, v41
	v_dual_sub_f32 v37, v38, v41 :: v_dual_add_f32 v38, v33, v34
	s_delay_alu instid0(VALU_DEP_2) | instskip(NEXT) | instid1(VALU_DEP_1)
	v_sub_f32_e32 v36, v36, v42
	v_dual_add_f32 v36, v37, v36 :: v_dual_sub_f32 v37, v38, v33
	s_delay_alu instid0(VALU_DEP_1) | instskip(NEXT) | instid1(VALU_DEP_2)
	v_add_f32_e32 v36, v38, v36
	v_sub_f32_e32 v38, v38, v37
	v_sub_f32_e32 v34, v34, v37
	s_delay_alu instid0(VALU_DEP_2) | instskip(NEXT) | instid1(VALU_DEP_1)
	v_dual_add_f32 v40, v39, v36 :: v_dual_sub_f32 v33, v33, v38
	v_sub_f32_e32 v37, v40, v39
	s_delay_alu instid0(VALU_DEP_2) | instskip(NEXT) | instid1(VALU_DEP_2)
	v_add_f32_e32 v33, v34, v33
	v_sub_f32_e32 v34, v36, v37
	s_delay_alu instid0(VALU_DEP_1) | instskip(NEXT) | instid1(VALU_DEP_1)
	v_add_f32_e32 v33, v33, v34
	v_add_f32_e32 v33, v40, v33
	s_wait_alu 0xf1ff
	s_delay_alu instid0(VALU_DEP_1) | instskip(SKIP_2) | instid1(VALU_DEP_1)
	v_cndmask_b32_e64 v33, 0x7f800000, v33, s16
	v_cmp_gt_f32_e64 s16, 0x33800000, |v35|
	s_wait_alu 0xf1ff
	v_cndmask_b32_e64 v33, v33, v35, s16
	s_delay_alu instid0(VALU_DEP_1) | instskip(NEXT) | instid1(VALU_DEP_1)
	v_add_f32_e32 v32, v32, v33
	v_cvt_f16_f32_e32 v34, v32
.LBB421_77:
	s_or_b32 exec_lo, exec_lo, s37
	s_delay_alu instid0(VALU_DEP_1)
	v_dual_mov_b32 v32, v34 :: v_dual_and_b32 v33, 0xffff, v34
.LBB421_78:
	s_or_b32 exec_lo, exec_lo, s36
	s_delay_alu instid0(VALU_DEP_1)
	v_mov_b32_dpp v34, v33 row_shr:4 row_mask:0xf bank_mask:0xf
	s_mov_b32 s36, exec_lo
	v_cmpx_lt_u32_e32 3, v10
	s_cbranch_execz .LBB421_82
; %bb.79:
	s_delay_alu instid0(VALU_DEP_2) | instskip(SKIP_2) | instid1(VALU_DEP_2)
	v_cvt_f32_f16_e32 v33, v34
	v_cvt_f32_f16_e32 v35, v32
	v_cmp_u_f16_e64 s16, v34, v34
	v_min_num_f32_e32 v36, v33, v35
	v_max_num_f32_e32 v37, v33, v35
	s_wait_alu 0xf1ff
	s_delay_alu instid0(VALU_DEP_2) | instskip(NEXT) | instid1(VALU_DEP_2)
	v_cndmask_b32_e64 v36, v36, v33, s16
	v_cndmask_b32_e64 v37, v37, v33, s16
	v_cmp_u_f16_e64 s16, v32, v32
	s_wait_alu 0xf1ff
	s_delay_alu instid0(VALU_DEP_1) | instskip(NEXT) | instid1(VALU_DEP_3)
	v_cndmask_b32_e64 v33, v36, v35, s16
	v_cndmask_b32_e64 v32, v37, v35, s16
	s_delay_alu instid0(VALU_DEP_2) | instskip(NEXT) | instid1(VALU_DEP_2)
	v_cmp_class_f32_e64 s37, v33, 0x1f8
	v_cmp_neq_f32_e64 s16, v33, v32
	s_or_b32 s16, s16, s37
	s_wait_alu 0xfffe
	s_and_saveexec_b32 s37, s16
	s_cbranch_execz .LBB421_81
; %bb.80:
	v_sub_f32_e32 v33, v33, v32
	s_delay_alu instid0(VALU_DEP_1) | instskip(NEXT) | instid1(VALU_DEP_1)
	v_mul_f32_e32 v34, 0x3fb8aa3b, v33
	v_fma_f32 v35, 0x3fb8aa3b, v33, -v34
	v_rndne_f32_e32 v36, v34
	s_delay_alu instid0(VALU_DEP_1) | instskip(NEXT) | instid1(VALU_DEP_1)
	v_dual_fmamk_f32 v35, v33, 0x32a5705f, v35 :: v_dual_sub_f32 v34, v34, v36
	v_add_f32_e32 v34, v34, v35
	v_cvt_i32_f32_e32 v35, v36
	v_cmp_ngt_f32_e64 s16, 0xc2ce8ed0, v33
	s_delay_alu instid0(VALU_DEP_3) | instskip(NEXT) | instid1(TRANS32_DEP_1)
	v_exp_f32_e32 v34, v34
	v_ldexp_f32 v34, v34, v35
	s_wait_alu 0xf1ff
	s_delay_alu instid0(VALU_DEP_1) | instskip(SKIP_2) | instid1(VALU_DEP_1)
	v_cndmask_b32_e64 v34, 0, v34, s16
	v_cmp_nlt_f32_e64 s16, 0x42b17218, v33
	s_wait_alu 0xf1ff
	v_cndmask_b32_e64 v35, 0x7f800000, v34, s16
	s_delay_alu instid0(VALU_DEP_1) | instskip(NEXT) | instid1(VALU_DEP_1)
	v_add_f32_e32 v36, 1.0, v35
	v_cvt_f64_f32_e32 v[33:34], v36
	s_delay_alu instid0(VALU_DEP_1) | instskip(SKIP_1) | instid1(VALU_DEP_1)
	v_frexp_exp_i32_f64_e32 v33, v[33:34]
	v_frexp_mant_f32_e32 v34, v36
	v_cmp_gt_f32_e64 s16, 0x3f2aaaab, v34
	v_add_f32_e32 v34, -1.0, v36
	s_delay_alu instid0(VALU_DEP_1) | instskip(SKIP_1) | instid1(VALU_DEP_3)
	v_sub_f32_e32 v38, v34, v36
	s_wait_alu 0xf1ff
	v_subrev_co_ci_u32_e64 v33, null, 0, v33, s16
	s_mov_b32 s16, 0x3e9b6dac
	v_sub_nc_u32_e32 v37, 0, v33
	v_cvt_f32_i32_e32 v33, v33
	s_delay_alu instid0(VALU_DEP_2) | instskip(NEXT) | instid1(VALU_DEP_1)
	v_ldexp_f32 v36, v36, v37
	v_dual_sub_f32 v34, v35, v34 :: v_dual_add_f32 v39, 1.0, v36
	v_add_f32_e32 v38, 1.0, v38
	s_delay_alu instid0(VALU_DEP_1) | instskip(NEXT) | instid1(VALU_DEP_3)
	v_add_f32_e32 v34, v34, v38
	v_add_f32_e32 v38, -1.0, v39
	s_delay_alu instid0(VALU_DEP_2) | instskip(NEXT) | instid1(VALU_DEP_2)
	v_ldexp_f32 v34, v34, v37
	v_dual_add_f32 v37, -1.0, v36 :: v_dual_sub_f32 v38, v36, v38
	s_delay_alu instid0(VALU_DEP_1) | instskip(NEXT) | instid1(VALU_DEP_2)
	v_add_f32_e32 v40, 1.0, v37
	v_add_f32_e32 v38, v34, v38
	s_delay_alu instid0(VALU_DEP_2) | instskip(NEXT) | instid1(VALU_DEP_2)
	v_sub_f32_e32 v36, v36, v40
	v_add_f32_e32 v40, v39, v38
	s_delay_alu instid0(VALU_DEP_2) | instskip(NEXT) | instid1(VALU_DEP_2)
	v_add_f32_e32 v34, v34, v36
	v_rcp_f32_e32 v36, v40
	v_sub_f32_e32 v39, v39, v40
	s_delay_alu instid0(VALU_DEP_1) | instskip(NEXT) | instid1(VALU_DEP_1)
	v_dual_add_f32 v41, v37, v34 :: v_dual_add_f32 v38, v38, v39
	v_sub_f32_e32 v37, v37, v41
	s_delay_alu instid0(TRANS32_DEP_1) | instskip(NEXT) | instid1(VALU_DEP_1)
	v_mul_f32_e32 v42, v41, v36
	v_dual_add_f32 v34, v34, v37 :: v_dual_mul_f32 v43, v40, v42
	s_delay_alu instid0(VALU_DEP_1) | instskip(NEXT) | instid1(VALU_DEP_1)
	v_fma_f32 v39, v42, v40, -v43
	v_fmac_f32_e32 v39, v42, v38
	s_delay_alu instid0(VALU_DEP_1) | instskip(NEXT) | instid1(VALU_DEP_1)
	v_add_f32_e32 v44, v43, v39
	v_sub_f32_e32 v45, v41, v44
	v_sub_f32_e32 v37, v44, v43
	s_delay_alu instid0(VALU_DEP_2) | instskip(NEXT) | instid1(VALU_DEP_2)
	v_sub_f32_e32 v41, v41, v45
	v_sub_f32_e32 v37, v37, v39
	s_delay_alu instid0(VALU_DEP_2) | instskip(NEXT) | instid1(VALU_DEP_1)
	v_sub_f32_e32 v41, v41, v44
	v_add_f32_e32 v34, v34, v41
	s_delay_alu instid0(VALU_DEP_1) | instskip(NEXT) | instid1(VALU_DEP_1)
	v_add_f32_e32 v34, v37, v34
	v_add_f32_e32 v37, v45, v34
	s_delay_alu instid0(VALU_DEP_1) | instskip(NEXT) | instid1(VALU_DEP_1)
	v_mul_f32_e32 v39, v36, v37
	v_dual_sub_f32 v44, v45, v37 :: v_dual_mul_f32 v41, v40, v39
	s_delay_alu instid0(VALU_DEP_1) | instskip(NEXT) | instid1(VALU_DEP_2)
	v_add_f32_e32 v34, v34, v44
	v_fma_f32 v40, v39, v40, -v41
	s_delay_alu instid0(VALU_DEP_1) | instskip(NEXT) | instid1(VALU_DEP_1)
	v_fmac_f32_e32 v40, v39, v38
	v_add_f32_e32 v38, v41, v40
	s_delay_alu instid0(VALU_DEP_1) | instskip(SKIP_1) | instid1(VALU_DEP_2)
	v_sub_f32_e32 v43, v37, v38
	v_sub_f32_e32 v41, v38, v41
	;; [unrolled: 1-line block ×3, first 2 shown]
	s_delay_alu instid0(VALU_DEP_1) | instskip(NEXT) | instid1(VALU_DEP_3)
	v_sub_f32_e32 v37, v37, v38
	v_sub_f32_e32 v38, v41, v40
	s_delay_alu instid0(VALU_DEP_2) | instskip(SKIP_1) | instid1(VALU_DEP_2)
	v_add_f32_e32 v34, v34, v37
	v_add_f32_e32 v37, v42, v39
	;; [unrolled: 1-line block ×3, first 2 shown]
	s_delay_alu instid0(VALU_DEP_2) | instskip(NEXT) | instid1(VALU_DEP_2)
	v_sub_f32_e32 v38, v37, v42
	v_add_f32_e32 v34, v43, v34
	s_delay_alu instid0(VALU_DEP_2) | instskip(NEXT) | instid1(VALU_DEP_2)
	v_sub_f32_e32 v38, v39, v38
	v_mul_f32_e32 v34, v36, v34
	s_delay_alu instid0(VALU_DEP_1) | instskip(NEXT) | instid1(VALU_DEP_1)
	v_add_f32_e32 v34, v38, v34
	v_add_f32_e32 v36, v37, v34
	s_delay_alu instid0(VALU_DEP_1) | instskip(SKIP_1) | instid1(VALU_DEP_1)
	v_mul_f32_e32 v38, v36, v36
	s_wait_alu 0xfffe
	v_fmaak_f32 v39, s16, v38, 0x3ecc95a3
	v_mul_f32_e32 v40, v36, v38
	v_cmp_neq_f32_e64 s16, 0x7f800000, v35
	s_delay_alu instid0(VALU_DEP_3) | instskip(SKIP_2) | instid1(VALU_DEP_3)
	v_fmaak_f32 v38, v38, v39, 0x3f2aaada
	v_ldexp_f32 v39, v36, 1
	v_sub_f32_e32 v36, v36, v37
	v_mul_f32_e32 v38, v40, v38
	v_mul_f32_e32 v40, 0x3f317218, v33
	s_delay_alu instid0(VALU_DEP_2) | instskip(NEXT) | instid1(VALU_DEP_1)
	v_dual_sub_f32 v34, v34, v36 :: v_dual_add_f32 v37, v39, v38
	v_ldexp_f32 v34, v34, 1
	s_delay_alu instid0(VALU_DEP_2) | instskip(NEXT) | instid1(VALU_DEP_4)
	v_sub_f32_e32 v36, v37, v39
	v_fma_f32 v39, 0x3f317218, v33, -v40
	s_delay_alu instid0(VALU_DEP_1) | instskip(NEXT) | instid1(VALU_DEP_1)
	v_dual_sub_f32 v36, v38, v36 :: v_dual_fmamk_f32 v33, v33, 0xb102e308, v39
	v_add_f32_e32 v34, v34, v36
	s_delay_alu instid0(VALU_DEP_2) | instskip(NEXT) | instid1(VALU_DEP_2)
	v_add_f32_e32 v36, v40, v33
	v_add_f32_e32 v38, v37, v34
	s_delay_alu instid0(VALU_DEP_2) | instskip(NEXT) | instid1(VALU_DEP_2)
	v_sub_f32_e32 v40, v36, v40
	v_add_f32_e32 v39, v36, v38
	v_sub_f32_e32 v37, v38, v37
	s_delay_alu instid0(VALU_DEP_3) | instskip(NEXT) | instid1(VALU_DEP_2)
	v_sub_f32_e32 v33, v33, v40
	v_dual_sub_f32 v41, v39, v36 :: v_dual_sub_f32 v34, v34, v37
	s_delay_alu instid0(VALU_DEP_1) | instskip(NEXT) | instid1(VALU_DEP_2)
	v_sub_f32_e32 v42, v39, v41
	v_dual_sub_f32 v37, v38, v41 :: v_dual_add_f32 v38, v33, v34
	s_delay_alu instid0(VALU_DEP_2) | instskip(NEXT) | instid1(VALU_DEP_1)
	v_sub_f32_e32 v36, v36, v42
	v_dual_add_f32 v36, v37, v36 :: v_dual_sub_f32 v37, v38, v33
	s_delay_alu instid0(VALU_DEP_1) | instskip(NEXT) | instid1(VALU_DEP_2)
	v_add_f32_e32 v36, v38, v36
	v_sub_f32_e32 v38, v38, v37
	v_sub_f32_e32 v34, v34, v37
	s_delay_alu instid0(VALU_DEP_2) | instskip(NEXT) | instid1(VALU_DEP_1)
	v_dual_add_f32 v40, v39, v36 :: v_dual_sub_f32 v33, v33, v38
	v_sub_f32_e32 v37, v40, v39
	s_delay_alu instid0(VALU_DEP_2) | instskip(NEXT) | instid1(VALU_DEP_2)
	v_add_f32_e32 v33, v34, v33
	v_sub_f32_e32 v34, v36, v37
	s_delay_alu instid0(VALU_DEP_1) | instskip(NEXT) | instid1(VALU_DEP_1)
	v_add_f32_e32 v33, v33, v34
	v_add_f32_e32 v33, v40, v33
	s_wait_alu 0xf1ff
	s_delay_alu instid0(VALU_DEP_1) | instskip(SKIP_2) | instid1(VALU_DEP_1)
	v_cndmask_b32_e64 v33, 0x7f800000, v33, s16
	v_cmp_gt_f32_e64 s16, 0x33800000, |v35|
	s_wait_alu 0xf1ff
	v_cndmask_b32_e64 v33, v33, v35, s16
	s_delay_alu instid0(VALU_DEP_1) | instskip(NEXT) | instid1(VALU_DEP_1)
	v_add_f32_e32 v32, v32, v33
	v_cvt_f16_f32_e32 v34, v32
.LBB421_81:
	s_or_b32 exec_lo, exec_lo, s37
	s_delay_alu instid0(VALU_DEP_1)
	v_dual_mov_b32 v32, v34 :: v_dual_and_b32 v33, 0xffff, v34
.LBB421_82:
	s_or_b32 exec_lo, exec_lo, s36
	s_delay_alu instid0(VALU_DEP_1)
	v_mov_b32_dpp v34, v33 row_shr:8 row_mask:0xf bank_mask:0xf
	s_mov_b32 s36, exec_lo
	v_cmpx_lt_u32_e32 7, v10
	s_cbranch_execz .LBB421_86
; %bb.83:
	s_delay_alu instid0(VALU_DEP_2) | instskip(SKIP_2) | instid1(VALU_DEP_2)
	v_cvt_f32_f16_e32 v10, v34
	v_cvt_f32_f16_e32 v33, v32
	v_cmp_u_f16_e64 s16, v34, v34
	v_min_num_f32_e32 v35, v10, v33
	v_max_num_f32_e32 v36, v10, v33
	s_wait_alu 0xf1ff
	s_delay_alu instid0(VALU_DEP_2) | instskip(NEXT) | instid1(VALU_DEP_2)
	v_cndmask_b32_e64 v35, v35, v10, s16
	v_cndmask_b32_e64 v10, v36, v10, s16
	v_cmp_u_f16_e64 s16, v32, v32
	s_wait_alu 0xf1ff
	s_delay_alu instid0(VALU_DEP_1) | instskip(NEXT) | instid1(VALU_DEP_3)
	v_cndmask_b32_e64 v32, v35, v33, s16
	v_cndmask_b32_e64 v10, v10, v33, s16
	s_delay_alu instid0(VALU_DEP_2) | instskip(NEXT) | instid1(VALU_DEP_2)
	v_cmp_class_f32_e64 s37, v32, 0x1f8
	v_cmp_neq_f32_e64 s16, v32, v10
	s_or_b32 s16, s16, s37
	s_wait_alu 0xfffe
	s_and_saveexec_b32 s37, s16
	s_cbranch_execz .LBB421_85
; %bb.84:
	v_sub_f32_e32 v32, v32, v10
	s_delay_alu instid0(VALU_DEP_1) | instskip(NEXT) | instid1(VALU_DEP_1)
	v_mul_f32_e32 v33, 0x3fb8aa3b, v32
	v_fma_f32 v34, 0x3fb8aa3b, v32, -v33
	v_rndne_f32_e32 v35, v33
	s_delay_alu instid0(VALU_DEP_1) | instskip(SKIP_1) | instid1(VALU_DEP_2)
	v_dual_sub_f32 v33, v33, v35 :: v_dual_fmamk_f32 v34, v32, 0x32a5705f, v34
	v_cmp_ngt_f32_e64 s16, 0xc2ce8ed0, v32
	v_add_f32_e32 v33, v33, v34
	v_cvt_i32_f32_e32 v34, v35
	s_delay_alu instid0(VALU_DEP_2) | instskip(NEXT) | instid1(TRANS32_DEP_1)
	v_exp_f32_e32 v33, v33
	v_ldexp_f32 v33, v33, v34
	s_wait_alu 0xf1ff
	s_delay_alu instid0(VALU_DEP_1) | instskip(SKIP_2) | instid1(VALU_DEP_1)
	v_cndmask_b32_e64 v33, 0, v33, s16
	v_cmp_nlt_f32_e64 s16, 0x42b17218, v32
	s_wait_alu 0xf1ff
	v_cndmask_b32_e64 v34, 0x7f800000, v33, s16
	s_delay_alu instid0(VALU_DEP_1) | instskip(NEXT) | instid1(VALU_DEP_1)
	v_add_f32_e32 v35, 1.0, v34
	v_cvt_f64_f32_e32 v[32:33], v35
	s_delay_alu instid0(VALU_DEP_1) | instskip(SKIP_1) | instid1(VALU_DEP_1)
	v_frexp_exp_i32_f64_e32 v32, v[32:33]
	v_frexp_mant_f32_e32 v33, v35
	v_cmp_gt_f32_e64 s16, 0x3f2aaaab, v33
	v_add_f32_e32 v33, -1.0, v35
	s_delay_alu instid0(VALU_DEP_1)
	v_sub_f32_e32 v37, v33, v35
	v_sub_f32_e32 v33, v34, v33
	s_wait_alu 0xf1ff
	v_subrev_co_ci_u32_e64 v32, null, 0, v32, s16
	s_mov_b32 s16, 0x3e9b6dac
	v_sub_nc_u32_e32 v36, 0, v32
	v_cvt_f32_i32_e32 v32, v32
	s_delay_alu instid0(VALU_DEP_2) | instskip(NEXT) | instid1(VALU_DEP_1)
	v_ldexp_f32 v35, v35, v36
	v_dual_add_f32 v38, 1.0, v35 :: v_dual_add_f32 v37, 1.0, v37
	s_delay_alu instid0(VALU_DEP_1) | instskip(NEXT) | instid1(VALU_DEP_2)
	v_add_f32_e32 v33, v33, v37
	v_add_f32_e32 v37, -1.0, v38
	s_delay_alu instid0(VALU_DEP_2) | instskip(NEXT) | instid1(VALU_DEP_2)
	v_ldexp_f32 v33, v33, v36
	v_dual_add_f32 v36, -1.0, v35 :: v_dual_sub_f32 v37, v35, v37
	s_delay_alu instid0(VALU_DEP_1) | instskip(NEXT) | instid1(VALU_DEP_2)
	v_add_f32_e32 v39, 1.0, v36
	v_add_f32_e32 v37, v33, v37
	s_delay_alu instid0(VALU_DEP_2) | instskip(NEXT) | instid1(VALU_DEP_2)
	v_sub_f32_e32 v35, v35, v39
	v_add_f32_e32 v39, v38, v37
	s_delay_alu instid0(VALU_DEP_2) | instskip(NEXT) | instid1(VALU_DEP_2)
	v_add_f32_e32 v33, v33, v35
	v_rcp_f32_e32 v35, v39
	v_sub_f32_e32 v38, v38, v39
	s_delay_alu instid0(VALU_DEP_1) | instskip(NEXT) | instid1(VALU_DEP_1)
	v_dual_add_f32 v40, v36, v33 :: v_dual_add_f32 v37, v37, v38
	v_sub_f32_e32 v36, v36, v40
	s_delay_alu instid0(TRANS32_DEP_1) | instskip(NEXT) | instid1(VALU_DEP_1)
	v_mul_f32_e32 v41, v40, v35
	v_dual_add_f32 v33, v33, v36 :: v_dual_mul_f32 v42, v39, v41
	s_delay_alu instid0(VALU_DEP_1) | instskip(NEXT) | instid1(VALU_DEP_1)
	v_fma_f32 v38, v41, v39, -v42
	v_fmac_f32_e32 v38, v41, v37
	s_delay_alu instid0(VALU_DEP_1) | instskip(NEXT) | instid1(VALU_DEP_1)
	v_add_f32_e32 v43, v42, v38
	v_sub_f32_e32 v44, v40, v43
	v_sub_f32_e32 v36, v43, v42
	s_delay_alu instid0(VALU_DEP_2) | instskip(NEXT) | instid1(VALU_DEP_2)
	v_sub_f32_e32 v40, v40, v44
	v_sub_f32_e32 v36, v36, v38
	s_delay_alu instid0(VALU_DEP_2) | instskip(NEXT) | instid1(VALU_DEP_1)
	v_sub_f32_e32 v40, v40, v43
	v_add_f32_e32 v33, v33, v40
	s_delay_alu instid0(VALU_DEP_1) | instskip(NEXT) | instid1(VALU_DEP_1)
	v_add_f32_e32 v33, v36, v33
	v_add_f32_e32 v36, v44, v33
	s_delay_alu instid0(VALU_DEP_1) | instskip(NEXT) | instid1(VALU_DEP_1)
	v_mul_f32_e32 v38, v35, v36
	v_dual_sub_f32 v43, v44, v36 :: v_dual_mul_f32 v40, v39, v38
	s_delay_alu instid0(VALU_DEP_1) | instskip(NEXT) | instid1(VALU_DEP_2)
	v_add_f32_e32 v33, v33, v43
	v_fma_f32 v39, v38, v39, -v40
	s_delay_alu instid0(VALU_DEP_1) | instskip(NEXT) | instid1(VALU_DEP_1)
	v_fmac_f32_e32 v39, v38, v37
	v_add_f32_e32 v37, v40, v39
	s_delay_alu instid0(VALU_DEP_1) | instskip(SKIP_1) | instid1(VALU_DEP_2)
	v_sub_f32_e32 v42, v36, v37
	v_sub_f32_e32 v40, v37, v40
	v_sub_f32_e32 v36, v36, v42
	s_delay_alu instid0(VALU_DEP_1) | instskip(NEXT) | instid1(VALU_DEP_3)
	v_sub_f32_e32 v36, v36, v37
	v_sub_f32_e32 v37, v40, v39
	s_delay_alu instid0(VALU_DEP_2) | instskip(SKIP_1) | instid1(VALU_DEP_2)
	v_add_f32_e32 v33, v33, v36
	v_add_f32_e32 v36, v41, v38
	;; [unrolled: 1-line block ×3, first 2 shown]
	s_delay_alu instid0(VALU_DEP_2) | instskip(NEXT) | instid1(VALU_DEP_2)
	v_sub_f32_e32 v37, v36, v41
	v_add_f32_e32 v33, v42, v33
	s_delay_alu instid0(VALU_DEP_2) | instskip(NEXT) | instid1(VALU_DEP_2)
	v_sub_f32_e32 v37, v38, v37
	v_mul_f32_e32 v33, v35, v33
	s_delay_alu instid0(VALU_DEP_1) | instskip(NEXT) | instid1(VALU_DEP_1)
	v_add_f32_e32 v33, v37, v33
	v_add_f32_e32 v35, v36, v33
	s_delay_alu instid0(VALU_DEP_1) | instskip(SKIP_1) | instid1(VALU_DEP_1)
	v_mul_f32_e32 v37, v35, v35
	s_wait_alu 0xfffe
	v_fmaak_f32 v38, s16, v37, 0x3ecc95a3
	v_mul_f32_e32 v39, v35, v37
	v_cmp_neq_f32_e64 s16, 0x7f800000, v34
	s_delay_alu instid0(VALU_DEP_3) | instskip(SKIP_2) | instid1(VALU_DEP_3)
	v_fmaak_f32 v37, v37, v38, 0x3f2aaada
	v_ldexp_f32 v38, v35, 1
	v_sub_f32_e32 v35, v35, v36
	v_mul_f32_e32 v37, v39, v37
	v_mul_f32_e32 v39, 0x3f317218, v32
	s_delay_alu instid0(VALU_DEP_2) | instskip(NEXT) | instid1(VALU_DEP_1)
	v_dual_sub_f32 v33, v33, v35 :: v_dual_add_f32 v36, v38, v37
	v_ldexp_f32 v33, v33, 1
	s_delay_alu instid0(VALU_DEP_2) | instskip(NEXT) | instid1(VALU_DEP_4)
	v_sub_f32_e32 v35, v36, v38
	v_fma_f32 v38, 0x3f317218, v32, -v39
	s_delay_alu instid0(VALU_DEP_1) | instskip(NEXT) | instid1(VALU_DEP_1)
	v_dual_sub_f32 v35, v37, v35 :: v_dual_fmamk_f32 v32, v32, 0xb102e308, v38
	v_add_f32_e32 v33, v33, v35
	s_delay_alu instid0(VALU_DEP_2) | instskip(NEXT) | instid1(VALU_DEP_2)
	v_add_f32_e32 v35, v39, v32
	v_add_f32_e32 v37, v36, v33
	s_delay_alu instid0(VALU_DEP_2) | instskip(NEXT) | instid1(VALU_DEP_2)
	v_sub_f32_e32 v39, v35, v39
	v_add_f32_e32 v38, v35, v37
	v_sub_f32_e32 v36, v37, v36
	s_delay_alu instid0(VALU_DEP_3) | instskip(NEXT) | instid1(VALU_DEP_2)
	v_sub_f32_e32 v32, v32, v39
	v_dual_sub_f32 v40, v38, v35 :: v_dual_sub_f32 v33, v33, v36
	s_delay_alu instid0(VALU_DEP_1) | instskip(NEXT) | instid1(VALU_DEP_2)
	v_sub_f32_e32 v41, v38, v40
	v_dual_sub_f32 v36, v37, v40 :: v_dual_add_f32 v37, v32, v33
	s_delay_alu instid0(VALU_DEP_2) | instskip(NEXT) | instid1(VALU_DEP_1)
	v_sub_f32_e32 v35, v35, v41
	v_dual_add_f32 v35, v36, v35 :: v_dual_sub_f32 v36, v37, v32
	s_delay_alu instid0(VALU_DEP_1) | instskip(NEXT) | instid1(VALU_DEP_2)
	v_add_f32_e32 v35, v37, v35
	v_sub_f32_e32 v37, v37, v36
	v_sub_f32_e32 v33, v33, v36
	s_delay_alu instid0(VALU_DEP_2) | instskip(NEXT) | instid1(VALU_DEP_1)
	v_dual_add_f32 v39, v38, v35 :: v_dual_sub_f32 v32, v32, v37
	v_sub_f32_e32 v36, v39, v38
	s_delay_alu instid0(VALU_DEP_2) | instskip(NEXT) | instid1(VALU_DEP_2)
	v_add_f32_e32 v32, v33, v32
	v_sub_f32_e32 v33, v35, v36
	s_delay_alu instid0(VALU_DEP_1) | instskip(NEXT) | instid1(VALU_DEP_1)
	v_add_f32_e32 v32, v32, v33
	v_add_f32_e32 v32, v39, v32
	s_wait_alu 0xf1ff
	s_delay_alu instid0(VALU_DEP_1) | instskip(SKIP_2) | instid1(VALU_DEP_1)
	v_cndmask_b32_e64 v32, 0x7f800000, v32, s16
	v_cmp_gt_f32_e64 s16, 0x33800000, |v34|
	s_wait_alu 0xf1ff
	v_cndmask_b32_e64 v32, v32, v34, s16
	s_delay_alu instid0(VALU_DEP_1) | instskip(NEXT) | instid1(VALU_DEP_1)
	v_add_f32_e32 v10, v10, v32
	v_cvt_f16_f32_e32 v34, v10
.LBB421_85:
	s_or_b32 exec_lo, exec_lo, s37
	s_delay_alu instid0(VALU_DEP_1)
	v_dual_mov_b32 v32, v34 :: v_dual_and_b32 v33, 0xffff, v34
.LBB421_86:
	s_or_b32 exec_lo, exec_lo, s36
	ds_swizzle_b32 v33, v33 offset:swizzle(BROADCAST,32,15)
	v_and_b32_e32 v10, 16, v9
	s_mov_b32 s36, exec_lo
	s_delay_alu instid0(VALU_DEP_1)
	v_cmpx_ne_u32_e32 0, v10
	s_cbranch_execz .LBB421_90
; %bb.87:
	s_wait_dscnt 0x0
	v_cvt_f32_f16_e32 v10, v33
	v_cvt_f32_f16_e32 v34, v32
	v_cmp_u_f16_e64 s16, v33, v33
	s_delay_alu instid0(VALU_DEP_2) | instskip(SKIP_2) | instid1(VALU_DEP_2)
	v_min_num_f32_e32 v35, v10, v34
	v_max_num_f32_e32 v36, v10, v34
	s_wait_alu 0xf1ff
	v_cndmask_b32_e64 v35, v35, v10, s16
	s_delay_alu instid0(VALU_DEP_2) | instskip(SKIP_2) | instid1(VALU_DEP_1)
	v_cndmask_b32_e64 v10, v36, v10, s16
	v_cmp_u_f16_e64 s16, v32, v32
	s_wait_alu 0xf1ff
	v_cndmask_b32_e64 v32, v35, v34, s16
	s_delay_alu instid0(VALU_DEP_3) | instskip(NEXT) | instid1(VALU_DEP_2)
	v_cndmask_b32_e64 v10, v10, v34, s16
	v_cmp_class_f32_e64 s37, v32, 0x1f8
	s_delay_alu instid0(VALU_DEP_2)
	v_cmp_neq_f32_e64 s16, v32, v10
	s_or_b32 s16, s16, s37
	s_wait_alu 0xfffe
	s_and_saveexec_b32 s37, s16
	s_cbranch_execz .LBB421_89
; %bb.88:
	v_sub_f32_e32 v32, v32, v10
	s_delay_alu instid0(VALU_DEP_1) | instskip(NEXT) | instid1(VALU_DEP_1)
	v_mul_f32_e32 v33, 0x3fb8aa3b, v32
	v_fma_f32 v34, 0x3fb8aa3b, v32, -v33
	v_rndne_f32_e32 v35, v33
	s_delay_alu instid0(VALU_DEP_1) | instskip(SKIP_1) | instid1(VALU_DEP_2)
	v_dual_sub_f32 v33, v33, v35 :: v_dual_fmamk_f32 v34, v32, 0x32a5705f, v34
	v_cmp_ngt_f32_e64 s16, 0xc2ce8ed0, v32
	v_add_f32_e32 v33, v33, v34
	v_cvt_i32_f32_e32 v34, v35
	s_delay_alu instid0(VALU_DEP_2) | instskip(NEXT) | instid1(TRANS32_DEP_1)
	v_exp_f32_e32 v33, v33
	v_ldexp_f32 v33, v33, v34
	s_wait_alu 0xf1ff
	s_delay_alu instid0(VALU_DEP_1) | instskip(SKIP_2) | instid1(VALU_DEP_1)
	v_cndmask_b32_e64 v33, 0, v33, s16
	v_cmp_nlt_f32_e64 s16, 0x42b17218, v32
	s_wait_alu 0xf1ff
	v_cndmask_b32_e64 v34, 0x7f800000, v33, s16
	s_delay_alu instid0(VALU_DEP_1) | instskip(NEXT) | instid1(VALU_DEP_1)
	v_add_f32_e32 v35, 1.0, v34
	v_cvt_f64_f32_e32 v[32:33], v35
	s_delay_alu instid0(VALU_DEP_1) | instskip(SKIP_1) | instid1(VALU_DEP_1)
	v_frexp_exp_i32_f64_e32 v32, v[32:33]
	v_frexp_mant_f32_e32 v33, v35
	v_cmp_gt_f32_e64 s16, 0x3f2aaaab, v33
	v_add_f32_e32 v33, -1.0, v35
	s_delay_alu instid0(VALU_DEP_1)
	v_sub_f32_e32 v37, v33, v35
	v_sub_f32_e32 v33, v34, v33
	s_wait_alu 0xf1ff
	v_subrev_co_ci_u32_e64 v32, null, 0, v32, s16
	s_mov_b32 s16, 0x3e9b6dac
	v_sub_nc_u32_e32 v36, 0, v32
	v_cvt_f32_i32_e32 v32, v32
	s_delay_alu instid0(VALU_DEP_2) | instskip(NEXT) | instid1(VALU_DEP_1)
	v_ldexp_f32 v35, v35, v36
	v_dual_add_f32 v38, 1.0, v35 :: v_dual_add_f32 v37, 1.0, v37
	s_delay_alu instid0(VALU_DEP_1) | instskip(NEXT) | instid1(VALU_DEP_2)
	v_add_f32_e32 v33, v33, v37
	v_add_f32_e32 v37, -1.0, v38
	s_delay_alu instid0(VALU_DEP_2) | instskip(NEXT) | instid1(VALU_DEP_2)
	v_ldexp_f32 v33, v33, v36
	v_dual_add_f32 v36, -1.0, v35 :: v_dual_sub_f32 v37, v35, v37
	s_delay_alu instid0(VALU_DEP_1) | instskip(NEXT) | instid1(VALU_DEP_2)
	v_add_f32_e32 v39, 1.0, v36
	v_add_f32_e32 v37, v33, v37
	s_delay_alu instid0(VALU_DEP_2) | instskip(NEXT) | instid1(VALU_DEP_2)
	v_sub_f32_e32 v35, v35, v39
	v_add_f32_e32 v39, v38, v37
	s_delay_alu instid0(VALU_DEP_2) | instskip(NEXT) | instid1(VALU_DEP_2)
	v_add_f32_e32 v33, v33, v35
	v_rcp_f32_e32 v35, v39
	v_sub_f32_e32 v38, v38, v39
	s_delay_alu instid0(VALU_DEP_1) | instskip(NEXT) | instid1(VALU_DEP_1)
	v_dual_add_f32 v40, v36, v33 :: v_dual_add_f32 v37, v37, v38
	v_sub_f32_e32 v36, v36, v40
	s_delay_alu instid0(TRANS32_DEP_1) | instskip(NEXT) | instid1(VALU_DEP_1)
	v_mul_f32_e32 v41, v40, v35
	v_dual_add_f32 v33, v33, v36 :: v_dual_mul_f32 v42, v39, v41
	s_delay_alu instid0(VALU_DEP_1) | instskip(NEXT) | instid1(VALU_DEP_1)
	v_fma_f32 v38, v41, v39, -v42
	v_fmac_f32_e32 v38, v41, v37
	s_delay_alu instid0(VALU_DEP_1) | instskip(NEXT) | instid1(VALU_DEP_1)
	v_add_f32_e32 v43, v42, v38
	v_sub_f32_e32 v44, v40, v43
	v_sub_f32_e32 v36, v43, v42
	s_delay_alu instid0(VALU_DEP_2) | instskip(NEXT) | instid1(VALU_DEP_2)
	v_sub_f32_e32 v40, v40, v44
	v_sub_f32_e32 v36, v36, v38
	s_delay_alu instid0(VALU_DEP_2) | instskip(NEXT) | instid1(VALU_DEP_1)
	v_sub_f32_e32 v40, v40, v43
	v_add_f32_e32 v33, v33, v40
	s_delay_alu instid0(VALU_DEP_1) | instskip(NEXT) | instid1(VALU_DEP_1)
	v_add_f32_e32 v33, v36, v33
	v_add_f32_e32 v36, v44, v33
	s_delay_alu instid0(VALU_DEP_1) | instskip(NEXT) | instid1(VALU_DEP_1)
	v_mul_f32_e32 v38, v35, v36
	v_dual_sub_f32 v43, v44, v36 :: v_dual_mul_f32 v40, v39, v38
	s_delay_alu instid0(VALU_DEP_1) | instskip(NEXT) | instid1(VALU_DEP_2)
	v_add_f32_e32 v33, v33, v43
	v_fma_f32 v39, v38, v39, -v40
	s_delay_alu instid0(VALU_DEP_1) | instskip(NEXT) | instid1(VALU_DEP_1)
	v_fmac_f32_e32 v39, v38, v37
	v_add_f32_e32 v37, v40, v39
	s_delay_alu instid0(VALU_DEP_1) | instskip(SKIP_1) | instid1(VALU_DEP_2)
	v_sub_f32_e32 v42, v36, v37
	v_sub_f32_e32 v40, v37, v40
	;; [unrolled: 1-line block ×3, first 2 shown]
	s_delay_alu instid0(VALU_DEP_1) | instskip(NEXT) | instid1(VALU_DEP_3)
	v_sub_f32_e32 v36, v36, v37
	v_sub_f32_e32 v37, v40, v39
	s_delay_alu instid0(VALU_DEP_2) | instskip(SKIP_1) | instid1(VALU_DEP_2)
	v_add_f32_e32 v33, v33, v36
	v_add_f32_e32 v36, v41, v38
	;; [unrolled: 1-line block ×3, first 2 shown]
	s_delay_alu instid0(VALU_DEP_2) | instskip(NEXT) | instid1(VALU_DEP_2)
	v_sub_f32_e32 v37, v36, v41
	v_add_f32_e32 v33, v42, v33
	s_delay_alu instid0(VALU_DEP_2) | instskip(NEXT) | instid1(VALU_DEP_2)
	v_sub_f32_e32 v37, v38, v37
	v_mul_f32_e32 v33, v35, v33
	s_delay_alu instid0(VALU_DEP_1) | instskip(NEXT) | instid1(VALU_DEP_1)
	v_add_f32_e32 v33, v37, v33
	v_add_f32_e32 v35, v36, v33
	s_delay_alu instid0(VALU_DEP_1) | instskip(SKIP_1) | instid1(VALU_DEP_1)
	v_mul_f32_e32 v37, v35, v35
	s_wait_alu 0xfffe
	v_fmaak_f32 v38, s16, v37, 0x3ecc95a3
	v_mul_f32_e32 v39, v35, v37
	v_cmp_neq_f32_e64 s16, 0x7f800000, v34
	s_delay_alu instid0(VALU_DEP_3) | instskip(SKIP_2) | instid1(VALU_DEP_3)
	v_fmaak_f32 v37, v37, v38, 0x3f2aaada
	v_ldexp_f32 v38, v35, 1
	v_sub_f32_e32 v35, v35, v36
	v_mul_f32_e32 v37, v39, v37
	v_mul_f32_e32 v39, 0x3f317218, v32
	s_delay_alu instid0(VALU_DEP_2) | instskip(NEXT) | instid1(VALU_DEP_1)
	v_dual_sub_f32 v33, v33, v35 :: v_dual_add_f32 v36, v38, v37
	v_ldexp_f32 v33, v33, 1
	s_delay_alu instid0(VALU_DEP_2) | instskip(NEXT) | instid1(VALU_DEP_4)
	v_sub_f32_e32 v35, v36, v38
	v_fma_f32 v38, 0x3f317218, v32, -v39
	s_delay_alu instid0(VALU_DEP_1) | instskip(NEXT) | instid1(VALU_DEP_1)
	v_dual_sub_f32 v35, v37, v35 :: v_dual_fmamk_f32 v32, v32, 0xb102e308, v38
	v_add_f32_e32 v33, v33, v35
	s_delay_alu instid0(VALU_DEP_2) | instskip(NEXT) | instid1(VALU_DEP_2)
	v_add_f32_e32 v35, v39, v32
	v_add_f32_e32 v37, v36, v33
	s_delay_alu instid0(VALU_DEP_2) | instskip(NEXT) | instid1(VALU_DEP_2)
	v_sub_f32_e32 v39, v35, v39
	v_add_f32_e32 v38, v35, v37
	v_sub_f32_e32 v36, v37, v36
	s_delay_alu instid0(VALU_DEP_3) | instskip(NEXT) | instid1(VALU_DEP_2)
	v_sub_f32_e32 v32, v32, v39
	v_dual_sub_f32 v40, v38, v35 :: v_dual_sub_f32 v33, v33, v36
	s_delay_alu instid0(VALU_DEP_1) | instskip(NEXT) | instid1(VALU_DEP_2)
	v_sub_f32_e32 v41, v38, v40
	v_dual_sub_f32 v36, v37, v40 :: v_dual_add_f32 v37, v32, v33
	s_delay_alu instid0(VALU_DEP_2) | instskip(NEXT) | instid1(VALU_DEP_1)
	v_sub_f32_e32 v35, v35, v41
	v_dual_add_f32 v35, v36, v35 :: v_dual_sub_f32 v36, v37, v32
	s_delay_alu instid0(VALU_DEP_1) | instskip(NEXT) | instid1(VALU_DEP_2)
	v_add_f32_e32 v35, v37, v35
	v_sub_f32_e32 v37, v37, v36
	v_sub_f32_e32 v33, v33, v36
	s_delay_alu instid0(VALU_DEP_2) | instskip(NEXT) | instid1(VALU_DEP_1)
	v_dual_add_f32 v39, v38, v35 :: v_dual_sub_f32 v32, v32, v37
	v_sub_f32_e32 v36, v39, v38
	s_delay_alu instid0(VALU_DEP_2) | instskip(NEXT) | instid1(VALU_DEP_2)
	v_add_f32_e32 v32, v33, v32
	v_sub_f32_e32 v33, v35, v36
	s_delay_alu instid0(VALU_DEP_1) | instskip(NEXT) | instid1(VALU_DEP_1)
	v_add_f32_e32 v32, v32, v33
	v_add_f32_e32 v32, v39, v32
	s_wait_alu 0xf1ff
	s_delay_alu instid0(VALU_DEP_1) | instskip(SKIP_2) | instid1(VALU_DEP_1)
	v_cndmask_b32_e64 v32, 0x7f800000, v32, s16
	v_cmp_gt_f32_e64 s16, 0x33800000, |v34|
	s_wait_alu 0xf1ff
	v_cndmask_b32_e64 v32, v32, v34, s16
	s_delay_alu instid0(VALU_DEP_1) | instskip(NEXT) | instid1(VALU_DEP_1)
	v_add_f32_e32 v10, v10, v32
	v_cvt_f16_f32_e32 v33, v10
.LBB421_89:
	s_or_b32 exec_lo, exec_lo, s37
	s_delay_alu instid0(VALU_DEP_1)
	v_mov_b32_e32 v32, v33
.LBB421_90:
	s_or_b32 exec_lo, exec_lo, s36
	v_add_nc_u32_e32 v10, -1, v9
	s_delay_alu instid0(VALU_DEP_1) | instskip(SKIP_1) | instid1(VALU_DEP_1)
	v_cmp_gt_i32_e64 s16, 0, v10
	s_wait_alu 0xf1ff
	v_cndmask_b32_e64 v9, v10, v9, s16
	v_and_b32_e32 v10, 0xffff, v32
	s_delay_alu instid0(VALU_DEP_2)
	v_lshlrev_b32_e32 v9, 2, v9
	ds_bpermute_b32 v9, v9, v10
	v_max_num_f32_e32 v10, v8, v8
	s_wait_dscnt 0x0
	v_cvt_f32_f16_e32 v32, v9
	v_cmp_u_f16_e64 s16, v9, v9
	s_delay_alu instid0(VALU_DEP_2) | instskip(SKIP_2) | instid1(VALU_DEP_2)
	v_min_num_f32_e32 v33, v32, v10
	v_max_num_f32_e32 v10, v32, v10
	s_wait_alu 0xf1ff
	v_cndmask_b32_e64 v33, v33, v32, s16
	s_delay_alu instid0(VALU_DEP_2) | instskip(NEXT) | instid1(VALU_DEP_2)
	v_cndmask_b32_e64 v32, v10, v32, s16
	v_cndmask_b32_e64 v10, v33, v8, s15
	s_delay_alu instid0(VALU_DEP_2) | instskip(NEXT) | instid1(VALU_DEP_2)
	v_cndmask_b32_e64 v8, v32, v8, s15
	v_cmp_class_f32_e64 s16, v10, 0x1f8
	s_delay_alu instid0(VALU_DEP_2)
	v_cmp_neq_f32_e64 s15, v10, v8
	s_or_b32 s15, s15, s16
	s_wait_alu 0xfffe
	s_and_saveexec_b32 s16, s15
	s_cbranch_execz .LBB421_92
; %bb.91:
	v_sub_f32_e32 v9, v10, v8
	s_delay_alu instid0(VALU_DEP_1) | instskip(SKIP_1) | instid1(VALU_DEP_2)
	v_mul_f32_e32 v10, 0x3fb8aa3b, v9
	v_cmp_ngt_f32_e64 s15, 0xc2ce8ed0, v9
	v_fma_f32 v32, 0x3fb8aa3b, v9, -v10
	v_rndne_f32_e32 v33, v10
	s_delay_alu instid0(VALU_DEP_2) | instskip(NEXT) | instid1(VALU_DEP_2)
	v_fmamk_f32 v32, v9, 0x32a5705f, v32
	v_sub_f32_e32 v10, v10, v33
	s_delay_alu instid0(VALU_DEP_1) | instskip(SKIP_1) | instid1(VALU_DEP_2)
	v_add_f32_e32 v10, v10, v32
	v_cvt_i32_f32_e32 v32, v33
	v_exp_f32_e32 v10, v10
	s_delay_alu instid0(TRANS32_DEP_1) | instskip(SKIP_1) | instid1(VALU_DEP_1)
	v_ldexp_f32 v10, v10, v32
	s_wait_alu 0xf1ff
	v_cndmask_b32_e64 v10, 0, v10, s15
	v_cmp_nlt_f32_e64 s15, 0x42b17218, v9
	s_wait_alu 0xf1ff
	s_delay_alu instid0(VALU_DEP_1) | instskip(NEXT) | instid1(VALU_DEP_1)
	v_cndmask_b32_e64 v32, 0x7f800000, v10, s15
	v_add_f32_e32 v33, 1.0, v32
	s_delay_alu instid0(VALU_DEP_1) | instskip(NEXT) | instid1(VALU_DEP_1)
	v_cvt_f64_f32_e32 v[9:10], v33
	v_frexp_exp_i32_f64_e32 v9, v[9:10]
	v_frexp_mant_f32_e32 v10, v33
	s_delay_alu instid0(VALU_DEP_1) | instskip(SKIP_1) | instid1(VALU_DEP_1)
	v_cmp_gt_f32_e64 s15, 0x3f2aaaab, v10
	v_add_f32_e32 v10, -1.0, v33
	v_sub_f32_e32 v35, v10, v33
	s_delay_alu instid0(VALU_DEP_1)
	v_add_f32_e32 v35, 1.0, v35
	s_wait_alu 0xf1ff
	v_subrev_co_ci_u32_e64 v9, null, 0, v9, s15
	s_mov_b32 s15, 0x3e9b6dac
	v_sub_nc_u32_e32 v34, 0, v9
	v_cvt_f32_i32_e32 v9, v9
	s_delay_alu instid0(VALU_DEP_2) | instskip(NEXT) | instid1(VALU_DEP_1)
	v_ldexp_f32 v33, v33, v34
	v_add_f32_e32 v36, 1.0, v33
	v_sub_f32_e32 v10, v32, v10
	s_delay_alu instid0(VALU_DEP_1) | instskip(NEXT) | instid1(VALU_DEP_1)
	v_add_f32_e32 v10, v10, v35
	v_ldexp_f32 v10, v10, v34
	v_add_f32_e32 v34, -1.0, v33
	s_delay_alu instid0(VALU_DEP_1) | instskip(SKIP_1) | instid1(VALU_DEP_1)
	v_add_f32_e32 v37, 1.0, v34
	v_add_f32_e32 v35, -1.0, v36
	v_sub_f32_e32 v35, v33, v35
	s_delay_alu instid0(VALU_DEP_3) | instskip(NEXT) | instid1(VALU_DEP_2)
	v_sub_f32_e32 v33, v33, v37
	v_add_f32_e32 v35, v10, v35
	s_delay_alu instid0(VALU_DEP_1) | instskip(NEXT) | instid1(VALU_DEP_1)
	v_dual_add_f32 v10, v10, v33 :: v_dual_add_f32 v37, v36, v35
	v_rcp_f32_e32 v33, v37
	v_sub_f32_e32 v36, v36, v37
	s_delay_alu instid0(VALU_DEP_1) | instskip(NEXT) | instid1(VALU_DEP_1)
	v_dual_add_f32 v38, v34, v10 :: v_dual_add_f32 v35, v35, v36
	v_sub_f32_e32 v34, v34, v38
	s_delay_alu instid0(TRANS32_DEP_1) | instskip(NEXT) | instid1(VALU_DEP_2)
	v_mul_f32_e32 v39, v38, v33
	v_add_f32_e32 v10, v10, v34
	s_delay_alu instid0(VALU_DEP_2) | instskip(NEXT) | instid1(VALU_DEP_1)
	v_mul_f32_e32 v40, v37, v39
	v_fma_f32 v36, v39, v37, -v40
	s_delay_alu instid0(VALU_DEP_1) | instskip(NEXT) | instid1(VALU_DEP_1)
	v_fmac_f32_e32 v36, v39, v35
	v_add_f32_e32 v41, v40, v36
	s_delay_alu instid0(VALU_DEP_1) | instskip(SKIP_1) | instid1(VALU_DEP_2)
	v_sub_f32_e32 v42, v38, v41
	v_sub_f32_e32 v34, v41, v40
	;; [unrolled: 1-line block ×3, first 2 shown]
	s_delay_alu instid0(VALU_DEP_2) | instskip(NEXT) | instid1(VALU_DEP_2)
	v_sub_f32_e32 v34, v34, v36
	v_sub_f32_e32 v38, v38, v41
	s_delay_alu instid0(VALU_DEP_1) | instskip(NEXT) | instid1(VALU_DEP_1)
	v_add_f32_e32 v10, v10, v38
	v_add_f32_e32 v10, v34, v10
	s_delay_alu instid0(VALU_DEP_1) | instskip(NEXT) | instid1(VALU_DEP_1)
	v_add_f32_e32 v34, v42, v10
	v_mul_f32_e32 v36, v33, v34
	s_delay_alu instid0(VALU_DEP_1) | instskip(NEXT) | instid1(VALU_DEP_1)
	v_mul_f32_e32 v38, v37, v36
	v_fma_f32 v37, v36, v37, -v38
	s_delay_alu instid0(VALU_DEP_1) | instskip(SKIP_1) | instid1(VALU_DEP_2)
	v_fmac_f32_e32 v37, v36, v35
	v_sub_f32_e32 v41, v42, v34
	v_add_f32_e32 v35, v38, v37
	s_delay_alu instid0(VALU_DEP_2) | instskip(NEXT) | instid1(VALU_DEP_2)
	v_add_f32_e32 v10, v10, v41
	v_sub_f32_e32 v40, v34, v35
	v_sub_f32_e32 v38, v35, v38
	s_delay_alu instid0(VALU_DEP_2) | instskip(NEXT) | instid1(VALU_DEP_1)
	v_sub_f32_e32 v34, v34, v40
	v_sub_f32_e32 v34, v34, v35
	s_delay_alu instid0(VALU_DEP_3) | instskip(NEXT) | instid1(VALU_DEP_2)
	v_sub_f32_e32 v35, v38, v37
	v_add_f32_e32 v10, v10, v34
	v_add_f32_e32 v34, v39, v36
	s_delay_alu instid0(VALU_DEP_1) | instskip(NEXT) | instid1(VALU_DEP_1)
	v_dual_add_f32 v10, v35, v10 :: v_dual_sub_f32 v35, v34, v39
	v_add_f32_e32 v10, v40, v10
	s_delay_alu instid0(VALU_DEP_1) | instskip(NEXT) | instid1(VALU_DEP_1)
	v_dual_sub_f32 v35, v36, v35 :: v_dual_mul_f32 v10, v33, v10
	v_add_f32_e32 v10, v35, v10
	s_delay_alu instid0(VALU_DEP_1) | instskip(NEXT) | instid1(VALU_DEP_1)
	v_add_f32_e32 v33, v34, v10
	v_mul_f32_e32 v35, v33, v33
	s_wait_alu 0xfffe
	s_delay_alu instid0(VALU_DEP_1) | instskip(SKIP_2) | instid1(VALU_DEP_3)
	v_fmaak_f32 v36, s15, v35, 0x3ecc95a3
	v_mul_f32_e32 v37, v33, v35
	v_cmp_neq_f32_e64 s15, 0x7f800000, v32
	v_fmaak_f32 v35, v35, v36, 0x3f2aaada
	v_ldexp_f32 v36, v33, 1
	v_sub_f32_e32 v33, v33, v34
	s_delay_alu instid0(VALU_DEP_3) | instskip(SKIP_1) | instid1(VALU_DEP_3)
	v_mul_f32_e32 v35, v37, v35
	v_mul_f32_e32 v37, 0x3f317218, v9
	v_sub_f32_e32 v10, v10, v33
	s_delay_alu instid0(VALU_DEP_3) | instskip(NEXT) | instid1(VALU_DEP_2)
	v_add_f32_e32 v34, v36, v35
	v_ldexp_f32 v10, v10, 1
	s_delay_alu instid0(VALU_DEP_2) | instskip(SKIP_1) | instid1(VALU_DEP_2)
	v_sub_f32_e32 v33, v34, v36
	v_fma_f32 v36, 0x3f317218, v9, -v37
	v_sub_f32_e32 v33, v35, v33
	s_delay_alu instid0(VALU_DEP_1) | instskip(NEXT) | instid1(VALU_DEP_1)
	v_dual_fmamk_f32 v9, v9, 0xb102e308, v36 :: v_dual_add_f32 v10, v10, v33
	v_add_f32_e32 v33, v37, v9
	s_delay_alu instid0(VALU_DEP_2) | instskip(NEXT) | instid1(VALU_DEP_2)
	v_add_f32_e32 v35, v34, v10
	v_sub_f32_e32 v37, v33, v37
	s_delay_alu instid0(VALU_DEP_2) | instskip(NEXT) | instid1(VALU_DEP_2)
	v_add_f32_e32 v36, v33, v35
	v_dual_sub_f32 v34, v35, v34 :: v_dual_sub_f32 v9, v9, v37
	s_delay_alu instid0(VALU_DEP_2) | instskip(NEXT) | instid1(VALU_DEP_2)
	v_sub_f32_e32 v38, v36, v33
	v_sub_f32_e32 v10, v10, v34
	s_delay_alu instid0(VALU_DEP_2) | instskip(SKIP_1) | instid1(VALU_DEP_3)
	v_sub_f32_e32 v39, v36, v38
	v_sub_f32_e32 v34, v35, v38
	v_add_f32_e32 v35, v9, v10
	s_delay_alu instid0(VALU_DEP_3) | instskip(NEXT) | instid1(VALU_DEP_1)
	v_sub_f32_e32 v33, v33, v39
	v_add_f32_e32 v33, v34, v33
	s_delay_alu instid0(VALU_DEP_3) | instskip(NEXT) | instid1(VALU_DEP_2)
	v_sub_f32_e32 v34, v35, v9
	v_add_f32_e32 v33, v35, v33
	s_delay_alu instid0(VALU_DEP_2) | instskip(NEXT) | instid1(VALU_DEP_1)
	v_sub_f32_e32 v35, v35, v34
	v_dual_sub_f32 v10, v10, v34 :: v_dual_sub_f32 v9, v9, v35
	s_delay_alu instid0(VALU_DEP_1) | instskip(NEXT) | instid1(VALU_DEP_4)
	v_add_f32_e32 v9, v10, v9
	v_add_f32_e32 v37, v36, v33
	s_delay_alu instid0(VALU_DEP_1) | instskip(NEXT) | instid1(VALU_DEP_1)
	v_sub_f32_e32 v34, v37, v36
	v_sub_f32_e32 v10, v33, v34
	s_delay_alu instid0(VALU_DEP_1) | instskip(NEXT) | instid1(VALU_DEP_1)
	v_add_f32_e32 v9, v9, v10
	v_add_f32_e32 v9, v37, v9
	s_wait_alu 0xf1ff
	s_delay_alu instid0(VALU_DEP_1) | instskip(SKIP_2) | instid1(VALU_DEP_1)
	v_cndmask_b32_e64 v9, 0x7f800000, v9, s15
	v_cmp_gt_f32_e64 s15, 0x33800000, |v32|
	s_wait_alu 0xf1ff
	v_cndmask_b32_e64 v9, v9, v32, s15
	s_delay_alu instid0(VALU_DEP_1) | instskip(NEXT) | instid1(VALU_DEP_1)
	v_add_f32_e32 v8, v8, v9
	v_cvt_f16_f32_e32 v9, v8
.LBB421_92:
	s_wait_alu 0xfffe
	s_or_b32 exec_lo, exec_lo, s16
	s_delay_alu instid0(VALU_DEP_1)
	v_cndmask_b32_e64 v8, v9, v31, s3
	; wave barrier
	ds_store_b16 v7, v8
	; wave barrier
	ds_load_u16 v10, v7 offset:2
	v_cvt_f32_f16_e32 v9, v8
	v_cmp_u_f16_e64 s15, v8, v8
	s_wait_dscnt 0x0
	v_cvt_f32_f16_e32 v33, v10
	s_delay_alu instid0(VALU_DEP_1) | instskip(SKIP_2) | instid1(VALU_DEP_2)
	v_min_num_f32_e32 v32, v9, v33
	v_max_num_f32_e32 v34, v9, v33
	s_wait_alu 0xf1ff
	v_cndmask_b32_e64 v32, v32, v9, s15
	s_delay_alu instid0(VALU_DEP_2) | instskip(SKIP_2) | instid1(VALU_DEP_1)
	v_cndmask_b32_e64 v34, v34, v9, s15
	v_cmp_u_f16_e64 s15, v10, v10
	s_wait_alu 0xf1ff
	v_cndmask_b32_e64 v32, v32, v33, s15
	s_delay_alu instid0(VALU_DEP_3) | instskip(NEXT) | instid1(VALU_DEP_2)
	v_cndmask_b32_e64 v10, v34, v33, s15
	v_cmp_class_f32_e64 s16, v32, 0x1f8
	s_delay_alu instid0(VALU_DEP_2)
	v_cmp_neq_f32_e64 s15, v32, v10
	s_or_b32 s15, s15, s16
	s_wait_alu 0xfffe
	s_and_saveexec_b32 s16, s15
	s_cbranch_execz .LBB421_94
; %bb.93:
	v_sub_f32_e32 v8, v32, v10
	s_delay_alu instid0(VALU_DEP_1) | instskip(NEXT) | instid1(VALU_DEP_1)
	v_mul_f32_e32 v9, 0x3fb8aa3b, v8
	v_fma_f32 v32, 0x3fb8aa3b, v8, -v9
	v_rndne_f32_e32 v33, v9
	s_delay_alu instid0(VALU_DEP_1) | instskip(SKIP_1) | instid1(VALU_DEP_2)
	v_dual_sub_f32 v9, v9, v33 :: v_dual_fmamk_f32 v32, v8, 0x32a5705f, v32
	v_cmp_ngt_f32_e64 s15, 0xc2ce8ed0, v8
	v_add_f32_e32 v9, v9, v32
	v_cvt_i32_f32_e32 v32, v33
	s_delay_alu instid0(VALU_DEP_2) | instskip(NEXT) | instid1(TRANS32_DEP_1)
	v_exp_f32_e32 v9, v9
	v_ldexp_f32 v9, v9, v32
	s_wait_alu 0xf1ff
	s_delay_alu instid0(VALU_DEP_1) | instskip(SKIP_2) | instid1(VALU_DEP_1)
	v_cndmask_b32_e64 v9, 0, v9, s15
	v_cmp_nlt_f32_e64 s15, 0x42b17218, v8
	s_wait_alu 0xf1ff
	v_cndmask_b32_e64 v32, 0x7f800000, v9, s15
	s_delay_alu instid0(VALU_DEP_1) | instskip(NEXT) | instid1(VALU_DEP_1)
	v_add_f32_e32 v33, 1.0, v32
	v_cvt_f64_f32_e32 v[8:9], v33
	s_delay_alu instid0(VALU_DEP_1) | instskip(SKIP_1) | instid1(VALU_DEP_1)
	v_frexp_exp_i32_f64_e32 v8, v[8:9]
	v_frexp_mant_f32_e32 v9, v33
	v_cmp_gt_f32_e64 s15, 0x3f2aaaab, v9
	v_add_f32_e32 v9, -1.0, v33
	s_delay_alu instid0(VALU_DEP_1)
	v_sub_f32_e32 v35, v9, v33
	v_sub_f32_e32 v9, v32, v9
	s_wait_alu 0xf1ff
	v_subrev_co_ci_u32_e64 v8, null, 0, v8, s15
	s_mov_b32 s15, 0x3e9b6dac
	v_sub_nc_u32_e32 v34, 0, v8
	v_cvt_f32_i32_e32 v8, v8
	s_delay_alu instid0(VALU_DEP_2) | instskip(NEXT) | instid1(VALU_DEP_1)
	v_ldexp_f32 v33, v33, v34
	v_dual_add_f32 v36, 1.0, v33 :: v_dual_add_f32 v35, 1.0, v35
	s_delay_alu instid0(VALU_DEP_1) | instskip(NEXT) | instid1(VALU_DEP_2)
	v_add_f32_e32 v9, v9, v35
	v_add_f32_e32 v35, -1.0, v36
	s_delay_alu instid0(VALU_DEP_2) | instskip(NEXT) | instid1(VALU_DEP_2)
	v_ldexp_f32 v9, v9, v34
	v_dual_add_f32 v34, -1.0, v33 :: v_dual_sub_f32 v35, v33, v35
	s_delay_alu instid0(VALU_DEP_1) | instskip(NEXT) | instid1(VALU_DEP_2)
	v_add_f32_e32 v37, 1.0, v34
	v_add_f32_e32 v35, v9, v35
	s_delay_alu instid0(VALU_DEP_2) | instskip(NEXT) | instid1(VALU_DEP_2)
	v_sub_f32_e32 v33, v33, v37
	v_add_f32_e32 v37, v36, v35
	s_delay_alu instid0(VALU_DEP_2) | instskip(NEXT) | instid1(VALU_DEP_2)
	v_add_f32_e32 v9, v9, v33
	v_rcp_f32_e32 v33, v37
	v_sub_f32_e32 v36, v36, v37
	s_delay_alu instid0(VALU_DEP_1) | instskip(NEXT) | instid1(VALU_DEP_1)
	v_dual_add_f32 v38, v34, v9 :: v_dual_add_f32 v35, v35, v36
	v_sub_f32_e32 v34, v34, v38
	s_delay_alu instid0(TRANS32_DEP_1) | instskip(NEXT) | instid1(VALU_DEP_2)
	v_mul_f32_e32 v39, v38, v33
	v_add_f32_e32 v9, v9, v34
	s_delay_alu instid0(VALU_DEP_2) | instskip(NEXT) | instid1(VALU_DEP_1)
	v_mul_f32_e32 v40, v37, v39
	v_fma_f32 v36, v39, v37, -v40
	s_delay_alu instid0(VALU_DEP_1) | instskip(NEXT) | instid1(VALU_DEP_1)
	v_fmac_f32_e32 v36, v39, v35
	v_add_f32_e32 v41, v40, v36
	s_delay_alu instid0(VALU_DEP_1) | instskip(SKIP_1) | instid1(VALU_DEP_2)
	v_sub_f32_e32 v42, v38, v41
	v_sub_f32_e32 v34, v41, v40
	;; [unrolled: 1-line block ×3, first 2 shown]
	s_delay_alu instid0(VALU_DEP_2) | instskip(NEXT) | instid1(VALU_DEP_2)
	v_sub_f32_e32 v34, v34, v36
	v_sub_f32_e32 v38, v38, v41
	s_delay_alu instid0(VALU_DEP_1) | instskip(NEXT) | instid1(VALU_DEP_1)
	v_add_f32_e32 v9, v9, v38
	v_add_f32_e32 v9, v34, v9
	s_delay_alu instid0(VALU_DEP_1) | instskip(NEXT) | instid1(VALU_DEP_1)
	v_add_f32_e32 v34, v42, v9
	v_mul_f32_e32 v36, v33, v34
	s_delay_alu instid0(VALU_DEP_1) | instskip(NEXT) | instid1(VALU_DEP_1)
	v_dual_sub_f32 v41, v42, v34 :: v_dual_mul_f32 v38, v37, v36
	v_add_f32_e32 v9, v9, v41
	s_delay_alu instid0(VALU_DEP_2) | instskip(NEXT) | instid1(VALU_DEP_1)
	v_fma_f32 v37, v36, v37, -v38
	v_fmac_f32_e32 v37, v36, v35
	s_delay_alu instid0(VALU_DEP_1) | instskip(NEXT) | instid1(VALU_DEP_1)
	v_add_f32_e32 v35, v38, v37
	v_sub_f32_e32 v40, v34, v35
	v_sub_f32_e32 v38, v35, v38
	s_delay_alu instid0(VALU_DEP_2) | instskip(NEXT) | instid1(VALU_DEP_1)
	v_sub_f32_e32 v34, v34, v40
	v_sub_f32_e32 v34, v34, v35
	s_delay_alu instid0(VALU_DEP_3) | instskip(NEXT) | instid1(VALU_DEP_2)
	v_sub_f32_e32 v35, v38, v37
	v_dual_add_f32 v9, v9, v34 :: v_dual_add_f32 v34, v39, v36
	s_delay_alu instid0(VALU_DEP_1) | instskip(NEXT) | instid1(VALU_DEP_2)
	v_add_f32_e32 v9, v35, v9
	v_sub_f32_e32 v35, v34, v39
	s_delay_alu instid0(VALU_DEP_2) | instskip(NEXT) | instid1(VALU_DEP_2)
	v_add_f32_e32 v9, v40, v9
	v_sub_f32_e32 v35, v36, v35
	s_delay_alu instid0(VALU_DEP_2) | instskip(NEXT) | instid1(VALU_DEP_1)
	v_mul_f32_e32 v9, v33, v9
	v_add_f32_e32 v9, v35, v9
	s_delay_alu instid0(VALU_DEP_1) | instskip(NEXT) | instid1(VALU_DEP_1)
	v_add_f32_e32 v33, v34, v9
	v_mul_f32_e32 v35, v33, v33
	s_wait_alu 0xfffe
	s_delay_alu instid0(VALU_DEP_1) | instskip(SKIP_2) | instid1(VALU_DEP_3)
	v_fmaak_f32 v36, s15, v35, 0x3ecc95a3
	v_mul_f32_e32 v37, v33, v35
	v_cmp_neq_f32_e64 s15, 0x7f800000, v32
	v_fmaak_f32 v35, v35, v36, 0x3f2aaada
	v_ldexp_f32 v36, v33, 1
	v_sub_f32_e32 v33, v33, v34
	s_delay_alu instid0(VALU_DEP_3) | instskip(SKIP_1) | instid1(VALU_DEP_2)
	v_mul_f32_e32 v35, v37, v35
	v_mul_f32_e32 v37, 0x3f317218, v8
	v_dual_sub_f32 v9, v9, v33 :: v_dual_add_f32 v34, v36, v35
	s_delay_alu instid0(VALU_DEP_1) | instskip(NEXT) | instid1(VALU_DEP_2)
	v_ldexp_f32 v9, v9, 1
	v_sub_f32_e32 v33, v34, v36
	s_delay_alu instid0(VALU_DEP_4) | instskip(NEXT) | instid1(VALU_DEP_1)
	v_fma_f32 v36, 0x3f317218, v8, -v37
	v_dual_sub_f32 v33, v35, v33 :: v_dual_fmamk_f32 v8, v8, 0xb102e308, v36
	s_delay_alu instid0(VALU_DEP_1) | instskip(NEXT) | instid1(VALU_DEP_2)
	v_add_f32_e32 v9, v9, v33
	v_add_f32_e32 v33, v37, v8
	s_delay_alu instid0(VALU_DEP_2) | instskip(NEXT) | instid1(VALU_DEP_2)
	v_add_f32_e32 v35, v34, v9
	v_sub_f32_e32 v37, v33, v37
	s_delay_alu instid0(VALU_DEP_2) | instskip(SKIP_1) | instid1(VALU_DEP_3)
	v_add_f32_e32 v36, v33, v35
	v_sub_f32_e32 v34, v35, v34
	v_sub_f32_e32 v8, v8, v37
	s_delay_alu instid0(VALU_DEP_2) | instskip(NEXT) | instid1(VALU_DEP_1)
	v_dual_sub_f32 v38, v36, v33 :: v_dual_sub_f32 v9, v9, v34
	v_sub_f32_e32 v39, v36, v38
	s_delay_alu instid0(VALU_DEP_2) | instskip(NEXT) | instid1(VALU_DEP_2)
	v_dual_sub_f32 v34, v35, v38 :: v_dual_add_f32 v35, v8, v9
	v_sub_f32_e32 v33, v33, v39
	s_delay_alu instid0(VALU_DEP_1) | instskip(NEXT) | instid1(VALU_DEP_1)
	v_dual_add_f32 v33, v34, v33 :: v_dual_sub_f32 v34, v35, v8
	v_add_f32_e32 v33, v35, v33
	s_delay_alu instid0(VALU_DEP_2) | instskip(SKIP_1) | instid1(VALU_DEP_3)
	v_sub_f32_e32 v35, v35, v34
	v_sub_f32_e32 v9, v9, v34
	v_add_f32_e32 v37, v36, v33
	s_delay_alu instid0(VALU_DEP_3) | instskip(NEXT) | instid1(VALU_DEP_2)
	v_sub_f32_e32 v8, v8, v35
	v_sub_f32_e32 v34, v37, v36
	s_delay_alu instid0(VALU_DEP_2) | instskip(NEXT) | instid1(VALU_DEP_2)
	v_add_f32_e32 v8, v9, v8
	v_sub_f32_e32 v9, v33, v34
	s_delay_alu instid0(VALU_DEP_1) | instskip(NEXT) | instid1(VALU_DEP_1)
	v_add_f32_e32 v8, v8, v9
	v_add_f32_e32 v8, v37, v8
	s_wait_alu 0xf1ff
	s_delay_alu instid0(VALU_DEP_1) | instskip(SKIP_2) | instid1(VALU_DEP_1)
	v_cndmask_b32_e64 v8, 0x7f800000, v8, s15
	v_cmp_gt_f32_e64 s15, 0x33800000, |v32|
	s_wait_alu 0xf1ff
	v_cndmask_b32_e64 v8, v8, v32, s15
	s_delay_alu instid0(VALU_DEP_1) | instskip(NEXT) | instid1(VALU_DEP_1)
	v_add_f32_e32 v8, v10, v8
	v_cvt_f16_f32_e32 v8, v8
	s_delay_alu instid0(VALU_DEP_1)
	v_cvt_f32_f16_e32 v9, v8
.LBB421_94:
	s_wait_alu 0xfffe
	s_or_b32 exec_lo, exec_lo, s16
	ds_load_u16 v10, v7 offset:4
	v_max_num_f32_e32 v32, v9, v9
	v_cmp_u_f16_e64 s15, v8, v8
	ds_store_b16 v7, v8 offset:2
	s_wait_dscnt 0x1
	v_cvt_f32_f16_e32 v33, v10
	s_delay_alu instid0(VALU_DEP_1) | instskip(SKIP_2) | instid1(VALU_DEP_2)
	v_min_num_f32_e32 v34, v32, v33
	v_max_num_f32_e32 v32, v32, v33
	s_wait_alu 0xf1ff
	v_cndmask_b32_e64 v34, v34, v9, s15
	s_delay_alu instid0(VALU_DEP_2) | instskip(SKIP_2) | instid1(VALU_DEP_1)
	v_cndmask_b32_e64 v35, v32, v9, s15
	v_cmp_u_f16_e64 s15, v10, v10
	s_wait_alu 0xf1ff
	v_cndmask_b32_e64 v32, v34, v33, s15
	s_delay_alu instid0(VALU_DEP_3) | instskip(NEXT) | instid1(VALU_DEP_2)
	v_cndmask_b32_e64 v10, v35, v33, s15
	v_cmp_class_f32_e64 s16, v32, 0x1f8
	s_delay_alu instid0(VALU_DEP_2)
	v_cmp_neq_f32_e64 s15, v32, v10
	s_or_b32 s15, s15, s16
	s_wait_alu 0xfffe
	s_and_saveexec_b32 s16, s15
	s_cbranch_execz .LBB421_96
; %bb.95:
	v_sub_f32_e32 v8, v32, v10
	s_delay_alu instid0(VALU_DEP_1) | instskip(NEXT) | instid1(VALU_DEP_1)
	v_mul_f32_e32 v9, 0x3fb8aa3b, v8
	v_fma_f32 v32, 0x3fb8aa3b, v8, -v9
	v_rndne_f32_e32 v33, v9
	s_delay_alu instid0(VALU_DEP_1) | instskip(SKIP_1) | instid1(VALU_DEP_2)
	v_dual_sub_f32 v9, v9, v33 :: v_dual_fmamk_f32 v32, v8, 0x32a5705f, v32
	v_cmp_ngt_f32_e64 s15, 0xc2ce8ed0, v8
	v_add_f32_e32 v9, v9, v32
	v_cvt_i32_f32_e32 v32, v33
	s_delay_alu instid0(VALU_DEP_2) | instskip(NEXT) | instid1(TRANS32_DEP_1)
	v_exp_f32_e32 v9, v9
	v_ldexp_f32 v9, v9, v32
	s_wait_alu 0xf1ff
	s_delay_alu instid0(VALU_DEP_1) | instskip(SKIP_2) | instid1(VALU_DEP_1)
	v_cndmask_b32_e64 v9, 0, v9, s15
	v_cmp_nlt_f32_e64 s15, 0x42b17218, v8
	s_wait_alu 0xf1ff
	v_cndmask_b32_e64 v32, 0x7f800000, v9, s15
	s_delay_alu instid0(VALU_DEP_1) | instskip(NEXT) | instid1(VALU_DEP_1)
	v_add_f32_e32 v33, 1.0, v32
	v_cvt_f64_f32_e32 v[8:9], v33
	s_delay_alu instid0(VALU_DEP_1) | instskip(SKIP_1) | instid1(VALU_DEP_1)
	v_frexp_exp_i32_f64_e32 v8, v[8:9]
	v_frexp_mant_f32_e32 v9, v33
	v_cmp_gt_f32_e64 s15, 0x3f2aaaab, v9
	v_add_f32_e32 v9, -1.0, v33
	s_delay_alu instid0(VALU_DEP_1)
	v_sub_f32_e32 v35, v9, v33
	v_sub_f32_e32 v9, v32, v9
	s_wait_alu 0xf1ff
	v_subrev_co_ci_u32_e64 v8, null, 0, v8, s15
	s_mov_b32 s15, 0x3e9b6dac
	v_sub_nc_u32_e32 v34, 0, v8
	v_cvt_f32_i32_e32 v8, v8
	s_delay_alu instid0(VALU_DEP_2) | instskip(NEXT) | instid1(VALU_DEP_1)
	v_ldexp_f32 v33, v33, v34
	v_dual_add_f32 v36, 1.0, v33 :: v_dual_add_f32 v35, 1.0, v35
	s_delay_alu instid0(VALU_DEP_1) | instskip(NEXT) | instid1(VALU_DEP_2)
	v_add_f32_e32 v9, v9, v35
	v_add_f32_e32 v35, -1.0, v36
	s_delay_alu instid0(VALU_DEP_2) | instskip(NEXT) | instid1(VALU_DEP_2)
	v_ldexp_f32 v9, v9, v34
	v_dual_add_f32 v34, -1.0, v33 :: v_dual_sub_f32 v35, v33, v35
	s_delay_alu instid0(VALU_DEP_1) | instskip(NEXT) | instid1(VALU_DEP_2)
	v_add_f32_e32 v37, 1.0, v34
	v_add_f32_e32 v35, v9, v35
	s_delay_alu instid0(VALU_DEP_2) | instskip(NEXT) | instid1(VALU_DEP_2)
	v_sub_f32_e32 v33, v33, v37
	v_add_f32_e32 v37, v36, v35
	s_delay_alu instid0(VALU_DEP_2) | instskip(NEXT) | instid1(VALU_DEP_2)
	v_add_f32_e32 v9, v9, v33
	v_rcp_f32_e32 v33, v37
	v_sub_f32_e32 v36, v36, v37
	s_delay_alu instid0(VALU_DEP_1) | instskip(NEXT) | instid1(VALU_DEP_1)
	v_dual_add_f32 v38, v34, v9 :: v_dual_add_f32 v35, v35, v36
	v_sub_f32_e32 v34, v34, v38
	s_delay_alu instid0(TRANS32_DEP_1) | instskip(NEXT) | instid1(VALU_DEP_2)
	v_mul_f32_e32 v39, v38, v33
	v_add_f32_e32 v9, v9, v34
	s_delay_alu instid0(VALU_DEP_2) | instskip(NEXT) | instid1(VALU_DEP_1)
	v_mul_f32_e32 v40, v37, v39
	v_fma_f32 v36, v39, v37, -v40
	s_delay_alu instid0(VALU_DEP_1) | instskip(NEXT) | instid1(VALU_DEP_1)
	v_fmac_f32_e32 v36, v39, v35
	v_add_f32_e32 v41, v40, v36
	s_delay_alu instid0(VALU_DEP_1) | instskip(SKIP_1) | instid1(VALU_DEP_2)
	v_sub_f32_e32 v42, v38, v41
	v_sub_f32_e32 v34, v41, v40
	;; [unrolled: 1-line block ×3, first 2 shown]
	s_delay_alu instid0(VALU_DEP_2) | instskip(NEXT) | instid1(VALU_DEP_2)
	v_sub_f32_e32 v34, v34, v36
	v_sub_f32_e32 v38, v38, v41
	s_delay_alu instid0(VALU_DEP_1) | instskip(NEXT) | instid1(VALU_DEP_1)
	v_add_f32_e32 v9, v9, v38
	v_add_f32_e32 v9, v34, v9
	s_delay_alu instid0(VALU_DEP_1) | instskip(NEXT) | instid1(VALU_DEP_1)
	v_add_f32_e32 v34, v42, v9
	v_mul_f32_e32 v36, v33, v34
	s_delay_alu instid0(VALU_DEP_1) | instskip(NEXT) | instid1(VALU_DEP_1)
	v_dual_sub_f32 v41, v42, v34 :: v_dual_mul_f32 v38, v37, v36
	v_add_f32_e32 v9, v9, v41
	s_delay_alu instid0(VALU_DEP_2) | instskip(NEXT) | instid1(VALU_DEP_1)
	v_fma_f32 v37, v36, v37, -v38
	v_fmac_f32_e32 v37, v36, v35
	s_delay_alu instid0(VALU_DEP_1) | instskip(NEXT) | instid1(VALU_DEP_1)
	v_add_f32_e32 v35, v38, v37
	v_sub_f32_e32 v40, v34, v35
	v_sub_f32_e32 v38, v35, v38
	s_delay_alu instid0(VALU_DEP_2) | instskip(NEXT) | instid1(VALU_DEP_1)
	v_sub_f32_e32 v34, v34, v40
	v_sub_f32_e32 v34, v34, v35
	s_delay_alu instid0(VALU_DEP_3) | instskip(NEXT) | instid1(VALU_DEP_2)
	v_sub_f32_e32 v35, v38, v37
	v_dual_add_f32 v9, v9, v34 :: v_dual_add_f32 v34, v39, v36
	s_delay_alu instid0(VALU_DEP_1) | instskip(NEXT) | instid1(VALU_DEP_2)
	v_add_f32_e32 v9, v35, v9
	v_sub_f32_e32 v35, v34, v39
	s_delay_alu instid0(VALU_DEP_2) | instskip(NEXT) | instid1(VALU_DEP_2)
	v_add_f32_e32 v9, v40, v9
	v_sub_f32_e32 v35, v36, v35
	s_delay_alu instid0(VALU_DEP_2) | instskip(NEXT) | instid1(VALU_DEP_1)
	v_mul_f32_e32 v9, v33, v9
	v_add_f32_e32 v9, v35, v9
	s_delay_alu instid0(VALU_DEP_1) | instskip(NEXT) | instid1(VALU_DEP_1)
	v_add_f32_e32 v33, v34, v9
	v_mul_f32_e32 v35, v33, v33
	s_wait_alu 0xfffe
	s_delay_alu instid0(VALU_DEP_1) | instskip(SKIP_2) | instid1(VALU_DEP_3)
	v_fmaak_f32 v36, s15, v35, 0x3ecc95a3
	v_mul_f32_e32 v37, v33, v35
	v_cmp_neq_f32_e64 s15, 0x7f800000, v32
	v_fmaak_f32 v35, v35, v36, 0x3f2aaada
	v_ldexp_f32 v36, v33, 1
	v_sub_f32_e32 v33, v33, v34
	s_delay_alu instid0(VALU_DEP_3) | instskip(SKIP_1) | instid1(VALU_DEP_2)
	v_mul_f32_e32 v35, v37, v35
	v_mul_f32_e32 v37, 0x3f317218, v8
	v_dual_sub_f32 v9, v9, v33 :: v_dual_add_f32 v34, v36, v35
	s_delay_alu instid0(VALU_DEP_1) | instskip(NEXT) | instid1(VALU_DEP_2)
	v_ldexp_f32 v9, v9, 1
	v_sub_f32_e32 v33, v34, v36
	s_delay_alu instid0(VALU_DEP_4) | instskip(NEXT) | instid1(VALU_DEP_1)
	v_fma_f32 v36, 0x3f317218, v8, -v37
	v_dual_sub_f32 v33, v35, v33 :: v_dual_fmamk_f32 v8, v8, 0xb102e308, v36
	s_delay_alu instid0(VALU_DEP_1) | instskip(NEXT) | instid1(VALU_DEP_2)
	v_add_f32_e32 v9, v9, v33
	v_add_f32_e32 v33, v37, v8
	s_delay_alu instid0(VALU_DEP_2) | instskip(NEXT) | instid1(VALU_DEP_2)
	v_add_f32_e32 v35, v34, v9
	v_sub_f32_e32 v37, v33, v37
	s_delay_alu instid0(VALU_DEP_2) | instskip(SKIP_1) | instid1(VALU_DEP_3)
	v_add_f32_e32 v36, v33, v35
	v_sub_f32_e32 v34, v35, v34
	v_sub_f32_e32 v8, v8, v37
	s_delay_alu instid0(VALU_DEP_2) | instskip(NEXT) | instid1(VALU_DEP_1)
	v_dual_sub_f32 v38, v36, v33 :: v_dual_sub_f32 v9, v9, v34
	v_sub_f32_e32 v39, v36, v38
	s_delay_alu instid0(VALU_DEP_2) | instskip(NEXT) | instid1(VALU_DEP_2)
	v_dual_sub_f32 v34, v35, v38 :: v_dual_add_f32 v35, v8, v9
	v_sub_f32_e32 v33, v33, v39
	s_delay_alu instid0(VALU_DEP_1) | instskip(NEXT) | instid1(VALU_DEP_1)
	v_dual_add_f32 v33, v34, v33 :: v_dual_sub_f32 v34, v35, v8
	v_add_f32_e32 v33, v35, v33
	s_delay_alu instid0(VALU_DEP_2) | instskip(SKIP_1) | instid1(VALU_DEP_3)
	v_sub_f32_e32 v35, v35, v34
	v_sub_f32_e32 v9, v9, v34
	v_add_f32_e32 v37, v36, v33
	s_delay_alu instid0(VALU_DEP_3) | instskip(NEXT) | instid1(VALU_DEP_2)
	v_sub_f32_e32 v8, v8, v35
	v_sub_f32_e32 v34, v37, v36
	s_delay_alu instid0(VALU_DEP_2) | instskip(NEXT) | instid1(VALU_DEP_2)
	v_add_f32_e32 v8, v9, v8
	v_sub_f32_e32 v9, v33, v34
	s_delay_alu instid0(VALU_DEP_1) | instskip(NEXT) | instid1(VALU_DEP_1)
	v_add_f32_e32 v8, v8, v9
	v_add_f32_e32 v8, v37, v8
	s_wait_alu 0xf1ff
	s_delay_alu instid0(VALU_DEP_1) | instskip(SKIP_2) | instid1(VALU_DEP_1)
	v_cndmask_b32_e64 v8, 0x7f800000, v8, s15
	v_cmp_gt_f32_e64 s15, 0x33800000, |v32|
	s_wait_alu 0xf1ff
	v_cndmask_b32_e64 v8, v8, v32, s15
	s_delay_alu instid0(VALU_DEP_1) | instskip(NEXT) | instid1(VALU_DEP_1)
	v_add_f32_e32 v8, v10, v8
	v_cvt_f16_f32_e32 v8, v8
	s_delay_alu instid0(VALU_DEP_1)
	v_cvt_f32_f16_e32 v9, v8
.LBB421_96:
	s_wait_alu 0xfffe
	s_or_b32 exec_lo, exec_lo, s16
	ds_load_u16 v10, v7 offset:6
	v_max_num_f32_e32 v32, v9, v9
	v_cmp_u_f16_e64 s15, v8, v8
	ds_store_b16 v7, v8 offset:4
	s_wait_dscnt 0x1
	v_cvt_f32_f16_e32 v33, v10
	s_delay_alu instid0(VALU_DEP_1) | instskip(SKIP_2) | instid1(VALU_DEP_2)
	v_min_num_f32_e32 v34, v32, v33
	v_max_num_f32_e32 v32, v32, v33
	s_wait_alu 0xf1ff
	v_cndmask_b32_e64 v34, v34, v9, s15
	s_delay_alu instid0(VALU_DEP_2) | instskip(SKIP_2) | instid1(VALU_DEP_1)
	v_cndmask_b32_e64 v35, v32, v9, s15
	v_cmp_u_f16_e64 s15, v10, v10
	s_wait_alu 0xf1ff
	v_cndmask_b32_e64 v32, v34, v33, s15
	s_delay_alu instid0(VALU_DEP_3) | instskip(NEXT) | instid1(VALU_DEP_2)
	v_cndmask_b32_e64 v10, v35, v33, s15
	v_cmp_class_f32_e64 s16, v32, 0x1f8
	s_delay_alu instid0(VALU_DEP_2)
	v_cmp_neq_f32_e64 s15, v32, v10
	s_or_b32 s15, s15, s16
	s_wait_alu 0xfffe
	s_and_saveexec_b32 s16, s15
	s_cbranch_execz .LBB421_98
; %bb.97:
	v_sub_f32_e32 v8, v32, v10
	s_delay_alu instid0(VALU_DEP_1) | instskip(NEXT) | instid1(VALU_DEP_1)
	v_mul_f32_e32 v9, 0x3fb8aa3b, v8
	v_fma_f32 v32, 0x3fb8aa3b, v8, -v9
	v_rndne_f32_e32 v33, v9
	s_delay_alu instid0(VALU_DEP_1) | instskip(SKIP_1) | instid1(VALU_DEP_2)
	v_dual_sub_f32 v9, v9, v33 :: v_dual_fmamk_f32 v32, v8, 0x32a5705f, v32
	v_cmp_ngt_f32_e64 s15, 0xc2ce8ed0, v8
	v_add_f32_e32 v9, v9, v32
	v_cvt_i32_f32_e32 v32, v33
	s_delay_alu instid0(VALU_DEP_2) | instskip(NEXT) | instid1(TRANS32_DEP_1)
	v_exp_f32_e32 v9, v9
	v_ldexp_f32 v9, v9, v32
	s_wait_alu 0xf1ff
	s_delay_alu instid0(VALU_DEP_1) | instskip(SKIP_2) | instid1(VALU_DEP_1)
	v_cndmask_b32_e64 v9, 0, v9, s15
	v_cmp_nlt_f32_e64 s15, 0x42b17218, v8
	s_wait_alu 0xf1ff
	v_cndmask_b32_e64 v32, 0x7f800000, v9, s15
	s_delay_alu instid0(VALU_DEP_1) | instskip(NEXT) | instid1(VALU_DEP_1)
	v_add_f32_e32 v33, 1.0, v32
	v_cvt_f64_f32_e32 v[8:9], v33
	s_delay_alu instid0(VALU_DEP_1) | instskip(SKIP_1) | instid1(VALU_DEP_1)
	v_frexp_exp_i32_f64_e32 v8, v[8:9]
	v_frexp_mant_f32_e32 v9, v33
	v_cmp_gt_f32_e64 s15, 0x3f2aaaab, v9
	v_add_f32_e32 v9, -1.0, v33
	s_delay_alu instid0(VALU_DEP_1)
	v_sub_f32_e32 v35, v9, v33
	v_sub_f32_e32 v9, v32, v9
	s_wait_alu 0xf1ff
	v_subrev_co_ci_u32_e64 v8, null, 0, v8, s15
	s_mov_b32 s15, 0x3e9b6dac
	v_sub_nc_u32_e32 v34, 0, v8
	v_cvt_f32_i32_e32 v8, v8
	s_delay_alu instid0(VALU_DEP_2) | instskip(NEXT) | instid1(VALU_DEP_1)
	v_ldexp_f32 v33, v33, v34
	v_dual_add_f32 v36, 1.0, v33 :: v_dual_add_f32 v35, 1.0, v35
	s_delay_alu instid0(VALU_DEP_1) | instskip(NEXT) | instid1(VALU_DEP_2)
	v_add_f32_e32 v9, v9, v35
	v_add_f32_e32 v35, -1.0, v36
	s_delay_alu instid0(VALU_DEP_2) | instskip(NEXT) | instid1(VALU_DEP_2)
	v_ldexp_f32 v9, v9, v34
	v_dual_add_f32 v34, -1.0, v33 :: v_dual_sub_f32 v35, v33, v35
	s_delay_alu instid0(VALU_DEP_1) | instskip(NEXT) | instid1(VALU_DEP_2)
	v_add_f32_e32 v37, 1.0, v34
	v_add_f32_e32 v35, v9, v35
	s_delay_alu instid0(VALU_DEP_2) | instskip(NEXT) | instid1(VALU_DEP_2)
	v_sub_f32_e32 v33, v33, v37
	v_add_f32_e32 v37, v36, v35
	s_delay_alu instid0(VALU_DEP_2) | instskip(NEXT) | instid1(VALU_DEP_2)
	v_add_f32_e32 v9, v9, v33
	v_rcp_f32_e32 v33, v37
	v_sub_f32_e32 v36, v36, v37
	s_delay_alu instid0(VALU_DEP_1) | instskip(NEXT) | instid1(VALU_DEP_1)
	v_dual_add_f32 v38, v34, v9 :: v_dual_add_f32 v35, v35, v36
	v_sub_f32_e32 v34, v34, v38
	s_delay_alu instid0(TRANS32_DEP_1) | instskip(NEXT) | instid1(VALU_DEP_2)
	v_mul_f32_e32 v39, v38, v33
	v_add_f32_e32 v9, v9, v34
	s_delay_alu instid0(VALU_DEP_2) | instskip(NEXT) | instid1(VALU_DEP_1)
	v_mul_f32_e32 v40, v37, v39
	v_fma_f32 v36, v39, v37, -v40
	s_delay_alu instid0(VALU_DEP_1) | instskip(NEXT) | instid1(VALU_DEP_1)
	v_fmac_f32_e32 v36, v39, v35
	v_add_f32_e32 v41, v40, v36
	s_delay_alu instid0(VALU_DEP_1) | instskip(SKIP_1) | instid1(VALU_DEP_2)
	v_sub_f32_e32 v42, v38, v41
	v_sub_f32_e32 v34, v41, v40
	;; [unrolled: 1-line block ×3, first 2 shown]
	s_delay_alu instid0(VALU_DEP_2) | instskip(NEXT) | instid1(VALU_DEP_2)
	v_sub_f32_e32 v34, v34, v36
	v_sub_f32_e32 v38, v38, v41
	s_delay_alu instid0(VALU_DEP_1) | instskip(NEXT) | instid1(VALU_DEP_1)
	v_add_f32_e32 v9, v9, v38
	v_add_f32_e32 v9, v34, v9
	s_delay_alu instid0(VALU_DEP_1) | instskip(NEXT) | instid1(VALU_DEP_1)
	v_add_f32_e32 v34, v42, v9
	v_mul_f32_e32 v36, v33, v34
	s_delay_alu instid0(VALU_DEP_1) | instskip(NEXT) | instid1(VALU_DEP_1)
	v_dual_sub_f32 v41, v42, v34 :: v_dual_mul_f32 v38, v37, v36
	v_add_f32_e32 v9, v9, v41
	s_delay_alu instid0(VALU_DEP_2) | instskip(NEXT) | instid1(VALU_DEP_1)
	v_fma_f32 v37, v36, v37, -v38
	v_fmac_f32_e32 v37, v36, v35
	s_delay_alu instid0(VALU_DEP_1) | instskip(NEXT) | instid1(VALU_DEP_1)
	v_add_f32_e32 v35, v38, v37
	v_sub_f32_e32 v40, v34, v35
	v_sub_f32_e32 v38, v35, v38
	s_delay_alu instid0(VALU_DEP_2) | instskip(NEXT) | instid1(VALU_DEP_1)
	v_sub_f32_e32 v34, v34, v40
	v_sub_f32_e32 v34, v34, v35
	s_delay_alu instid0(VALU_DEP_3) | instskip(NEXT) | instid1(VALU_DEP_2)
	v_sub_f32_e32 v35, v38, v37
	v_dual_add_f32 v9, v9, v34 :: v_dual_add_f32 v34, v39, v36
	s_delay_alu instid0(VALU_DEP_1) | instskip(NEXT) | instid1(VALU_DEP_2)
	v_add_f32_e32 v9, v35, v9
	v_sub_f32_e32 v35, v34, v39
	s_delay_alu instid0(VALU_DEP_2) | instskip(NEXT) | instid1(VALU_DEP_2)
	v_add_f32_e32 v9, v40, v9
	v_sub_f32_e32 v35, v36, v35
	s_delay_alu instid0(VALU_DEP_2) | instskip(NEXT) | instid1(VALU_DEP_1)
	v_mul_f32_e32 v9, v33, v9
	v_add_f32_e32 v9, v35, v9
	s_delay_alu instid0(VALU_DEP_1) | instskip(NEXT) | instid1(VALU_DEP_1)
	v_add_f32_e32 v33, v34, v9
	v_mul_f32_e32 v35, v33, v33
	s_wait_alu 0xfffe
	s_delay_alu instid0(VALU_DEP_1) | instskip(SKIP_2) | instid1(VALU_DEP_3)
	v_fmaak_f32 v36, s15, v35, 0x3ecc95a3
	v_mul_f32_e32 v37, v33, v35
	v_cmp_neq_f32_e64 s15, 0x7f800000, v32
	v_fmaak_f32 v35, v35, v36, 0x3f2aaada
	v_ldexp_f32 v36, v33, 1
	v_sub_f32_e32 v33, v33, v34
	s_delay_alu instid0(VALU_DEP_3) | instskip(SKIP_1) | instid1(VALU_DEP_2)
	v_mul_f32_e32 v35, v37, v35
	v_mul_f32_e32 v37, 0x3f317218, v8
	v_dual_sub_f32 v9, v9, v33 :: v_dual_add_f32 v34, v36, v35
	s_delay_alu instid0(VALU_DEP_1) | instskip(NEXT) | instid1(VALU_DEP_2)
	v_ldexp_f32 v9, v9, 1
	v_sub_f32_e32 v33, v34, v36
	s_delay_alu instid0(VALU_DEP_4) | instskip(NEXT) | instid1(VALU_DEP_1)
	v_fma_f32 v36, 0x3f317218, v8, -v37
	v_dual_sub_f32 v33, v35, v33 :: v_dual_fmamk_f32 v8, v8, 0xb102e308, v36
	s_delay_alu instid0(VALU_DEP_1) | instskip(NEXT) | instid1(VALU_DEP_2)
	v_add_f32_e32 v9, v9, v33
	v_add_f32_e32 v33, v37, v8
	s_delay_alu instid0(VALU_DEP_2) | instskip(NEXT) | instid1(VALU_DEP_2)
	v_add_f32_e32 v35, v34, v9
	v_sub_f32_e32 v37, v33, v37
	s_delay_alu instid0(VALU_DEP_2) | instskip(SKIP_1) | instid1(VALU_DEP_3)
	v_add_f32_e32 v36, v33, v35
	v_sub_f32_e32 v34, v35, v34
	v_sub_f32_e32 v8, v8, v37
	s_delay_alu instid0(VALU_DEP_2) | instskip(NEXT) | instid1(VALU_DEP_1)
	v_dual_sub_f32 v38, v36, v33 :: v_dual_sub_f32 v9, v9, v34
	v_sub_f32_e32 v39, v36, v38
	s_delay_alu instid0(VALU_DEP_2) | instskip(NEXT) | instid1(VALU_DEP_2)
	v_dual_sub_f32 v34, v35, v38 :: v_dual_add_f32 v35, v8, v9
	v_sub_f32_e32 v33, v33, v39
	s_delay_alu instid0(VALU_DEP_1) | instskip(NEXT) | instid1(VALU_DEP_1)
	v_dual_add_f32 v33, v34, v33 :: v_dual_sub_f32 v34, v35, v8
	v_add_f32_e32 v33, v35, v33
	s_delay_alu instid0(VALU_DEP_2) | instskip(SKIP_1) | instid1(VALU_DEP_3)
	v_sub_f32_e32 v35, v35, v34
	v_sub_f32_e32 v9, v9, v34
	v_add_f32_e32 v37, v36, v33
	s_delay_alu instid0(VALU_DEP_3) | instskip(NEXT) | instid1(VALU_DEP_2)
	v_sub_f32_e32 v8, v8, v35
	v_sub_f32_e32 v34, v37, v36
	s_delay_alu instid0(VALU_DEP_2) | instskip(NEXT) | instid1(VALU_DEP_2)
	v_add_f32_e32 v8, v9, v8
	v_sub_f32_e32 v9, v33, v34
	s_delay_alu instid0(VALU_DEP_1) | instskip(NEXT) | instid1(VALU_DEP_1)
	v_add_f32_e32 v8, v8, v9
	v_add_f32_e32 v8, v37, v8
	s_wait_alu 0xf1ff
	s_delay_alu instid0(VALU_DEP_1) | instskip(SKIP_2) | instid1(VALU_DEP_1)
	v_cndmask_b32_e64 v8, 0x7f800000, v8, s15
	v_cmp_gt_f32_e64 s15, 0x33800000, |v32|
	s_wait_alu 0xf1ff
	v_cndmask_b32_e64 v8, v8, v32, s15
	s_delay_alu instid0(VALU_DEP_1) | instskip(NEXT) | instid1(VALU_DEP_1)
	v_add_f32_e32 v8, v10, v8
	v_cvt_f16_f32_e32 v8, v8
	s_delay_alu instid0(VALU_DEP_1)
	v_cvt_f32_f16_e32 v9, v8
.LBB421_98:
	s_wait_alu 0xfffe
	s_or_b32 exec_lo, exec_lo, s16
	ds_load_u16 v10, v7 offset:8
	v_max_num_f32_e32 v32, v9, v9
	v_cmp_u_f16_e64 s15, v8, v8
	ds_store_b16 v7, v8 offset:6
	s_wait_dscnt 0x1
	v_cvt_f32_f16_e32 v33, v10
	s_delay_alu instid0(VALU_DEP_1) | instskip(SKIP_2) | instid1(VALU_DEP_2)
	v_min_num_f32_e32 v34, v32, v33
	v_max_num_f32_e32 v32, v32, v33
	s_wait_alu 0xf1ff
	v_cndmask_b32_e64 v34, v34, v9, s15
	s_delay_alu instid0(VALU_DEP_2) | instskip(SKIP_2) | instid1(VALU_DEP_1)
	v_cndmask_b32_e64 v35, v32, v9, s15
	v_cmp_u_f16_e64 s15, v10, v10
	s_wait_alu 0xf1ff
	v_cndmask_b32_e64 v32, v34, v33, s15
	s_delay_alu instid0(VALU_DEP_3) | instskip(NEXT) | instid1(VALU_DEP_2)
	v_cndmask_b32_e64 v10, v35, v33, s15
	v_cmp_class_f32_e64 s16, v32, 0x1f8
	s_delay_alu instid0(VALU_DEP_2)
	v_cmp_neq_f32_e64 s15, v32, v10
	s_or_b32 s15, s15, s16
	s_wait_alu 0xfffe
	s_and_saveexec_b32 s16, s15
	s_cbranch_execz .LBB421_100
; %bb.99:
	v_sub_f32_e32 v8, v32, v10
	s_delay_alu instid0(VALU_DEP_1) | instskip(NEXT) | instid1(VALU_DEP_1)
	v_mul_f32_e32 v9, 0x3fb8aa3b, v8
	v_fma_f32 v32, 0x3fb8aa3b, v8, -v9
	v_rndne_f32_e32 v33, v9
	s_delay_alu instid0(VALU_DEP_1) | instskip(SKIP_1) | instid1(VALU_DEP_2)
	v_dual_sub_f32 v9, v9, v33 :: v_dual_fmamk_f32 v32, v8, 0x32a5705f, v32
	v_cmp_ngt_f32_e64 s15, 0xc2ce8ed0, v8
	v_add_f32_e32 v9, v9, v32
	v_cvt_i32_f32_e32 v32, v33
	s_delay_alu instid0(VALU_DEP_2) | instskip(NEXT) | instid1(TRANS32_DEP_1)
	v_exp_f32_e32 v9, v9
	v_ldexp_f32 v9, v9, v32
	s_wait_alu 0xf1ff
	s_delay_alu instid0(VALU_DEP_1) | instskip(SKIP_2) | instid1(VALU_DEP_1)
	v_cndmask_b32_e64 v9, 0, v9, s15
	v_cmp_nlt_f32_e64 s15, 0x42b17218, v8
	s_wait_alu 0xf1ff
	v_cndmask_b32_e64 v32, 0x7f800000, v9, s15
	s_delay_alu instid0(VALU_DEP_1) | instskip(NEXT) | instid1(VALU_DEP_1)
	v_add_f32_e32 v33, 1.0, v32
	v_cvt_f64_f32_e32 v[8:9], v33
	s_delay_alu instid0(VALU_DEP_1) | instskip(SKIP_1) | instid1(VALU_DEP_1)
	v_frexp_exp_i32_f64_e32 v8, v[8:9]
	v_frexp_mant_f32_e32 v9, v33
	v_cmp_gt_f32_e64 s15, 0x3f2aaaab, v9
	v_add_f32_e32 v9, -1.0, v33
	s_delay_alu instid0(VALU_DEP_1)
	v_sub_f32_e32 v35, v9, v33
	v_sub_f32_e32 v9, v32, v9
	s_wait_alu 0xf1ff
	v_subrev_co_ci_u32_e64 v8, null, 0, v8, s15
	s_mov_b32 s15, 0x3e9b6dac
	v_sub_nc_u32_e32 v34, 0, v8
	v_cvt_f32_i32_e32 v8, v8
	s_delay_alu instid0(VALU_DEP_2) | instskip(NEXT) | instid1(VALU_DEP_1)
	v_ldexp_f32 v33, v33, v34
	v_dual_add_f32 v36, 1.0, v33 :: v_dual_add_f32 v35, 1.0, v35
	s_delay_alu instid0(VALU_DEP_1) | instskip(NEXT) | instid1(VALU_DEP_2)
	v_add_f32_e32 v9, v9, v35
	v_add_f32_e32 v35, -1.0, v36
	s_delay_alu instid0(VALU_DEP_2) | instskip(NEXT) | instid1(VALU_DEP_2)
	v_ldexp_f32 v9, v9, v34
	v_dual_add_f32 v34, -1.0, v33 :: v_dual_sub_f32 v35, v33, v35
	s_delay_alu instid0(VALU_DEP_1) | instskip(NEXT) | instid1(VALU_DEP_2)
	v_add_f32_e32 v37, 1.0, v34
	v_add_f32_e32 v35, v9, v35
	s_delay_alu instid0(VALU_DEP_2) | instskip(NEXT) | instid1(VALU_DEP_2)
	v_sub_f32_e32 v33, v33, v37
	v_add_f32_e32 v37, v36, v35
	s_delay_alu instid0(VALU_DEP_2) | instskip(NEXT) | instid1(VALU_DEP_2)
	v_add_f32_e32 v9, v9, v33
	v_rcp_f32_e32 v33, v37
	v_sub_f32_e32 v36, v36, v37
	s_delay_alu instid0(VALU_DEP_1) | instskip(NEXT) | instid1(VALU_DEP_1)
	v_dual_add_f32 v38, v34, v9 :: v_dual_add_f32 v35, v35, v36
	v_sub_f32_e32 v34, v34, v38
	s_delay_alu instid0(TRANS32_DEP_1) | instskip(NEXT) | instid1(VALU_DEP_2)
	v_mul_f32_e32 v39, v38, v33
	v_add_f32_e32 v9, v9, v34
	s_delay_alu instid0(VALU_DEP_2) | instskip(NEXT) | instid1(VALU_DEP_1)
	v_mul_f32_e32 v40, v37, v39
	v_fma_f32 v36, v39, v37, -v40
	s_delay_alu instid0(VALU_DEP_1) | instskip(NEXT) | instid1(VALU_DEP_1)
	v_fmac_f32_e32 v36, v39, v35
	v_add_f32_e32 v41, v40, v36
	s_delay_alu instid0(VALU_DEP_1) | instskip(SKIP_1) | instid1(VALU_DEP_2)
	v_sub_f32_e32 v42, v38, v41
	v_sub_f32_e32 v34, v41, v40
	;; [unrolled: 1-line block ×3, first 2 shown]
	s_delay_alu instid0(VALU_DEP_2) | instskip(NEXT) | instid1(VALU_DEP_2)
	v_sub_f32_e32 v34, v34, v36
	v_sub_f32_e32 v38, v38, v41
	s_delay_alu instid0(VALU_DEP_1) | instskip(NEXT) | instid1(VALU_DEP_1)
	v_add_f32_e32 v9, v9, v38
	v_add_f32_e32 v9, v34, v9
	s_delay_alu instid0(VALU_DEP_1) | instskip(NEXT) | instid1(VALU_DEP_1)
	v_add_f32_e32 v34, v42, v9
	v_mul_f32_e32 v36, v33, v34
	s_delay_alu instid0(VALU_DEP_1) | instskip(NEXT) | instid1(VALU_DEP_1)
	v_dual_sub_f32 v41, v42, v34 :: v_dual_mul_f32 v38, v37, v36
	v_add_f32_e32 v9, v9, v41
	s_delay_alu instid0(VALU_DEP_2) | instskip(NEXT) | instid1(VALU_DEP_1)
	v_fma_f32 v37, v36, v37, -v38
	v_fmac_f32_e32 v37, v36, v35
	s_delay_alu instid0(VALU_DEP_1) | instskip(NEXT) | instid1(VALU_DEP_1)
	v_add_f32_e32 v35, v38, v37
	v_sub_f32_e32 v40, v34, v35
	v_sub_f32_e32 v38, v35, v38
	s_delay_alu instid0(VALU_DEP_2) | instskip(NEXT) | instid1(VALU_DEP_1)
	v_sub_f32_e32 v34, v34, v40
	v_sub_f32_e32 v34, v34, v35
	s_delay_alu instid0(VALU_DEP_3) | instskip(NEXT) | instid1(VALU_DEP_2)
	v_sub_f32_e32 v35, v38, v37
	v_dual_add_f32 v9, v9, v34 :: v_dual_add_f32 v34, v39, v36
	s_delay_alu instid0(VALU_DEP_1) | instskip(NEXT) | instid1(VALU_DEP_2)
	v_add_f32_e32 v9, v35, v9
	v_sub_f32_e32 v35, v34, v39
	s_delay_alu instid0(VALU_DEP_2) | instskip(NEXT) | instid1(VALU_DEP_2)
	v_add_f32_e32 v9, v40, v9
	v_sub_f32_e32 v35, v36, v35
	s_delay_alu instid0(VALU_DEP_2) | instskip(NEXT) | instid1(VALU_DEP_1)
	v_mul_f32_e32 v9, v33, v9
	v_add_f32_e32 v9, v35, v9
	s_delay_alu instid0(VALU_DEP_1) | instskip(NEXT) | instid1(VALU_DEP_1)
	v_add_f32_e32 v33, v34, v9
	v_mul_f32_e32 v35, v33, v33
	s_wait_alu 0xfffe
	s_delay_alu instid0(VALU_DEP_1) | instskip(SKIP_2) | instid1(VALU_DEP_3)
	v_fmaak_f32 v36, s15, v35, 0x3ecc95a3
	v_mul_f32_e32 v37, v33, v35
	v_cmp_neq_f32_e64 s15, 0x7f800000, v32
	v_fmaak_f32 v35, v35, v36, 0x3f2aaada
	v_ldexp_f32 v36, v33, 1
	v_sub_f32_e32 v33, v33, v34
	s_delay_alu instid0(VALU_DEP_3) | instskip(SKIP_1) | instid1(VALU_DEP_2)
	v_mul_f32_e32 v35, v37, v35
	v_mul_f32_e32 v37, 0x3f317218, v8
	v_dual_sub_f32 v9, v9, v33 :: v_dual_add_f32 v34, v36, v35
	s_delay_alu instid0(VALU_DEP_1) | instskip(NEXT) | instid1(VALU_DEP_2)
	v_ldexp_f32 v9, v9, 1
	v_sub_f32_e32 v33, v34, v36
	s_delay_alu instid0(VALU_DEP_4) | instskip(NEXT) | instid1(VALU_DEP_1)
	v_fma_f32 v36, 0x3f317218, v8, -v37
	v_dual_sub_f32 v33, v35, v33 :: v_dual_fmamk_f32 v8, v8, 0xb102e308, v36
	s_delay_alu instid0(VALU_DEP_1) | instskip(NEXT) | instid1(VALU_DEP_2)
	v_add_f32_e32 v9, v9, v33
	v_add_f32_e32 v33, v37, v8
	s_delay_alu instid0(VALU_DEP_2) | instskip(NEXT) | instid1(VALU_DEP_2)
	v_add_f32_e32 v35, v34, v9
	v_sub_f32_e32 v37, v33, v37
	s_delay_alu instid0(VALU_DEP_2) | instskip(SKIP_1) | instid1(VALU_DEP_3)
	v_add_f32_e32 v36, v33, v35
	v_sub_f32_e32 v34, v35, v34
	v_sub_f32_e32 v8, v8, v37
	s_delay_alu instid0(VALU_DEP_2) | instskip(NEXT) | instid1(VALU_DEP_1)
	v_dual_sub_f32 v38, v36, v33 :: v_dual_sub_f32 v9, v9, v34
	v_sub_f32_e32 v39, v36, v38
	s_delay_alu instid0(VALU_DEP_2) | instskip(NEXT) | instid1(VALU_DEP_2)
	v_dual_sub_f32 v34, v35, v38 :: v_dual_add_f32 v35, v8, v9
	v_sub_f32_e32 v33, v33, v39
	s_delay_alu instid0(VALU_DEP_1) | instskip(NEXT) | instid1(VALU_DEP_1)
	v_dual_add_f32 v33, v34, v33 :: v_dual_sub_f32 v34, v35, v8
	v_add_f32_e32 v33, v35, v33
	s_delay_alu instid0(VALU_DEP_2) | instskip(SKIP_1) | instid1(VALU_DEP_3)
	v_sub_f32_e32 v35, v35, v34
	v_sub_f32_e32 v9, v9, v34
	v_add_f32_e32 v37, v36, v33
	s_delay_alu instid0(VALU_DEP_3) | instskip(NEXT) | instid1(VALU_DEP_2)
	v_sub_f32_e32 v8, v8, v35
	v_sub_f32_e32 v34, v37, v36
	s_delay_alu instid0(VALU_DEP_2) | instskip(NEXT) | instid1(VALU_DEP_2)
	v_add_f32_e32 v8, v9, v8
	v_sub_f32_e32 v9, v33, v34
	s_delay_alu instid0(VALU_DEP_1) | instskip(NEXT) | instid1(VALU_DEP_1)
	v_add_f32_e32 v8, v8, v9
	v_add_f32_e32 v8, v37, v8
	s_wait_alu 0xf1ff
	s_delay_alu instid0(VALU_DEP_1) | instskip(SKIP_2) | instid1(VALU_DEP_1)
	v_cndmask_b32_e64 v8, 0x7f800000, v8, s15
	v_cmp_gt_f32_e64 s15, 0x33800000, |v32|
	s_wait_alu 0xf1ff
	v_cndmask_b32_e64 v8, v8, v32, s15
	s_delay_alu instid0(VALU_DEP_1) | instskip(NEXT) | instid1(VALU_DEP_1)
	v_add_f32_e32 v8, v10, v8
	v_cvt_f16_f32_e32 v8, v8
	s_delay_alu instid0(VALU_DEP_1)
	v_cvt_f32_f16_e32 v9, v8
.LBB421_100:
	s_wait_alu 0xfffe
	s_or_b32 exec_lo, exec_lo, s16
	ds_load_u16 v10, v7 offset:10
	v_max_num_f32_e32 v32, v9, v9
	v_cmp_u_f16_e64 s15, v8, v8
	ds_store_b16 v7, v8 offset:8
	s_wait_dscnt 0x1
	v_cvt_f32_f16_e32 v33, v10
	s_delay_alu instid0(VALU_DEP_1) | instskip(SKIP_2) | instid1(VALU_DEP_2)
	v_min_num_f32_e32 v34, v32, v33
	v_max_num_f32_e32 v32, v32, v33
	s_wait_alu 0xf1ff
	v_cndmask_b32_e64 v34, v34, v9, s15
	s_delay_alu instid0(VALU_DEP_2) | instskip(SKIP_2) | instid1(VALU_DEP_1)
	v_cndmask_b32_e64 v35, v32, v9, s15
	v_cmp_u_f16_e64 s15, v10, v10
	s_wait_alu 0xf1ff
	v_cndmask_b32_e64 v32, v34, v33, s15
	s_delay_alu instid0(VALU_DEP_3) | instskip(NEXT) | instid1(VALU_DEP_2)
	v_cndmask_b32_e64 v10, v35, v33, s15
	v_cmp_class_f32_e64 s16, v32, 0x1f8
	s_delay_alu instid0(VALU_DEP_2)
	v_cmp_neq_f32_e64 s15, v32, v10
	s_or_b32 s15, s15, s16
	s_wait_alu 0xfffe
	s_and_saveexec_b32 s16, s15
	s_cbranch_execz .LBB421_102
; %bb.101:
	v_sub_f32_e32 v8, v32, v10
	s_delay_alu instid0(VALU_DEP_1) | instskip(NEXT) | instid1(VALU_DEP_1)
	v_mul_f32_e32 v9, 0x3fb8aa3b, v8
	v_fma_f32 v32, 0x3fb8aa3b, v8, -v9
	v_rndne_f32_e32 v33, v9
	s_delay_alu instid0(VALU_DEP_1) | instskip(SKIP_1) | instid1(VALU_DEP_2)
	v_dual_sub_f32 v9, v9, v33 :: v_dual_fmamk_f32 v32, v8, 0x32a5705f, v32
	v_cmp_ngt_f32_e64 s15, 0xc2ce8ed0, v8
	v_add_f32_e32 v9, v9, v32
	v_cvt_i32_f32_e32 v32, v33
	s_delay_alu instid0(VALU_DEP_2) | instskip(NEXT) | instid1(TRANS32_DEP_1)
	v_exp_f32_e32 v9, v9
	v_ldexp_f32 v9, v9, v32
	s_wait_alu 0xf1ff
	s_delay_alu instid0(VALU_DEP_1) | instskip(SKIP_2) | instid1(VALU_DEP_1)
	v_cndmask_b32_e64 v9, 0, v9, s15
	v_cmp_nlt_f32_e64 s15, 0x42b17218, v8
	s_wait_alu 0xf1ff
	v_cndmask_b32_e64 v32, 0x7f800000, v9, s15
	s_delay_alu instid0(VALU_DEP_1) | instskip(NEXT) | instid1(VALU_DEP_1)
	v_add_f32_e32 v33, 1.0, v32
	v_cvt_f64_f32_e32 v[8:9], v33
	s_delay_alu instid0(VALU_DEP_1) | instskip(SKIP_1) | instid1(VALU_DEP_1)
	v_frexp_exp_i32_f64_e32 v8, v[8:9]
	v_frexp_mant_f32_e32 v9, v33
	v_cmp_gt_f32_e64 s15, 0x3f2aaaab, v9
	v_add_f32_e32 v9, -1.0, v33
	s_delay_alu instid0(VALU_DEP_1)
	v_sub_f32_e32 v35, v9, v33
	v_sub_f32_e32 v9, v32, v9
	s_wait_alu 0xf1ff
	v_subrev_co_ci_u32_e64 v8, null, 0, v8, s15
	s_mov_b32 s15, 0x3e9b6dac
	v_sub_nc_u32_e32 v34, 0, v8
	v_cvt_f32_i32_e32 v8, v8
	s_delay_alu instid0(VALU_DEP_2) | instskip(NEXT) | instid1(VALU_DEP_1)
	v_ldexp_f32 v33, v33, v34
	v_dual_add_f32 v36, 1.0, v33 :: v_dual_add_f32 v35, 1.0, v35
	s_delay_alu instid0(VALU_DEP_1) | instskip(NEXT) | instid1(VALU_DEP_2)
	v_add_f32_e32 v9, v9, v35
	v_add_f32_e32 v35, -1.0, v36
	s_delay_alu instid0(VALU_DEP_2) | instskip(NEXT) | instid1(VALU_DEP_2)
	v_ldexp_f32 v9, v9, v34
	v_dual_add_f32 v34, -1.0, v33 :: v_dual_sub_f32 v35, v33, v35
	s_delay_alu instid0(VALU_DEP_1) | instskip(NEXT) | instid1(VALU_DEP_2)
	v_add_f32_e32 v37, 1.0, v34
	v_add_f32_e32 v35, v9, v35
	s_delay_alu instid0(VALU_DEP_2) | instskip(NEXT) | instid1(VALU_DEP_2)
	v_sub_f32_e32 v33, v33, v37
	v_add_f32_e32 v37, v36, v35
	s_delay_alu instid0(VALU_DEP_2) | instskip(NEXT) | instid1(VALU_DEP_2)
	v_add_f32_e32 v9, v9, v33
	v_rcp_f32_e32 v33, v37
	v_sub_f32_e32 v36, v36, v37
	s_delay_alu instid0(VALU_DEP_1) | instskip(NEXT) | instid1(VALU_DEP_1)
	v_dual_add_f32 v38, v34, v9 :: v_dual_add_f32 v35, v35, v36
	v_sub_f32_e32 v34, v34, v38
	s_delay_alu instid0(TRANS32_DEP_1) | instskip(NEXT) | instid1(VALU_DEP_2)
	v_mul_f32_e32 v39, v38, v33
	v_add_f32_e32 v9, v9, v34
	s_delay_alu instid0(VALU_DEP_2) | instskip(NEXT) | instid1(VALU_DEP_1)
	v_mul_f32_e32 v40, v37, v39
	v_fma_f32 v36, v39, v37, -v40
	s_delay_alu instid0(VALU_DEP_1) | instskip(NEXT) | instid1(VALU_DEP_1)
	v_fmac_f32_e32 v36, v39, v35
	v_add_f32_e32 v41, v40, v36
	s_delay_alu instid0(VALU_DEP_1) | instskip(SKIP_1) | instid1(VALU_DEP_2)
	v_sub_f32_e32 v42, v38, v41
	v_sub_f32_e32 v34, v41, v40
	;; [unrolled: 1-line block ×3, first 2 shown]
	s_delay_alu instid0(VALU_DEP_2) | instskip(NEXT) | instid1(VALU_DEP_2)
	v_sub_f32_e32 v34, v34, v36
	v_sub_f32_e32 v38, v38, v41
	s_delay_alu instid0(VALU_DEP_1) | instskip(NEXT) | instid1(VALU_DEP_1)
	v_add_f32_e32 v9, v9, v38
	v_add_f32_e32 v9, v34, v9
	s_delay_alu instid0(VALU_DEP_1) | instskip(NEXT) | instid1(VALU_DEP_1)
	v_add_f32_e32 v34, v42, v9
	v_mul_f32_e32 v36, v33, v34
	s_delay_alu instid0(VALU_DEP_1) | instskip(NEXT) | instid1(VALU_DEP_1)
	v_dual_sub_f32 v41, v42, v34 :: v_dual_mul_f32 v38, v37, v36
	v_add_f32_e32 v9, v9, v41
	s_delay_alu instid0(VALU_DEP_2) | instskip(NEXT) | instid1(VALU_DEP_1)
	v_fma_f32 v37, v36, v37, -v38
	v_fmac_f32_e32 v37, v36, v35
	s_delay_alu instid0(VALU_DEP_1) | instskip(NEXT) | instid1(VALU_DEP_1)
	v_add_f32_e32 v35, v38, v37
	v_sub_f32_e32 v40, v34, v35
	v_sub_f32_e32 v38, v35, v38
	s_delay_alu instid0(VALU_DEP_2) | instskip(NEXT) | instid1(VALU_DEP_1)
	v_sub_f32_e32 v34, v34, v40
	v_sub_f32_e32 v34, v34, v35
	s_delay_alu instid0(VALU_DEP_3) | instskip(NEXT) | instid1(VALU_DEP_2)
	v_sub_f32_e32 v35, v38, v37
	v_dual_add_f32 v9, v9, v34 :: v_dual_add_f32 v34, v39, v36
	s_delay_alu instid0(VALU_DEP_1) | instskip(NEXT) | instid1(VALU_DEP_2)
	v_add_f32_e32 v9, v35, v9
	v_sub_f32_e32 v35, v34, v39
	s_delay_alu instid0(VALU_DEP_2) | instskip(NEXT) | instid1(VALU_DEP_2)
	v_add_f32_e32 v9, v40, v9
	v_sub_f32_e32 v35, v36, v35
	s_delay_alu instid0(VALU_DEP_2) | instskip(NEXT) | instid1(VALU_DEP_1)
	v_mul_f32_e32 v9, v33, v9
	v_add_f32_e32 v9, v35, v9
	s_delay_alu instid0(VALU_DEP_1) | instskip(NEXT) | instid1(VALU_DEP_1)
	v_add_f32_e32 v33, v34, v9
	v_mul_f32_e32 v35, v33, v33
	s_wait_alu 0xfffe
	s_delay_alu instid0(VALU_DEP_1) | instskip(SKIP_2) | instid1(VALU_DEP_3)
	v_fmaak_f32 v36, s15, v35, 0x3ecc95a3
	v_mul_f32_e32 v37, v33, v35
	v_cmp_neq_f32_e64 s15, 0x7f800000, v32
	v_fmaak_f32 v35, v35, v36, 0x3f2aaada
	v_ldexp_f32 v36, v33, 1
	v_sub_f32_e32 v33, v33, v34
	s_delay_alu instid0(VALU_DEP_3) | instskip(SKIP_1) | instid1(VALU_DEP_2)
	v_mul_f32_e32 v35, v37, v35
	v_mul_f32_e32 v37, 0x3f317218, v8
	v_dual_sub_f32 v9, v9, v33 :: v_dual_add_f32 v34, v36, v35
	s_delay_alu instid0(VALU_DEP_1) | instskip(NEXT) | instid1(VALU_DEP_2)
	v_ldexp_f32 v9, v9, 1
	v_sub_f32_e32 v33, v34, v36
	s_delay_alu instid0(VALU_DEP_4) | instskip(NEXT) | instid1(VALU_DEP_1)
	v_fma_f32 v36, 0x3f317218, v8, -v37
	v_dual_sub_f32 v33, v35, v33 :: v_dual_fmamk_f32 v8, v8, 0xb102e308, v36
	s_delay_alu instid0(VALU_DEP_1) | instskip(NEXT) | instid1(VALU_DEP_2)
	v_add_f32_e32 v9, v9, v33
	v_add_f32_e32 v33, v37, v8
	s_delay_alu instid0(VALU_DEP_2) | instskip(NEXT) | instid1(VALU_DEP_2)
	v_add_f32_e32 v35, v34, v9
	v_sub_f32_e32 v37, v33, v37
	s_delay_alu instid0(VALU_DEP_2) | instskip(SKIP_1) | instid1(VALU_DEP_3)
	v_add_f32_e32 v36, v33, v35
	v_sub_f32_e32 v34, v35, v34
	v_sub_f32_e32 v8, v8, v37
	s_delay_alu instid0(VALU_DEP_2) | instskip(NEXT) | instid1(VALU_DEP_1)
	v_dual_sub_f32 v38, v36, v33 :: v_dual_sub_f32 v9, v9, v34
	v_sub_f32_e32 v39, v36, v38
	s_delay_alu instid0(VALU_DEP_2) | instskip(NEXT) | instid1(VALU_DEP_2)
	v_dual_sub_f32 v34, v35, v38 :: v_dual_add_f32 v35, v8, v9
	v_sub_f32_e32 v33, v33, v39
	s_delay_alu instid0(VALU_DEP_1) | instskip(NEXT) | instid1(VALU_DEP_1)
	v_dual_add_f32 v33, v34, v33 :: v_dual_sub_f32 v34, v35, v8
	v_add_f32_e32 v33, v35, v33
	s_delay_alu instid0(VALU_DEP_2) | instskip(SKIP_1) | instid1(VALU_DEP_3)
	v_sub_f32_e32 v35, v35, v34
	v_sub_f32_e32 v9, v9, v34
	v_add_f32_e32 v37, v36, v33
	s_delay_alu instid0(VALU_DEP_3) | instskip(NEXT) | instid1(VALU_DEP_2)
	v_sub_f32_e32 v8, v8, v35
	v_sub_f32_e32 v34, v37, v36
	s_delay_alu instid0(VALU_DEP_2) | instskip(NEXT) | instid1(VALU_DEP_2)
	v_add_f32_e32 v8, v9, v8
	v_sub_f32_e32 v9, v33, v34
	s_delay_alu instid0(VALU_DEP_1) | instskip(NEXT) | instid1(VALU_DEP_1)
	v_add_f32_e32 v8, v8, v9
	v_add_f32_e32 v8, v37, v8
	s_wait_alu 0xf1ff
	s_delay_alu instid0(VALU_DEP_1) | instskip(SKIP_2) | instid1(VALU_DEP_1)
	v_cndmask_b32_e64 v8, 0x7f800000, v8, s15
	v_cmp_gt_f32_e64 s15, 0x33800000, |v32|
	s_wait_alu 0xf1ff
	v_cndmask_b32_e64 v8, v8, v32, s15
	s_delay_alu instid0(VALU_DEP_1) | instskip(NEXT) | instid1(VALU_DEP_1)
	v_add_f32_e32 v8, v10, v8
	v_cvt_f16_f32_e32 v8, v8
	s_delay_alu instid0(VALU_DEP_1)
	v_cvt_f32_f16_e32 v9, v8
.LBB421_102:
	s_wait_alu 0xfffe
	s_or_b32 exec_lo, exec_lo, s16
	ds_load_u16 v10, v7 offset:12
	v_max_num_f32_e32 v32, v9, v9
	v_cmp_u_f16_e64 s15, v8, v8
	ds_store_b16 v7, v8 offset:10
	s_wait_dscnt 0x1
	v_cvt_f32_f16_e32 v33, v10
	s_delay_alu instid0(VALU_DEP_1) | instskip(SKIP_2) | instid1(VALU_DEP_2)
	v_min_num_f32_e32 v34, v32, v33
	v_max_num_f32_e32 v32, v32, v33
	s_wait_alu 0xf1ff
	v_cndmask_b32_e64 v34, v34, v9, s15
	s_delay_alu instid0(VALU_DEP_2) | instskip(SKIP_2) | instid1(VALU_DEP_1)
	v_cndmask_b32_e64 v35, v32, v9, s15
	v_cmp_u_f16_e64 s15, v10, v10
	s_wait_alu 0xf1ff
	v_cndmask_b32_e64 v32, v34, v33, s15
	s_delay_alu instid0(VALU_DEP_3) | instskip(NEXT) | instid1(VALU_DEP_2)
	v_cndmask_b32_e64 v10, v35, v33, s15
	v_cmp_class_f32_e64 s16, v32, 0x1f8
	s_delay_alu instid0(VALU_DEP_2)
	v_cmp_neq_f32_e64 s15, v32, v10
	s_or_b32 s15, s15, s16
	s_wait_alu 0xfffe
	s_and_saveexec_b32 s16, s15
	s_cbranch_execz .LBB421_104
; %bb.103:
	v_sub_f32_e32 v8, v32, v10
	s_delay_alu instid0(VALU_DEP_1) | instskip(NEXT) | instid1(VALU_DEP_1)
	v_mul_f32_e32 v9, 0x3fb8aa3b, v8
	v_fma_f32 v32, 0x3fb8aa3b, v8, -v9
	v_rndne_f32_e32 v33, v9
	s_delay_alu instid0(VALU_DEP_1) | instskip(SKIP_1) | instid1(VALU_DEP_2)
	v_dual_sub_f32 v9, v9, v33 :: v_dual_fmamk_f32 v32, v8, 0x32a5705f, v32
	v_cmp_ngt_f32_e64 s15, 0xc2ce8ed0, v8
	v_add_f32_e32 v9, v9, v32
	v_cvt_i32_f32_e32 v32, v33
	s_delay_alu instid0(VALU_DEP_2) | instskip(NEXT) | instid1(TRANS32_DEP_1)
	v_exp_f32_e32 v9, v9
	v_ldexp_f32 v9, v9, v32
	s_wait_alu 0xf1ff
	s_delay_alu instid0(VALU_DEP_1) | instskip(SKIP_2) | instid1(VALU_DEP_1)
	v_cndmask_b32_e64 v9, 0, v9, s15
	v_cmp_nlt_f32_e64 s15, 0x42b17218, v8
	s_wait_alu 0xf1ff
	v_cndmask_b32_e64 v32, 0x7f800000, v9, s15
	s_delay_alu instid0(VALU_DEP_1) | instskip(NEXT) | instid1(VALU_DEP_1)
	v_add_f32_e32 v33, 1.0, v32
	v_cvt_f64_f32_e32 v[8:9], v33
	s_delay_alu instid0(VALU_DEP_1) | instskip(SKIP_1) | instid1(VALU_DEP_1)
	v_frexp_exp_i32_f64_e32 v8, v[8:9]
	v_frexp_mant_f32_e32 v9, v33
	v_cmp_gt_f32_e64 s15, 0x3f2aaaab, v9
	v_add_f32_e32 v9, -1.0, v33
	s_delay_alu instid0(VALU_DEP_1)
	v_sub_f32_e32 v35, v9, v33
	v_sub_f32_e32 v9, v32, v9
	s_wait_alu 0xf1ff
	v_subrev_co_ci_u32_e64 v8, null, 0, v8, s15
	s_mov_b32 s15, 0x3e9b6dac
	v_sub_nc_u32_e32 v34, 0, v8
	v_cvt_f32_i32_e32 v8, v8
	s_delay_alu instid0(VALU_DEP_2) | instskip(NEXT) | instid1(VALU_DEP_1)
	v_ldexp_f32 v33, v33, v34
	v_dual_add_f32 v36, 1.0, v33 :: v_dual_add_f32 v35, 1.0, v35
	s_delay_alu instid0(VALU_DEP_1) | instskip(NEXT) | instid1(VALU_DEP_2)
	v_add_f32_e32 v9, v9, v35
	v_add_f32_e32 v35, -1.0, v36
	s_delay_alu instid0(VALU_DEP_2) | instskip(NEXT) | instid1(VALU_DEP_2)
	v_ldexp_f32 v9, v9, v34
	v_dual_add_f32 v34, -1.0, v33 :: v_dual_sub_f32 v35, v33, v35
	s_delay_alu instid0(VALU_DEP_1) | instskip(NEXT) | instid1(VALU_DEP_2)
	v_add_f32_e32 v37, 1.0, v34
	v_add_f32_e32 v35, v9, v35
	s_delay_alu instid0(VALU_DEP_2) | instskip(NEXT) | instid1(VALU_DEP_2)
	v_sub_f32_e32 v33, v33, v37
	v_add_f32_e32 v37, v36, v35
	s_delay_alu instid0(VALU_DEP_2) | instskip(NEXT) | instid1(VALU_DEP_2)
	v_add_f32_e32 v9, v9, v33
	v_rcp_f32_e32 v33, v37
	v_sub_f32_e32 v36, v36, v37
	s_delay_alu instid0(VALU_DEP_1) | instskip(NEXT) | instid1(VALU_DEP_1)
	v_dual_add_f32 v38, v34, v9 :: v_dual_add_f32 v35, v35, v36
	v_sub_f32_e32 v34, v34, v38
	s_delay_alu instid0(TRANS32_DEP_1) | instskip(NEXT) | instid1(VALU_DEP_2)
	v_mul_f32_e32 v39, v38, v33
	v_add_f32_e32 v9, v9, v34
	s_delay_alu instid0(VALU_DEP_2) | instskip(NEXT) | instid1(VALU_DEP_1)
	v_mul_f32_e32 v40, v37, v39
	v_fma_f32 v36, v39, v37, -v40
	s_delay_alu instid0(VALU_DEP_1) | instskip(NEXT) | instid1(VALU_DEP_1)
	v_fmac_f32_e32 v36, v39, v35
	v_add_f32_e32 v41, v40, v36
	s_delay_alu instid0(VALU_DEP_1) | instskip(SKIP_1) | instid1(VALU_DEP_2)
	v_sub_f32_e32 v42, v38, v41
	v_sub_f32_e32 v34, v41, v40
	;; [unrolled: 1-line block ×3, first 2 shown]
	s_delay_alu instid0(VALU_DEP_2) | instskip(NEXT) | instid1(VALU_DEP_2)
	v_sub_f32_e32 v34, v34, v36
	v_sub_f32_e32 v38, v38, v41
	s_delay_alu instid0(VALU_DEP_1) | instskip(NEXT) | instid1(VALU_DEP_1)
	v_add_f32_e32 v9, v9, v38
	v_add_f32_e32 v9, v34, v9
	s_delay_alu instid0(VALU_DEP_1) | instskip(NEXT) | instid1(VALU_DEP_1)
	v_add_f32_e32 v34, v42, v9
	v_mul_f32_e32 v36, v33, v34
	s_delay_alu instid0(VALU_DEP_1) | instskip(NEXT) | instid1(VALU_DEP_1)
	v_dual_sub_f32 v41, v42, v34 :: v_dual_mul_f32 v38, v37, v36
	v_add_f32_e32 v9, v9, v41
	s_delay_alu instid0(VALU_DEP_2) | instskip(NEXT) | instid1(VALU_DEP_1)
	v_fma_f32 v37, v36, v37, -v38
	v_fmac_f32_e32 v37, v36, v35
	s_delay_alu instid0(VALU_DEP_1) | instskip(NEXT) | instid1(VALU_DEP_1)
	v_add_f32_e32 v35, v38, v37
	v_sub_f32_e32 v40, v34, v35
	v_sub_f32_e32 v38, v35, v38
	s_delay_alu instid0(VALU_DEP_2) | instskip(NEXT) | instid1(VALU_DEP_1)
	v_sub_f32_e32 v34, v34, v40
	v_sub_f32_e32 v34, v34, v35
	s_delay_alu instid0(VALU_DEP_3) | instskip(NEXT) | instid1(VALU_DEP_2)
	v_sub_f32_e32 v35, v38, v37
	v_dual_add_f32 v9, v9, v34 :: v_dual_add_f32 v34, v39, v36
	s_delay_alu instid0(VALU_DEP_1) | instskip(NEXT) | instid1(VALU_DEP_2)
	v_add_f32_e32 v9, v35, v9
	v_sub_f32_e32 v35, v34, v39
	s_delay_alu instid0(VALU_DEP_2) | instskip(NEXT) | instid1(VALU_DEP_2)
	v_add_f32_e32 v9, v40, v9
	v_sub_f32_e32 v35, v36, v35
	s_delay_alu instid0(VALU_DEP_2) | instskip(NEXT) | instid1(VALU_DEP_1)
	v_mul_f32_e32 v9, v33, v9
	v_add_f32_e32 v9, v35, v9
	s_delay_alu instid0(VALU_DEP_1) | instskip(NEXT) | instid1(VALU_DEP_1)
	v_add_f32_e32 v33, v34, v9
	v_mul_f32_e32 v35, v33, v33
	s_wait_alu 0xfffe
	s_delay_alu instid0(VALU_DEP_1) | instskip(SKIP_2) | instid1(VALU_DEP_3)
	v_fmaak_f32 v36, s15, v35, 0x3ecc95a3
	v_mul_f32_e32 v37, v33, v35
	v_cmp_neq_f32_e64 s15, 0x7f800000, v32
	v_fmaak_f32 v35, v35, v36, 0x3f2aaada
	v_ldexp_f32 v36, v33, 1
	v_sub_f32_e32 v33, v33, v34
	s_delay_alu instid0(VALU_DEP_3) | instskip(SKIP_1) | instid1(VALU_DEP_2)
	v_mul_f32_e32 v35, v37, v35
	v_mul_f32_e32 v37, 0x3f317218, v8
	v_dual_sub_f32 v9, v9, v33 :: v_dual_add_f32 v34, v36, v35
	s_delay_alu instid0(VALU_DEP_1) | instskip(NEXT) | instid1(VALU_DEP_2)
	v_ldexp_f32 v9, v9, 1
	v_sub_f32_e32 v33, v34, v36
	s_delay_alu instid0(VALU_DEP_4) | instskip(NEXT) | instid1(VALU_DEP_1)
	v_fma_f32 v36, 0x3f317218, v8, -v37
	v_dual_sub_f32 v33, v35, v33 :: v_dual_fmamk_f32 v8, v8, 0xb102e308, v36
	s_delay_alu instid0(VALU_DEP_1) | instskip(NEXT) | instid1(VALU_DEP_2)
	v_add_f32_e32 v9, v9, v33
	v_add_f32_e32 v33, v37, v8
	s_delay_alu instid0(VALU_DEP_2) | instskip(NEXT) | instid1(VALU_DEP_2)
	v_add_f32_e32 v35, v34, v9
	v_sub_f32_e32 v37, v33, v37
	s_delay_alu instid0(VALU_DEP_2) | instskip(SKIP_1) | instid1(VALU_DEP_3)
	v_add_f32_e32 v36, v33, v35
	v_sub_f32_e32 v34, v35, v34
	v_sub_f32_e32 v8, v8, v37
	s_delay_alu instid0(VALU_DEP_2) | instskip(NEXT) | instid1(VALU_DEP_1)
	v_dual_sub_f32 v38, v36, v33 :: v_dual_sub_f32 v9, v9, v34
	v_sub_f32_e32 v39, v36, v38
	s_delay_alu instid0(VALU_DEP_2) | instskip(NEXT) | instid1(VALU_DEP_2)
	v_dual_sub_f32 v34, v35, v38 :: v_dual_add_f32 v35, v8, v9
	v_sub_f32_e32 v33, v33, v39
	s_delay_alu instid0(VALU_DEP_1) | instskip(NEXT) | instid1(VALU_DEP_1)
	v_dual_add_f32 v33, v34, v33 :: v_dual_sub_f32 v34, v35, v8
	v_add_f32_e32 v33, v35, v33
	s_delay_alu instid0(VALU_DEP_2) | instskip(SKIP_1) | instid1(VALU_DEP_3)
	v_sub_f32_e32 v35, v35, v34
	v_sub_f32_e32 v9, v9, v34
	v_add_f32_e32 v37, v36, v33
	s_delay_alu instid0(VALU_DEP_3) | instskip(NEXT) | instid1(VALU_DEP_2)
	v_sub_f32_e32 v8, v8, v35
	v_sub_f32_e32 v34, v37, v36
	s_delay_alu instid0(VALU_DEP_2) | instskip(NEXT) | instid1(VALU_DEP_2)
	v_add_f32_e32 v8, v9, v8
	v_sub_f32_e32 v9, v33, v34
	s_delay_alu instid0(VALU_DEP_1) | instskip(NEXT) | instid1(VALU_DEP_1)
	v_add_f32_e32 v8, v8, v9
	v_add_f32_e32 v8, v37, v8
	s_wait_alu 0xf1ff
	s_delay_alu instid0(VALU_DEP_1) | instskip(SKIP_2) | instid1(VALU_DEP_1)
	v_cndmask_b32_e64 v8, 0x7f800000, v8, s15
	v_cmp_gt_f32_e64 s15, 0x33800000, |v32|
	s_wait_alu 0xf1ff
	v_cndmask_b32_e64 v8, v8, v32, s15
	s_delay_alu instid0(VALU_DEP_1) | instskip(NEXT) | instid1(VALU_DEP_1)
	v_add_f32_e32 v8, v10, v8
	v_cvt_f16_f32_e32 v8, v8
	s_delay_alu instid0(VALU_DEP_1)
	v_cvt_f32_f16_e32 v9, v8
.LBB421_104:
	s_wait_alu 0xfffe
	s_or_b32 exec_lo, exec_lo, s16
	ds_load_u16 v10, v7 offset:14
	v_max_num_f32_e32 v32, v9, v9
	v_cmp_u_f16_e64 s15, v8, v8
	ds_store_b16 v7, v8 offset:12
	s_wait_dscnt 0x1
	v_cvt_f32_f16_e32 v33, v10
	s_delay_alu instid0(VALU_DEP_1) | instskip(SKIP_2) | instid1(VALU_DEP_2)
	v_min_num_f32_e32 v34, v32, v33
	v_max_num_f32_e32 v32, v32, v33
	s_wait_alu 0xf1ff
	v_cndmask_b32_e64 v34, v34, v9, s15
	s_delay_alu instid0(VALU_DEP_2) | instskip(SKIP_2) | instid1(VALU_DEP_1)
	v_cndmask_b32_e64 v9, v32, v9, s15
	v_cmp_u_f16_e64 s15, v10, v10
	s_wait_alu 0xf1ff
	v_cndmask_b32_e64 v10, v34, v33, s15
	s_delay_alu instid0(VALU_DEP_3) | instskip(NEXT) | instid1(VALU_DEP_2)
	v_cndmask_b32_e64 v9, v9, v33, s15
	v_cmp_class_f32_e64 s16, v10, 0x1f8
	s_delay_alu instid0(VALU_DEP_2)
	v_cmp_neq_f32_e64 s15, v10, v9
	s_or_b32 s15, s15, s16
	s_wait_alu 0xfffe
	s_and_saveexec_b32 s16, s15
	s_cbranch_execz .LBB421_106
; %bb.105:
	v_sub_f32_e32 v8, v10, v9
	s_delay_alu instid0(VALU_DEP_1) | instskip(SKIP_1) | instid1(VALU_DEP_2)
	v_mul_f32_e32 v10, 0x3fb8aa3b, v8
	v_cmp_ngt_f32_e64 s15, 0xc2ce8ed0, v8
	v_fma_f32 v32, 0x3fb8aa3b, v8, -v10
	v_rndne_f32_e32 v33, v10
	s_delay_alu instid0(VALU_DEP_2) | instskip(NEXT) | instid1(VALU_DEP_2)
	v_fmamk_f32 v32, v8, 0x32a5705f, v32
	v_sub_f32_e32 v10, v10, v33
	s_delay_alu instid0(VALU_DEP_1) | instskip(SKIP_1) | instid1(VALU_DEP_2)
	v_add_f32_e32 v10, v10, v32
	v_cvt_i32_f32_e32 v32, v33
	v_exp_f32_e32 v10, v10
	s_delay_alu instid0(TRANS32_DEP_1) | instskip(SKIP_1) | instid1(VALU_DEP_1)
	v_ldexp_f32 v10, v10, v32
	s_wait_alu 0xf1ff
	v_cndmask_b32_e64 v10, 0, v10, s15
	v_cmp_nlt_f32_e64 s15, 0x42b17218, v8
	s_wait_alu 0xf1ff
	s_delay_alu instid0(VALU_DEP_1) | instskip(NEXT) | instid1(VALU_DEP_1)
	v_cndmask_b32_e64 v8, 0x7f800000, v10, s15
	v_add_f32_e32 v10, 1.0, v8
	s_delay_alu instid0(VALU_DEP_1) | instskip(NEXT) | instid1(VALU_DEP_1)
	v_cvt_f64_f32_e32 v[32:33], v10
	v_frexp_exp_i32_f64_e32 v32, v[32:33]
	v_frexp_mant_f32_e32 v33, v10
	s_delay_alu instid0(VALU_DEP_1) | instskip(SKIP_1) | instid1(VALU_DEP_1)
	v_cmp_gt_f32_e64 s15, 0x3f2aaaab, v33
	v_add_f32_e32 v33, -1.0, v10
	v_sub_f32_e32 v35, v33, v10
	v_sub_f32_e32 v33, v8, v33
	s_delay_alu instid0(VALU_DEP_2) | instskip(NEXT) | instid1(VALU_DEP_1)
	v_add_f32_e32 v35, 1.0, v35
	v_add_f32_e32 v33, v33, v35
	s_wait_alu 0xf1ff
	v_subrev_co_ci_u32_e64 v32, null, 0, v32, s15
	s_mov_b32 s15, 0x3e9b6dac
	v_sub_nc_u32_e32 v34, 0, v32
	v_cvt_f32_i32_e32 v32, v32
	s_delay_alu instid0(VALU_DEP_2) | instskip(SKIP_1) | instid1(VALU_DEP_2)
	v_ldexp_f32 v10, v10, v34
	v_ldexp_f32 v33, v33, v34
	v_add_f32_e32 v36, 1.0, v10
	s_delay_alu instid0(VALU_DEP_1) | instskip(NEXT) | instid1(VALU_DEP_1)
	v_dual_add_f32 v34, -1.0, v10 :: v_dual_add_f32 v35, -1.0, v36
	v_add_f32_e32 v37, 1.0, v34
	s_delay_alu instid0(VALU_DEP_2) | instskip(NEXT) | instid1(VALU_DEP_1)
	v_sub_f32_e32 v35, v10, v35
	v_dual_sub_f32 v10, v10, v37 :: v_dual_add_f32 v35, v33, v35
	s_delay_alu instid0(VALU_DEP_1) | instskip(NEXT) | instid1(VALU_DEP_1)
	v_dual_add_f32 v10, v33, v10 :: v_dual_add_f32 v37, v36, v35
	v_rcp_f32_e32 v33, v37
	v_sub_f32_e32 v36, v36, v37
	s_delay_alu instid0(VALU_DEP_1) | instskip(NEXT) | instid1(VALU_DEP_1)
	v_dual_add_f32 v38, v34, v10 :: v_dual_add_f32 v35, v35, v36
	v_sub_f32_e32 v34, v34, v38
	s_delay_alu instid0(TRANS32_DEP_1) | instskip(NEXT) | instid1(VALU_DEP_2)
	v_mul_f32_e32 v39, v38, v33
	v_add_f32_e32 v10, v10, v34
	s_delay_alu instid0(VALU_DEP_2) | instskip(NEXT) | instid1(VALU_DEP_1)
	v_mul_f32_e32 v40, v37, v39
	v_fma_f32 v36, v39, v37, -v40
	s_delay_alu instid0(VALU_DEP_1) | instskip(NEXT) | instid1(VALU_DEP_1)
	v_fmac_f32_e32 v36, v39, v35
	v_add_f32_e32 v41, v40, v36
	s_delay_alu instid0(VALU_DEP_1) | instskip(SKIP_1) | instid1(VALU_DEP_2)
	v_sub_f32_e32 v42, v38, v41
	v_sub_f32_e32 v34, v41, v40
	;; [unrolled: 1-line block ×3, first 2 shown]
	s_delay_alu instid0(VALU_DEP_2) | instskip(NEXT) | instid1(VALU_DEP_2)
	v_sub_f32_e32 v34, v34, v36
	v_sub_f32_e32 v38, v38, v41
	s_delay_alu instid0(VALU_DEP_1) | instskip(NEXT) | instid1(VALU_DEP_1)
	v_add_f32_e32 v10, v10, v38
	v_add_f32_e32 v10, v34, v10
	s_delay_alu instid0(VALU_DEP_1) | instskip(NEXT) | instid1(VALU_DEP_1)
	v_add_f32_e32 v34, v42, v10
	v_mul_f32_e32 v36, v33, v34
	s_delay_alu instid0(VALU_DEP_1) | instskip(NEXT) | instid1(VALU_DEP_1)
	v_mul_f32_e32 v38, v37, v36
	v_fma_f32 v37, v36, v37, -v38
	s_delay_alu instid0(VALU_DEP_1) | instskip(SKIP_1) | instid1(VALU_DEP_2)
	v_fmac_f32_e32 v37, v36, v35
	v_sub_f32_e32 v41, v42, v34
	v_add_f32_e32 v35, v38, v37
	s_delay_alu instid0(VALU_DEP_2) | instskip(NEXT) | instid1(VALU_DEP_2)
	v_add_f32_e32 v10, v10, v41
	v_sub_f32_e32 v40, v34, v35
	v_sub_f32_e32 v38, v35, v38
	s_delay_alu instid0(VALU_DEP_2) | instskip(NEXT) | instid1(VALU_DEP_1)
	v_sub_f32_e32 v34, v34, v40
	v_sub_f32_e32 v34, v34, v35
	s_delay_alu instid0(VALU_DEP_3) | instskip(NEXT) | instid1(VALU_DEP_2)
	v_sub_f32_e32 v35, v38, v37
	v_add_f32_e32 v10, v10, v34
	v_add_f32_e32 v34, v39, v36
	s_delay_alu instid0(VALU_DEP_1) | instskip(NEXT) | instid1(VALU_DEP_1)
	v_dual_add_f32 v10, v35, v10 :: v_dual_sub_f32 v35, v34, v39
	v_add_f32_e32 v10, v40, v10
	s_delay_alu instid0(VALU_DEP_1) | instskip(NEXT) | instid1(VALU_DEP_1)
	v_dual_sub_f32 v35, v36, v35 :: v_dual_mul_f32 v10, v33, v10
	v_add_f32_e32 v10, v35, v10
	s_delay_alu instid0(VALU_DEP_1) | instskip(NEXT) | instid1(VALU_DEP_1)
	v_add_f32_e32 v33, v34, v10
	v_mul_f32_e32 v35, v33, v33
	s_wait_alu 0xfffe
	s_delay_alu instid0(VALU_DEP_1) | instskip(SKIP_2) | instid1(VALU_DEP_3)
	v_fmaak_f32 v36, s15, v35, 0x3ecc95a3
	v_mul_f32_e32 v37, v33, v35
	v_cmp_neq_f32_e64 s15, 0x7f800000, v8
	v_fmaak_f32 v35, v35, v36, 0x3f2aaada
	v_ldexp_f32 v36, v33, 1
	v_sub_f32_e32 v33, v33, v34
	s_delay_alu instid0(VALU_DEP_3) | instskip(NEXT) | instid1(VALU_DEP_2)
	v_mul_f32_e32 v35, v37, v35
	v_dual_mul_f32 v37, 0x3f317218, v32 :: v_dual_sub_f32 v10, v10, v33
	s_delay_alu instid0(VALU_DEP_2) | instskip(NEXT) | instid1(VALU_DEP_2)
	v_add_f32_e32 v34, v36, v35
	v_ldexp_f32 v10, v10, 1
	s_delay_alu instid0(VALU_DEP_2) | instskip(NEXT) | instid1(VALU_DEP_4)
	v_sub_f32_e32 v33, v34, v36
	v_fma_f32 v36, 0x3f317218, v32, -v37
	s_delay_alu instid0(VALU_DEP_1) | instskip(NEXT) | instid1(VALU_DEP_1)
	v_dual_sub_f32 v33, v35, v33 :: v_dual_fmamk_f32 v32, v32, 0xb102e308, v36
	v_dual_add_f32 v10, v10, v33 :: v_dual_add_f32 v33, v37, v32
	s_delay_alu instid0(VALU_DEP_1) | instskip(NEXT) | instid1(VALU_DEP_2)
	v_add_f32_e32 v35, v34, v10
	v_sub_f32_e32 v37, v33, v37
	s_delay_alu instid0(VALU_DEP_2) | instskip(SKIP_1) | instid1(VALU_DEP_3)
	v_add_f32_e32 v36, v33, v35
	v_sub_f32_e32 v34, v35, v34
	v_sub_f32_e32 v32, v32, v37
	s_delay_alu instid0(VALU_DEP_3) | instskip(NEXT) | instid1(VALU_DEP_3)
	v_sub_f32_e32 v38, v36, v33
	v_sub_f32_e32 v10, v10, v34
	s_delay_alu instid0(VALU_DEP_2) | instskip(SKIP_1) | instid1(VALU_DEP_3)
	v_sub_f32_e32 v39, v36, v38
	v_sub_f32_e32 v34, v35, v38
	v_add_f32_e32 v35, v32, v10
	s_delay_alu instid0(VALU_DEP_3) | instskip(NEXT) | instid1(VALU_DEP_1)
	v_sub_f32_e32 v33, v33, v39
	v_dual_add_f32 v33, v34, v33 :: v_dual_sub_f32 v34, v35, v32
	s_delay_alu instid0(VALU_DEP_1) | instskip(NEXT) | instid1(VALU_DEP_2)
	v_add_f32_e32 v33, v35, v33
	v_sub_f32_e32 v35, v35, v34
	s_delay_alu instid0(VALU_DEP_2) | instskip(NEXT) | instid1(VALU_DEP_2)
	v_dual_sub_f32 v10, v10, v34 :: v_dual_add_f32 v37, v36, v33
	v_sub_f32_e32 v32, v32, v35
	s_delay_alu instid0(VALU_DEP_2) | instskip(NEXT) | instid1(VALU_DEP_2)
	v_sub_f32_e32 v34, v37, v36
	v_add_f32_e32 v10, v10, v32
	s_delay_alu instid0(VALU_DEP_2) | instskip(NEXT) | instid1(VALU_DEP_1)
	v_sub_f32_e32 v32, v33, v34
	v_add_f32_e32 v10, v10, v32
	s_delay_alu instid0(VALU_DEP_1) | instskip(SKIP_1) | instid1(VALU_DEP_1)
	v_add_f32_e32 v10, v37, v10
	s_wait_alu 0xf1ff
	v_cndmask_b32_e64 v10, 0x7f800000, v10, s15
	v_cmp_gt_f32_e64 s15, 0x33800000, |v8|
	s_wait_alu 0xf1ff
	s_delay_alu instid0(VALU_DEP_1) | instskip(NEXT) | instid1(VALU_DEP_1)
	v_cndmask_b32_e64 v8, v10, v8, s15
	v_add_f32_e32 v8, v9, v8
	s_delay_alu instid0(VALU_DEP_1)
	v_cvt_f16_f32_e32 v8, v8
.LBB421_106:
	s_wait_alu 0xfffe
	s_or_b32 exec_lo, exec_lo, s16
	ds_store_b16 v7, v8 offset:14
.LBB421_107:
	s_wait_alu 0xfffe
	s_or_b32 exec_lo, exec_lo, s17
	s_wait_loadcnt_dscnt 0x0
	s_barrier_signal -1
	s_barrier_wait -1
	global_inv scope:SCOPE_SE
	s_and_saveexec_b32 s15, s2
	s_cbranch_execz .LBB421_109
; %bb.108:
	v_add_nc_u32_e32 v7, -1, v0
	s_delay_alu instid0(VALU_DEP_1) | instskip(NEXT) | instid1(VALU_DEP_1)
	v_lshrrev_b32_e32 v8, 4, v7
	v_and_b32_e32 v8, 0xffffffe, v8
	s_delay_alu instid0(VALU_DEP_1)
	v_lshl_add_u32 v7, v7, 1, v8
	ds_load_u16 v31, v7
.LBB421_109:
	s_wait_alu 0xfffe
	s_or_b32 exec_lo, exec_lo, s15
	s_and_saveexec_b32 s36, vcc_lo
	s_cbranch_execz .LBB421_173
; %bb.110:
	v_mov_b32_e32 v9, 0
	v_mbcnt_lo_u32_b32 v33, -1, 0
	s_mov_b32 s17, 0
	ds_load_u16 v32, v9 offset:524
	v_cmp_eq_u32_e64 s15, 0, v33
	s_and_saveexec_b32 s37, s15
	s_cbranch_execz .LBB421_112
; %bb.111:
	s_add_co_i32 s16, s33, 32
	s_wait_dscnt 0x0
	v_or_b32_e32 v7, 0x10000, v32
	s_wait_alu 0xfffe
	s_lshl_b64 s[16:17], s[16:17], 2
	s_wait_alu 0xfffe
	s_add_nc_u64 s[16:17], s[28:29], s[16:17]
	global_store_b32 v9, v7, s[16:17] scope:SCOPE_DEV
.LBB421_112:
	s_or_b32 exec_lo, exec_lo, s37
	v_xad_u32 v7, v33, -1, s33
	s_mov_b32 s16, exec_lo
	s_delay_alu instid0(VALU_DEP_1) | instskip(NEXT) | instid1(VALU_DEP_1)
	v_add_nc_u32_e32 v8, 32, v7
	v_lshlrev_b64_e32 v[8:9], 2, v[8:9]
	s_delay_alu instid0(VALU_DEP_1) | instskip(SKIP_1) | instid1(VALU_DEP_2)
	v_add_co_u32 v8, vcc_lo, s28, v8
	s_wait_alu 0xfffd
	v_add_co_ci_u32_e64 v9, null, s29, v9, vcc_lo
	global_load_b32 v46, v[8:9], off scope:SCOPE_DEV
	s_wait_loadcnt 0x0
	v_lshrrev_b32_e32 v34, 16, v46
	s_delay_alu instid0(VALU_DEP_1) | instskip(NEXT) | instid1(VALU_DEP_1)
	v_and_b32_e32 v10, 0xff, v34
	v_cmpx_eq_u16_e32 0, v10
	s_cbranch_execz .LBB421_116
; %bb.113:
	s_mov_b32 s17, 0
.LBB421_114:                            ; =>This Inner Loop Header: Depth=1
	global_load_b32 v46, v[8:9], off scope:SCOPE_DEV
	s_wait_loadcnt 0x0
	v_lshrrev_b32_e32 v34, 16, v46
	s_delay_alu instid0(VALU_DEP_1) | instskip(NEXT) | instid1(VALU_DEP_1)
	v_and_b32_e32 v10, 0xff, v34
	v_cmp_ne_u16_e32 vcc_lo, 0, v10
	s_wait_alu 0xfffe
	s_or_b32 s17, vcc_lo, s17
	s_wait_alu 0xfffe
	s_and_not1_b32 exec_lo, exec_lo, s17
	s_cbranch_execnz .LBB421_114
; %bb.115:
	s_or_b32 exec_lo, exec_lo, s17
.LBB421_116:
	s_wait_alu 0xfffe
	s_or_b32 exec_lo, exec_lo, s16
	v_cmp_ne_u32_e32 vcc_lo, 31, v33
	v_and_b32_e32 v10, 0xff, v34
	v_and_b32_e32 v9, 0xffff, v46
	v_lshlrev_b32_e64 v36, v33, -1
	s_mov_b32 s16, exec_lo
	s_wait_alu 0xfffd
	v_add_co_ci_u32_e64 v8, null, 0, v33, vcc_lo
	v_cmp_eq_u16_e32 vcc_lo, 2, v10
	s_delay_alu instid0(VALU_DEP_2) | instskip(SKIP_4) | instid1(VALU_DEP_1)
	v_lshlrev_b32_e32 v35, 2, v8
	s_wait_alu 0xfffd
	v_and_or_b32 v8, vcc_lo, v36, 0x80000000
	ds_bpermute_b32 v10, v35, v9
	v_ctz_i32_b32_e32 v8, v8
	v_cmpx_lt_u32_e64 v33, v8
	s_cbranch_execz .LBB421_120
; %bb.117:
	s_wait_dscnt 0x0
	v_cvt_f32_f16_e32 v9, v10
	v_cvt_f32_f16_e32 v38, v46
	v_cmp_u_f16_e32 vcc_lo, v10, v10
	s_delay_alu instid0(VALU_DEP_2) | instskip(SKIP_2) | instid1(VALU_DEP_2)
	v_min_num_f32_e32 v37, v9, v38
	v_max_num_f32_e32 v39, v9, v38
	s_wait_alu 0xfffd
	v_cndmask_b32_e32 v37, v37, v9, vcc_lo
	s_delay_alu instid0(VALU_DEP_2) | instskip(SKIP_2) | instid1(VALU_DEP_3)
	v_cndmask_b32_e32 v9, v39, v9, vcc_lo
	v_cmp_u_f16_e32 vcc_lo, v46, v46
	s_wait_alu 0xfffd
	v_cndmask_b32_e32 v37, v37, v38, vcc_lo
	s_delay_alu instid0(VALU_DEP_3) | instskip(NEXT) | instid1(VALU_DEP_2)
	v_cndmask_b32_e32 v9, v9, v38, vcc_lo
	v_cmp_class_f32_e64 s17, v37, 0x1f8
	s_delay_alu instid0(VALU_DEP_2) | instskip(SKIP_1) | instid1(SALU_CYCLE_1)
	v_cmp_neq_f32_e32 vcc_lo, v37, v9
	s_or_b32 s37, vcc_lo, s17
	s_and_saveexec_b32 s17, s37
	s_cbranch_execz .LBB421_119
; %bb.118:
	v_sub_f32_e32 v10, v37, v9
	s_mov_b32 s37, 0x3e9b6dac
	s_delay_alu instid0(VALU_DEP_1) | instskip(SKIP_1) | instid1(VALU_DEP_2)
	v_mul_f32_e32 v37, 0x3fb8aa3b, v10
	v_cmp_ngt_f32_e32 vcc_lo, 0xc2ce8ed0, v10
	v_fma_f32 v38, 0x3fb8aa3b, v10, -v37
	v_rndne_f32_e32 v39, v37
	s_delay_alu instid0(VALU_DEP_1) | instskip(NEXT) | instid1(VALU_DEP_1)
	v_dual_fmamk_f32 v38, v10, 0x32a5705f, v38 :: v_dual_sub_f32 v37, v37, v39
	v_add_f32_e32 v37, v37, v38
	v_cvt_i32_f32_e32 v38, v39
	s_delay_alu instid0(VALU_DEP_2) | instskip(NEXT) | instid1(TRANS32_DEP_1)
	v_exp_f32_e32 v37, v37
	v_ldexp_f32 v37, v37, v38
	s_wait_alu 0xfffd
	s_delay_alu instid0(VALU_DEP_1) | instskip(SKIP_2) | instid1(VALU_DEP_2)
	v_cndmask_b32_e32 v37, 0, v37, vcc_lo
	v_cmp_nlt_f32_e32 vcc_lo, 0x42b17218, v10
	s_wait_alu 0xfffd
	v_cndmask_b32_e32 v10, 0x7f800000, v37, vcc_lo
	s_delay_alu instid0(VALU_DEP_1) | instskip(NEXT) | instid1(VALU_DEP_1)
	v_add_f32_e32 v39, 1.0, v10
	v_cvt_f64_f32_e32 v[37:38], v39
	s_delay_alu instid0(VALU_DEP_1) | instskip(SKIP_1) | instid1(VALU_DEP_1)
	v_frexp_exp_i32_f64_e32 v37, v[37:38]
	v_frexp_mant_f32_e32 v38, v39
	v_cmp_gt_f32_e32 vcc_lo, 0x3f2aaaab, v38
	v_add_f32_e32 v38, -1.0, v39
	s_delay_alu instid0(VALU_DEP_1) | instskip(NEXT) | instid1(VALU_DEP_1)
	v_sub_f32_e32 v41, v38, v39
	v_dual_sub_f32 v38, v10, v38 :: v_dual_add_f32 v41, 1.0, v41
	s_delay_alu instid0(VALU_DEP_1) | instskip(SKIP_2) | instid1(VALU_DEP_1)
	v_add_f32_e32 v38, v38, v41
	s_wait_alu 0xfffd
	v_subrev_co_ci_u32_e64 v37, null, 0, v37, vcc_lo
	v_sub_nc_u32_e32 v40, 0, v37
	v_cvt_f32_i32_e32 v37, v37
	s_delay_alu instid0(VALU_DEP_2) | instskip(SKIP_1) | instid1(VALU_DEP_2)
	v_ldexp_f32 v39, v39, v40
	v_ldexp_f32 v38, v38, v40
	v_add_f32_e32 v42, 1.0, v39
	s_delay_alu instid0(VALU_DEP_1) | instskip(NEXT) | instid1(VALU_DEP_1)
	v_dual_add_f32 v40, -1.0, v39 :: v_dual_add_f32 v41, -1.0, v42
	v_add_f32_e32 v43, 1.0, v40
	v_cmp_neq_f32_e32 vcc_lo, 0x7f800000, v10
	s_delay_alu instid0(VALU_DEP_3) | instskip(NEXT) | instid1(VALU_DEP_3)
	v_sub_f32_e32 v41, v39, v41
	v_sub_f32_e32 v39, v39, v43
	s_delay_alu instid0(VALU_DEP_2) | instskip(NEXT) | instid1(VALU_DEP_2)
	v_add_f32_e32 v41, v38, v41
	v_add_f32_e32 v38, v38, v39
	s_delay_alu instid0(VALU_DEP_1) | instskip(NEXT) | instid1(VALU_DEP_1)
	v_dual_add_f32 v44, v40, v38 :: v_dual_add_f32 v43, v42, v41
	v_sub_f32_e32 v40, v40, v44
	s_delay_alu instid0(VALU_DEP_2) | instskip(SKIP_1) | instid1(VALU_DEP_1)
	v_rcp_f32_e32 v39, v43
	v_sub_f32_e32 v42, v42, v43
	v_dual_add_f32 v38, v38, v40 :: v_dual_add_f32 v41, v41, v42
	s_delay_alu instid0(TRANS32_DEP_1) | instskip(NEXT) | instid1(VALU_DEP_1)
	v_mul_f32_e32 v45, v44, v39
	v_mul_f32_e32 v46, v43, v45
	s_delay_alu instid0(VALU_DEP_1) | instskip(NEXT) | instid1(VALU_DEP_1)
	v_fma_f32 v42, v45, v43, -v46
	v_fmac_f32_e32 v42, v45, v41
	s_delay_alu instid0(VALU_DEP_1) | instskip(NEXT) | instid1(VALU_DEP_1)
	v_add_f32_e32 v47, v46, v42
	v_sub_f32_e32 v48, v44, v47
	s_delay_alu instid0(VALU_DEP_1) | instskip(SKIP_1) | instid1(VALU_DEP_2)
	v_sub_f32_e32 v44, v44, v48
	v_sub_f32_e32 v40, v47, v46
	;; [unrolled: 1-line block ×3, first 2 shown]
	s_delay_alu instid0(VALU_DEP_2) | instskip(NEXT) | instid1(VALU_DEP_2)
	v_sub_f32_e32 v40, v40, v42
	v_add_f32_e32 v38, v38, v44
	s_delay_alu instid0(VALU_DEP_1) | instskip(NEXT) | instid1(VALU_DEP_1)
	v_add_f32_e32 v38, v40, v38
	v_add_f32_e32 v40, v48, v38
	s_delay_alu instid0(VALU_DEP_1) | instskip(NEXT) | instid1(VALU_DEP_1)
	v_mul_f32_e32 v42, v39, v40
	v_dual_sub_f32 v47, v48, v40 :: v_dual_mul_f32 v44, v43, v42
	s_delay_alu instid0(VALU_DEP_1) | instskip(NEXT) | instid1(VALU_DEP_2)
	v_add_f32_e32 v38, v38, v47
	v_fma_f32 v43, v42, v43, -v44
	s_delay_alu instid0(VALU_DEP_1) | instskip(NEXT) | instid1(VALU_DEP_1)
	v_fmac_f32_e32 v43, v42, v41
	v_add_f32_e32 v41, v44, v43
	s_delay_alu instid0(VALU_DEP_1) | instskip(SKIP_1) | instid1(VALU_DEP_2)
	v_sub_f32_e32 v46, v40, v41
	v_sub_f32_e32 v44, v41, v44
	;; [unrolled: 1-line block ×3, first 2 shown]
	s_delay_alu instid0(VALU_DEP_1) | instskip(NEXT) | instid1(VALU_DEP_1)
	v_sub_f32_e32 v40, v40, v41
	v_dual_sub_f32 v41, v44, v43 :: v_dual_add_f32 v38, v38, v40
	v_add_f32_e32 v40, v45, v42
	s_delay_alu instid0(VALU_DEP_1) | instskip(NEXT) | instid1(VALU_DEP_1)
	v_dual_add_f32 v38, v41, v38 :: v_dual_sub_f32 v41, v40, v45
	v_add_f32_e32 v38, v46, v38
	s_delay_alu instid0(VALU_DEP_1) | instskip(NEXT) | instid1(VALU_DEP_1)
	v_dual_sub_f32 v41, v42, v41 :: v_dual_mul_f32 v38, v39, v38
	v_add_f32_e32 v38, v41, v38
	s_delay_alu instid0(VALU_DEP_1) | instskip(NEXT) | instid1(VALU_DEP_1)
	v_add_f32_e32 v39, v40, v38
	v_mul_f32_e32 v41, v39, v39
	s_delay_alu instid0(VALU_DEP_1) | instskip(SKIP_1) | instid1(VALU_DEP_2)
	v_fmaak_f32 v42, s37, v41, 0x3ecc95a3
	v_mul_f32_e32 v43, v39, v41
	v_fmaak_f32 v41, v41, v42, 0x3f2aaada
	v_ldexp_f32 v42, v39, 1
	v_sub_f32_e32 v39, v39, v40
	s_delay_alu instid0(VALU_DEP_3) | instskip(NEXT) | instid1(VALU_DEP_2)
	v_mul_f32_e32 v41, v43, v41
	v_dual_mul_f32 v43, 0x3f317218, v37 :: v_dual_sub_f32 v38, v38, v39
	s_delay_alu instid0(VALU_DEP_2) | instskip(NEXT) | instid1(VALU_DEP_2)
	v_add_f32_e32 v40, v42, v41
	v_ldexp_f32 v38, v38, 1
	s_delay_alu instid0(VALU_DEP_2) | instskip(NEXT) | instid1(VALU_DEP_4)
	v_sub_f32_e32 v39, v40, v42
	v_fma_f32 v42, 0x3f317218, v37, -v43
	s_delay_alu instid0(VALU_DEP_2) | instskip(NEXT) | instid1(VALU_DEP_1)
	v_sub_f32_e32 v39, v41, v39
	v_dual_fmamk_f32 v37, v37, 0xb102e308, v42 :: v_dual_add_f32 v38, v38, v39
	s_delay_alu instid0(VALU_DEP_1) | instskip(NEXT) | instid1(VALU_DEP_1)
	v_add_f32_e32 v39, v43, v37
	v_sub_f32_e32 v43, v39, v43
	s_delay_alu instid0(VALU_DEP_1) | instskip(NEXT) | instid1(VALU_DEP_4)
	v_sub_f32_e32 v37, v37, v43
	v_add_f32_e32 v41, v40, v38
	s_delay_alu instid0(VALU_DEP_1) | instskip(NEXT) | instid1(VALU_DEP_1)
	v_sub_f32_e32 v40, v41, v40
	v_sub_f32_e32 v38, v38, v40
	v_add_f32_e32 v42, v39, v41
	s_delay_alu instid0(VALU_DEP_1) | instskip(NEXT) | instid1(VALU_DEP_1)
	v_sub_f32_e32 v44, v42, v39
	v_sub_f32_e32 v40, v41, v44
	s_delay_alu instid0(VALU_DEP_4) | instskip(SKIP_1) | instid1(VALU_DEP_1)
	v_add_f32_e32 v41, v37, v38
	v_sub_f32_e32 v45, v42, v44
	v_sub_f32_e32 v39, v39, v45
	s_delay_alu instid0(VALU_DEP_1) | instskip(NEXT) | instid1(VALU_DEP_1)
	v_dual_add_f32 v39, v40, v39 :: v_dual_sub_f32 v40, v41, v37
	v_dual_add_f32 v39, v41, v39 :: v_dual_sub_f32 v38, v38, v40
	v_sub_f32_e32 v41, v41, v40
	s_delay_alu instid0(VALU_DEP_2) | instskip(NEXT) | instid1(VALU_DEP_1)
	v_add_f32_e32 v43, v42, v39
	v_dual_sub_f32 v37, v37, v41 :: v_dual_sub_f32 v40, v43, v42
	s_delay_alu instid0(VALU_DEP_1) | instskip(NEXT) | instid1(VALU_DEP_1)
	v_dual_add_f32 v37, v38, v37 :: v_dual_sub_f32 v38, v39, v40
	v_add_f32_e32 v37, v37, v38
	s_delay_alu instid0(VALU_DEP_1) | instskip(SKIP_1) | instid1(VALU_DEP_1)
	v_add_f32_e32 v37, v43, v37
	s_wait_alu 0xfffd
	v_cndmask_b32_e32 v37, 0x7f800000, v37, vcc_lo
	v_cmp_gt_f32_e64 vcc_lo, 0x33800000, |v10|
	s_wait_alu 0xfffd
	s_delay_alu instid0(VALU_DEP_2) | instskip(NEXT) | instid1(VALU_DEP_1)
	v_cndmask_b32_e32 v10, v37, v10, vcc_lo
	v_add_f32_e32 v9, v9, v10
	s_delay_alu instid0(VALU_DEP_1)
	v_cvt_f16_f32_e32 v10, v9
.LBB421_119:
	s_wait_alu 0xfffe
	s_or_b32 exec_lo, exec_lo, s17
	s_delay_alu instid0(VALU_DEP_1)
	v_dual_mov_b32 v46, v10 :: v_dual_and_b32 v9, 0xffff, v10
.LBB421_120:
	s_wait_alu 0xfffe
	s_or_b32 exec_lo, exec_lo, s16
	v_cmp_gt_u32_e32 vcc_lo, 30, v33
	v_add_nc_u32_e32 v38, 2, v33
	s_mov_b32 s16, exec_lo
	s_wait_dscnt 0x0
	s_wait_alu 0xfffd
	v_cndmask_b32_e64 v10, 0, 2, vcc_lo
	s_delay_alu instid0(VALU_DEP_1)
	v_add_lshl_u32 v37, v10, v33, 2
	ds_bpermute_b32 v10, v37, v9
	v_cmpx_le_u32_e64 v38, v8
	s_cbranch_execz .LBB421_124
; %bb.121:
	s_wait_dscnt 0x0
	v_cvt_f32_f16_e32 v9, v10
	v_cvt_f32_f16_e32 v40, v46
	v_cmp_u_f16_e32 vcc_lo, v10, v10
	s_delay_alu instid0(VALU_DEP_2) | instskip(SKIP_2) | instid1(VALU_DEP_2)
	v_min_num_f32_e32 v39, v9, v40
	v_max_num_f32_e32 v41, v9, v40
	s_wait_alu 0xfffd
	v_cndmask_b32_e32 v39, v39, v9, vcc_lo
	s_delay_alu instid0(VALU_DEP_2) | instskip(SKIP_2) | instid1(VALU_DEP_3)
	v_cndmask_b32_e32 v9, v41, v9, vcc_lo
	v_cmp_u_f16_e32 vcc_lo, v46, v46
	s_wait_alu 0xfffd
	v_cndmask_b32_e32 v39, v39, v40, vcc_lo
	s_delay_alu instid0(VALU_DEP_3) | instskip(NEXT) | instid1(VALU_DEP_2)
	v_cndmask_b32_e32 v9, v9, v40, vcc_lo
	v_cmp_class_f32_e64 s17, v39, 0x1f8
	s_delay_alu instid0(VALU_DEP_2)
	v_cmp_neq_f32_e32 vcc_lo, v39, v9
	s_or_b32 s37, vcc_lo, s17
	s_wait_alu 0xfffe
	s_and_saveexec_b32 s17, s37
	s_cbranch_execz .LBB421_123
; %bb.122:
	v_sub_f32_e32 v10, v39, v9
	s_mov_b32 s37, 0x3e9b6dac
	s_delay_alu instid0(VALU_DEP_1) | instskip(SKIP_1) | instid1(VALU_DEP_2)
	v_mul_f32_e32 v39, 0x3fb8aa3b, v10
	v_cmp_ngt_f32_e32 vcc_lo, 0xc2ce8ed0, v10
	v_fma_f32 v40, 0x3fb8aa3b, v10, -v39
	v_rndne_f32_e32 v41, v39
	s_delay_alu instid0(VALU_DEP_1) | instskip(NEXT) | instid1(VALU_DEP_1)
	v_dual_fmamk_f32 v40, v10, 0x32a5705f, v40 :: v_dual_sub_f32 v39, v39, v41
	v_add_f32_e32 v39, v39, v40
	v_cvt_i32_f32_e32 v40, v41
	s_delay_alu instid0(VALU_DEP_2) | instskip(NEXT) | instid1(TRANS32_DEP_1)
	v_exp_f32_e32 v39, v39
	v_ldexp_f32 v39, v39, v40
	s_wait_alu 0xfffd
	s_delay_alu instid0(VALU_DEP_1) | instskip(SKIP_2) | instid1(VALU_DEP_2)
	v_cndmask_b32_e32 v39, 0, v39, vcc_lo
	v_cmp_nlt_f32_e32 vcc_lo, 0x42b17218, v10
	s_wait_alu 0xfffd
	v_cndmask_b32_e32 v10, 0x7f800000, v39, vcc_lo
	s_delay_alu instid0(VALU_DEP_1) | instskip(NEXT) | instid1(VALU_DEP_1)
	v_add_f32_e32 v41, 1.0, v10
	v_cvt_f64_f32_e32 v[39:40], v41
	s_delay_alu instid0(VALU_DEP_1) | instskip(SKIP_1) | instid1(VALU_DEP_1)
	v_frexp_exp_i32_f64_e32 v39, v[39:40]
	v_frexp_mant_f32_e32 v40, v41
	v_cmp_gt_f32_e32 vcc_lo, 0x3f2aaaab, v40
	v_add_f32_e32 v40, -1.0, v41
	s_delay_alu instid0(VALU_DEP_1) | instskip(SKIP_3) | instid1(VALU_DEP_2)
	v_dual_sub_f32 v43, v40, v41 :: v_dual_sub_f32 v40, v10, v40
	s_wait_alu 0xfffd
	v_subrev_co_ci_u32_e64 v39, null, 0, v39, vcc_lo
	v_cmp_neq_f32_e32 vcc_lo, 0x7f800000, v10
	v_sub_nc_u32_e32 v42, 0, v39
	v_cvt_f32_i32_e32 v39, v39
	s_delay_alu instid0(VALU_DEP_2) | instskip(NEXT) | instid1(VALU_DEP_1)
	v_ldexp_f32 v41, v41, v42
	v_dual_add_f32 v43, 1.0, v43 :: v_dual_add_f32 v44, 1.0, v41
	s_delay_alu instid0(VALU_DEP_1) | instskip(NEXT) | instid1(VALU_DEP_1)
	v_dual_add_f32 v40, v40, v43 :: v_dual_add_f32 v43, -1.0, v44
	v_ldexp_f32 v40, v40, v42
	s_delay_alu instid0(VALU_DEP_2) | instskip(NEXT) | instid1(VALU_DEP_1)
	v_dual_add_f32 v42, -1.0, v41 :: v_dual_sub_f32 v43, v41, v43
	v_add_f32_e32 v45, 1.0, v42
	s_delay_alu instid0(VALU_DEP_2) | instskip(NEXT) | instid1(VALU_DEP_2)
	v_add_f32_e32 v43, v40, v43
	v_sub_f32_e32 v41, v41, v45
	s_delay_alu instid0(VALU_DEP_1) | instskip(NEXT) | instid1(VALU_DEP_1)
	v_add_f32_e32 v40, v40, v41
	v_dual_add_f32 v46, v42, v40 :: v_dual_add_f32 v45, v44, v43
	s_delay_alu instid0(VALU_DEP_1) | instskip(NEXT) | instid1(VALU_DEP_2)
	v_sub_f32_e32 v42, v42, v46
	v_rcp_f32_e32 v41, v45
	v_sub_f32_e32 v44, v44, v45
	s_delay_alu instid0(VALU_DEP_1) | instskip(NEXT) | instid1(TRANS32_DEP_1)
	v_dual_add_f32 v40, v40, v42 :: v_dual_add_f32 v43, v43, v44
	v_mul_f32_e32 v47, v46, v41
	s_delay_alu instid0(VALU_DEP_1) | instskip(NEXT) | instid1(VALU_DEP_1)
	v_mul_f32_e32 v48, v45, v47
	v_fma_f32 v44, v47, v45, -v48
	s_delay_alu instid0(VALU_DEP_1) | instskip(NEXT) | instid1(VALU_DEP_1)
	v_fmac_f32_e32 v44, v47, v43
	v_add_f32_e32 v49, v48, v44
	s_delay_alu instid0(VALU_DEP_1) | instskip(NEXT) | instid1(VALU_DEP_1)
	v_sub_f32_e32 v50, v46, v49
	v_sub_f32_e32 v46, v46, v50
	;; [unrolled: 1-line block ×3, first 2 shown]
	s_delay_alu instid0(VALU_DEP_2) | instskip(NEXT) | instid1(VALU_DEP_2)
	v_sub_f32_e32 v46, v46, v49
	v_sub_f32_e32 v42, v42, v44
	s_delay_alu instid0(VALU_DEP_2) | instskip(NEXT) | instid1(VALU_DEP_1)
	v_add_f32_e32 v40, v40, v46
	v_add_f32_e32 v40, v42, v40
	s_delay_alu instid0(VALU_DEP_1) | instskip(NEXT) | instid1(VALU_DEP_1)
	v_add_f32_e32 v42, v50, v40
	v_mul_f32_e32 v44, v41, v42
	s_delay_alu instid0(VALU_DEP_1) | instskip(NEXT) | instid1(VALU_DEP_1)
	v_dual_sub_f32 v49, v50, v42 :: v_dual_mul_f32 v46, v45, v44
	v_add_f32_e32 v40, v40, v49
	s_delay_alu instid0(VALU_DEP_2) | instskip(NEXT) | instid1(VALU_DEP_1)
	v_fma_f32 v45, v44, v45, -v46
	v_fmac_f32_e32 v45, v44, v43
	s_delay_alu instid0(VALU_DEP_1) | instskip(NEXT) | instid1(VALU_DEP_1)
	v_add_f32_e32 v43, v46, v45
	v_sub_f32_e32 v48, v42, v43
	v_sub_f32_e32 v46, v43, v46
	s_delay_alu instid0(VALU_DEP_2) | instskip(NEXT) | instid1(VALU_DEP_1)
	v_sub_f32_e32 v42, v42, v48
	v_sub_f32_e32 v42, v42, v43
	s_delay_alu instid0(VALU_DEP_1) | instskip(SKIP_1) | instid1(VALU_DEP_1)
	v_dual_sub_f32 v43, v46, v45 :: v_dual_add_f32 v40, v40, v42
	v_add_f32_e32 v42, v47, v44
	v_dual_add_f32 v40, v43, v40 :: v_dual_sub_f32 v43, v42, v47
	s_delay_alu instid0(VALU_DEP_1) | instskip(NEXT) | instid1(VALU_DEP_1)
	v_add_f32_e32 v40, v48, v40
	v_dual_sub_f32 v43, v44, v43 :: v_dual_mul_f32 v40, v41, v40
	s_delay_alu instid0(VALU_DEP_1) | instskip(NEXT) | instid1(VALU_DEP_1)
	v_add_f32_e32 v40, v43, v40
	v_add_f32_e32 v41, v42, v40
	s_delay_alu instid0(VALU_DEP_1) | instskip(SKIP_1) | instid1(VALU_DEP_1)
	v_mul_f32_e32 v43, v41, v41
	s_wait_alu 0xfffe
	v_fmaak_f32 v44, s37, v43, 0x3ecc95a3
	v_mul_f32_e32 v45, v41, v43
	s_delay_alu instid0(VALU_DEP_2) | instskip(SKIP_2) | instid1(VALU_DEP_3)
	v_fmaak_f32 v43, v43, v44, 0x3f2aaada
	v_ldexp_f32 v44, v41, 1
	v_sub_f32_e32 v41, v41, v42
	v_mul_f32_e32 v43, v45, v43
	s_delay_alu instid0(VALU_DEP_2) | instskip(NEXT) | instid1(VALU_DEP_2)
	v_dual_mul_f32 v45, 0x3f317218, v39 :: v_dual_sub_f32 v40, v40, v41
	v_add_f32_e32 v42, v44, v43
	s_delay_alu instid0(VALU_DEP_2) | instskip(NEXT) | instid1(VALU_DEP_2)
	v_ldexp_f32 v40, v40, 1
	v_sub_f32_e32 v41, v42, v44
	s_delay_alu instid0(VALU_DEP_4) | instskip(NEXT) | instid1(VALU_DEP_2)
	v_fma_f32 v44, 0x3f317218, v39, -v45
	v_sub_f32_e32 v41, v43, v41
	s_delay_alu instid0(VALU_DEP_1) | instskip(NEXT) | instid1(VALU_DEP_1)
	v_dual_fmamk_f32 v39, v39, 0xb102e308, v44 :: v_dual_add_f32 v40, v40, v41
	v_add_f32_e32 v41, v45, v39
	s_delay_alu instid0(VALU_DEP_1) | instskip(NEXT) | instid1(VALU_DEP_1)
	v_sub_f32_e32 v45, v41, v45
	v_sub_f32_e32 v39, v39, v45
	s_delay_alu instid0(VALU_DEP_4) | instskip(NEXT) | instid1(VALU_DEP_1)
	v_add_f32_e32 v43, v42, v40
	v_sub_f32_e32 v42, v43, v42
	s_delay_alu instid0(VALU_DEP_1) | instskip(SKIP_1) | instid1(VALU_DEP_1)
	v_sub_f32_e32 v40, v40, v42
	v_add_f32_e32 v44, v41, v43
	v_sub_f32_e32 v46, v44, v41
	s_delay_alu instid0(VALU_DEP_1) | instskip(NEXT) | instid1(VALU_DEP_4)
	v_sub_f32_e32 v42, v43, v46
	v_add_f32_e32 v43, v39, v40
	v_sub_f32_e32 v47, v44, v46
	s_delay_alu instid0(VALU_DEP_1) | instskip(NEXT) | instid1(VALU_DEP_1)
	v_sub_f32_e32 v41, v41, v47
	v_dual_add_f32 v41, v42, v41 :: v_dual_sub_f32 v42, v43, v39
	s_delay_alu instid0(VALU_DEP_1) | instskip(SKIP_1) | instid1(VALU_DEP_2)
	v_dual_add_f32 v41, v43, v41 :: v_dual_sub_f32 v40, v40, v42
	v_sub_f32_e32 v43, v43, v42
	v_add_f32_e32 v45, v44, v41
	s_delay_alu instid0(VALU_DEP_1) | instskip(NEXT) | instid1(VALU_DEP_1)
	v_dual_sub_f32 v39, v39, v43 :: v_dual_sub_f32 v42, v45, v44
	v_dual_add_f32 v39, v40, v39 :: v_dual_sub_f32 v40, v41, v42
	s_delay_alu instid0(VALU_DEP_1) | instskip(NEXT) | instid1(VALU_DEP_1)
	v_add_f32_e32 v39, v39, v40
	v_add_f32_e32 v39, v45, v39
	s_wait_alu 0xfffd
	s_delay_alu instid0(VALU_DEP_1) | instskip(SKIP_2) | instid1(VALU_DEP_2)
	v_cndmask_b32_e32 v39, 0x7f800000, v39, vcc_lo
	v_cmp_gt_f32_e64 vcc_lo, 0x33800000, |v10|
	s_wait_alu 0xfffd
	v_cndmask_b32_e32 v10, v39, v10, vcc_lo
	s_delay_alu instid0(VALU_DEP_1) | instskip(NEXT) | instid1(VALU_DEP_1)
	v_add_f32_e32 v9, v9, v10
	v_cvt_f16_f32_e32 v10, v9
.LBB421_123:
	s_wait_alu 0xfffe
	s_or_b32 exec_lo, exec_lo, s17
	s_delay_alu instid0(VALU_DEP_1)
	v_dual_mov_b32 v46, v10 :: v_dual_and_b32 v9, 0xffff, v10
.LBB421_124:
	s_wait_alu 0xfffe
	s_or_b32 exec_lo, exec_lo, s16
	v_cmp_gt_u32_e32 vcc_lo, 28, v33
	v_add_nc_u32_e32 v40, 4, v33
	s_mov_b32 s16, exec_lo
	s_wait_dscnt 0x0
	s_wait_alu 0xfffd
	v_cndmask_b32_e64 v10, 0, 4, vcc_lo
	s_delay_alu instid0(VALU_DEP_1)
	v_add_lshl_u32 v39, v10, v33, 2
	ds_bpermute_b32 v10, v39, v9
	v_cmpx_le_u32_e64 v40, v8
	s_cbranch_execz .LBB421_128
; %bb.125:
	s_wait_dscnt 0x0
	v_cvt_f32_f16_e32 v9, v10
	v_cvt_f32_f16_e32 v42, v46
	v_cmp_u_f16_e32 vcc_lo, v10, v10
	s_delay_alu instid0(VALU_DEP_2) | instskip(SKIP_2) | instid1(VALU_DEP_2)
	v_min_num_f32_e32 v41, v9, v42
	v_max_num_f32_e32 v43, v9, v42
	s_wait_alu 0xfffd
	v_cndmask_b32_e32 v41, v41, v9, vcc_lo
	s_delay_alu instid0(VALU_DEP_2) | instskip(SKIP_2) | instid1(VALU_DEP_3)
	v_cndmask_b32_e32 v9, v43, v9, vcc_lo
	v_cmp_u_f16_e32 vcc_lo, v46, v46
	s_wait_alu 0xfffd
	v_cndmask_b32_e32 v41, v41, v42, vcc_lo
	s_delay_alu instid0(VALU_DEP_3) | instskip(NEXT) | instid1(VALU_DEP_2)
	v_cndmask_b32_e32 v9, v9, v42, vcc_lo
	v_cmp_class_f32_e64 s17, v41, 0x1f8
	s_delay_alu instid0(VALU_DEP_2)
	v_cmp_neq_f32_e32 vcc_lo, v41, v9
	s_or_b32 s37, vcc_lo, s17
	s_wait_alu 0xfffe
	s_and_saveexec_b32 s17, s37
	s_cbranch_execz .LBB421_127
; %bb.126:
	v_sub_f32_e32 v10, v41, v9
	s_mov_b32 s37, 0x3e9b6dac
	s_delay_alu instid0(VALU_DEP_1) | instskip(SKIP_1) | instid1(VALU_DEP_2)
	v_mul_f32_e32 v41, 0x3fb8aa3b, v10
	v_cmp_ngt_f32_e32 vcc_lo, 0xc2ce8ed0, v10
	v_fma_f32 v42, 0x3fb8aa3b, v10, -v41
	v_rndne_f32_e32 v43, v41
	s_delay_alu instid0(VALU_DEP_1) | instskip(NEXT) | instid1(VALU_DEP_1)
	v_dual_fmamk_f32 v42, v10, 0x32a5705f, v42 :: v_dual_sub_f32 v41, v41, v43
	v_add_f32_e32 v41, v41, v42
	v_cvt_i32_f32_e32 v42, v43
	s_delay_alu instid0(VALU_DEP_2) | instskip(NEXT) | instid1(TRANS32_DEP_1)
	v_exp_f32_e32 v41, v41
	v_ldexp_f32 v41, v41, v42
	s_wait_alu 0xfffd
	s_delay_alu instid0(VALU_DEP_1) | instskip(SKIP_2) | instid1(VALU_DEP_2)
	v_cndmask_b32_e32 v41, 0, v41, vcc_lo
	v_cmp_nlt_f32_e32 vcc_lo, 0x42b17218, v10
	s_wait_alu 0xfffd
	v_cndmask_b32_e32 v10, 0x7f800000, v41, vcc_lo
	s_delay_alu instid0(VALU_DEP_1) | instskip(NEXT) | instid1(VALU_DEP_1)
	v_add_f32_e32 v43, 1.0, v10
	v_cvt_f64_f32_e32 v[41:42], v43
	s_delay_alu instid0(VALU_DEP_1) | instskip(SKIP_1) | instid1(VALU_DEP_1)
	v_frexp_exp_i32_f64_e32 v41, v[41:42]
	v_frexp_mant_f32_e32 v42, v43
	v_cmp_gt_f32_e32 vcc_lo, 0x3f2aaaab, v42
	v_add_f32_e32 v42, -1.0, v43
	s_delay_alu instid0(VALU_DEP_1) | instskip(NEXT) | instid1(VALU_DEP_1)
	v_sub_f32_e32 v45, v42, v43
	v_dual_sub_f32 v42, v10, v42 :: v_dual_add_f32 v45, 1.0, v45
	s_delay_alu instid0(VALU_DEP_1) | instskip(SKIP_2) | instid1(VALU_DEP_1)
	v_add_f32_e32 v42, v42, v45
	s_wait_alu 0xfffd
	v_subrev_co_ci_u32_e64 v41, null, 0, v41, vcc_lo
	v_sub_nc_u32_e32 v44, 0, v41
	v_cvt_f32_i32_e32 v41, v41
	s_delay_alu instid0(VALU_DEP_2) | instskip(SKIP_1) | instid1(VALU_DEP_2)
	v_ldexp_f32 v43, v43, v44
	v_ldexp_f32 v42, v42, v44
	v_add_f32_e32 v46, 1.0, v43
	s_delay_alu instid0(VALU_DEP_1) | instskip(NEXT) | instid1(VALU_DEP_1)
	v_dual_add_f32 v44, -1.0, v43 :: v_dual_add_f32 v45, -1.0, v46
	v_add_f32_e32 v47, 1.0, v44
	v_cmp_neq_f32_e32 vcc_lo, 0x7f800000, v10
	s_delay_alu instid0(VALU_DEP_3) | instskip(NEXT) | instid1(VALU_DEP_3)
	v_sub_f32_e32 v45, v43, v45
	v_sub_f32_e32 v43, v43, v47
	s_delay_alu instid0(VALU_DEP_2) | instskip(NEXT) | instid1(VALU_DEP_2)
	v_add_f32_e32 v45, v42, v45
	v_add_f32_e32 v42, v42, v43
	s_delay_alu instid0(VALU_DEP_1) | instskip(NEXT) | instid1(VALU_DEP_1)
	v_dual_add_f32 v48, v44, v42 :: v_dual_add_f32 v47, v46, v45
	v_sub_f32_e32 v44, v44, v48
	s_delay_alu instid0(VALU_DEP_2) | instskip(SKIP_1) | instid1(VALU_DEP_1)
	v_rcp_f32_e32 v43, v47
	v_sub_f32_e32 v46, v46, v47
	v_dual_add_f32 v42, v42, v44 :: v_dual_add_f32 v45, v45, v46
	s_delay_alu instid0(TRANS32_DEP_1) | instskip(NEXT) | instid1(VALU_DEP_1)
	v_mul_f32_e32 v49, v48, v43
	v_mul_f32_e32 v50, v47, v49
	s_delay_alu instid0(VALU_DEP_1) | instskip(NEXT) | instid1(VALU_DEP_1)
	v_fma_f32 v46, v49, v47, -v50
	v_fmac_f32_e32 v46, v49, v45
	s_delay_alu instid0(VALU_DEP_1) | instskip(NEXT) | instid1(VALU_DEP_1)
	v_add_f32_e32 v51, v50, v46
	v_sub_f32_e32 v52, v48, v51
	s_delay_alu instid0(VALU_DEP_1) | instskip(SKIP_1) | instid1(VALU_DEP_2)
	v_sub_f32_e32 v48, v48, v52
	v_sub_f32_e32 v44, v51, v50
	;; [unrolled: 1-line block ×3, first 2 shown]
	s_delay_alu instid0(VALU_DEP_2) | instskip(NEXT) | instid1(VALU_DEP_2)
	v_sub_f32_e32 v44, v44, v46
	v_add_f32_e32 v42, v42, v48
	s_delay_alu instid0(VALU_DEP_1) | instskip(NEXT) | instid1(VALU_DEP_1)
	v_add_f32_e32 v42, v44, v42
	v_add_f32_e32 v44, v52, v42
	s_delay_alu instid0(VALU_DEP_1) | instskip(NEXT) | instid1(VALU_DEP_1)
	v_mul_f32_e32 v46, v43, v44
	v_dual_sub_f32 v51, v52, v44 :: v_dual_mul_f32 v48, v47, v46
	s_delay_alu instid0(VALU_DEP_1) | instskip(NEXT) | instid1(VALU_DEP_2)
	v_add_f32_e32 v42, v42, v51
	v_fma_f32 v47, v46, v47, -v48
	s_delay_alu instid0(VALU_DEP_1) | instskip(NEXT) | instid1(VALU_DEP_1)
	v_fmac_f32_e32 v47, v46, v45
	v_add_f32_e32 v45, v48, v47
	s_delay_alu instid0(VALU_DEP_1) | instskip(SKIP_1) | instid1(VALU_DEP_2)
	v_sub_f32_e32 v50, v44, v45
	v_sub_f32_e32 v48, v45, v48
	;; [unrolled: 1-line block ×3, first 2 shown]
	s_delay_alu instid0(VALU_DEP_1) | instskip(NEXT) | instid1(VALU_DEP_1)
	v_sub_f32_e32 v44, v44, v45
	v_dual_sub_f32 v45, v48, v47 :: v_dual_add_f32 v42, v42, v44
	v_add_f32_e32 v44, v49, v46
	s_delay_alu instid0(VALU_DEP_1) | instskip(NEXT) | instid1(VALU_DEP_1)
	v_dual_add_f32 v42, v45, v42 :: v_dual_sub_f32 v45, v44, v49
	v_add_f32_e32 v42, v50, v42
	s_delay_alu instid0(VALU_DEP_1) | instskip(NEXT) | instid1(VALU_DEP_1)
	v_dual_sub_f32 v45, v46, v45 :: v_dual_mul_f32 v42, v43, v42
	v_add_f32_e32 v42, v45, v42
	s_delay_alu instid0(VALU_DEP_1) | instskip(NEXT) | instid1(VALU_DEP_1)
	v_add_f32_e32 v43, v44, v42
	v_mul_f32_e32 v45, v43, v43
	s_wait_alu 0xfffe
	s_delay_alu instid0(VALU_DEP_1) | instskip(SKIP_1) | instid1(VALU_DEP_2)
	v_fmaak_f32 v46, s37, v45, 0x3ecc95a3
	v_mul_f32_e32 v47, v43, v45
	v_fmaak_f32 v45, v45, v46, 0x3f2aaada
	v_ldexp_f32 v46, v43, 1
	v_sub_f32_e32 v43, v43, v44
	s_delay_alu instid0(VALU_DEP_3) | instskip(NEXT) | instid1(VALU_DEP_2)
	v_mul_f32_e32 v45, v47, v45
	v_dual_mul_f32 v47, 0x3f317218, v41 :: v_dual_sub_f32 v42, v42, v43
	s_delay_alu instid0(VALU_DEP_2) | instskip(NEXT) | instid1(VALU_DEP_2)
	v_add_f32_e32 v44, v46, v45
	v_ldexp_f32 v42, v42, 1
	s_delay_alu instid0(VALU_DEP_2) | instskip(NEXT) | instid1(VALU_DEP_4)
	v_sub_f32_e32 v43, v44, v46
	v_fma_f32 v46, 0x3f317218, v41, -v47
	s_delay_alu instid0(VALU_DEP_2) | instskip(NEXT) | instid1(VALU_DEP_1)
	v_sub_f32_e32 v43, v45, v43
	v_dual_fmamk_f32 v41, v41, 0xb102e308, v46 :: v_dual_add_f32 v42, v42, v43
	s_delay_alu instid0(VALU_DEP_1) | instskip(NEXT) | instid1(VALU_DEP_1)
	v_add_f32_e32 v43, v47, v41
	v_sub_f32_e32 v47, v43, v47
	s_delay_alu instid0(VALU_DEP_1) | instskip(NEXT) | instid1(VALU_DEP_4)
	v_sub_f32_e32 v41, v41, v47
	v_add_f32_e32 v45, v44, v42
	s_delay_alu instid0(VALU_DEP_1) | instskip(NEXT) | instid1(VALU_DEP_1)
	v_sub_f32_e32 v44, v45, v44
	v_sub_f32_e32 v42, v42, v44
	v_add_f32_e32 v46, v43, v45
	s_delay_alu instid0(VALU_DEP_1) | instskip(NEXT) | instid1(VALU_DEP_1)
	v_sub_f32_e32 v48, v46, v43
	v_sub_f32_e32 v44, v45, v48
	s_delay_alu instid0(VALU_DEP_4) | instskip(SKIP_1) | instid1(VALU_DEP_1)
	v_add_f32_e32 v45, v41, v42
	v_sub_f32_e32 v49, v46, v48
	v_sub_f32_e32 v43, v43, v49
	s_delay_alu instid0(VALU_DEP_1) | instskip(NEXT) | instid1(VALU_DEP_1)
	v_dual_add_f32 v43, v44, v43 :: v_dual_sub_f32 v44, v45, v41
	v_dual_add_f32 v43, v45, v43 :: v_dual_sub_f32 v42, v42, v44
	v_sub_f32_e32 v45, v45, v44
	s_delay_alu instid0(VALU_DEP_2) | instskip(NEXT) | instid1(VALU_DEP_1)
	v_add_f32_e32 v47, v46, v43
	v_dual_sub_f32 v41, v41, v45 :: v_dual_sub_f32 v44, v47, v46
	s_delay_alu instid0(VALU_DEP_1) | instskip(NEXT) | instid1(VALU_DEP_1)
	v_dual_add_f32 v41, v42, v41 :: v_dual_sub_f32 v42, v43, v44
	v_add_f32_e32 v41, v41, v42
	s_delay_alu instid0(VALU_DEP_1) | instskip(SKIP_1) | instid1(VALU_DEP_1)
	v_add_f32_e32 v41, v47, v41
	s_wait_alu 0xfffd
	v_cndmask_b32_e32 v41, 0x7f800000, v41, vcc_lo
	v_cmp_gt_f32_e64 vcc_lo, 0x33800000, |v10|
	s_wait_alu 0xfffd
	s_delay_alu instid0(VALU_DEP_2) | instskip(NEXT) | instid1(VALU_DEP_1)
	v_cndmask_b32_e32 v10, v41, v10, vcc_lo
	v_add_f32_e32 v9, v9, v10
	s_delay_alu instid0(VALU_DEP_1)
	v_cvt_f16_f32_e32 v10, v9
.LBB421_127:
	s_wait_alu 0xfffe
	s_or_b32 exec_lo, exec_lo, s17
	s_delay_alu instid0(VALU_DEP_1)
	v_dual_mov_b32 v46, v10 :: v_dual_and_b32 v9, 0xffff, v10
.LBB421_128:
	s_wait_alu 0xfffe
	s_or_b32 exec_lo, exec_lo, s16
	v_cmp_gt_u32_e32 vcc_lo, 24, v33
	v_add_nc_u32_e32 v42, 8, v33
	s_mov_b32 s16, exec_lo
	s_wait_dscnt 0x0
	s_wait_alu 0xfffd
	v_cndmask_b32_e64 v10, 0, 8, vcc_lo
	s_delay_alu instid0(VALU_DEP_1)
	v_add_lshl_u32 v41, v10, v33, 2
	ds_bpermute_b32 v10, v41, v9
	v_cmpx_le_u32_e64 v42, v8
	s_cbranch_execz .LBB421_132
; %bb.129:
	s_wait_dscnt 0x0
	v_cvt_f32_f16_e32 v9, v10
	v_cvt_f32_f16_e32 v44, v46
	v_cmp_u_f16_e32 vcc_lo, v10, v10
	s_delay_alu instid0(VALU_DEP_2) | instskip(SKIP_2) | instid1(VALU_DEP_2)
	v_min_num_f32_e32 v43, v9, v44
	v_max_num_f32_e32 v45, v9, v44
	s_wait_alu 0xfffd
	v_cndmask_b32_e32 v43, v43, v9, vcc_lo
	s_delay_alu instid0(VALU_DEP_2) | instskip(SKIP_2) | instid1(VALU_DEP_3)
	v_cndmask_b32_e32 v9, v45, v9, vcc_lo
	v_cmp_u_f16_e32 vcc_lo, v46, v46
	s_wait_alu 0xfffd
	v_cndmask_b32_e32 v43, v43, v44, vcc_lo
	s_delay_alu instid0(VALU_DEP_3) | instskip(NEXT) | instid1(VALU_DEP_2)
	v_cndmask_b32_e32 v9, v9, v44, vcc_lo
	v_cmp_class_f32_e64 s17, v43, 0x1f8
	s_delay_alu instid0(VALU_DEP_2)
	v_cmp_neq_f32_e32 vcc_lo, v43, v9
	s_or_b32 s37, vcc_lo, s17
	s_wait_alu 0xfffe
	s_and_saveexec_b32 s17, s37
	s_cbranch_execz .LBB421_131
; %bb.130:
	v_sub_f32_e32 v10, v43, v9
	s_mov_b32 s37, 0x3e9b6dac
	s_delay_alu instid0(VALU_DEP_1) | instskip(SKIP_1) | instid1(VALU_DEP_2)
	v_mul_f32_e32 v43, 0x3fb8aa3b, v10
	v_cmp_ngt_f32_e32 vcc_lo, 0xc2ce8ed0, v10
	v_fma_f32 v44, 0x3fb8aa3b, v10, -v43
	v_rndne_f32_e32 v45, v43
	s_delay_alu instid0(VALU_DEP_1) | instskip(NEXT) | instid1(VALU_DEP_1)
	v_dual_fmamk_f32 v44, v10, 0x32a5705f, v44 :: v_dual_sub_f32 v43, v43, v45
	v_add_f32_e32 v43, v43, v44
	v_cvt_i32_f32_e32 v44, v45
	s_delay_alu instid0(VALU_DEP_2) | instskip(NEXT) | instid1(TRANS32_DEP_1)
	v_exp_f32_e32 v43, v43
	v_ldexp_f32 v43, v43, v44
	s_wait_alu 0xfffd
	s_delay_alu instid0(VALU_DEP_1) | instskip(SKIP_2) | instid1(VALU_DEP_2)
	v_cndmask_b32_e32 v43, 0, v43, vcc_lo
	v_cmp_nlt_f32_e32 vcc_lo, 0x42b17218, v10
	s_wait_alu 0xfffd
	v_cndmask_b32_e32 v10, 0x7f800000, v43, vcc_lo
	s_delay_alu instid0(VALU_DEP_1) | instskip(NEXT) | instid1(VALU_DEP_1)
	v_add_f32_e32 v45, 1.0, v10
	v_cvt_f64_f32_e32 v[43:44], v45
	s_delay_alu instid0(VALU_DEP_1) | instskip(SKIP_1) | instid1(VALU_DEP_1)
	v_frexp_exp_i32_f64_e32 v43, v[43:44]
	v_frexp_mant_f32_e32 v44, v45
	v_cmp_gt_f32_e32 vcc_lo, 0x3f2aaaab, v44
	v_add_f32_e32 v44, -1.0, v45
	s_delay_alu instid0(VALU_DEP_1) | instskip(SKIP_3) | instid1(VALU_DEP_2)
	v_dual_sub_f32 v47, v44, v45 :: v_dual_sub_f32 v44, v10, v44
	s_wait_alu 0xfffd
	v_subrev_co_ci_u32_e64 v43, null, 0, v43, vcc_lo
	v_cmp_neq_f32_e32 vcc_lo, 0x7f800000, v10
	v_sub_nc_u32_e32 v46, 0, v43
	v_cvt_f32_i32_e32 v43, v43
	s_delay_alu instid0(VALU_DEP_2) | instskip(NEXT) | instid1(VALU_DEP_1)
	v_ldexp_f32 v45, v45, v46
	v_dual_add_f32 v47, 1.0, v47 :: v_dual_add_f32 v48, 1.0, v45
	s_delay_alu instid0(VALU_DEP_1) | instskip(NEXT) | instid1(VALU_DEP_1)
	v_dual_add_f32 v44, v44, v47 :: v_dual_add_f32 v47, -1.0, v48
	v_ldexp_f32 v44, v44, v46
	s_delay_alu instid0(VALU_DEP_2) | instskip(NEXT) | instid1(VALU_DEP_1)
	v_dual_add_f32 v46, -1.0, v45 :: v_dual_sub_f32 v47, v45, v47
	v_add_f32_e32 v49, 1.0, v46
	s_delay_alu instid0(VALU_DEP_2) | instskip(NEXT) | instid1(VALU_DEP_2)
	v_add_f32_e32 v47, v44, v47
	v_sub_f32_e32 v45, v45, v49
	s_delay_alu instid0(VALU_DEP_1) | instskip(NEXT) | instid1(VALU_DEP_1)
	v_add_f32_e32 v44, v44, v45
	v_dual_add_f32 v50, v46, v44 :: v_dual_add_f32 v49, v48, v47
	s_delay_alu instid0(VALU_DEP_1) | instskip(NEXT) | instid1(VALU_DEP_2)
	v_sub_f32_e32 v46, v46, v50
	v_rcp_f32_e32 v45, v49
	v_sub_f32_e32 v48, v48, v49
	s_delay_alu instid0(VALU_DEP_1) | instskip(NEXT) | instid1(TRANS32_DEP_1)
	v_dual_add_f32 v44, v44, v46 :: v_dual_add_f32 v47, v47, v48
	v_mul_f32_e32 v51, v50, v45
	s_delay_alu instid0(VALU_DEP_1) | instskip(NEXT) | instid1(VALU_DEP_1)
	v_mul_f32_e32 v52, v49, v51
	v_fma_f32 v48, v51, v49, -v52
	s_delay_alu instid0(VALU_DEP_1) | instskip(NEXT) | instid1(VALU_DEP_1)
	v_fmac_f32_e32 v48, v51, v47
	v_add_f32_e32 v53, v52, v48
	s_delay_alu instid0(VALU_DEP_1) | instskip(NEXT) | instid1(VALU_DEP_1)
	v_sub_f32_e32 v54, v50, v53
	v_sub_f32_e32 v50, v50, v54
	;; [unrolled: 1-line block ×3, first 2 shown]
	s_delay_alu instid0(VALU_DEP_2) | instskip(NEXT) | instid1(VALU_DEP_2)
	v_sub_f32_e32 v50, v50, v53
	v_sub_f32_e32 v46, v46, v48
	s_delay_alu instid0(VALU_DEP_2) | instskip(NEXT) | instid1(VALU_DEP_1)
	v_add_f32_e32 v44, v44, v50
	v_add_f32_e32 v44, v46, v44
	s_delay_alu instid0(VALU_DEP_1) | instskip(NEXT) | instid1(VALU_DEP_1)
	v_add_f32_e32 v46, v54, v44
	v_mul_f32_e32 v48, v45, v46
	s_delay_alu instid0(VALU_DEP_1) | instskip(NEXT) | instid1(VALU_DEP_1)
	v_dual_sub_f32 v53, v54, v46 :: v_dual_mul_f32 v50, v49, v48
	v_add_f32_e32 v44, v44, v53
	s_delay_alu instid0(VALU_DEP_2) | instskip(NEXT) | instid1(VALU_DEP_1)
	v_fma_f32 v49, v48, v49, -v50
	v_fmac_f32_e32 v49, v48, v47
	s_delay_alu instid0(VALU_DEP_1) | instskip(NEXT) | instid1(VALU_DEP_1)
	v_add_f32_e32 v47, v50, v49
	v_sub_f32_e32 v52, v46, v47
	v_sub_f32_e32 v50, v47, v50
	s_delay_alu instid0(VALU_DEP_2) | instskip(NEXT) | instid1(VALU_DEP_1)
	v_sub_f32_e32 v46, v46, v52
	v_sub_f32_e32 v46, v46, v47
	s_delay_alu instid0(VALU_DEP_1) | instskip(SKIP_1) | instid1(VALU_DEP_1)
	v_dual_sub_f32 v47, v50, v49 :: v_dual_add_f32 v44, v44, v46
	v_add_f32_e32 v46, v51, v48
	v_dual_add_f32 v44, v47, v44 :: v_dual_sub_f32 v47, v46, v51
	s_delay_alu instid0(VALU_DEP_1) | instskip(NEXT) | instid1(VALU_DEP_1)
	v_add_f32_e32 v44, v52, v44
	v_dual_sub_f32 v47, v48, v47 :: v_dual_mul_f32 v44, v45, v44
	s_delay_alu instid0(VALU_DEP_1) | instskip(NEXT) | instid1(VALU_DEP_1)
	v_add_f32_e32 v44, v47, v44
	v_add_f32_e32 v45, v46, v44
	s_delay_alu instid0(VALU_DEP_1) | instskip(SKIP_1) | instid1(VALU_DEP_1)
	v_mul_f32_e32 v47, v45, v45
	s_wait_alu 0xfffe
	v_fmaak_f32 v48, s37, v47, 0x3ecc95a3
	v_mul_f32_e32 v49, v45, v47
	s_delay_alu instid0(VALU_DEP_2) | instskip(SKIP_2) | instid1(VALU_DEP_3)
	v_fmaak_f32 v47, v47, v48, 0x3f2aaada
	v_ldexp_f32 v48, v45, 1
	v_sub_f32_e32 v45, v45, v46
	v_mul_f32_e32 v47, v49, v47
	s_delay_alu instid0(VALU_DEP_2) | instskip(NEXT) | instid1(VALU_DEP_2)
	v_dual_mul_f32 v49, 0x3f317218, v43 :: v_dual_sub_f32 v44, v44, v45
	v_add_f32_e32 v46, v48, v47
	s_delay_alu instid0(VALU_DEP_2) | instskip(NEXT) | instid1(VALU_DEP_2)
	v_ldexp_f32 v44, v44, 1
	v_sub_f32_e32 v45, v46, v48
	s_delay_alu instid0(VALU_DEP_4) | instskip(NEXT) | instid1(VALU_DEP_2)
	v_fma_f32 v48, 0x3f317218, v43, -v49
	v_sub_f32_e32 v45, v47, v45
	s_delay_alu instid0(VALU_DEP_1) | instskip(NEXT) | instid1(VALU_DEP_1)
	v_dual_fmamk_f32 v43, v43, 0xb102e308, v48 :: v_dual_add_f32 v44, v44, v45
	v_add_f32_e32 v45, v49, v43
	s_delay_alu instid0(VALU_DEP_1) | instskip(NEXT) | instid1(VALU_DEP_1)
	v_sub_f32_e32 v49, v45, v49
	v_sub_f32_e32 v43, v43, v49
	s_delay_alu instid0(VALU_DEP_4) | instskip(NEXT) | instid1(VALU_DEP_1)
	v_add_f32_e32 v47, v46, v44
	v_sub_f32_e32 v46, v47, v46
	s_delay_alu instid0(VALU_DEP_1) | instskip(SKIP_1) | instid1(VALU_DEP_1)
	v_sub_f32_e32 v44, v44, v46
	v_add_f32_e32 v48, v45, v47
	v_sub_f32_e32 v50, v48, v45
	s_delay_alu instid0(VALU_DEP_1) | instskip(NEXT) | instid1(VALU_DEP_4)
	v_sub_f32_e32 v46, v47, v50
	v_add_f32_e32 v47, v43, v44
	v_sub_f32_e32 v51, v48, v50
	s_delay_alu instid0(VALU_DEP_1) | instskip(NEXT) | instid1(VALU_DEP_1)
	v_sub_f32_e32 v45, v45, v51
	v_dual_add_f32 v45, v46, v45 :: v_dual_sub_f32 v46, v47, v43
	s_delay_alu instid0(VALU_DEP_1) | instskip(SKIP_1) | instid1(VALU_DEP_2)
	v_dual_add_f32 v45, v47, v45 :: v_dual_sub_f32 v44, v44, v46
	v_sub_f32_e32 v47, v47, v46
	v_add_f32_e32 v49, v48, v45
	s_delay_alu instid0(VALU_DEP_1) | instskip(NEXT) | instid1(VALU_DEP_1)
	v_dual_sub_f32 v43, v43, v47 :: v_dual_sub_f32 v46, v49, v48
	v_dual_add_f32 v43, v44, v43 :: v_dual_sub_f32 v44, v45, v46
	s_delay_alu instid0(VALU_DEP_1) | instskip(NEXT) | instid1(VALU_DEP_1)
	v_add_f32_e32 v43, v43, v44
	v_add_f32_e32 v43, v49, v43
	s_wait_alu 0xfffd
	s_delay_alu instid0(VALU_DEP_1) | instskip(SKIP_2) | instid1(VALU_DEP_2)
	v_cndmask_b32_e32 v43, 0x7f800000, v43, vcc_lo
	v_cmp_gt_f32_e64 vcc_lo, 0x33800000, |v10|
	s_wait_alu 0xfffd
	v_cndmask_b32_e32 v10, v43, v10, vcc_lo
	s_delay_alu instid0(VALU_DEP_1) | instskip(NEXT) | instid1(VALU_DEP_1)
	v_add_f32_e32 v9, v9, v10
	v_cvt_f16_f32_e32 v10, v9
.LBB421_131:
	s_wait_alu 0xfffe
	s_or_b32 exec_lo, exec_lo, s17
	s_delay_alu instid0(VALU_DEP_1)
	v_dual_mov_b32 v46, v10 :: v_dual_and_b32 v9, 0xffff, v10
.LBB421_132:
	s_wait_alu 0xfffe
	s_or_b32 exec_lo, exec_lo, s16
	v_lshl_or_b32 v44, v33, 2, 64
	v_add_nc_u32_e32 v45, 16, v33
	s_mov_b32 s16, exec_lo
	ds_bpermute_b32 v9, v44, v9
	v_cmpx_le_u32_e64 v45, v8
	s_cbranch_execz .LBB421_136
; %bb.133:
	s_wait_dscnt 0x0
	v_cvt_f32_f16_e32 v8, v9
	v_cvt_f32_f16_e32 v43, v46
	v_cmp_u_f16_e32 vcc_lo, v9, v9
	s_delay_alu instid0(VALU_DEP_2) | instskip(SKIP_1) | instid1(VALU_DEP_1)
	v_min_num_f32_e32 v10, v8, v43
	s_wait_alu 0xfffd
	v_dual_max_num_f32 v47, v8, v43 :: v_dual_cndmask_b32 v10, v10, v8
	s_delay_alu instid0(VALU_DEP_1) | instskip(SKIP_2) | instid1(VALU_DEP_3)
	v_cndmask_b32_e32 v8, v47, v8, vcc_lo
	v_cmp_u_f16_e32 vcc_lo, v46, v46
	s_wait_alu 0xfffd
	v_cndmask_b32_e32 v10, v10, v43, vcc_lo
	s_delay_alu instid0(VALU_DEP_3) | instskip(NEXT) | instid1(VALU_DEP_2)
	v_cndmask_b32_e32 v8, v8, v43, vcc_lo
	v_cmp_class_f32_e64 s17, v10, 0x1f8
	s_delay_alu instid0(VALU_DEP_2)
	v_cmp_neq_f32_e32 vcc_lo, v10, v8
	s_or_b32 s37, vcc_lo, s17
	s_wait_alu 0xfffe
	s_and_saveexec_b32 s17, s37
	s_cbranch_execz .LBB421_135
; %bb.134:
	v_sub_f32_e32 v9, v10, v8
	s_mov_b32 s37, 0x3e9b6dac
	s_delay_alu instid0(VALU_DEP_1) | instskip(SKIP_1) | instid1(VALU_DEP_2)
	v_mul_f32_e32 v10, 0x3fb8aa3b, v9
	v_cmp_ngt_f32_e32 vcc_lo, 0xc2ce8ed0, v9
	v_fma_f32 v43, 0x3fb8aa3b, v9, -v10
	v_rndne_f32_e32 v46, v10
	s_delay_alu instid0(VALU_DEP_1) | instskip(NEXT) | instid1(VALU_DEP_1)
	v_dual_fmamk_f32 v43, v9, 0x32a5705f, v43 :: v_dual_sub_f32 v10, v10, v46
	v_add_f32_e32 v10, v10, v43
	v_cvt_i32_f32_e32 v43, v46
	s_delay_alu instid0(VALU_DEP_2) | instskip(NEXT) | instid1(TRANS32_DEP_1)
	v_exp_f32_e32 v10, v10
	v_ldexp_f32 v10, v10, v43
	s_wait_alu 0xfffd
	s_delay_alu instid0(VALU_DEP_1) | instskip(SKIP_2) | instid1(VALU_DEP_2)
	v_cndmask_b32_e32 v10, 0, v10, vcc_lo
	v_cmp_nlt_f32_e32 vcc_lo, 0x42b17218, v9
	s_wait_alu 0xfffd
	v_cndmask_b32_e32 v43, 0x7f800000, v10, vcc_lo
	s_delay_alu instid0(VALU_DEP_1) | instskip(NEXT) | instid1(VALU_DEP_1)
	v_add_f32_e32 v46, 1.0, v43
	v_cvt_f64_f32_e32 v[9:10], v46
	s_delay_alu instid0(VALU_DEP_1) | instskip(SKIP_1) | instid1(VALU_DEP_1)
	v_frexp_exp_i32_f64_e32 v9, v[9:10]
	v_frexp_mant_f32_e32 v10, v46
	v_cmp_gt_f32_e32 vcc_lo, 0x3f2aaaab, v10
	v_add_f32_e32 v10, -1.0, v46
	s_delay_alu instid0(VALU_DEP_1) | instskip(NEXT) | instid1(VALU_DEP_1)
	v_sub_f32_e32 v48, v10, v46
	v_add_f32_e32 v48, 1.0, v48
	v_sub_f32_e32 v10, v43, v10
	s_wait_alu 0xfffd
	v_subrev_co_ci_u32_e64 v9, null, 0, v9, vcc_lo
	v_cmp_neq_f32_e32 vcc_lo, 0x7f800000, v43
	s_delay_alu instid0(VALU_DEP_2) | instskip(SKIP_1) | instid1(VALU_DEP_2)
	v_sub_nc_u32_e32 v47, 0, v9
	v_cvt_f32_i32_e32 v9, v9
	v_ldexp_f32 v46, v46, v47
	s_delay_alu instid0(VALU_DEP_1) | instskip(NEXT) | instid1(VALU_DEP_1)
	v_dual_add_f32 v49, 1.0, v46 :: v_dual_add_f32 v10, v10, v48
	v_add_f32_e32 v48, -1.0, v49
	s_delay_alu instid0(VALU_DEP_2) | instskip(NEXT) | instid1(VALU_DEP_2)
	v_ldexp_f32 v10, v10, v47
	v_dual_add_f32 v47, -1.0, v46 :: v_dual_sub_f32 v48, v46, v48
	s_delay_alu instid0(VALU_DEP_1) | instskip(NEXT) | instid1(VALU_DEP_2)
	v_add_f32_e32 v50, 1.0, v47
	v_add_f32_e32 v48, v10, v48
	s_delay_alu instid0(VALU_DEP_2) | instskip(NEXT) | instid1(VALU_DEP_2)
	v_sub_f32_e32 v46, v46, v50
	v_add_f32_e32 v50, v49, v48
	s_delay_alu instid0(VALU_DEP_2) | instskip(NEXT) | instid1(VALU_DEP_2)
	v_add_f32_e32 v10, v10, v46
	v_rcp_f32_e32 v46, v50
	v_sub_f32_e32 v49, v49, v50
	s_delay_alu instid0(VALU_DEP_1) | instskip(NEXT) | instid1(VALU_DEP_1)
	v_dual_add_f32 v51, v47, v10 :: v_dual_add_f32 v48, v48, v49
	v_sub_f32_e32 v47, v47, v51
	s_delay_alu instid0(TRANS32_DEP_1) | instskip(NEXT) | instid1(VALU_DEP_2)
	v_mul_f32_e32 v52, v51, v46
	v_add_f32_e32 v10, v10, v47
	s_delay_alu instid0(VALU_DEP_2) | instskip(NEXT) | instid1(VALU_DEP_1)
	v_mul_f32_e32 v53, v50, v52
	v_fma_f32 v49, v52, v50, -v53
	s_delay_alu instid0(VALU_DEP_1) | instskip(NEXT) | instid1(VALU_DEP_1)
	v_fmac_f32_e32 v49, v52, v48
	v_add_f32_e32 v54, v53, v49
	s_delay_alu instid0(VALU_DEP_1) | instskip(SKIP_1) | instid1(VALU_DEP_2)
	v_sub_f32_e32 v55, v51, v54
	v_sub_f32_e32 v47, v54, v53
	;; [unrolled: 1-line block ×3, first 2 shown]
	s_delay_alu instid0(VALU_DEP_2) | instskip(NEXT) | instid1(VALU_DEP_2)
	v_sub_f32_e32 v47, v47, v49
	v_sub_f32_e32 v51, v51, v54
	s_delay_alu instid0(VALU_DEP_1) | instskip(NEXT) | instid1(VALU_DEP_1)
	v_add_f32_e32 v10, v10, v51
	v_add_f32_e32 v10, v47, v10
	s_delay_alu instid0(VALU_DEP_1) | instskip(NEXT) | instid1(VALU_DEP_1)
	v_add_f32_e32 v47, v55, v10
	v_mul_f32_e32 v49, v46, v47
	s_delay_alu instid0(VALU_DEP_1) | instskip(NEXT) | instid1(VALU_DEP_1)
	v_dual_sub_f32 v54, v55, v47 :: v_dual_mul_f32 v51, v50, v49
	v_add_f32_e32 v10, v10, v54
	s_delay_alu instid0(VALU_DEP_2) | instskip(NEXT) | instid1(VALU_DEP_1)
	v_fma_f32 v50, v49, v50, -v51
	v_fmac_f32_e32 v50, v49, v48
	s_delay_alu instid0(VALU_DEP_1) | instskip(NEXT) | instid1(VALU_DEP_1)
	v_add_f32_e32 v48, v51, v50
	v_sub_f32_e32 v53, v47, v48
	v_sub_f32_e32 v51, v48, v51
	s_delay_alu instid0(VALU_DEP_2) | instskip(NEXT) | instid1(VALU_DEP_1)
	v_sub_f32_e32 v47, v47, v53
	v_sub_f32_e32 v47, v47, v48
	s_delay_alu instid0(VALU_DEP_1) | instskip(NEXT) | instid1(VALU_DEP_4)
	v_dual_add_f32 v10, v10, v47 :: v_dual_add_f32 v47, v52, v49
	v_sub_f32_e32 v48, v51, v50
	s_delay_alu instid0(VALU_DEP_1) | instskip(NEXT) | instid1(VALU_DEP_3)
	v_add_f32_e32 v10, v48, v10
	v_sub_f32_e32 v48, v47, v52
	s_delay_alu instid0(VALU_DEP_2) | instskip(NEXT) | instid1(VALU_DEP_2)
	v_add_f32_e32 v10, v53, v10
	v_sub_f32_e32 v48, v49, v48
	s_delay_alu instid0(VALU_DEP_2) | instskip(NEXT) | instid1(VALU_DEP_1)
	v_mul_f32_e32 v10, v46, v10
	v_add_f32_e32 v10, v48, v10
	s_delay_alu instid0(VALU_DEP_1) | instskip(NEXT) | instid1(VALU_DEP_1)
	v_add_f32_e32 v46, v47, v10
	v_mul_f32_e32 v48, v46, v46
	s_wait_alu 0xfffe
	s_delay_alu instid0(VALU_DEP_1) | instskip(SKIP_1) | instid1(VALU_DEP_2)
	v_fmaak_f32 v49, s37, v48, 0x3ecc95a3
	v_mul_f32_e32 v50, v46, v48
	v_fmaak_f32 v48, v48, v49, 0x3f2aaada
	v_ldexp_f32 v49, v46, 1
	v_sub_f32_e32 v46, v46, v47
	s_delay_alu instid0(VALU_DEP_3) | instskip(SKIP_1) | instid1(VALU_DEP_2)
	v_mul_f32_e32 v48, v50, v48
	v_mul_f32_e32 v50, 0x3f317218, v9
	v_dual_sub_f32 v10, v10, v46 :: v_dual_add_f32 v47, v49, v48
	s_delay_alu instid0(VALU_DEP_1) | instskip(NEXT) | instid1(VALU_DEP_2)
	v_ldexp_f32 v10, v10, 1
	v_sub_f32_e32 v46, v47, v49
	s_delay_alu instid0(VALU_DEP_4) | instskip(NEXT) | instid1(VALU_DEP_1)
	v_fma_f32 v49, 0x3f317218, v9, -v50
	v_dual_sub_f32 v46, v48, v46 :: v_dual_fmamk_f32 v9, v9, 0xb102e308, v49
	s_delay_alu instid0(VALU_DEP_1) | instskip(NEXT) | instid1(VALU_DEP_2)
	v_add_f32_e32 v10, v10, v46
	v_add_f32_e32 v46, v50, v9
	s_delay_alu instid0(VALU_DEP_2) | instskip(NEXT) | instid1(VALU_DEP_2)
	v_add_f32_e32 v48, v47, v10
	v_sub_f32_e32 v50, v46, v50
	s_delay_alu instid0(VALU_DEP_2) | instskip(SKIP_1) | instid1(VALU_DEP_3)
	v_add_f32_e32 v49, v46, v48
	v_sub_f32_e32 v47, v48, v47
	v_sub_f32_e32 v9, v9, v50
	s_delay_alu instid0(VALU_DEP_2) | instskip(NEXT) | instid1(VALU_DEP_1)
	v_dual_sub_f32 v51, v49, v46 :: v_dual_sub_f32 v10, v10, v47
	v_sub_f32_e32 v52, v49, v51
	s_delay_alu instid0(VALU_DEP_2) | instskip(NEXT) | instid1(VALU_DEP_2)
	v_dual_sub_f32 v47, v48, v51 :: v_dual_add_f32 v48, v9, v10
	v_sub_f32_e32 v46, v46, v52
	s_delay_alu instid0(VALU_DEP_1) | instskip(NEXT) | instid1(VALU_DEP_1)
	v_dual_add_f32 v46, v47, v46 :: v_dual_sub_f32 v47, v48, v9
	v_add_f32_e32 v46, v48, v46
	s_delay_alu instid0(VALU_DEP_2) | instskip(SKIP_1) | instid1(VALU_DEP_3)
	v_sub_f32_e32 v48, v48, v47
	v_sub_f32_e32 v10, v10, v47
	v_add_f32_e32 v50, v49, v46
	s_delay_alu instid0(VALU_DEP_3) | instskip(NEXT) | instid1(VALU_DEP_2)
	v_sub_f32_e32 v9, v9, v48
	v_sub_f32_e32 v47, v50, v49
	s_delay_alu instid0(VALU_DEP_2) | instskip(NEXT) | instid1(VALU_DEP_2)
	v_add_f32_e32 v9, v10, v9
	v_sub_f32_e32 v10, v46, v47
	s_delay_alu instid0(VALU_DEP_1) | instskip(NEXT) | instid1(VALU_DEP_1)
	v_add_f32_e32 v9, v9, v10
	v_add_f32_e32 v9, v50, v9
	s_wait_alu 0xfffd
	s_delay_alu instid0(VALU_DEP_1) | instskip(SKIP_2) | instid1(VALU_DEP_2)
	v_cndmask_b32_e32 v9, 0x7f800000, v9, vcc_lo
	v_cmp_gt_f32_e64 vcc_lo, 0x33800000, |v43|
	s_wait_alu 0xfffd
	v_cndmask_b32_e32 v9, v9, v43, vcc_lo
	s_delay_alu instid0(VALU_DEP_1) | instskip(NEXT) | instid1(VALU_DEP_1)
	v_add_f32_e32 v8, v8, v9
	v_cvt_f16_f32_e32 v9, v8
.LBB421_135:
	s_wait_alu 0xfffe
	s_or_b32 exec_lo, exec_lo, s17
	s_delay_alu instid0(VALU_DEP_1)
	v_mov_b32_e32 v46, v9
.LBB421_136:
	s_wait_alu 0xfffe
	s_or_b32 exec_lo, exec_lo, s16
	v_mov_b32_e32 v8, 0
	s_mov_b32 s16, 0x3e9b6dac
	s_branch .LBB421_139
.LBB421_137:                            ;   in Loop: Header=BB421_139 Depth=1
	s_wait_alu 0xfffe
	s_or_b32 exec_lo, exec_lo, s17
	v_subrev_nc_u32_e32 v7, 32, v7
	s_mov_b32 s17, 0
.LBB421_138:                            ;   in Loop: Header=BB421_139 Depth=1
	s_wait_alu 0xfffe
	s_and_b32 vcc_lo, exec_lo, s17
	s_wait_alu 0xfffe
	s_cbranch_vccnz .LBB421_167
.LBB421_139:                            ; =>This Loop Header: Depth=1
                                        ;     Child Loop BB421_142 Depth 2
	s_wait_dscnt 0x0
	v_and_b32_e32 v9, 0xff, v34
	v_mov_b32_e32 v43, v46
	s_mov_b32 s17, -1
                                        ; implicit-def: $vgpr46
                                        ; implicit-def: $vgpr34
	s_delay_alu instid0(VALU_DEP_2)
	v_cmp_ne_u16_e32 vcc_lo, 2, v9
	s_cmp_lg_u32 vcc_lo, exec_lo
	s_cbranch_scc1 .LBB421_138
; %bb.140:                              ;   in Loop: Header=BB421_139 Depth=1
	v_lshlrev_b64_e32 v[9:10], 2, v[7:8]
	s_mov_b32 s17, exec_lo
	s_delay_alu instid0(VALU_DEP_1) | instskip(SKIP_1) | instid1(VALU_DEP_2)
	v_add_co_u32 v9, vcc_lo, s28, v9
	s_wait_alu 0xfffd
	v_add_co_ci_u32_e64 v10, null, s29, v10, vcc_lo
	global_load_b32 v46, v[9:10], off scope:SCOPE_DEV
	s_wait_loadcnt 0x0
	v_lshrrev_b32_e32 v34, 16, v46
	s_delay_alu instid0(VALU_DEP_1) | instskip(NEXT) | instid1(VALU_DEP_1)
	v_and_b32_e32 v47, 0xff, v34
	v_cmpx_eq_u16_e32 0, v47
	s_cbranch_execz .LBB421_144
; %bb.141:                              ;   in Loop: Header=BB421_139 Depth=1
	s_mov_b32 s37, 0
.LBB421_142:                            ;   Parent Loop BB421_139 Depth=1
                                        ; =>  This Inner Loop Header: Depth=2
	global_load_b32 v46, v[9:10], off scope:SCOPE_DEV
	s_wait_loadcnt 0x0
	v_lshrrev_b32_e32 v34, 16, v46
	s_delay_alu instid0(VALU_DEP_1) | instskip(NEXT) | instid1(VALU_DEP_1)
	v_and_b32_e32 v47, 0xff, v34
	v_cmp_ne_u16_e32 vcc_lo, 0, v47
	s_wait_alu 0xfffe
	s_or_b32 s37, vcc_lo, s37
	s_wait_alu 0xfffe
	s_and_not1_b32 exec_lo, exec_lo, s37
	s_cbranch_execnz .LBB421_142
; %bb.143:                              ;   in Loop: Header=BB421_139 Depth=1
	s_or_b32 exec_lo, exec_lo, s37
.LBB421_144:                            ;   in Loop: Header=BB421_139 Depth=1
	s_wait_alu 0xfffe
	s_or_b32 exec_lo, exec_lo, s17
	v_and_b32_e32 v10, 0xffff, v46
	v_and_b32_e32 v9, 0xff, v34
	s_mov_b32 s17, exec_lo
	ds_bpermute_b32 v47, v35, v10
	v_cmp_eq_u16_e32 vcc_lo, 2, v9
	s_wait_alu 0xfffd
	v_and_or_b32 v9, vcc_lo, v36, 0x80000000
	s_delay_alu instid0(VALU_DEP_1) | instskip(NEXT) | instid1(VALU_DEP_1)
	v_ctz_i32_b32_e32 v9, v9
	v_cmpx_lt_u32_e64 v33, v9
	s_cbranch_execz .LBB421_148
; %bb.145:                              ;   in Loop: Header=BB421_139 Depth=1
	s_wait_dscnt 0x0
	v_cvt_f32_f16_e32 v10, v47
	v_cvt_f32_f16_e32 v48, v46
	v_cmp_u_f16_e32 vcc_lo, v47, v47
	s_delay_alu instid0(VALU_DEP_2) | instskip(SKIP_1) | instid1(VALU_DEP_1)
	v_min_num_f32_e32 v49, v10, v48
	s_wait_alu 0xfffd
	v_dual_max_num_f32 v50, v10, v48 :: v_dual_cndmask_b32 v49, v49, v10
	s_delay_alu instid0(VALU_DEP_1) | instskip(SKIP_2) | instid1(VALU_DEP_3)
	v_cndmask_b32_e32 v10, v50, v10, vcc_lo
	v_cmp_u_f16_e32 vcc_lo, v46, v46
	s_wait_alu 0xfffd
	v_cndmask_b32_e32 v46, v49, v48, vcc_lo
	s_delay_alu instid0(VALU_DEP_3) | instskip(NEXT) | instid1(VALU_DEP_2)
	v_cndmask_b32_e32 v10, v10, v48, vcc_lo
	v_cmp_class_f32_e64 s37, v46, 0x1f8
	s_delay_alu instid0(VALU_DEP_2) | instskip(SKIP_1) | instid1(SALU_CYCLE_1)
	v_cmp_neq_f32_e32 vcc_lo, v46, v10
	s_or_b32 s38, vcc_lo, s37
	s_and_saveexec_b32 s37, s38
	s_cbranch_execz .LBB421_147
; %bb.146:                              ;   in Loop: Header=BB421_139 Depth=1
	v_sub_f32_e32 v46, v46, v10
	s_delay_alu instid0(VALU_DEP_1) | instskip(NEXT) | instid1(VALU_DEP_1)
	v_mul_f32_e32 v47, 0x3fb8aa3b, v46
	v_fma_f32 v48, 0x3fb8aa3b, v46, -v47
	v_rndne_f32_e32 v49, v47
	s_delay_alu instid0(VALU_DEP_1) | instskip(SKIP_1) | instid1(VALU_DEP_4)
	v_sub_f32_e32 v47, v47, v49
	v_cmp_ngt_f32_e32 vcc_lo, 0xc2ce8ed0, v46
	v_fmac_f32_e32 v48, 0x32a5705f, v46
	s_delay_alu instid0(VALU_DEP_1) | instskip(SKIP_1) | instid1(VALU_DEP_2)
	v_add_f32_e32 v47, v47, v48
	v_cvt_i32_f32_e32 v48, v49
	v_exp_f32_e32 v47, v47
	s_delay_alu instid0(TRANS32_DEP_1) | instskip(SKIP_1) | instid1(VALU_DEP_1)
	v_ldexp_f32 v47, v47, v48
	s_wait_alu 0xfffd
	v_cndmask_b32_e32 v47, 0, v47, vcc_lo
	v_cmp_nlt_f32_e32 vcc_lo, 0x42b17218, v46
	s_wait_alu 0xfffd
	s_delay_alu instid0(VALU_DEP_2) | instskip(NEXT) | instid1(VALU_DEP_1)
	v_cndmask_b32_e32 v48, 0x7f800000, v47, vcc_lo
	v_add_f32_e32 v49, 1.0, v48
	s_delay_alu instid0(VALU_DEP_1) | instskip(NEXT) | instid1(VALU_DEP_1)
	v_cvt_f64_f32_e32 v[46:47], v49
	v_frexp_exp_i32_f64_e32 v46, v[46:47]
	v_frexp_mant_f32_e32 v47, v49
	s_delay_alu instid0(VALU_DEP_1) | instskip(SKIP_1) | instid1(VALU_DEP_1)
	v_cmp_gt_f32_e32 vcc_lo, 0x3f2aaaab, v47
	v_add_f32_e32 v47, -1.0, v49
	v_sub_f32_e32 v51, v47, v49
	v_sub_f32_e32 v47, v48, v47
	s_wait_alu 0xfffd
	v_subrev_co_ci_u32_e64 v46, null, 0, v46, vcc_lo
	v_cmp_neq_f32_e32 vcc_lo, 0x7f800000, v48
	s_delay_alu instid0(VALU_DEP_2) | instskip(SKIP_1) | instid1(VALU_DEP_2)
	v_sub_nc_u32_e32 v50, 0, v46
	v_cvt_f32_i32_e32 v46, v46
	v_ldexp_f32 v49, v49, v50
	s_delay_alu instid0(VALU_DEP_1) | instskip(NEXT) | instid1(VALU_DEP_1)
	v_dual_add_f32 v52, 1.0, v49 :: v_dual_add_f32 v51, 1.0, v51
	v_add_f32_e32 v47, v47, v51
	s_delay_alu instid0(VALU_DEP_2) | instskip(NEXT) | instid1(VALU_DEP_2)
	v_add_f32_e32 v51, -1.0, v52
	v_ldexp_f32 v47, v47, v50
	s_delay_alu instid0(VALU_DEP_2) | instskip(NEXT) | instid1(VALU_DEP_1)
	v_dual_add_f32 v50, -1.0, v49 :: v_dual_sub_f32 v51, v49, v51
	v_add_f32_e32 v53, 1.0, v50
	s_delay_alu instid0(VALU_DEP_2) | instskip(NEXT) | instid1(VALU_DEP_2)
	v_add_f32_e32 v51, v47, v51
	v_sub_f32_e32 v49, v49, v53
	s_delay_alu instid0(VALU_DEP_2) | instskip(NEXT) | instid1(VALU_DEP_2)
	v_add_f32_e32 v53, v52, v51
	v_add_f32_e32 v47, v47, v49
	s_delay_alu instid0(VALU_DEP_2) | instskip(SKIP_1) | instid1(VALU_DEP_1)
	v_rcp_f32_e32 v49, v53
	v_sub_f32_e32 v52, v52, v53
	v_dual_add_f32 v54, v50, v47 :: v_dual_add_f32 v51, v51, v52
	s_delay_alu instid0(VALU_DEP_1) | instskip(NEXT) | instid1(TRANS32_DEP_1)
	v_sub_f32_e32 v50, v50, v54
	v_mul_f32_e32 v55, v54, v49
	s_delay_alu instid0(VALU_DEP_1) | instskip(NEXT) | instid1(VALU_DEP_1)
	v_dual_add_f32 v47, v47, v50 :: v_dual_mul_f32 v56, v53, v55
	v_fma_f32 v52, v55, v53, -v56
	s_delay_alu instid0(VALU_DEP_1) | instskip(NEXT) | instid1(VALU_DEP_1)
	v_fmac_f32_e32 v52, v55, v51
	v_add_f32_e32 v57, v56, v52
	s_delay_alu instid0(VALU_DEP_1) | instskip(SKIP_1) | instid1(VALU_DEP_2)
	v_sub_f32_e32 v58, v54, v57
	v_sub_f32_e32 v50, v57, v56
	;; [unrolled: 1-line block ×3, first 2 shown]
	s_delay_alu instid0(VALU_DEP_2) | instskip(NEXT) | instid1(VALU_DEP_2)
	v_sub_f32_e32 v50, v50, v52
	v_sub_f32_e32 v54, v54, v57
	s_delay_alu instid0(VALU_DEP_1) | instskip(NEXT) | instid1(VALU_DEP_1)
	v_add_f32_e32 v47, v47, v54
	v_add_f32_e32 v47, v50, v47
	s_delay_alu instid0(VALU_DEP_1) | instskip(NEXT) | instid1(VALU_DEP_1)
	v_add_f32_e32 v50, v58, v47
	v_mul_f32_e32 v52, v49, v50
	s_delay_alu instid0(VALU_DEP_1) | instskip(NEXT) | instid1(VALU_DEP_1)
	v_dual_sub_f32 v57, v58, v50 :: v_dual_mul_f32 v54, v53, v52
	v_add_f32_e32 v47, v47, v57
	s_delay_alu instid0(VALU_DEP_2) | instskip(NEXT) | instid1(VALU_DEP_1)
	v_fma_f32 v53, v52, v53, -v54
	v_fmac_f32_e32 v53, v52, v51
	s_delay_alu instid0(VALU_DEP_1) | instskip(NEXT) | instid1(VALU_DEP_1)
	v_add_f32_e32 v51, v54, v53
	v_sub_f32_e32 v56, v50, v51
	v_sub_f32_e32 v54, v51, v54
	s_delay_alu instid0(VALU_DEP_2) | instskip(NEXT) | instid1(VALU_DEP_1)
	v_sub_f32_e32 v50, v50, v56
	v_sub_f32_e32 v50, v50, v51
	s_delay_alu instid0(VALU_DEP_3) | instskip(NEXT) | instid1(VALU_DEP_2)
	v_sub_f32_e32 v51, v54, v53
	v_add_f32_e32 v47, v47, v50
	v_add_f32_e32 v50, v55, v52
	s_delay_alu instid0(VALU_DEP_2) | instskip(NEXT) | instid1(VALU_DEP_2)
	v_add_f32_e32 v47, v51, v47
	v_sub_f32_e32 v51, v50, v55
	s_delay_alu instid0(VALU_DEP_2) | instskip(NEXT) | instid1(VALU_DEP_2)
	v_add_f32_e32 v47, v56, v47
	v_sub_f32_e32 v51, v52, v51
	s_delay_alu instid0(VALU_DEP_2) | instskip(NEXT) | instid1(VALU_DEP_1)
	v_mul_f32_e32 v47, v49, v47
	v_add_f32_e32 v47, v51, v47
	s_delay_alu instid0(VALU_DEP_1) | instskip(NEXT) | instid1(VALU_DEP_1)
	v_add_f32_e32 v49, v50, v47
	v_mul_f32_e32 v51, v49, v49
	s_delay_alu instid0(VALU_DEP_1) | instskip(SKIP_1) | instid1(VALU_DEP_2)
	v_fmaak_f32 v52, s16, v51, 0x3ecc95a3
	v_mul_f32_e32 v53, v49, v51
	v_fmaak_f32 v51, v51, v52, 0x3f2aaada
	v_ldexp_f32 v52, v49, 1
	v_sub_f32_e32 v49, v49, v50
	s_delay_alu instid0(VALU_DEP_3) | instskip(SKIP_1) | instid1(VALU_DEP_2)
	v_mul_f32_e32 v51, v53, v51
	v_mul_f32_e32 v53, 0x3f317218, v46
	v_dual_sub_f32 v47, v47, v49 :: v_dual_add_f32 v50, v52, v51
	s_delay_alu instid0(VALU_DEP_1) | instskip(NEXT) | instid1(VALU_DEP_2)
	v_ldexp_f32 v47, v47, 1
	v_sub_f32_e32 v49, v50, v52
	s_delay_alu instid0(VALU_DEP_4) | instskip(NEXT) | instid1(VALU_DEP_1)
	v_fma_f32 v52, 0x3f317218, v46, -v53
	v_dual_sub_f32 v49, v51, v49 :: v_dual_fmac_f32 v52, 0xb102e308, v46
	s_delay_alu instid0(VALU_DEP_1) | instskip(NEXT) | instid1(VALU_DEP_1)
	v_dual_add_f32 v46, v47, v49 :: v_dual_add_f32 v47, v53, v52
	v_add_f32_e32 v49, v50, v46
	s_delay_alu instid0(VALU_DEP_2) | instskip(NEXT) | instid1(VALU_DEP_2)
	v_sub_f32_e32 v53, v47, v53
	v_dual_add_f32 v51, v47, v49 :: v_dual_sub_f32 v50, v49, v50
	s_delay_alu instid0(VALU_DEP_2) | instskip(NEXT) | instid1(VALU_DEP_2)
	v_sub_f32_e32 v52, v52, v53
	v_sub_f32_e32 v54, v51, v47
	s_delay_alu instid0(VALU_DEP_3) | instskip(NEXT) | instid1(VALU_DEP_2)
	v_sub_f32_e32 v46, v46, v50
	v_sub_f32_e32 v55, v51, v54
	;; [unrolled: 1-line block ×3, first 2 shown]
	s_delay_alu instid0(VALU_DEP_2) | instskip(NEXT) | instid1(VALU_DEP_1)
	v_dual_add_f32 v50, v52, v46 :: v_dual_sub_f32 v47, v47, v55
	v_add_f32_e32 v47, v49, v47
	s_delay_alu instid0(VALU_DEP_2) | instskip(NEXT) | instid1(VALU_DEP_2)
	v_sub_f32_e32 v49, v50, v52
	v_add_f32_e32 v47, v50, v47
	s_delay_alu instid0(VALU_DEP_2) | instskip(NEXT) | instid1(VALU_DEP_2)
	v_sub_f32_e32 v50, v50, v49
	v_dual_sub_f32 v46, v46, v49 :: v_dual_add_f32 v53, v51, v47
	s_delay_alu instid0(VALU_DEP_1) | instskip(NEXT) | instid1(VALU_DEP_1)
	v_dual_sub_f32 v50, v52, v50 :: v_dual_sub_f32 v49, v53, v51
	v_dual_add_f32 v46, v46, v50 :: v_dual_sub_f32 v47, v47, v49
	s_delay_alu instid0(VALU_DEP_1) | instskip(NEXT) | instid1(VALU_DEP_1)
	v_add_f32_e32 v46, v46, v47
	v_add_f32_e32 v46, v53, v46
	s_wait_alu 0xfffd
	s_delay_alu instid0(VALU_DEP_1) | instskip(SKIP_2) | instid1(VALU_DEP_2)
	v_cndmask_b32_e32 v46, 0x7f800000, v46, vcc_lo
	v_cmp_gt_f32_e64 vcc_lo, 0x33800000, |v48|
	s_wait_alu 0xfffd
	v_cndmask_b32_e32 v46, v46, v48, vcc_lo
	s_delay_alu instid0(VALU_DEP_1) | instskip(NEXT) | instid1(VALU_DEP_1)
	v_add_f32_e32 v10, v10, v46
	v_cvt_f16_f32_e32 v47, v10
.LBB421_147:                            ;   in Loop: Header=BB421_139 Depth=1
	s_wait_alu 0xfffe
	s_or_b32 exec_lo, exec_lo, s37
	s_delay_alu instid0(VALU_DEP_1)
	v_and_b32_e32 v10, 0xffff, v47
	v_mov_b32_e32 v46, v47
.LBB421_148:                            ;   in Loop: Header=BB421_139 Depth=1
	s_wait_alu 0xfffe
	s_or_b32 exec_lo, exec_lo, s17
	s_wait_dscnt 0x0
	ds_bpermute_b32 v47, v37, v10
	s_mov_b32 s17, exec_lo
	v_cmpx_le_u32_e64 v38, v9
	s_cbranch_execz .LBB421_152
; %bb.149:                              ;   in Loop: Header=BB421_139 Depth=1
	s_wait_dscnt 0x0
	v_cvt_f32_f16_e32 v10, v47
	v_cvt_f32_f16_e32 v48, v46
	v_cmp_u_f16_e32 vcc_lo, v47, v47
	s_delay_alu instid0(VALU_DEP_2) | instskip(SKIP_1) | instid1(VALU_DEP_1)
	v_min_num_f32_e32 v49, v10, v48
	s_wait_alu 0xfffd
	v_dual_max_num_f32 v50, v10, v48 :: v_dual_cndmask_b32 v49, v49, v10
	s_delay_alu instid0(VALU_DEP_1) | instskip(SKIP_2) | instid1(VALU_DEP_3)
	v_cndmask_b32_e32 v10, v50, v10, vcc_lo
	v_cmp_u_f16_e32 vcc_lo, v46, v46
	s_wait_alu 0xfffd
	v_cndmask_b32_e32 v46, v49, v48, vcc_lo
	s_delay_alu instid0(VALU_DEP_3) | instskip(NEXT) | instid1(VALU_DEP_2)
	v_cndmask_b32_e32 v10, v10, v48, vcc_lo
	v_cmp_class_f32_e64 s37, v46, 0x1f8
	s_delay_alu instid0(VALU_DEP_2) | instskip(SKIP_1) | instid1(SALU_CYCLE_1)
	v_cmp_neq_f32_e32 vcc_lo, v46, v10
	s_or_b32 s38, vcc_lo, s37
	s_and_saveexec_b32 s37, s38
	s_cbranch_execz .LBB421_151
; %bb.150:                              ;   in Loop: Header=BB421_139 Depth=1
	v_sub_f32_e32 v46, v46, v10
	s_delay_alu instid0(VALU_DEP_1) | instskip(NEXT) | instid1(VALU_DEP_1)
	v_mul_f32_e32 v47, 0x3fb8aa3b, v46
	v_fma_f32 v48, 0x3fb8aa3b, v46, -v47
	v_rndne_f32_e32 v49, v47
	s_delay_alu instid0(VALU_DEP_1) | instskip(SKIP_1) | instid1(VALU_DEP_4)
	v_sub_f32_e32 v47, v47, v49
	v_cmp_ngt_f32_e32 vcc_lo, 0xc2ce8ed0, v46
	v_fmac_f32_e32 v48, 0x32a5705f, v46
	s_delay_alu instid0(VALU_DEP_1) | instskip(SKIP_1) | instid1(VALU_DEP_2)
	v_add_f32_e32 v47, v47, v48
	v_cvt_i32_f32_e32 v48, v49
	v_exp_f32_e32 v47, v47
	s_delay_alu instid0(TRANS32_DEP_1) | instskip(SKIP_1) | instid1(VALU_DEP_1)
	v_ldexp_f32 v47, v47, v48
	s_wait_alu 0xfffd
	v_cndmask_b32_e32 v47, 0, v47, vcc_lo
	v_cmp_nlt_f32_e32 vcc_lo, 0x42b17218, v46
	s_wait_alu 0xfffd
	s_delay_alu instid0(VALU_DEP_2) | instskip(NEXT) | instid1(VALU_DEP_1)
	v_cndmask_b32_e32 v48, 0x7f800000, v47, vcc_lo
	v_add_f32_e32 v49, 1.0, v48
	s_delay_alu instid0(VALU_DEP_1) | instskip(NEXT) | instid1(VALU_DEP_1)
	v_cvt_f64_f32_e32 v[46:47], v49
	v_frexp_exp_i32_f64_e32 v46, v[46:47]
	v_frexp_mant_f32_e32 v47, v49
	s_delay_alu instid0(VALU_DEP_1) | instskip(SKIP_1) | instid1(VALU_DEP_1)
	v_cmp_gt_f32_e32 vcc_lo, 0x3f2aaaab, v47
	v_add_f32_e32 v47, -1.0, v49
	v_sub_f32_e32 v51, v47, v49
	v_sub_f32_e32 v47, v48, v47
	s_wait_alu 0xfffd
	v_subrev_co_ci_u32_e64 v46, null, 0, v46, vcc_lo
	v_cmp_neq_f32_e32 vcc_lo, 0x7f800000, v48
	s_delay_alu instid0(VALU_DEP_2) | instskip(SKIP_1) | instid1(VALU_DEP_2)
	v_sub_nc_u32_e32 v50, 0, v46
	v_cvt_f32_i32_e32 v46, v46
	v_ldexp_f32 v49, v49, v50
	s_delay_alu instid0(VALU_DEP_1) | instskip(NEXT) | instid1(VALU_DEP_1)
	v_dual_add_f32 v52, 1.0, v49 :: v_dual_add_f32 v51, 1.0, v51
	v_add_f32_e32 v47, v47, v51
	s_delay_alu instid0(VALU_DEP_2) | instskip(NEXT) | instid1(VALU_DEP_2)
	v_add_f32_e32 v51, -1.0, v52
	v_ldexp_f32 v47, v47, v50
	s_delay_alu instid0(VALU_DEP_2) | instskip(NEXT) | instid1(VALU_DEP_1)
	v_dual_add_f32 v50, -1.0, v49 :: v_dual_sub_f32 v51, v49, v51
	v_add_f32_e32 v53, 1.0, v50
	s_delay_alu instid0(VALU_DEP_2) | instskip(NEXT) | instid1(VALU_DEP_2)
	v_add_f32_e32 v51, v47, v51
	v_sub_f32_e32 v49, v49, v53
	s_delay_alu instid0(VALU_DEP_2) | instskip(NEXT) | instid1(VALU_DEP_2)
	v_add_f32_e32 v53, v52, v51
	v_add_f32_e32 v47, v47, v49
	s_delay_alu instid0(VALU_DEP_2) | instskip(SKIP_1) | instid1(VALU_DEP_1)
	v_rcp_f32_e32 v49, v53
	v_sub_f32_e32 v52, v52, v53
	v_dual_add_f32 v54, v50, v47 :: v_dual_add_f32 v51, v51, v52
	s_delay_alu instid0(VALU_DEP_1) | instskip(NEXT) | instid1(TRANS32_DEP_1)
	v_sub_f32_e32 v50, v50, v54
	v_mul_f32_e32 v55, v54, v49
	s_delay_alu instid0(VALU_DEP_1) | instskip(NEXT) | instid1(VALU_DEP_1)
	v_dual_add_f32 v47, v47, v50 :: v_dual_mul_f32 v56, v53, v55
	v_fma_f32 v52, v55, v53, -v56
	s_delay_alu instid0(VALU_DEP_1) | instskip(NEXT) | instid1(VALU_DEP_1)
	v_fmac_f32_e32 v52, v55, v51
	v_add_f32_e32 v57, v56, v52
	s_delay_alu instid0(VALU_DEP_1) | instskip(SKIP_1) | instid1(VALU_DEP_2)
	v_sub_f32_e32 v58, v54, v57
	v_sub_f32_e32 v50, v57, v56
	;; [unrolled: 1-line block ×3, first 2 shown]
	s_delay_alu instid0(VALU_DEP_2) | instskip(NEXT) | instid1(VALU_DEP_2)
	v_sub_f32_e32 v50, v50, v52
	v_sub_f32_e32 v54, v54, v57
	s_delay_alu instid0(VALU_DEP_1) | instskip(NEXT) | instid1(VALU_DEP_1)
	v_add_f32_e32 v47, v47, v54
	v_add_f32_e32 v47, v50, v47
	s_delay_alu instid0(VALU_DEP_1) | instskip(NEXT) | instid1(VALU_DEP_1)
	v_add_f32_e32 v50, v58, v47
	v_mul_f32_e32 v52, v49, v50
	s_delay_alu instid0(VALU_DEP_1) | instskip(NEXT) | instid1(VALU_DEP_1)
	v_dual_sub_f32 v57, v58, v50 :: v_dual_mul_f32 v54, v53, v52
	v_add_f32_e32 v47, v47, v57
	s_delay_alu instid0(VALU_DEP_2) | instskip(NEXT) | instid1(VALU_DEP_1)
	v_fma_f32 v53, v52, v53, -v54
	v_fmac_f32_e32 v53, v52, v51
	s_delay_alu instid0(VALU_DEP_1) | instskip(NEXT) | instid1(VALU_DEP_1)
	v_add_f32_e32 v51, v54, v53
	v_sub_f32_e32 v56, v50, v51
	v_sub_f32_e32 v54, v51, v54
	s_delay_alu instid0(VALU_DEP_2) | instskip(NEXT) | instid1(VALU_DEP_1)
	v_sub_f32_e32 v50, v50, v56
	v_sub_f32_e32 v50, v50, v51
	s_delay_alu instid0(VALU_DEP_3) | instskip(NEXT) | instid1(VALU_DEP_2)
	v_sub_f32_e32 v51, v54, v53
	v_add_f32_e32 v47, v47, v50
	v_add_f32_e32 v50, v55, v52
	s_delay_alu instid0(VALU_DEP_2) | instskip(NEXT) | instid1(VALU_DEP_2)
	v_add_f32_e32 v47, v51, v47
	v_sub_f32_e32 v51, v50, v55
	s_delay_alu instid0(VALU_DEP_2) | instskip(NEXT) | instid1(VALU_DEP_2)
	v_add_f32_e32 v47, v56, v47
	v_sub_f32_e32 v51, v52, v51
	s_delay_alu instid0(VALU_DEP_2) | instskip(NEXT) | instid1(VALU_DEP_1)
	v_mul_f32_e32 v47, v49, v47
	v_add_f32_e32 v47, v51, v47
	s_delay_alu instid0(VALU_DEP_1) | instskip(NEXT) | instid1(VALU_DEP_1)
	v_add_f32_e32 v49, v50, v47
	v_mul_f32_e32 v51, v49, v49
	s_delay_alu instid0(VALU_DEP_1) | instskip(SKIP_1) | instid1(VALU_DEP_2)
	v_fmaak_f32 v52, s16, v51, 0x3ecc95a3
	v_mul_f32_e32 v53, v49, v51
	v_fmaak_f32 v51, v51, v52, 0x3f2aaada
	v_ldexp_f32 v52, v49, 1
	v_sub_f32_e32 v49, v49, v50
	s_delay_alu instid0(VALU_DEP_3) | instskip(SKIP_1) | instid1(VALU_DEP_2)
	v_mul_f32_e32 v51, v53, v51
	v_mul_f32_e32 v53, 0x3f317218, v46
	v_dual_sub_f32 v47, v47, v49 :: v_dual_add_f32 v50, v52, v51
	s_delay_alu instid0(VALU_DEP_1) | instskip(NEXT) | instid1(VALU_DEP_2)
	v_ldexp_f32 v47, v47, 1
	v_sub_f32_e32 v49, v50, v52
	s_delay_alu instid0(VALU_DEP_4) | instskip(NEXT) | instid1(VALU_DEP_1)
	v_fma_f32 v52, 0x3f317218, v46, -v53
	v_dual_sub_f32 v49, v51, v49 :: v_dual_fmac_f32 v52, 0xb102e308, v46
	s_delay_alu instid0(VALU_DEP_1) | instskip(NEXT) | instid1(VALU_DEP_1)
	v_dual_add_f32 v46, v47, v49 :: v_dual_add_f32 v47, v53, v52
	v_add_f32_e32 v49, v50, v46
	s_delay_alu instid0(VALU_DEP_2) | instskip(NEXT) | instid1(VALU_DEP_2)
	v_sub_f32_e32 v53, v47, v53
	v_dual_add_f32 v51, v47, v49 :: v_dual_sub_f32 v50, v49, v50
	s_delay_alu instid0(VALU_DEP_2) | instskip(NEXT) | instid1(VALU_DEP_2)
	v_sub_f32_e32 v52, v52, v53
	v_sub_f32_e32 v54, v51, v47
	s_delay_alu instid0(VALU_DEP_3) | instskip(NEXT) | instid1(VALU_DEP_2)
	v_sub_f32_e32 v46, v46, v50
	v_sub_f32_e32 v55, v51, v54
	;; [unrolled: 1-line block ×3, first 2 shown]
	s_delay_alu instid0(VALU_DEP_2) | instskip(NEXT) | instid1(VALU_DEP_1)
	v_dual_add_f32 v50, v52, v46 :: v_dual_sub_f32 v47, v47, v55
	v_add_f32_e32 v47, v49, v47
	s_delay_alu instid0(VALU_DEP_2) | instskip(NEXT) | instid1(VALU_DEP_2)
	v_sub_f32_e32 v49, v50, v52
	v_add_f32_e32 v47, v50, v47
	s_delay_alu instid0(VALU_DEP_2) | instskip(NEXT) | instid1(VALU_DEP_2)
	v_sub_f32_e32 v50, v50, v49
	v_dual_sub_f32 v46, v46, v49 :: v_dual_add_f32 v53, v51, v47
	s_delay_alu instid0(VALU_DEP_1) | instskip(NEXT) | instid1(VALU_DEP_1)
	v_dual_sub_f32 v50, v52, v50 :: v_dual_sub_f32 v49, v53, v51
	v_dual_add_f32 v46, v46, v50 :: v_dual_sub_f32 v47, v47, v49
	s_delay_alu instid0(VALU_DEP_1) | instskip(NEXT) | instid1(VALU_DEP_1)
	v_add_f32_e32 v46, v46, v47
	v_add_f32_e32 v46, v53, v46
	s_wait_alu 0xfffd
	s_delay_alu instid0(VALU_DEP_1) | instskip(SKIP_2) | instid1(VALU_DEP_2)
	v_cndmask_b32_e32 v46, 0x7f800000, v46, vcc_lo
	v_cmp_gt_f32_e64 vcc_lo, 0x33800000, |v48|
	s_wait_alu 0xfffd
	v_cndmask_b32_e32 v46, v46, v48, vcc_lo
	s_delay_alu instid0(VALU_DEP_1) | instskip(NEXT) | instid1(VALU_DEP_1)
	v_add_f32_e32 v10, v10, v46
	v_cvt_f16_f32_e32 v47, v10
.LBB421_151:                            ;   in Loop: Header=BB421_139 Depth=1
	s_wait_alu 0xfffe
	s_or_b32 exec_lo, exec_lo, s37
	s_delay_alu instid0(VALU_DEP_1)
	v_and_b32_e32 v10, 0xffff, v47
	v_mov_b32_e32 v46, v47
.LBB421_152:                            ;   in Loop: Header=BB421_139 Depth=1
	s_wait_alu 0xfffe
	s_or_b32 exec_lo, exec_lo, s17
	s_wait_dscnt 0x0
	ds_bpermute_b32 v47, v39, v10
	s_mov_b32 s17, exec_lo
	v_cmpx_le_u32_e64 v40, v9
	s_cbranch_execz .LBB421_156
; %bb.153:                              ;   in Loop: Header=BB421_139 Depth=1
	s_wait_dscnt 0x0
	v_cvt_f32_f16_e32 v10, v47
	v_cvt_f32_f16_e32 v48, v46
	v_cmp_u_f16_e32 vcc_lo, v47, v47
	s_delay_alu instid0(VALU_DEP_2) | instskip(SKIP_1) | instid1(VALU_DEP_1)
	v_min_num_f32_e32 v49, v10, v48
	s_wait_alu 0xfffd
	v_dual_max_num_f32 v50, v10, v48 :: v_dual_cndmask_b32 v49, v49, v10
	s_delay_alu instid0(VALU_DEP_1) | instskip(SKIP_2) | instid1(VALU_DEP_3)
	v_cndmask_b32_e32 v10, v50, v10, vcc_lo
	v_cmp_u_f16_e32 vcc_lo, v46, v46
	s_wait_alu 0xfffd
	v_cndmask_b32_e32 v46, v49, v48, vcc_lo
	s_delay_alu instid0(VALU_DEP_3) | instskip(NEXT) | instid1(VALU_DEP_2)
	v_cndmask_b32_e32 v10, v10, v48, vcc_lo
	v_cmp_class_f32_e64 s37, v46, 0x1f8
	s_delay_alu instid0(VALU_DEP_2) | instskip(SKIP_1) | instid1(SALU_CYCLE_1)
	v_cmp_neq_f32_e32 vcc_lo, v46, v10
	s_or_b32 s38, vcc_lo, s37
	s_and_saveexec_b32 s37, s38
	s_cbranch_execz .LBB421_155
; %bb.154:                              ;   in Loop: Header=BB421_139 Depth=1
	v_sub_f32_e32 v46, v46, v10
	s_delay_alu instid0(VALU_DEP_1) | instskip(NEXT) | instid1(VALU_DEP_1)
	v_mul_f32_e32 v47, 0x3fb8aa3b, v46
	v_fma_f32 v48, 0x3fb8aa3b, v46, -v47
	v_rndne_f32_e32 v49, v47
	s_delay_alu instid0(VALU_DEP_1) | instskip(SKIP_1) | instid1(VALU_DEP_4)
	v_sub_f32_e32 v47, v47, v49
	v_cmp_ngt_f32_e32 vcc_lo, 0xc2ce8ed0, v46
	v_fmac_f32_e32 v48, 0x32a5705f, v46
	s_delay_alu instid0(VALU_DEP_1) | instskip(SKIP_1) | instid1(VALU_DEP_2)
	v_add_f32_e32 v47, v47, v48
	v_cvt_i32_f32_e32 v48, v49
	v_exp_f32_e32 v47, v47
	s_delay_alu instid0(TRANS32_DEP_1) | instskip(SKIP_1) | instid1(VALU_DEP_1)
	v_ldexp_f32 v47, v47, v48
	s_wait_alu 0xfffd
	v_cndmask_b32_e32 v47, 0, v47, vcc_lo
	v_cmp_nlt_f32_e32 vcc_lo, 0x42b17218, v46
	s_wait_alu 0xfffd
	s_delay_alu instid0(VALU_DEP_2) | instskip(NEXT) | instid1(VALU_DEP_1)
	v_cndmask_b32_e32 v48, 0x7f800000, v47, vcc_lo
	v_add_f32_e32 v49, 1.0, v48
	s_delay_alu instid0(VALU_DEP_1) | instskip(NEXT) | instid1(VALU_DEP_1)
	v_cvt_f64_f32_e32 v[46:47], v49
	v_frexp_exp_i32_f64_e32 v46, v[46:47]
	v_frexp_mant_f32_e32 v47, v49
	s_delay_alu instid0(VALU_DEP_1) | instskip(SKIP_1) | instid1(VALU_DEP_1)
	v_cmp_gt_f32_e32 vcc_lo, 0x3f2aaaab, v47
	v_add_f32_e32 v47, -1.0, v49
	v_sub_f32_e32 v51, v47, v49
	v_sub_f32_e32 v47, v48, v47
	s_wait_alu 0xfffd
	v_subrev_co_ci_u32_e64 v46, null, 0, v46, vcc_lo
	v_cmp_neq_f32_e32 vcc_lo, 0x7f800000, v48
	s_delay_alu instid0(VALU_DEP_2) | instskip(SKIP_1) | instid1(VALU_DEP_2)
	v_sub_nc_u32_e32 v50, 0, v46
	v_cvt_f32_i32_e32 v46, v46
	v_ldexp_f32 v49, v49, v50
	s_delay_alu instid0(VALU_DEP_1) | instskip(NEXT) | instid1(VALU_DEP_1)
	v_dual_add_f32 v52, 1.0, v49 :: v_dual_add_f32 v51, 1.0, v51
	v_add_f32_e32 v47, v47, v51
	s_delay_alu instid0(VALU_DEP_2) | instskip(NEXT) | instid1(VALU_DEP_2)
	v_add_f32_e32 v51, -1.0, v52
	v_ldexp_f32 v47, v47, v50
	s_delay_alu instid0(VALU_DEP_2) | instskip(NEXT) | instid1(VALU_DEP_1)
	v_dual_add_f32 v50, -1.0, v49 :: v_dual_sub_f32 v51, v49, v51
	v_add_f32_e32 v53, 1.0, v50
	s_delay_alu instid0(VALU_DEP_2) | instskip(NEXT) | instid1(VALU_DEP_2)
	v_add_f32_e32 v51, v47, v51
	v_sub_f32_e32 v49, v49, v53
	s_delay_alu instid0(VALU_DEP_2) | instskip(NEXT) | instid1(VALU_DEP_2)
	v_add_f32_e32 v53, v52, v51
	v_add_f32_e32 v47, v47, v49
	s_delay_alu instid0(VALU_DEP_2) | instskip(SKIP_1) | instid1(VALU_DEP_1)
	v_rcp_f32_e32 v49, v53
	v_sub_f32_e32 v52, v52, v53
	v_dual_add_f32 v54, v50, v47 :: v_dual_add_f32 v51, v51, v52
	s_delay_alu instid0(VALU_DEP_1) | instskip(NEXT) | instid1(TRANS32_DEP_1)
	v_sub_f32_e32 v50, v50, v54
	v_mul_f32_e32 v55, v54, v49
	s_delay_alu instid0(VALU_DEP_1) | instskip(NEXT) | instid1(VALU_DEP_1)
	v_dual_add_f32 v47, v47, v50 :: v_dual_mul_f32 v56, v53, v55
	v_fma_f32 v52, v55, v53, -v56
	s_delay_alu instid0(VALU_DEP_1) | instskip(NEXT) | instid1(VALU_DEP_1)
	v_fmac_f32_e32 v52, v55, v51
	v_add_f32_e32 v57, v56, v52
	s_delay_alu instid0(VALU_DEP_1) | instskip(SKIP_1) | instid1(VALU_DEP_2)
	v_sub_f32_e32 v58, v54, v57
	v_sub_f32_e32 v50, v57, v56
	;; [unrolled: 1-line block ×3, first 2 shown]
	s_delay_alu instid0(VALU_DEP_2) | instskip(NEXT) | instid1(VALU_DEP_2)
	v_sub_f32_e32 v50, v50, v52
	v_sub_f32_e32 v54, v54, v57
	s_delay_alu instid0(VALU_DEP_1) | instskip(NEXT) | instid1(VALU_DEP_1)
	v_add_f32_e32 v47, v47, v54
	v_add_f32_e32 v47, v50, v47
	s_delay_alu instid0(VALU_DEP_1) | instskip(NEXT) | instid1(VALU_DEP_1)
	v_add_f32_e32 v50, v58, v47
	v_mul_f32_e32 v52, v49, v50
	s_delay_alu instid0(VALU_DEP_1) | instskip(NEXT) | instid1(VALU_DEP_1)
	v_dual_sub_f32 v57, v58, v50 :: v_dual_mul_f32 v54, v53, v52
	v_add_f32_e32 v47, v47, v57
	s_delay_alu instid0(VALU_DEP_2) | instskip(NEXT) | instid1(VALU_DEP_1)
	v_fma_f32 v53, v52, v53, -v54
	v_fmac_f32_e32 v53, v52, v51
	s_delay_alu instid0(VALU_DEP_1) | instskip(NEXT) | instid1(VALU_DEP_1)
	v_add_f32_e32 v51, v54, v53
	v_sub_f32_e32 v56, v50, v51
	v_sub_f32_e32 v54, v51, v54
	s_delay_alu instid0(VALU_DEP_2) | instskip(NEXT) | instid1(VALU_DEP_1)
	v_sub_f32_e32 v50, v50, v56
	v_sub_f32_e32 v50, v50, v51
	s_delay_alu instid0(VALU_DEP_3) | instskip(NEXT) | instid1(VALU_DEP_2)
	v_sub_f32_e32 v51, v54, v53
	v_add_f32_e32 v47, v47, v50
	v_add_f32_e32 v50, v55, v52
	s_delay_alu instid0(VALU_DEP_2) | instskip(NEXT) | instid1(VALU_DEP_2)
	v_add_f32_e32 v47, v51, v47
	v_sub_f32_e32 v51, v50, v55
	s_delay_alu instid0(VALU_DEP_2) | instskip(NEXT) | instid1(VALU_DEP_2)
	v_add_f32_e32 v47, v56, v47
	v_sub_f32_e32 v51, v52, v51
	s_delay_alu instid0(VALU_DEP_2) | instskip(NEXT) | instid1(VALU_DEP_1)
	v_mul_f32_e32 v47, v49, v47
	v_add_f32_e32 v47, v51, v47
	s_delay_alu instid0(VALU_DEP_1) | instskip(NEXT) | instid1(VALU_DEP_1)
	v_add_f32_e32 v49, v50, v47
	v_mul_f32_e32 v51, v49, v49
	s_delay_alu instid0(VALU_DEP_1) | instskip(SKIP_1) | instid1(VALU_DEP_2)
	v_fmaak_f32 v52, s16, v51, 0x3ecc95a3
	v_mul_f32_e32 v53, v49, v51
	v_fmaak_f32 v51, v51, v52, 0x3f2aaada
	v_ldexp_f32 v52, v49, 1
	v_sub_f32_e32 v49, v49, v50
	s_delay_alu instid0(VALU_DEP_3) | instskip(SKIP_1) | instid1(VALU_DEP_2)
	v_mul_f32_e32 v51, v53, v51
	v_mul_f32_e32 v53, 0x3f317218, v46
	v_dual_sub_f32 v47, v47, v49 :: v_dual_add_f32 v50, v52, v51
	s_delay_alu instid0(VALU_DEP_1) | instskip(NEXT) | instid1(VALU_DEP_2)
	v_ldexp_f32 v47, v47, 1
	v_sub_f32_e32 v49, v50, v52
	s_delay_alu instid0(VALU_DEP_4) | instskip(NEXT) | instid1(VALU_DEP_1)
	v_fma_f32 v52, 0x3f317218, v46, -v53
	v_dual_sub_f32 v49, v51, v49 :: v_dual_fmac_f32 v52, 0xb102e308, v46
	s_delay_alu instid0(VALU_DEP_1) | instskip(NEXT) | instid1(VALU_DEP_1)
	v_dual_add_f32 v46, v47, v49 :: v_dual_add_f32 v47, v53, v52
	v_add_f32_e32 v49, v50, v46
	s_delay_alu instid0(VALU_DEP_2) | instskip(NEXT) | instid1(VALU_DEP_2)
	v_sub_f32_e32 v53, v47, v53
	v_dual_add_f32 v51, v47, v49 :: v_dual_sub_f32 v50, v49, v50
	s_delay_alu instid0(VALU_DEP_2) | instskip(NEXT) | instid1(VALU_DEP_2)
	v_sub_f32_e32 v52, v52, v53
	v_sub_f32_e32 v54, v51, v47
	s_delay_alu instid0(VALU_DEP_3) | instskip(NEXT) | instid1(VALU_DEP_2)
	v_sub_f32_e32 v46, v46, v50
	v_sub_f32_e32 v55, v51, v54
	;; [unrolled: 1-line block ×3, first 2 shown]
	s_delay_alu instid0(VALU_DEP_2) | instskip(NEXT) | instid1(VALU_DEP_1)
	v_dual_add_f32 v50, v52, v46 :: v_dual_sub_f32 v47, v47, v55
	v_add_f32_e32 v47, v49, v47
	s_delay_alu instid0(VALU_DEP_2) | instskip(NEXT) | instid1(VALU_DEP_2)
	v_sub_f32_e32 v49, v50, v52
	v_add_f32_e32 v47, v50, v47
	s_delay_alu instid0(VALU_DEP_2) | instskip(NEXT) | instid1(VALU_DEP_2)
	v_sub_f32_e32 v50, v50, v49
	v_dual_sub_f32 v46, v46, v49 :: v_dual_add_f32 v53, v51, v47
	s_delay_alu instid0(VALU_DEP_1) | instskip(NEXT) | instid1(VALU_DEP_1)
	v_dual_sub_f32 v50, v52, v50 :: v_dual_sub_f32 v49, v53, v51
	v_dual_add_f32 v46, v46, v50 :: v_dual_sub_f32 v47, v47, v49
	s_delay_alu instid0(VALU_DEP_1) | instskip(NEXT) | instid1(VALU_DEP_1)
	v_add_f32_e32 v46, v46, v47
	v_add_f32_e32 v46, v53, v46
	s_wait_alu 0xfffd
	s_delay_alu instid0(VALU_DEP_1) | instskip(SKIP_2) | instid1(VALU_DEP_2)
	v_cndmask_b32_e32 v46, 0x7f800000, v46, vcc_lo
	v_cmp_gt_f32_e64 vcc_lo, 0x33800000, |v48|
	s_wait_alu 0xfffd
	v_cndmask_b32_e32 v46, v46, v48, vcc_lo
	s_delay_alu instid0(VALU_DEP_1) | instskip(NEXT) | instid1(VALU_DEP_1)
	v_add_f32_e32 v10, v10, v46
	v_cvt_f16_f32_e32 v47, v10
.LBB421_155:                            ;   in Loop: Header=BB421_139 Depth=1
	s_wait_alu 0xfffe
	s_or_b32 exec_lo, exec_lo, s37
	s_delay_alu instid0(VALU_DEP_1)
	v_and_b32_e32 v10, 0xffff, v47
	v_mov_b32_e32 v46, v47
.LBB421_156:                            ;   in Loop: Header=BB421_139 Depth=1
	s_wait_alu 0xfffe
	s_or_b32 exec_lo, exec_lo, s17
	s_wait_dscnt 0x0
	ds_bpermute_b32 v47, v41, v10
	s_mov_b32 s17, exec_lo
	v_cmpx_le_u32_e64 v42, v9
	s_cbranch_execz .LBB421_160
; %bb.157:                              ;   in Loop: Header=BB421_139 Depth=1
	s_wait_dscnt 0x0
	v_cvt_f32_f16_e32 v10, v47
	v_cvt_f32_f16_e32 v48, v46
	v_cmp_u_f16_e32 vcc_lo, v47, v47
	s_delay_alu instid0(VALU_DEP_2) | instskip(SKIP_1) | instid1(VALU_DEP_1)
	v_min_num_f32_e32 v49, v10, v48
	s_wait_alu 0xfffd
	v_dual_max_num_f32 v50, v10, v48 :: v_dual_cndmask_b32 v49, v49, v10
	s_delay_alu instid0(VALU_DEP_1) | instskip(SKIP_2) | instid1(VALU_DEP_3)
	v_cndmask_b32_e32 v10, v50, v10, vcc_lo
	v_cmp_u_f16_e32 vcc_lo, v46, v46
	s_wait_alu 0xfffd
	v_cndmask_b32_e32 v46, v49, v48, vcc_lo
	s_delay_alu instid0(VALU_DEP_3) | instskip(NEXT) | instid1(VALU_DEP_2)
	v_cndmask_b32_e32 v10, v10, v48, vcc_lo
	v_cmp_class_f32_e64 s37, v46, 0x1f8
	s_delay_alu instid0(VALU_DEP_2) | instskip(SKIP_1) | instid1(SALU_CYCLE_1)
	v_cmp_neq_f32_e32 vcc_lo, v46, v10
	s_or_b32 s38, vcc_lo, s37
	s_and_saveexec_b32 s37, s38
	s_cbranch_execz .LBB421_159
; %bb.158:                              ;   in Loop: Header=BB421_139 Depth=1
	v_sub_f32_e32 v46, v46, v10
	s_delay_alu instid0(VALU_DEP_1) | instskip(NEXT) | instid1(VALU_DEP_1)
	v_mul_f32_e32 v47, 0x3fb8aa3b, v46
	v_fma_f32 v48, 0x3fb8aa3b, v46, -v47
	v_rndne_f32_e32 v49, v47
	s_delay_alu instid0(VALU_DEP_1) | instskip(SKIP_1) | instid1(VALU_DEP_4)
	v_sub_f32_e32 v47, v47, v49
	v_cmp_ngt_f32_e32 vcc_lo, 0xc2ce8ed0, v46
	v_fmac_f32_e32 v48, 0x32a5705f, v46
	s_delay_alu instid0(VALU_DEP_1) | instskip(SKIP_1) | instid1(VALU_DEP_2)
	v_add_f32_e32 v47, v47, v48
	v_cvt_i32_f32_e32 v48, v49
	v_exp_f32_e32 v47, v47
	s_delay_alu instid0(TRANS32_DEP_1) | instskip(SKIP_1) | instid1(VALU_DEP_1)
	v_ldexp_f32 v47, v47, v48
	s_wait_alu 0xfffd
	v_cndmask_b32_e32 v47, 0, v47, vcc_lo
	v_cmp_nlt_f32_e32 vcc_lo, 0x42b17218, v46
	s_wait_alu 0xfffd
	s_delay_alu instid0(VALU_DEP_2) | instskip(NEXT) | instid1(VALU_DEP_1)
	v_cndmask_b32_e32 v48, 0x7f800000, v47, vcc_lo
	v_add_f32_e32 v49, 1.0, v48
	s_delay_alu instid0(VALU_DEP_1) | instskip(NEXT) | instid1(VALU_DEP_1)
	v_cvt_f64_f32_e32 v[46:47], v49
	v_frexp_exp_i32_f64_e32 v46, v[46:47]
	v_frexp_mant_f32_e32 v47, v49
	s_delay_alu instid0(VALU_DEP_1) | instskip(SKIP_1) | instid1(VALU_DEP_1)
	v_cmp_gt_f32_e32 vcc_lo, 0x3f2aaaab, v47
	v_add_f32_e32 v47, -1.0, v49
	v_sub_f32_e32 v51, v47, v49
	v_sub_f32_e32 v47, v48, v47
	s_wait_alu 0xfffd
	v_subrev_co_ci_u32_e64 v46, null, 0, v46, vcc_lo
	v_cmp_neq_f32_e32 vcc_lo, 0x7f800000, v48
	s_delay_alu instid0(VALU_DEP_2) | instskip(SKIP_1) | instid1(VALU_DEP_2)
	v_sub_nc_u32_e32 v50, 0, v46
	v_cvt_f32_i32_e32 v46, v46
	v_ldexp_f32 v49, v49, v50
	s_delay_alu instid0(VALU_DEP_1) | instskip(NEXT) | instid1(VALU_DEP_1)
	v_dual_add_f32 v52, 1.0, v49 :: v_dual_add_f32 v51, 1.0, v51
	v_add_f32_e32 v47, v47, v51
	s_delay_alu instid0(VALU_DEP_2) | instskip(NEXT) | instid1(VALU_DEP_2)
	v_add_f32_e32 v51, -1.0, v52
	v_ldexp_f32 v47, v47, v50
	s_delay_alu instid0(VALU_DEP_2) | instskip(NEXT) | instid1(VALU_DEP_1)
	v_dual_add_f32 v50, -1.0, v49 :: v_dual_sub_f32 v51, v49, v51
	v_add_f32_e32 v53, 1.0, v50
	s_delay_alu instid0(VALU_DEP_2) | instskip(NEXT) | instid1(VALU_DEP_2)
	v_add_f32_e32 v51, v47, v51
	v_sub_f32_e32 v49, v49, v53
	s_delay_alu instid0(VALU_DEP_2) | instskip(NEXT) | instid1(VALU_DEP_2)
	v_add_f32_e32 v53, v52, v51
	v_add_f32_e32 v47, v47, v49
	s_delay_alu instid0(VALU_DEP_2) | instskip(SKIP_1) | instid1(VALU_DEP_1)
	v_rcp_f32_e32 v49, v53
	v_sub_f32_e32 v52, v52, v53
	v_dual_add_f32 v54, v50, v47 :: v_dual_add_f32 v51, v51, v52
	s_delay_alu instid0(VALU_DEP_1) | instskip(NEXT) | instid1(TRANS32_DEP_1)
	v_sub_f32_e32 v50, v50, v54
	v_mul_f32_e32 v55, v54, v49
	s_delay_alu instid0(VALU_DEP_1) | instskip(NEXT) | instid1(VALU_DEP_1)
	v_dual_add_f32 v47, v47, v50 :: v_dual_mul_f32 v56, v53, v55
	v_fma_f32 v52, v55, v53, -v56
	s_delay_alu instid0(VALU_DEP_1) | instskip(NEXT) | instid1(VALU_DEP_1)
	v_fmac_f32_e32 v52, v55, v51
	v_add_f32_e32 v57, v56, v52
	s_delay_alu instid0(VALU_DEP_1) | instskip(SKIP_1) | instid1(VALU_DEP_2)
	v_sub_f32_e32 v58, v54, v57
	v_sub_f32_e32 v50, v57, v56
	v_sub_f32_e32 v54, v54, v58
	s_delay_alu instid0(VALU_DEP_2) | instskip(NEXT) | instid1(VALU_DEP_2)
	v_sub_f32_e32 v50, v50, v52
	v_sub_f32_e32 v54, v54, v57
	s_delay_alu instid0(VALU_DEP_1) | instskip(NEXT) | instid1(VALU_DEP_1)
	v_add_f32_e32 v47, v47, v54
	v_add_f32_e32 v47, v50, v47
	s_delay_alu instid0(VALU_DEP_1) | instskip(NEXT) | instid1(VALU_DEP_1)
	v_add_f32_e32 v50, v58, v47
	v_mul_f32_e32 v52, v49, v50
	s_delay_alu instid0(VALU_DEP_1) | instskip(NEXT) | instid1(VALU_DEP_1)
	v_dual_sub_f32 v57, v58, v50 :: v_dual_mul_f32 v54, v53, v52
	v_add_f32_e32 v47, v47, v57
	s_delay_alu instid0(VALU_DEP_2) | instskip(NEXT) | instid1(VALU_DEP_1)
	v_fma_f32 v53, v52, v53, -v54
	v_fmac_f32_e32 v53, v52, v51
	s_delay_alu instid0(VALU_DEP_1) | instskip(NEXT) | instid1(VALU_DEP_1)
	v_add_f32_e32 v51, v54, v53
	v_sub_f32_e32 v56, v50, v51
	v_sub_f32_e32 v54, v51, v54
	s_delay_alu instid0(VALU_DEP_2) | instskip(NEXT) | instid1(VALU_DEP_1)
	v_sub_f32_e32 v50, v50, v56
	v_sub_f32_e32 v50, v50, v51
	s_delay_alu instid0(VALU_DEP_3) | instskip(NEXT) | instid1(VALU_DEP_2)
	v_sub_f32_e32 v51, v54, v53
	v_add_f32_e32 v47, v47, v50
	v_add_f32_e32 v50, v55, v52
	s_delay_alu instid0(VALU_DEP_2) | instskip(NEXT) | instid1(VALU_DEP_2)
	v_add_f32_e32 v47, v51, v47
	v_sub_f32_e32 v51, v50, v55
	s_delay_alu instid0(VALU_DEP_2) | instskip(NEXT) | instid1(VALU_DEP_2)
	v_add_f32_e32 v47, v56, v47
	v_sub_f32_e32 v51, v52, v51
	s_delay_alu instid0(VALU_DEP_2) | instskip(NEXT) | instid1(VALU_DEP_1)
	v_mul_f32_e32 v47, v49, v47
	v_add_f32_e32 v47, v51, v47
	s_delay_alu instid0(VALU_DEP_1) | instskip(NEXT) | instid1(VALU_DEP_1)
	v_add_f32_e32 v49, v50, v47
	v_mul_f32_e32 v51, v49, v49
	s_delay_alu instid0(VALU_DEP_1) | instskip(SKIP_1) | instid1(VALU_DEP_2)
	v_fmaak_f32 v52, s16, v51, 0x3ecc95a3
	v_mul_f32_e32 v53, v49, v51
	v_fmaak_f32 v51, v51, v52, 0x3f2aaada
	v_ldexp_f32 v52, v49, 1
	v_sub_f32_e32 v49, v49, v50
	s_delay_alu instid0(VALU_DEP_3) | instskip(SKIP_1) | instid1(VALU_DEP_2)
	v_mul_f32_e32 v51, v53, v51
	v_mul_f32_e32 v53, 0x3f317218, v46
	v_dual_sub_f32 v47, v47, v49 :: v_dual_add_f32 v50, v52, v51
	s_delay_alu instid0(VALU_DEP_1) | instskip(NEXT) | instid1(VALU_DEP_2)
	v_ldexp_f32 v47, v47, 1
	v_sub_f32_e32 v49, v50, v52
	s_delay_alu instid0(VALU_DEP_4) | instskip(NEXT) | instid1(VALU_DEP_1)
	v_fma_f32 v52, 0x3f317218, v46, -v53
	v_dual_sub_f32 v49, v51, v49 :: v_dual_fmac_f32 v52, 0xb102e308, v46
	s_delay_alu instid0(VALU_DEP_1) | instskip(NEXT) | instid1(VALU_DEP_1)
	v_dual_add_f32 v46, v47, v49 :: v_dual_add_f32 v47, v53, v52
	v_add_f32_e32 v49, v50, v46
	s_delay_alu instid0(VALU_DEP_2) | instskip(NEXT) | instid1(VALU_DEP_2)
	v_sub_f32_e32 v53, v47, v53
	v_dual_add_f32 v51, v47, v49 :: v_dual_sub_f32 v50, v49, v50
	s_delay_alu instid0(VALU_DEP_2) | instskip(NEXT) | instid1(VALU_DEP_2)
	v_sub_f32_e32 v52, v52, v53
	v_sub_f32_e32 v54, v51, v47
	s_delay_alu instid0(VALU_DEP_3) | instskip(NEXT) | instid1(VALU_DEP_2)
	v_sub_f32_e32 v46, v46, v50
	v_sub_f32_e32 v55, v51, v54
	v_sub_f32_e32 v49, v49, v54
	s_delay_alu instid0(VALU_DEP_2) | instskip(NEXT) | instid1(VALU_DEP_1)
	v_dual_add_f32 v50, v52, v46 :: v_dual_sub_f32 v47, v47, v55
	v_add_f32_e32 v47, v49, v47
	s_delay_alu instid0(VALU_DEP_2) | instskip(NEXT) | instid1(VALU_DEP_2)
	v_sub_f32_e32 v49, v50, v52
	v_add_f32_e32 v47, v50, v47
	s_delay_alu instid0(VALU_DEP_2) | instskip(NEXT) | instid1(VALU_DEP_2)
	v_sub_f32_e32 v50, v50, v49
	v_dual_sub_f32 v46, v46, v49 :: v_dual_add_f32 v53, v51, v47
	s_delay_alu instid0(VALU_DEP_1) | instskip(NEXT) | instid1(VALU_DEP_1)
	v_dual_sub_f32 v50, v52, v50 :: v_dual_sub_f32 v49, v53, v51
	v_dual_add_f32 v46, v46, v50 :: v_dual_sub_f32 v47, v47, v49
	s_delay_alu instid0(VALU_DEP_1) | instskip(NEXT) | instid1(VALU_DEP_1)
	v_add_f32_e32 v46, v46, v47
	v_add_f32_e32 v46, v53, v46
	s_wait_alu 0xfffd
	s_delay_alu instid0(VALU_DEP_1) | instskip(SKIP_2) | instid1(VALU_DEP_2)
	v_cndmask_b32_e32 v46, 0x7f800000, v46, vcc_lo
	v_cmp_gt_f32_e64 vcc_lo, 0x33800000, |v48|
	s_wait_alu 0xfffd
	v_cndmask_b32_e32 v46, v46, v48, vcc_lo
	s_delay_alu instid0(VALU_DEP_1) | instskip(NEXT) | instid1(VALU_DEP_1)
	v_add_f32_e32 v10, v10, v46
	v_cvt_f16_f32_e32 v47, v10
.LBB421_159:                            ;   in Loop: Header=BB421_139 Depth=1
	s_wait_alu 0xfffe
	s_or_b32 exec_lo, exec_lo, s37
	s_delay_alu instid0(VALU_DEP_1)
	v_and_b32_e32 v10, 0xffff, v47
	v_mov_b32_e32 v46, v47
.LBB421_160:                            ;   in Loop: Header=BB421_139 Depth=1
	s_wait_alu 0xfffe
	s_or_b32 exec_lo, exec_lo, s17
	ds_bpermute_b32 v10, v44, v10
	s_mov_b32 s17, exec_lo
	v_cmpx_le_u32_e64 v45, v9
	s_cbranch_execz .LBB421_164
; %bb.161:                              ;   in Loop: Header=BB421_139 Depth=1
	s_wait_dscnt 0x0
	v_cvt_f32_f16_e32 v9, v10
	v_cvt_f32_f16_e32 v47, v46
	v_cmp_u_f16_e32 vcc_lo, v10, v10
	s_delay_alu instid0(VALU_DEP_2) | instskip(SKIP_1) | instid1(VALU_DEP_1)
	v_min_num_f32_e32 v48, v9, v47
	s_wait_alu 0xfffd
	v_dual_max_num_f32 v49, v9, v47 :: v_dual_cndmask_b32 v48, v48, v9
	s_delay_alu instid0(VALU_DEP_1) | instskip(SKIP_2) | instid1(VALU_DEP_3)
	v_cndmask_b32_e32 v9, v49, v9, vcc_lo
	v_cmp_u_f16_e32 vcc_lo, v46, v46
	s_wait_alu 0xfffd
	v_cndmask_b32_e32 v46, v48, v47, vcc_lo
	s_delay_alu instid0(VALU_DEP_3) | instskip(NEXT) | instid1(VALU_DEP_2)
	v_cndmask_b32_e32 v9, v9, v47, vcc_lo
	v_cmp_class_f32_e64 s37, v46, 0x1f8
	s_delay_alu instid0(VALU_DEP_2) | instskip(SKIP_1) | instid1(SALU_CYCLE_1)
	v_cmp_neq_f32_e32 vcc_lo, v46, v9
	s_or_b32 s38, vcc_lo, s37
	s_and_saveexec_b32 s37, s38
	s_cbranch_execz .LBB421_163
; %bb.162:                              ;   in Loop: Header=BB421_139 Depth=1
	v_sub_f32_e32 v10, v46, v9
	s_delay_alu instid0(VALU_DEP_1) | instskip(SKIP_1) | instid1(VALU_DEP_2)
	v_mul_f32_e32 v46, 0x3fb8aa3b, v10
	v_cmp_ngt_f32_e32 vcc_lo, 0xc2ce8ed0, v10
	v_fma_f32 v47, 0x3fb8aa3b, v10, -v46
	v_rndne_f32_e32 v48, v46
	s_delay_alu instid0(VALU_DEP_1) | instskip(NEXT) | instid1(VALU_DEP_1)
	v_dual_fmac_f32 v47, 0x32a5705f, v10 :: v_dual_sub_f32 v46, v46, v48
	v_add_f32_e32 v46, v46, v47
	v_cvt_i32_f32_e32 v47, v48
	s_delay_alu instid0(VALU_DEP_2) | instskip(NEXT) | instid1(TRANS32_DEP_1)
	v_exp_f32_e32 v46, v46
	v_ldexp_f32 v46, v46, v47
	s_wait_alu 0xfffd
	s_delay_alu instid0(VALU_DEP_1) | instskip(SKIP_2) | instid1(VALU_DEP_2)
	v_cndmask_b32_e32 v46, 0, v46, vcc_lo
	v_cmp_nlt_f32_e32 vcc_lo, 0x42b17218, v10
	s_wait_alu 0xfffd
	v_cndmask_b32_e32 v10, 0x7f800000, v46, vcc_lo
	s_delay_alu instid0(VALU_DEP_1) | instskip(NEXT) | instid1(VALU_DEP_1)
	v_add_f32_e32 v48, 1.0, v10
	v_cvt_f64_f32_e32 v[46:47], v48
	s_delay_alu instid0(VALU_DEP_1) | instskip(SKIP_1) | instid1(VALU_DEP_1)
	v_frexp_exp_i32_f64_e32 v46, v[46:47]
	v_frexp_mant_f32_e32 v47, v48
	v_cmp_gt_f32_e32 vcc_lo, 0x3f2aaaab, v47
	v_add_f32_e32 v47, -1.0, v48
	s_delay_alu instid0(VALU_DEP_1) | instskip(SKIP_2) | instid1(VALU_DEP_1)
	v_dual_sub_f32 v50, v47, v48 :: v_dual_sub_f32 v47, v10, v47
	s_wait_alu 0xfffd
	v_subrev_co_ci_u32_e64 v46, null, 0, v46, vcc_lo
	v_sub_nc_u32_e32 v49, 0, v46
	v_cvt_f32_i32_e32 v46, v46
	s_delay_alu instid0(VALU_DEP_2) | instskip(NEXT) | instid1(VALU_DEP_1)
	v_ldexp_f32 v48, v48, v49
	v_dual_add_f32 v51, 1.0, v48 :: v_dual_add_f32 v50, 1.0, v50
	s_delay_alu instid0(VALU_DEP_1) | instskip(NEXT) | instid1(VALU_DEP_1)
	v_dual_add_f32 v47, v47, v50 :: v_dual_add_f32 v50, -1.0, v51
	v_ldexp_f32 v47, v47, v49
	s_delay_alu instid0(VALU_DEP_2) | instskip(NEXT) | instid1(VALU_DEP_1)
	v_dual_add_f32 v49, -1.0, v48 :: v_dual_sub_f32 v50, v48, v50
	v_add_f32_e32 v52, 1.0, v49
	s_delay_alu instid0(VALU_DEP_2) | instskip(NEXT) | instid1(VALU_DEP_2)
	v_add_f32_e32 v50, v47, v50
	v_sub_f32_e32 v48, v48, v52
	s_delay_alu instid0(VALU_DEP_1) | instskip(SKIP_1) | instid1(VALU_DEP_2)
	v_add_f32_e32 v47, v47, v48
	v_cmp_neq_f32_e32 vcc_lo, 0x7f800000, v10
	v_add_f32_e32 v53, v49, v47
	s_delay_alu instid0(VALU_DEP_1) | instskip(NEXT) | instid1(VALU_DEP_1)
	v_dual_sub_f32 v49, v49, v53 :: v_dual_add_f32 v52, v51, v50
	v_add_f32_e32 v47, v47, v49
	s_delay_alu instid0(VALU_DEP_2) | instskip(SKIP_1) | instid1(VALU_DEP_1)
	v_rcp_f32_e32 v48, v52
	v_sub_f32_e32 v51, v51, v52
	v_add_f32_e32 v50, v50, v51
	s_delay_alu instid0(TRANS32_DEP_1) | instskip(NEXT) | instid1(VALU_DEP_1)
	v_mul_f32_e32 v54, v53, v48
	v_mul_f32_e32 v55, v52, v54
	s_delay_alu instid0(VALU_DEP_1) | instskip(NEXT) | instid1(VALU_DEP_1)
	v_fma_f32 v51, v54, v52, -v55
	v_fmac_f32_e32 v51, v54, v50
	s_delay_alu instid0(VALU_DEP_1) | instskip(NEXT) | instid1(VALU_DEP_1)
	v_add_f32_e32 v56, v55, v51
	v_sub_f32_e32 v57, v53, v56
	v_sub_f32_e32 v49, v56, v55
	s_delay_alu instid0(VALU_DEP_2) | instskip(NEXT) | instid1(VALU_DEP_1)
	v_sub_f32_e32 v53, v53, v57
	v_sub_f32_e32 v53, v53, v56
	s_delay_alu instid0(VALU_DEP_3) | instskip(NEXT) | instid1(VALU_DEP_2)
	v_sub_f32_e32 v49, v49, v51
	v_add_f32_e32 v47, v47, v53
	s_delay_alu instid0(VALU_DEP_1) | instskip(NEXT) | instid1(VALU_DEP_1)
	v_add_f32_e32 v47, v49, v47
	v_add_f32_e32 v49, v57, v47
	s_delay_alu instid0(VALU_DEP_1) | instskip(NEXT) | instid1(VALU_DEP_1)
	v_mul_f32_e32 v51, v48, v49
	v_dual_sub_f32 v56, v57, v49 :: v_dual_mul_f32 v53, v52, v51
	s_delay_alu instid0(VALU_DEP_1) | instskip(NEXT) | instid1(VALU_DEP_2)
	v_add_f32_e32 v47, v47, v56
	v_fma_f32 v52, v51, v52, -v53
	s_delay_alu instid0(VALU_DEP_1) | instskip(NEXT) | instid1(VALU_DEP_1)
	v_fmac_f32_e32 v52, v51, v50
	v_add_f32_e32 v50, v53, v52
	s_delay_alu instid0(VALU_DEP_1) | instskip(NEXT) | instid1(VALU_DEP_1)
	v_sub_f32_e32 v55, v49, v50
	v_sub_f32_e32 v49, v49, v55
	s_delay_alu instid0(VALU_DEP_1) | instskip(NEXT) | instid1(VALU_DEP_1)
	v_sub_f32_e32 v49, v49, v50
	v_add_f32_e32 v47, v47, v49
	v_add_f32_e32 v49, v54, v51
	v_sub_f32_e32 v53, v50, v53
	s_delay_alu instid0(VALU_DEP_1) | instskip(NEXT) | instid1(VALU_DEP_1)
	v_sub_f32_e32 v50, v53, v52
	v_dual_add_f32 v47, v50, v47 :: v_dual_sub_f32 v50, v49, v54
	s_delay_alu instid0(VALU_DEP_1) | instskip(NEXT) | instid1(VALU_DEP_1)
	v_add_f32_e32 v47, v55, v47
	v_dual_sub_f32 v50, v51, v50 :: v_dual_mul_f32 v47, v48, v47
	s_delay_alu instid0(VALU_DEP_1) | instskip(NEXT) | instid1(VALU_DEP_1)
	v_add_f32_e32 v47, v50, v47
	v_add_f32_e32 v48, v49, v47
	s_delay_alu instid0(VALU_DEP_1) | instskip(NEXT) | instid1(VALU_DEP_1)
	v_mul_f32_e32 v50, v48, v48
	v_fmaak_f32 v51, s16, v50, 0x3ecc95a3
	v_mul_f32_e32 v52, v48, v50
	s_delay_alu instid0(VALU_DEP_2) | instskip(SKIP_1) | instid1(VALU_DEP_2)
	v_fmaak_f32 v50, v50, v51, 0x3f2aaada
	v_ldexp_f32 v51, v48, 1
	v_mul_f32_e32 v50, v52, v50
	v_mul_f32_e32 v52, 0x3f317218, v46
	s_delay_alu instid0(VALU_DEP_2) | instskip(NEXT) | instid1(VALU_DEP_1)
	v_dual_sub_f32 v48, v48, v49 :: v_dual_add_f32 v49, v51, v50
	v_dual_sub_f32 v47, v47, v48 :: v_dual_sub_f32 v48, v49, v51
	s_delay_alu instid0(VALU_DEP_3) | instskip(NEXT) | instid1(VALU_DEP_2)
	v_fma_f32 v51, 0x3f317218, v46, -v52
	v_ldexp_f32 v47, v47, 1
	s_delay_alu instid0(VALU_DEP_2) | instskip(NEXT) | instid1(VALU_DEP_1)
	v_dual_sub_f32 v48, v50, v48 :: v_dual_fmac_f32 v51, 0xb102e308, v46
	v_dual_add_f32 v46, v47, v48 :: v_dual_add_f32 v47, v52, v51
	s_delay_alu instid0(VALU_DEP_1) | instskip(NEXT) | instid1(VALU_DEP_1)
	v_add_f32_e32 v48, v49, v46
	v_add_f32_e32 v50, v47, v48
	s_delay_alu instid0(VALU_DEP_1) | instskip(NEXT) | instid1(VALU_DEP_1)
	v_sub_f32_e32 v53, v50, v47
	v_sub_f32_e32 v54, v50, v53
	;; [unrolled: 1-line block ×3, first 2 shown]
	s_delay_alu instid0(VALU_DEP_1) | instskip(SKIP_1) | instid1(VALU_DEP_1)
	v_sub_f32_e32 v46, v46, v49
	v_sub_f32_e32 v52, v47, v52
	v_dual_sub_f32 v48, v48, v53 :: v_dual_sub_f32 v51, v51, v52
	s_delay_alu instid0(VALU_DEP_1) | instskip(SKIP_1) | instid1(VALU_DEP_1)
	v_add_f32_e32 v49, v51, v46
	v_sub_f32_e32 v47, v47, v54
	v_add_f32_e32 v47, v48, v47
	s_delay_alu instid0(VALU_DEP_3) | instskip(NEXT) | instid1(VALU_DEP_1)
	v_sub_f32_e32 v48, v49, v51
	v_dual_sub_f32 v46, v46, v48 :: v_dual_add_f32 v47, v49, v47
	s_delay_alu instid0(VALU_DEP_1) | instskip(NEXT) | instid1(VALU_DEP_1)
	v_dual_sub_f32 v49, v49, v48 :: v_dual_add_f32 v52, v50, v47
	v_dual_sub_f32 v48, v52, v50 :: v_dual_sub_f32 v49, v51, v49
	s_delay_alu instid0(VALU_DEP_1) | instskip(NEXT) | instid1(VALU_DEP_1)
	v_dual_sub_f32 v47, v47, v48 :: v_dual_add_f32 v46, v46, v49
	v_add_f32_e32 v46, v46, v47
	s_delay_alu instid0(VALU_DEP_1) | instskip(SKIP_1) | instid1(VALU_DEP_1)
	v_add_f32_e32 v46, v52, v46
	s_wait_alu 0xfffd
	v_cndmask_b32_e32 v46, 0x7f800000, v46, vcc_lo
	v_cmp_gt_f32_e64 vcc_lo, 0x33800000, |v10|
	s_wait_alu 0xfffd
	s_delay_alu instid0(VALU_DEP_2) | instskip(NEXT) | instid1(VALU_DEP_1)
	v_cndmask_b32_e32 v10, v46, v10, vcc_lo
	v_add_f32_e32 v9, v9, v10
	s_delay_alu instid0(VALU_DEP_1)
	v_cvt_f16_f32_e32 v10, v9
.LBB421_163:                            ;   in Loop: Header=BB421_139 Depth=1
	s_wait_alu 0xfffe
	s_or_b32 exec_lo, exec_lo, s37
	s_delay_alu instid0(VALU_DEP_1)
	v_mov_b32_e32 v46, v10
.LBB421_164:                            ;   in Loop: Header=BB421_139 Depth=1
	s_wait_alu 0xfffe
	s_or_b32 exec_lo, exec_lo, s17
	s_delay_alu instid0(VALU_DEP_1) | instskip(SKIP_3) | instid1(VALU_DEP_2)
	v_cvt_f32_f16_e32 v9, v46
	s_wait_dscnt 0x1
	v_cvt_f32_f16_e32 v47, v43
	v_cmp_u_f16_e32 vcc_lo, v46, v46
	v_max_num_f32_e32 v48, v9, v47
	s_wait_dscnt 0x0
	v_min_num_f32_e32 v10, v9, v47
	s_wait_alu 0xfffd
	s_delay_alu instid0(VALU_DEP_1) | instskip(SKIP_3) | instid1(VALU_DEP_2)
	v_cndmask_b32_e32 v10, v10, v9, vcc_lo
	v_cndmask_b32_e32 v9, v48, v9, vcc_lo
	v_cmp_u_f16_e32 vcc_lo, v43, v43
	s_wait_alu 0xfffd
	v_cndmask_b32_e32 v9, v9, v47, vcc_lo
	v_cndmask_b32_e32 v10, v10, v47, vcc_lo
	s_delay_alu instid0(VALU_DEP_1)
	v_cmp_neq_f32_e32 vcc_lo, v10, v9
	v_cmp_class_f32_e64 s17, v10, 0x1f8
	s_or_b32 s17, vcc_lo, s17
	s_wait_alu 0xfffe
	s_and_saveexec_b32 s37, s17
	s_wait_alu 0xfffe
	s_xor_b32 s17, exec_lo, s37
	s_cbranch_execz .LBB421_137
; %bb.165:                              ;   in Loop: Header=BB421_139 Depth=1
	v_sub_f32_e32 v10, v10, v9
	s_delay_alu instid0(VALU_DEP_1) | instskip(SKIP_1) | instid1(VALU_DEP_2)
	v_mul_f32_e32 v46, 0x3fb8aa3b, v10
	v_cmp_ngt_f32_e32 vcc_lo, 0xc2ce8ed0, v10
	v_fma_f32 v47, 0x3fb8aa3b, v10, -v46
	v_rndne_f32_e32 v48, v46
	s_delay_alu instid0(VALU_DEP_1) | instskip(NEXT) | instid1(VALU_DEP_1)
	v_dual_fmac_f32 v47, 0x32a5705f, v10 :: v_dual_sub_f32 v46, v46, v48
	v_add_f32_e32 v46, v46, v47
	v_cvt_i32_f32_e32 v47, v48
	s_delay_alu instid0(VALU_DEP_2) | instskip(NEXT) | instid1(TRANS32_DEP_1)
	v_exp_f32_e32 v46, v46
	v_ldexp_f32 v46, v46, v47
	s_wait_alu 0xfffd
	s_delay_alu instid0(VALU_DEP_1) | instskip(SKIP_2) | instid1(VALU_DEP_2)
	v_cndmask_b32_e32 v46, 0, v46, vcc_lo
	v_cmp_nlt_f32_e32 vcc_lo, 0x42b17218, v10
	s_wait_alu 0xfffd
	v_cndmask_b32_e32 v10, 0x7f800000, v46, vcc_lo
	s_delay_alu instid0(VALU_DEP_1) | instskip(NEXT) | instid1(VALU_DEP_1)
	v_add_f32_e32 v48, 1.0, v10
	v_cvt_f64_f32_e32 v[46:47], v48
	s_delay_alu instid0(VALU_DEP_1) | instskip(SKIP_1) | instid1(VALU_DEP_1)
	v_frexp_exp_i32_f64_e32 v46, v[46:47]
	v_frexp_mant_f32_e32 v47, v48
	v_cmp_gt_f32_e32 vcc_lo, 0x3f2aaaab, v47
	v_add_f32_e32 v47, -1.0, v48
	s_delay_alu instid0(VALU_DEP_1) | instskip(SKIP_2) | instid1(VALU_DEP_1)
	v_dual_sub_f32 v50, v47, v48 :: v_dual_sub_f32 v47, v10, v47
	s_wait_alu 0xfffd
	v_subrev_co_ci_u32_e64 v46, null, 0, v46, vcc_lo
	v_sub_nc_u32_e32 v49, 0, v46
	v_cvt_f32_i32_e32 v46, v46
	s_delay_alu instid0(VALU_DEP_2) | instskip(NEXT) | instid1(VALU_DEP_1)
	v_ldexp_f32 v48, v48, v49
	v_dual_add_f32 v51, 1.0, v48 :: v_dual_add_f32 v50, 1.0, v50
	s_delay_alu instid0(VALU_DEP_1) | instskip(NEXT) | instid1(VALU_DEP_1)
	v_dual_add_f32 v47, v47, v50 :: v_dual_add_f32 v50, -1.0, v51
	v_ldexp_f32 v47, v47, v49
	s_delay_alu instid0(VALU_DEP_2) | instskip(NEXT) | instid1(VALU_DEP_1)
	v_dual_add_f32 v49, -1.0, v48 :: v_dual_sub_f32 v50, v48, v50
	v_add_f32_e32 v52, 1.0, v49
	s_delay_alu instid0(VALU_DEP_2) | instskip(NEXT) | instid1(VALU_DEP_2)
	v_add_f32_e32 v50, v47, v50
	v_sub_f32_e32 v48, v48, v52
	s_delay_alu instid0(VALU_DEP_1) | instskip(SKIP_1) | instid1(VALU_DEP_2)
	v_add_f32_e32 v47, v47, v48
	v_cmp_neq_f32_e32 vcc_lo, 0x7f800000, v10
	v_add_f32_e32 v53, v49, v47
	s_delay_alu instid0(VALU_DEP_1) | instskip(NEXT) | instid1(VALU_DEP_1)
	v_dual_sub_f32 v49, v49, v53 :: v_dual_add_f32 v52, v51, v50
	v_add_f32_e32 v47, v47, v49
	s_delay_alu instid0(VALU_DEP_2) | instskip(SKIP_1) | instid1(VALU_DEP_1)
	v_rcp_f32_e32 v48, v52
	v_sub_f32_e32 v51, v51, v52
	v_add_f32_e32 v50, v50, v51
	s_delay_alu instid0(TRANS32_DEP_1) | instskip(NEXT) | instid1(VALU_DEP_1)
	v_mul_f32_e32 v54, v53, v48
	v_mul_f32_e32 v55, v52, v54
	s_delay_alu instid0(VALU_DEP_1) | instskip(NEXT) | instid1(VALU_DEP_1)
	v_fma_f32 v51, v54, v52, -v55
	v_fmac_f32_e32 v51, v54, v50
	s_delay_alu instid0(VALU_DEP_1) | instskip(NEXT) | instid1(VALU_DEP_1)
	v_add_f32_e32 v56, v55, v51
	v_sub_f32_e32 v57, v53, v56
	v_sub_f32_e32 v49, v56, v55
	s_delay_alu instid0(VALU_DEP_2) | instskip(NEXT) | instid1(VALU_DEP_1)
	v_sub_f32_e32 v53, v53, v57
	v_sub_f32_e32 v53, v53, v56
	s_delay_alu instid0(VALU_DEP_3) | instskip(NEXT) | instid1(VALU_DEP_2)
	v_sub_f32_e32 v49, v49, v51
	v_add_f32_e32 v47, v47, v53
	s_delay_alu instid0(VALU_DEP_1) | instskip(NEXT) | instid1(VALU_DEP_1)
	v_add_f32_e32 v47, v49, v47
	v_add_f32_e32 v49, v57, v47
	s_delay_alu instid0(VALU_DEP_1) | instskip(NEXT) | instid1(VALU_DEP_1)
	v_mul_f32_e32 v51, v48, v49
	v_dual_sub_f32 v56, v57, v49 :: v_dual_mul_f32 v53, v52, v51
	s_delay_alu instid0(VALU_DEP_1) | instskip(NEXT) | instid1(VALU_DEP_2)
	v_add_f32_e32 v47, v47, v56
	v_fma_f32 v52, v51, v52, -v53
	s_delay_alu instid0(VALU_DEP_1) | instskip(NEXT) | instid1(VALU_DEP_1)
	v_fmac_f32_e32 v52, v51, v50
	v_add_f32_e32 v50, v53, v52
	s_delay_alu instid0(VALU_DEP_1) | instskip(NEXT) | instid1(VALU_DEP_1)
	v_sub_f32_e32 v55, v49, v50
	v_sub_f32_e32 v49, v49, v55
	s_delay_alu instid0(VALU_DEP_1) | instskip(NEXT) | instid1(VALU_DEP_1)
	v_sub_f32_e32 v49, v49, v50
	v_add_f32_e32 v47, v47, v49
	v_add_f32_e32 v49, v54, v51
	v_sub_f32_e32 v53, v50, v53
	s_delay_alu instid0(VALU_DEP_1) | instskip(NEXT) | instid1(VALU_DEP_1)
	v_sub_f32_e32 v50, v53, v52
	v_dual_add_f32 v47, v50, v47 :: v_dual_sub_f32 v50, v49, v54
	s_delay_alu instid0(VALU_DEP_1) | instskip(NEXT) | instid1(VALU_DEP_1)
	v_add_f32_e32 v47, v55, v47
	v_dual_sub_f32 v50, v51, v50 :: v_dual_mul_f32 v47, v48, v47
	s_delay_alu instid0(VALU_DEP_1) | instskip(NEXT) | instid1(VALU_DEP_1)
	v_add_f32_e32 v47, v50, v47
	v_add_f32_e32 v48, v49, v47
	s_delay_alu instid0(VALU_DEP_1) | instskip(NEXT) | instid1(VALU_DEP_1)
	v_mul_f32_e32 v50, v48, v48
	v_fmaak_f32 v51, s16, v50, 0x3ecc95a3
	v_mul_f32_e32 v52, v48, v50
	s_delay_alu instid0(VALU_DEP_2) | instskip(SKIP_1) | instid1(VALU_DEP_2)
	v_fmaak_f32 v50, v50, v51, 0x3f2aaada
	v_ldexp_f32 v51, v48, 1
	v_mul_f32_e32 v50, v52, v50
	v_mul_f32_e32 v52, 0x3f317218, v46
	s_delay_alu instid0(VALU_DEP_2) | instskip(NEXT) | instid1(VALU_DEP_1)
	v_dual_sub_f32 v48, v48, v49 :: v_dual_add_f32 v49, v51, v50
	v_dual_sub_f32 v47, v47, v48 :: v_dual_sub_f32 v48, v49, v51
	s_delay_alu instid0(VALU_DEP_3) | instskip(NEXT) | instid1(VALU_DEP_2)
	v_fma_f32 v51, 0x3f317218, v46, -v52
	v_ldexp_f32 v47, v47, 1
	s_delay_alu instid0(VALU_DEP_2) | instskip(NEXT) | instid1(VALU_DEP_1)
	v_dual_sub_f32 v48, v50, v48 :: v_dual_fmac_f32 v51, 0xb102e308, v46
	v_dual_add_f32 v46, v47, v48 :: v_dual_add_f32 v47, v52, v51
	s_delay_alu instid0(VALU_DEP_1) | instskip(NEXT) | instid1(VALU_DEP_1)
	v_add_f32_e32 v48, v49, v46
	v_add_f32_e32 v50, v47, v48
	s_delay_alu instid0(VALU_DEP_1) | instskip(NEXT) | instid1(VALU_DEP_1)
	v_sub_f32_e32 v53, v50, v47
	v_sub_f32_e32 v54, v50, v53
	;; [unrolled: 1-line block ×3, first 2 shown]
	s_delay_alu instid0(VALU_DEP_1) | instskip(SKIP_1) | instid1(VALU_DEP_1)
	v_sub_f32_e32 v46, v46, v49
	v_sub_f32_e32 v52, v47, v52
	v_dual_sub_f32 v48, v48, v53 :: v_dual_sub_f32 v51, v51, v52
	s_delay_alu instid0(VALU_DEP_1) | instskip(SKIP_1) | instid1(VALU_DEP_1)
	v_add_f32_e32 v49, v51, v46
	v_sub_f32_e32 v47, v47, v54
	v_add_f32_e32 v47, v48, v47
	s_delay_alu instid0(VALU_DEP_3) | instskip(NEXT) | instid1(VALU_DEP_1)
	v_sub_f32_e32 v48, v49, v51
	v_dual_sub_f32 v46, v46, v48 :: v_dual_add_f32 v47, v49, v47
	s_delay_alu instid0(VALU_DEP_1) | instskip(NEXT) | instid1(VALU_DEP_1)
	v_dual_sub_f32 v49, v49, v48 :: v_dual_add_f32 v52, v50, v47
	v_dual_sub_f32 v48, v52, v50 :: v_dual_sub_f32 v49, v51, v49
	s_delay_alu instid0(VALU_DEP_1) | instskip(NEXT) | instid1(VALU_DEP_1)
	v_dual_sub_f32 v47, v47, v48 :: v_dual_add_f32 v46, v46, v49
	v_add_f32_e32 v46, v46, v47
	s_delay_alu instid0(VALU_DEP_1) | instskip(SKIP_1) | instid1(VALU_DEP_1)
	v_add_f32_e32 v46, v52, v46
	s_wait_alu 0xfffd
	v_cndmask_b32_e32 v46, 0x7f800000, v46, vcc_lo
	v_cmp_gt_f32_e64 vcc_lo, 0x33800000, |v10|
	s_wait_alu 0xfffd
	s_delay_alu instid0(VALU_DEP_2) | instskip(NEXT) | instid1(VALU_DEP_1)
	v_cndmask_b32_e32 v10, v46, v10, vcc_lo
	v_add_f32_e32 v9, v9, v10
	s_delay_alu instid0(VALU_DEP_1)
	v_cvt_f16_f32_e32 v46, v9
	s_branch .LBB421_137
.LBB421_166:
                                        ; implicit-def: $vgpr7
                                        ; implicit-def: $vgpr30
                                        ; implicit-def: $vgpr8
                                        ; implicit-def: $vgpr20
                                        ; implicit-def: $vgpr9
                                        ; implicit-def: $vgpr21
                                        ; implicit-def: $vgpr10
                                        ; implicit-def: $vgpr22
                                        ; implicit-def: $vgpr23
                                        ; implicit-def: $vgpr24
                                        ; implicit-def: $vgpr25
                                        ; implicit-def: $vgpr27
	s_cbranch_execnz .LBB421_202
	s_branch .LBB421_309
.LBB421_167:
	s_and_saveexec_b32 s16, s15
	s_cbranch_execz .LBB421_171
; %bb.168:
	v_cvt_f32_f16_e32 v7, v43
	v_cvt_f32_f16_e32 v8, v32
	v_cmp_u_f16_e32 vcc_lo, v43, v43
	s_delay_alu instid0(VALU_DEP_2) | instskip(SKIP_1) | instid1(VALU_DEP_1)
	v_min_num_f32_e32 v9, v7, v8
	s_wait_alu 0xfffd
	v_dual_max_num_f32 v10, v7, v8 :: v_dual_cndmask_b32 v9, v9, v7
	s_delay_alu instid0(VALU_DEP_1) | instskip(SKIP_2) | instid1(VALU_DEP_3)
	v_cndmask_b32_e32 v7, v10, v7, vcc_lo
	v_cmp_u_f16_e32 vcc_lo, v32, v32
	s_wait_alu 0xfffd
	v_cndmask_b32_e32 v9, v9, v8, vcc_lo
	s_delay_alu instid0(VALU_DEP_3) | instskip(SKIP_1) | instid1(VALU_DEP_3)
	v_cndmask_b32_e32 v7, v7, v8, vcc_lo
	v_mov_b32_e32 v8, v43
	v_cmp_class_f32_e64 s15, v9, 0x1f8
	s_delay_alu instid0(VALU_DEP_3)
	v_cmp_neq_f32_e32 vcc_lo, v9, v7
	s_or_b32 s17, vcc_lo, s15
	s_wait_alu 0xfffe
	s_and_saveexec_b32 s15, s17
	s_cbranch_execz .LBB421_170
; %bb.169:
	v_sub_f32_e32 v8, v9, v7
	s_mov_b32 s17, 0x3e9b6dac
	s_delay_alu instid0(VALU_DEP_1) | instskip(SKIP_1) | instid1(VALU_DEP_2)
	v_mul_f32_e32 v9, 0x3fb8aa3b, v8
	v_cmp_ngt_f32_e32 vcc_lo, 0xc2ce8ed0, v8
	v_fma_f32 v10, 0x3fb8aa3b, v8, -v9
	v_rndne_f32_e32 v32, v9
	s_delay_alu instid0(VALU_DEP_1) | instskip(NEXT) | instid1(VALU_DEP_1)
	v_dual_fmamk_f32 v10, v8, 0x32a5705f, v10 :: v_dual_sub_f32 v9, v9, v32
	v_add_f32_e32 v9, v9, v10
	v_cvt_i32_f32_e32 v10, v32
	s_delay_alu instid0(VALU_DEP_2) | instskip(NEXT) | instid1(TRANS32_DEP_1)
	v_exp_f32_e32 v9, v9
	v_ldexp_f32 v9, v9, v10
	s_wait_alu 0xfffd
	s_delay_alu instid0(VALU_DEP_1) | instskip(SKIP_2) | instid1(VALU_DEP_2)
	v_cndmask_b32_e32 v9, 0, v9, vcc_lo
	v_cmp_nlt_f32_e32 vcc_lo, 0x42b17218, v8
	s_wait_alu 0xfffd
	v_cndmask_b32_e32 v10, 0x7f800000, v9, vcc_lo
	s_delay_alu instid0(VALU_DEP_1) | instskip(NEXT) | instid1(VALU_DEP_1)
	v_add_f32_e32 v32, 1.0, v10
	v_cvt_f64_f32_e32 v[8:9], v32
	s_delay_alu instid0(VALU_DEP_1) | instskip(SKIP_1) | instid1(VALU_DEP_1)
	v_frexp_exp_i32_f64_e32 v8, v[8:9]
	v_frexp_mant_f32_e32 v9, v32
	v_cmp_gt_f32_e32 vcc_lo, 0x3f2aaaab, v9
	v_add_f32_e32 v9, -1.0, v32
	s_delay_alu instid0(VALU_DEP_1) | instskip(SKIP_3) | instid1(VALU_DEP_2)
	v_dual_sub_f32 v34, v9, v32 :: v_dual_sub_f32 v9, v10, v9
	s_wait_alu 0xfffd
	v_subrev_co_ci_u32_e64 v8, null, 0, v8, vcc_lo
	v_cmp_neq_f32_e32 vcc_lo, 0x7f800000, v10
	v_sub_nc_u32_e32 v33, 0, v8
	v_cvt_f32_i32_e32 v8, v8
	s_delay_alu instid0(VALU_DEP_2) | instskip(NEXT) | instid1(VALU_DEP_1)
	v_ldexp_f32 v32, v32, v33
	v_dual_add_f32 v34, 1.0, v34 :: v_dual_add_f32 v35, 1.0, v32
	s_delay_alu instid0(VALU_DEP_1) | instskip(NEXT) | instid1(VALU_DEP_1)
	v_dual_add_f32 v9, v9, v34 :: v_dual_add_f32 v34, -1.0, v35
	v_ldexp_f32 v9, v9, v33
	s_delay_alu instid0(VALU_DEP_2) | instskip(NEXT) | instid1(VALU_DEP_1)
	v_dual_add_f32 v33, -1.0, v32 :: v_dual_sub_f32 v34, v32, v34
	v_add_f32_e32 v36, 1.0, v33
	s_delay_alu instid0(VALU_DEP_2) | instskip(NEXT) | instid1(VALU_DEP_2)
	v_add_f32_e32 v34, v9, v34
	v_sub_f32_e32 v32, v32, v36
	s_delay_alu instid0(VALU_DEP_1) | instskip(NEXT) | instid1(VALU_DEP_1)
	v_dual_add_f32 v36, v35, v34 :: v_dual_add_f32 v9, v9, v32
	v_rcp_f32_e32 v32, v36
	v_sub_f32_e32 v35, v35, v36
	s_delay_alu instid0(VALU_DEP_1) | instskip(NEXT) | instid1(VALU_DEP_1)
	v_dual_add_f32 v37, v33, v9 :: v_dual_add_f32 v34, v34, v35
	v_sub_f32_e32 v33, v33, v37
	s_delay_alu instid0(TRANS32_DEP_1) | instskip(NEXT) | instid1(VALU_DEP_2)
	v_mul_f32_e32 v38, v37, v32
	v_add_f32_e32 v9, v9, v33
	s_delay_alu instid0(VALU_DEP_2) | instskip(NEXT) | instid1(VALU_DEP_1)
	v_mul_f32_e32 v39, v36, v38
	v_fma_f32 v35, v38, v36, -v39
	s_delay_alu instid0(VALU_DEP_1) | instskip(NEXT) | instid1(VALU_DEP_1)
	v_fmac_f32_e32 v35, v38, v34
	v_add_f32_e32 v40, v39, v35
	s_delay_alu instid0(VALU_DEP_1) | instskip(SKIP_1) | instid1(VALU_DEP_2)
	v_sub_f32_e32 v41, v37, v40
	v_sub_f32_e32 v33, v40, v39
	;; [unrolled: 1-line block ×3, first 2 shown]
	s_delay_alu instid0(VALU_DEP_2) | instskip(NEXT) | instid1(VALU_DEP_2)
	v_sub_f32_e32 v33, v33, v35
	v_sub_f32_e32 v37, v37, v40
	s_delay_alu instid0(VALU_DEP_1) | instskip(NEXT) | instid1(VALU_DEP_1)
	v_add_f32_e32 v9, v9, v37
	v_add_f32_e32 v9, v33, v9
	s_delay_alu instid0(VALU_DEP_1) | instskip(NEXT) | instid1(VALU_DEP_1)
	v_add_f32_e32 v33, v41, v9
	v_mul_f32_e32 v35, v32, v33
	s_delay_alu instid0(VALU_DEP_1) | instskip(NEXT) | instid1(VALU_DEP_1)
	v_mul_f32_e32 v37, v36, v35
	v_fma_f32 v36, v35, v36, -v37
	s_delay_alu instid0(VALU_DEP_1) | instskip(SKIP_1) | instid1(VALU_DEP_2)
	v_fmac_f32_e32 v36, v35, v34
	v_sub_f32_e32 v40, v41, v33
	v_add_f32_e32 v34, v37, v36
	s_delay_alu instid0(VALU_DEP_2) | instskip(NEXT) | instid1(VALU_DEP_2)
	v_add_f32_e32 v9, v9, v40
	v_sub_f32_e32 v39, v33, v34
	v_sub_f32_e32 v37, v34, v37
	s_delay_alu instid0(VALU_DEP_2) | instskip(NEXT) | instid1(VALU_DEP_1)
	v_sub_f32_e32 v33, v33, v39
	v_sub_f32_e32 v33, v33, v34
	s_delay_alu instid0(VALU_DEP_3) | instskip(NEXT) | instid1(VALU_DEP_2)
	v_sub_f32_e32 v34, v37, v36
	v_add_f32_e32 v9, v9, v33
	v_add_f32_e32 v33, v38, v35
	s_delay_alu instid0(VALU_DEP_1) | instskip(NEXT) | instid1(VALU_DEP_1)
	v_dual_add_f32 v9, v34, v9 :: v_dual_sub_f32 v34, v33, v38
	v_add_f32_e32 v9, v39, v9
	s_delay_alu instid0(VALU_DEP_1) | instskip(NEXT) | instid1(VALU_DEP_1)
	v_dual_sub_f32 v34, v35, v34 :: v_dual_mul_f32 v9, v32, v9
	v_add_f32_e32 v9, v34, v9
	s_delay_alu instid0(VALU_DEP_1) | instskip(NEXT) | instid1(VALU_DEP_1)
	v_add_f32_e32 v32, v33, v9
	v_mul_f32_e32 v34, v32, v32
	s_wait_alu 0xfffe
	s_delay_alu instid0(VALU_DEP_1) | instskip(SKIP_1) | instid1(VALU_DEP_2)
	v_fmaak_f32 v35, s17, v34, 0x3ecc95a3
	v_mul_f32_e32 v36, v32, v34
	v_fmaak_f32 v34, v34, v35, 0x3f2aaada
	v_ldexp_f32 v35, v32, 1
	v_sub_f32_e32 v32, v32, v33
	s_delay_alu instid0(VALU_DEP_3) | instskip(SKIP_1) | instid1(VALU_DEP_3)
	v_mul_f32_e32 v34, v36, v34
	v_mul_f32_e32 v36, 0x3f317218, v8
	v_sub_f32_e32 v9, v9, v32
	s_delay_alu instid0(VALU_DEP_3) | instskip(NEXT) | instid1(VALU_DEP_2)
	v_add_f32_e32 v33, v35, v34
	v_ldexp_f32 v9, v9, 1
	s_delay_alu instid0(VALU_DEP_2) | instskip(SKIP_1) | instid1(VALU_DEP_2)
	v_sub_f32_e32 v32, v33, v35
	v_fma_f32 v35, 0x3f317218, v8, -v36
	v_sub_f32_e32 v32, v34, v32
	s_delay_alu instid0(VALU_DEP_1) | instskip(NEXT) | instid1(VALU_DEP_1)
	v_dual_fmamk_f32 v8, v8, 0xb102e308, v35 :: v_dual_add_f32 v9, v9, v32
	v_add_f32_e32 v32, v36, v8
	s_delay_alu instid0(VALU_DEP_2) | instskip(NEXT) | instid1(VALU_DEP_2)
	v_add_f32_e32 v34, v33, v9
	v_sub_f32_e32 v36, v32, v36
	s_delay_alu instid0(VALU_DEP_2) | instskip(NEXT) | instid1(VALU_DEP_2)
	v_add_f32_e32 v35, v32, v34
	v_sub_f32_e32 v8, v8, v36
	s_delay_alu instid0(VALU_DEP_2) | instskip(SKIP_1) | instid1(VALU_DEP_2)
	v_sub_f32_e32 v37, v35, v32
	v_sub_f32_e32 v33, v34, v33
	;; [unrolled: 1-line block ×3, first 2 shown]
	s_delay_alu instid0(VALU_DEP_2) | instskip(NEXT) | instid1(VALU_DEP_2)
	v_sub_f32_e32 v9, v9, v33
	v_dual_sub_f32 v33, v34, v37 :: v_dual_sub_f32 v32, v32, v38
	s_delay_alu instid0(VALU_DEP_2) | instskip(NEXT) | instid1(VALU_DEP_2)
	v_add_f32_e32 v34, v8, v9
	v_add_f32_e32 v32, v33, v32
	s_delay_alu instid0(VALU_DEP_2) | instskip(NEXT) | instid1(VALU_DEP_2)
	v_sub_f32_e32 v33, v34, v8
	v_add_f32_e32 v32, v34, v32
	s_delay_alu instid0(VALU_DEP_2) | instskip(NEXT) | instid1(VALU_DEP_2)
	v_sub_f32_e32 v34, v34, v33
	v_dual_sub_f32 v9, v9, v33 :: v_dual_add_f32 v36, v35, v32
	s_delay_alu instid0(VALU_DEP_2) | instskip(NEXT) | instid1(VALU_DEP_1)
	v_sub_f32_e32 v8, v8, v34
	v_dual_sub_f32 v33, v36, v35 :: v_dual_add_f32 v8, v9, v8
	s_delay_alu instid0(VALU_DEP_1) | instskip(NEXT) | instid1(VALU_DEP_1)
	v_sub_f32_e32 v9, v32, v33
	v_add_f32_e32 v8, v8, v9
	s_delay_alu instid0(VALU_DEP_1) | instskip(SKIP_1) | instid1(VALU_DEP_1)
	v_add_f32_e32 v8, v36, v8
	s_wait_alu 0xfffd
	v_cndmask_b32_e32 v8, 0x7f800000, v8, vcc_lo
	v_cmp_gt_f32_e64 vcc_lo, 0x33800000, |v10|
	s_wait_alu 0xfffd
	s_delay_alu instid0(VALU_DEP_2) | instskip(NEXT) | instid1(VALU_DEP_1)
	v_cndmask_b32_e32 v8, v8, v10, vcc_lo
	v_add_f32_e32 v7, v7, v8
	s_delay_alu instid0(VALU_DEP_1)
	v_cvt_f16_f32_e32 v8, v7
.LBB421_170:
	s_wait_alu 0xfffe
	s_or_b32 exec_lo, exec_lo, s15
	s_delay_alu instid0(VALU_DEP_1) | instskip(SKIP_2) | instid1(SALU_CYCLE_1)
	v_dual_mov_b32 v8, 0 :: v_dual_and_b32 v7, 0xffff, v8
	s_add_co_i32 s38, s33, 32
	s_mov_b32 s39, 0
	s_lshl_b64 s[38:39], s[38:39], 2
	s_delay_alu instid0(VALU_DEP_1)
	v_or_b32_e32 v7, 0x20000, v7
	s_add_nc_u64 s[38:39], s[28:29], s[38:39]
	global_store_b32 v8, v7, s[38:39] scope:SCOPE_DEV
.LBB421_171:
	s_wait_alu 0xfffe
	s_or_b32 exec_lo, exec_lo, s16
	s_delay_alu instid0(SALU_CYCLE_1)
	s_and_b32 exec_lo, exec_lo, s3
; %bb.172:
	v_mov_b32_e32 v7, 0
	ds_store_b16 v7, v43
.LBB421_173:
	s_or_b32 exec_lo, exec_lo, s36
	v_dual_mov_b32 v7, 0 :: v_dual_mov_b32 v8, v1
	s_wait_storecnt 0x0
	s_wait_loadcnt_dscnt 0x0
	s_barrier_signal -1
	s_barrier_wait -1
	global_inv scope:SCOPE_SE
	ds_load_u16 v7, v7
	s_and_saveexec_b32 s15, s2
	s_cbranch_execz .LBB421_177
; %bb.174:
	v_cvt_f32_f16_e32 v9, v31
	v_max_num_f32_e32 v8, v30, v30
	v_cmp_u_f16_e32 vcc_lo, v31, v31
	s_delay_alu instid0(VALU_DEP_2) | instskip(SKIP_2) | instid1(VALU_DEP_2)
	v_min_num_f32_e32 v10, v9, v8
	v_max_num_f32_e32 v8, v9, v8
	s_wait_alu 0xfffd
	v_cndmask_b32_e32 v10, v10, v9, vcc_lo
	s_delay_alu instid0(VALU_DEP_2) | instskip(NEXT) | instid1(VALU_DEP_2)
	v_cndmask_b32_e32 v8, v8, v9, vcc_lo
	v_cndmask_b32_e64 v10, v10, v30, s14
	s_delay_alu instid0(VALU_DEP_2) | instskip(NEXT) | instid1(VALU_DEP_2)
	v_cndmask_b32_e64 v8, v8, v30, s14
	v_cmp_class_f32_e64 s14, v10, 0x1f8
	s_delay_alu instid0(VALU_DEP_2)
	v_cmp_neq_f32_e32 vcc_lo, v10, v8
	s_or_b32 s16, vcc_lo, s14
	s_wait_alu 0xfffe
	s_and_saveexec_b32 s14, s16
	s_cbranch_execz .LBB421_176
; %bb.175:
	v_sub_f32_e32 v9, v10, v8
	s_mov_b32 s16, 0x3e9b6dac
	s_delay_alu instid0(VALU_DEP_1) | instskip(SKIP_1) | instid1(VALU_DEP_2)
	v_mul_f32_e32 v10, 0x3fb8aa3b, v9
	v_cmp_ngt_f32_e32 vcc_lo, 0xc2ce8ed0, v9
	v_fma_f32 v30, 0x3fb8aa3b, v9, -v10
	v_rndne_f32_e32 v31, v10
	s_delay_alu instid0(VALU_DEP_2) | instskip(NEXT) | instid1(VALU_DEP_2)
	v_fmamk_f32 v30, v9, 0x32a5705f, v30
	v_sub_f32_e32 v10, v10, v31
	s_delay_alu instid0(VALU_DEP_1) | instskip(SKIP_1) | instid1(VALU_DEP_2)
	v_add_f32_e32 v10, v10, v30
	v_cvt_i32_f32_e32 v30, v31
	v_exp_f32_e32 v10, v10
	s_delay_alu instid0(TRANS32_DEP_1) | instskip(SKIP_1) | instid1(VALU_DEP_1)
	v_ldexp_f32 v10, v10, v30
	s_wait_alu 0xfffd
	v_cndmask_b32_e32 v10, 0, v10, vcc_lo
	v_cmp_nlt_f32_e32 vcc_lo, 0x42b17218, v9
	s_wait_alu 0xfffd
	s_delay_alu instid0(VALU_DEP_2) | instskip(NEXT) | instid1(VALU_DEP_1)
	v_cndmask_b32_e32 v30, 0x7f800000, v10, vcc_lo
	v_add_f32_e32 v31, 1.0, v30
	s_delay_alu instid0(VALU_DEP_1) | instskip(NEXT) | instid1(VALU_DEP_1)
	v_cvt_f64_f32_e32 v[9:10], v31
	v_frexp_exp_i32_f64_e32 v9, v[9:10]
	v_frexp_mant_f32_e32 v10, v31
	s_delay_alu instid0(VALU_DEP_1) | instskip(SKIP_1) | instid1(VALU_DEP_1)
	v_cmp_gt_f32_e32 vcc_lo, 0x3f2aaaab, v10
	v_add_f32_e32 v10, -1.0, v31
	v_sub_f32_e32 v33, v10, v31
	s_delay_alu instid0(VALU_DEP_1) | instskip(SKIP_2) | instid1(VALU_DEP_1)
	v_add_f32_e32 v33, 1.0, v33
	s_wait_alu 0xfffd
	v_subrev_co_ci_u32_e64 v9, null, 0, v9, vcc_lo
	v_sub_nc_u32_e32 v32, 0, v9
	v_cvt_f32_i32_e32 v9, v9
	s_delay_alu instid0(VALU_DEP_2) | instskip(SKIP_1) | instid1(VALU_DEP_1)
	v_ldexp_f32 v31, v31, v32
	v_sub_f32_e32 v10, v30, v10
	v_add_f32_e32 v10, v10, v33
	s_delay_alu instid0(VALU_DEP_1) | instskip(NEXT) | instid1(VALU_DEP_4)
	v_ldexp_f32 v10, v10, v32
	v_add_f32_e32 v34, 1.0, v31
	s_delay_alu instid0(VALU_DEP_1) | instskip(NEXT) | instid1(VALU_DEP_1)
	v_add_f32_e32 v33, -1.0, v34
	v_sub_f32_e32 v33, v31, v33
	s_delay_alu instid0(VALU_DEP_1) | instskip(NEXT) | instid1(VALU_DEP_1)
	v_dual_add_f32 v33, v10, v33 :: v_dual_add_f32 v32, -1.0, v31
	v_add_f32_e32 v35, 1.0, v32
	v_cmp_neq_f32_e32 vcc_lo, 0x7f800000, v30
	s_delay_alu instid0(VALU_DEP_2) | instskip(NEXT) | instid1(VALU_DEP_4)
	v_sub_f32_e32 v31, v31, v35
	v_add_f32_e32 v35, v34, v33
	s_delay_alu instid0(VALU_DEP_1) | instskip(NEXT) | instid1(VALU_DEP_3)
	v_sub_f32_e32 v34, v34, v35
	v_add_f32_e32 v10, v10, v31
	v_rcp_f32_e32 v31, v35
	s_delay_alu instid0(VALU_DEP_2) | instskip(NEXT) | instid1(VALU_DEP_2)
	v_add_f32_e32 v33, v33, v34
	v_add_f32_e32 v36, v32, v10
	s_delay_alu instid0(VALU_DEP_1)
	v_sub_f32_e32 v32, v32, v36
	s_delay_alu instid0(TRANS32_DEP_1) | instid1(VALU_DEP_1)
	v_dual_mul_f32 v37, v36, v31 :: v_dual_add_f32 v10, v10, v32
	s_delay_alu instid0(VALU_DEP_1) | instskip(NEXT) | instid1(VALU_DEP_1)
	v_mul_f32_e32 v38, v35, v37
	v_fma_f32 v34, v37, v35, -v38
	s_delay_alu instid0(VALU_DEP_1) | instskip(NEXT) | instid1(VALU_DEP_1)
	v_fmac_f32_e32 v34, v37, v33
	v_add_f32_e32 v39, v38, v34
	s_delay_alu instid0(VALU_DEP_1) | instskip(SKIP_1) | instid1(VALU_DEP_2)
	v_sub_f32_e32 v40, v36, v39
	v_sub_f32_e32 v32, v39, v38
	;; [unrolled: 1-line block ×3, first 2 shown]
	s_delay_alu instid0(VALU_DEP_2) | instskip(NEXT) | instid1(VALU_DEP_2)
	v_sub_f32_e32 v32, v32, v34
	v_sub_f32_e32 v36, v36, v39
	s_delay_alu instid0(VALU_DEP_1) | instskip(NEXT) | instid1(VALU_DEP_1)
	v_add_f32_e32 v10, v10, v36
	v_add_f32_e32 v10, v32, v10
	s_delay_alu instid0(VALU_DEP_1) | instskip(NEXT) | instid1(VALU_DEP_1)
	v_add_f32_e32 v32, v40, v10
	v_mul_f32_e32 v34, v31, v32
	s_delay_alu instid0(VALU_DEP_1) | instskip(NEXT) | instid1(VALU_DEP_1)
	v_dual_sub_f32 v39, v40, v32 :: v_dual_mul_f32 v36, v35, v34
	v_add_f32_e32 v10, v10, v39
	s_delay_alu instid0(VALU_DEP_2) | instskip(NEXT) | instid1(VALU_DEP_1)
	v_fma_f32 v35, v34, v35, -v36
	v_fmac_f32_e32 v35, v34, v33
	s_delay_alu instid0(VALU_DEP_1) | instskip(NEXT) | instid1(VALU_DEP_1)
	v_add_f32_e32 v33, v36, v35
	v_sub_f32_e32 v38, v32, v33
	v_sub_f32_e32 v36, v33, v36
	s_delay_alu instid0(VALU_DEP_2) | instskip(NEXT) | instid1(VALU_DEP_1)
	v_sub_f32_e32 v32, v32, v38
	v_sub_f32_e32 v32, v32, v33
	s_delay_alu instid0(VALU_DEP_1) | instskip(SKIP_1) | instid1(VALU_DEP_1)
	v_dual_sub_f32 v33, v36, v35 :: v_dual_add_f32 v10, v10, v32
	v_add_f32_e32 v32, v37, v34
	v_dual_add_f32 v10, v33, v10 :: v_dual_sub_f32 v33, v32, v37
	s_delay_alu instid0(VALU_DEP_1) | instskip(NEXT) | instid1(VALU_DEP_1)
	v_add_f32_e32 v10, v38, v10
	v_dual_sub_f32 v33, v34, v33 :: v_dual_mul_f32 v10, v31, v10
	s_delay_alu instid0(VALU_DEP_1) | instskip(NEXT) | instid1(VALU_DEP_1)
	v_add_f32_e32 v10, v33, v10
	v_add_f32_e32 v31, v32, v10
	s_delay_alu instid0(VALU_DEP_1) | instskip(SKIP_1) | instid1(VALU_DEP_1)
	v_mul_f32_e32 v33, v31, v31
	s_wait_alu 0xfffe
	v_fmaak_f32 v34, s16, v33, 0x3ecc95a3
	v_mul_f32_e32 v35, v31, v33
	s_delay_alu instid0(VALU_DEP_2) | instskip(SKIP_2) | instid1(VALU_DEP_3)
	v_fmaak_f32 v33, v33, v34, 0x3f2aaada
	v_ldexp_f32 v34, v31, 1
	v_sub_f32_e32 v31, v31, v32
	v_mul_f32_e32 v33, v35, v33
	s_delay_alu instid0(VALU_DEP_2) | instskip(NEXT) | instid1(VALU_DEP_2)
	v_dual_mul_f32 v35, 0x3f317218, v9 :: v_dual_sub_f32 v10, v10, v31
	v_add_f32_e32 v32, v34, v33
	s_delay_alu instid0(VALU_DEP_2) | instskip(NEXT) | instid1(VALU_DEP_2)
	v_ldexp_f32 v10, v10, 1
	v_sub_f32_e32 v31, v32, v34
	s_delay_alu instid0(VALU_DEP_4) | instskip(NEXT) | instid1(VALU_DEP_2)
	v_fma_f32 v34, 0x3f317218, v9, -v35
	v_sub_f32_e32 v31, v33, v31
	s_delay_alu instid0(VALU_DEP_1) | instskip(NEXT) | instid1(VALU_DEP_1)
	v_dual_fmamk_f32 v9, v9, 0xb102e308, v34 :: v_dual_add_f32 v10, v10, v31
	v_add_f32_e32 v31, v35, v9
	s_delay_alu instid0(VALU_DEP_2) | instskip(NEXT) | instid1(VALU_DEP_2)
	v_add_f32_e32 v33, v32, v10
	v_sub_f32_e32 v35, v31, v35
	s_delay_alu instid0(VALU_DEP_2) | instskip(SKIP_1) | instid1(VALU_DEP_3)
	v_add_f32_e32 v34, v31, v33
	v_sub_f32_e32 v32, v33, v32
	v_sub_f32_e32 v9, v9, v35
	s_delay_alu instid0(VALU_DEP_3) | instskip(NEXT) | instid1(VALU_DEP_3)
	v_sub_f32_e32 v36, v34, v31
	v_sub_f32_e32 v10, v10, v32
	s_delay_alu instid0(VALU_DEP_2) | instskip(SKIP_1) | instid1(VALU_DEP_3)
	v_sub_f32_e32 v37, v34, v36
	v_sub_f32_e32 v32, v33, v36
	v_add_f32_e32 v33, v9, v10
	s_delay_alu instid0(VALU_DEP_3) | instskip(NEXT) | instid1(VALU_DEP_1)
	v_sub_f32_e32 v31, v31, v37
	v_dual_add_f32 v31, v32, v31 :: v_dual_sub_f32 v32, v33, v9
	s_delay_alu instid0(VALU_DEP_1) | instskip(NEXT) | instid1(VALU_DEP_2)
	v_add_f32_e32 v31, v33, v31
	v_sub_f32_e32 v33, v33, v32
	v_sub_f32_e32 v10, v10, v32
	s_delay_alu instid0(VALU_DEP_3) | instskip(NEXT) | instid1(VALU_DEP_1)
	v_add_f32_e32 v35, v34, v31
	v_dual_sub_f32 v9, v9, v33 :: v_dual_sub_f32 v32, v35, v34
	s_delay_alu instid0(VALU_DEP_1) | instskip(NEXT) | instid1(VALU_DEP_1)
	v_dual_add_f32 v9, v10, v9 :: v_dual_sub_f32 v10, v31, v32
	v_add_f32_e32 v9, v9, v10
	s_delay_alu instid0(VALU_DEP_1) | instskip(SKIP_1) | instid1(VALU_DEP_1)
	v_add_f32_e32 v9, v35, v9
	s_wait_alu 0xfffd
	v_cndmask_b32_e32 v9, 0x7f800000, v9, vcc_lo
	v_cmp_gt_f32_e64 vcc_lo, 0x33800000, |v30|
	s_wait_alu 0xfffd
	s_delay_alu instid0(VALU_DEP_2) | instskip(NEXT) | instid1(VALU_DEP_1)
	v_cndmask_b32_e32 v9, v9, v30, vcc_lo
	v_add_f32_e32 v8, v8, v9
	s_delay_alu instid0(VALU_DEP_1) | instskip(NEXT) | instid1(VALU_DEP_1)
	v_cvt_f16_f32_e32 v31, v8
	v_cvt_f32_f16_e32 v9, v31
.LBB421_176:
	s_wait_alu 0xfffe
	s_or_b32 exec_lo, exec_lo, s14
	s_delay_alu instid0(VALU_DEP_1)
	v_mov_b32_e32 v30, v9
	v_mov_b32_e32 v8, v31
.LBB421_177:
	s_wait_alu 0xfffe
	s_or_b32 exec_lo, exec_lo, s15
	s_wait_dscnt 0x0
	v_cvt_f32_f16_e32 v31, v7
	v_max_num_f32_e32 v9, v30, v30
	v_cmp_u_f16_e32 vcc_lo, v7, v7
	s_delay_alu instid0(VALU_DEP_2) | instskip(SKIP_1) | instid1(VALU_DEP_1)
	v_min_num_f32_e32 v10, v31, v9
	s_wait_alu 0xfffd
	v_dual_max_num_f32 v9, v31, v9 :: v_dual_cndmask_b32 v10, v10, v31
	s_delay_alu instid0(VALU_DEP_1) | instskip(SKIP_2) | instid1(VALU_DEP_3)
	v_cndmask_b32_e32 v32, v9, v31, vcc_lo
	v_cmp_u_f16_e32 vcc_lo, v8, v8
	s_wait_alu 0xfffd
	v_cndmask_b32_e32 v9, v10, v30, vcc_lo
	s_delay_alu instid0(VALU_DEP_3) | instskip(NEXT) | instid1(VALU_DEP_2)
	v_cndmask_b32_e32 v8, v32, v30, vcc_lo
	v_cmp_class_f32_e64 s14, v9, 0x1f8
	s_delay_alu instid0(VALU_DEP_2)
	v_cmp_neq_f32_e32 vcc_lo, v9, v8
	s_or_b32 s15, vcc_lo, s14
	s_wait_alu 0xfffe
	s_and_saveexec_b32 s14, s15
	s_cbranch_execz .LBB421_179
; %bb.178:
	v_sub_f32_e32 v7, v9, v8
	s_mov_b32 s15, 0x3e9b6dac
	s_delay_alu instid0(VALU_DEP_1) | instskip(SKIP_1) | instid1(VALU_DEP_2)
	v_mul_f32_e32 v9, 0x3fb8aa3b, v7
	v_cmp_ngt_f32_e32 vcc_lo, 0xc2ce8ed0, v7
	v_fma_f32 v10, 0x3fb8aa3b, v7, -v9
	v_rndne_f32_e32 v30, v9
	s_delay_alu instid0(VALU_DEP_1) | instskip(NEXT) | instid1(VALU_DEP_1)
	v_dual_fmamk_f32 v10, v7, 0x32a5705f, v10 :: v_dual_sub_f32 v9, v9, v30
	v_add_f32_e32 v9, v9, v10
	v_cvt_i32_f32_e32 v10, v30
	s_delay_alu instid0(VALU_DEP_2) | instskip(NEXT) | instid1(TRANS32_DEP_1)
	v_exp_f32_e32 v9, v9
	v_ldexp_f32 v9, v9, v10
	s_wait_alu 0xfffd
	s_delay_alu instid0(VALU_DEP_1) | instskip(SKIP_2) | instid1(VALU_DEP_2)
	v_cndmask_b32_e32 v9, 0, v9, vcc_lo
	v_cmp_nlt_f32_e32 vcc_lo, 0x42b17218, v7
	s_wait_alu 0xfffd
	v_cndmask_b32_e32 v7, 0x7f800000, v9, vcc_lo
	s_delay_alu instid0(VALU_DEP_1) | instskip(NEXT) | instid1(VALU_DEP_1)
	v_add_f32_e32 v30, 1.0, v7
	v_cvt_f64_f32_e32 v[9:10], v30
	s_delay_alu instid0(VALU_DEP_1) | instskip(SKIP_1) | instid1(VALU_DEP_1)
	v_frexp_exp_i32_f64_e32 v9, v[9:10]
	v_frexp_mant_f32_e32 v10, v30
	v_cmp_gt_f32_e32 vcc_lo, 0x3f2aaaab, v10
	v_add_f32_e32 v10, -1.0, v30
	s_delay_alu instid0(VALU_DEP_1) | instskip(NEXT) | instid1(VALU_DEP_1)
	v_sub_f32_e32 v32, v10, v30
	v_add_f32_e32 v32, 1.0, v32
	v_sub_f32_e32 v10, v7, v10
	s_delay_alu instid0(VALU_DEP_1) | instskip(SKIP_3) | instid1(VALU_DEP_2)
	v_add_f32_e32 v10, v10, v32
	s_wait_alu 0xfffd
	v_subrev_co_ci_u32_e64 v9, null, 0, v9, vcc_lo
	v_cmp_neq_f32_e32 vcc_lo, 0x7f800000, v7
	v_sub_nc_u32_e32 v31, 0, v9
	v_cvt_f32_i32_e32 v9, v9
	s_delay_alu instid0(VALU_DEP_2) | instskip(SKIP_1) | instid1(VALU_DEP_2)
	v_ldexp_f32 v30, v30, v31
	v_ldexp_f32 v10, v10, v31
	v_add_f32_e32 v33, 1.0, v30
	s_delay_alu instid0(VALU_DEP_1) | instskip(NEXT) | instid1(VALU_DEP_1)
	v_dual_add_f32 v31, -1.0, v30 :: v_dual_add_f32 v32, -1.0, v33
	v_add_f32_e32 v34, 1.0, v31
	s_delay_alu instid0(VALU_DEP_2) | instskip(NEXT) | instid1(VALU_DEP_2)
	v_sub_f32_e32 v32, v30, v32
	v_sub_f32_e32 v30, v30, v34
	s_delay_alu instid0(VALU_DEP_2) | instskip(NEXT) | instid1(VALU_DEP_2)
	v_add_f32_e32 v32, v10, v32
	v_add_f32_e32 v10, v10, v30
	s_delay_alu instid0(VALU_DEP_1) | instskip(NEXT) | instid1(VALU_DEP_1)
	v_dual_add_f32 v35, v31, v10 :: v_dual_add_f32 v34, v33, v32
	v_sub_f32_e32 v31, v31, v35
	s_delay_alu instid0(VALU_DEP_2) | instskip(SKIP_1) | instid1(VALU_DEP_1)
	v_rcp_f32_e32 v30, v34
	v_sub_f32_e32 v33, v33, v34
	v_add_f32_e32 v32, v32, v33
	s_delay_alu instid0(TRANS32_DEP_1) | instskip(NEXT) | instid1(VALU_DEP_1)
	v_mul_f32_e32 v36, v35, v30
	v_mul_f32_e32 v37, v34, v36
	s_delay_alu instid0(VALU_DEP_1) | instskip(NEXT) | instid1(VALU_DEP_1)
	v_fma_f32 v33, v36, v34, -v37
	v_fmac_f32_e32 v33, v36, v32
	s_delay_alu instid0(VALU_DEP_1) | instskip(NEXT) | instid1(VALU_DEP_1)
	v_add_f32_e32 v38, v37, v33
	v_sub_f32_e32 v39, v35, v38
	s_delay_alu instid0(VALU_DEP_1) | instskip(SKIP_2) | instid1(VALU_DEP_3)
	v_sub_f32_e32 v35, v35, v39
	v_add_f32_e32 v10, v10, v31
	v_sub_f32_e32 v31, v38, v37
	v_sub_f32_e32 v35, v35, v38
	s_delay_alu instid0(VALU_DEP_1) | instskip(NEXT) | instid1(VALU_DEP_1)
	v_dual_sub_f32 v31, v31, v33 :: v_dual_add_f32 v10, v10, v35
	v_add_f32_e32 v10, v31, v10
	s_delay_alu instid0(VALU_DEP_1) | instskip(NEXT) | instid1(VALU_DEP_1)
	v_add_f32_e32 v31, v39, v10
	v_mul_f32_e32 v33, v30, v31
	s_delay_alu instid0(VALU_DEP_1) | instskip(NEXT) | instid1(VALU_DEP_1)
	v_dual_sub_f32 v38, v39, v31 :: v_dual_mul_f32 v35, v34, v33
	v_add_f32_e32 v10, v10, v38
	s_delay_alu instid0(VALU_DEP_2) | instskip(NEXT) | instid1(VALU_DEP_1)
	v_fma_f32 v34, v33, v34, -v35
	v_fmac_f32_e32 v34, v33, v32
	s_delay_alu instid0(VALU_DEP_1) | instskip(NEXT) | instid1(VALU_DEP_1)
	v_add_f32_e32 v32, v35, v34
	v_sub_f32_e32 v37, v31, v32
	s_delay_alu instid0(VALU_DEP_1) | instskip(NEXT) | instid1(VALU_DEP_1)
	v_sub_f32_e32 v31, v31, v37
	v_sub_f32_e32 v31, v31, v32
	s_delay_alu instid0(VALU_DEP_1) | instskip(SKIP_1) | instid1(VALU_DEP_1)
	v_dual_add_f32 v10, v10, v31 :: v_dual_add_f32 v31, v36, v33
	v_sub_f32_e32 v35, v32, v35
	v_sub_f32_e32 v32, v35, v34
	s_delay_alu instid0(VALU_DEP_1) | instskip(NEXT) | instid1(VALU_DEP_4)
	v_add_f32_e32 v10, v32, v10
	v_sub_f32_e32 v32, v31, v36
	s_delay_alu instid0(VALU_DEP_2) | instskip(NEXT) | instid1(VALU_DEP_2)
	v_add_f32_e32 v10, v37, v10
	v_sub_f32_e32 v32, v33, v32
	s_delay_alu instid0(VALU_DEP_2) | instskip(NEXT) | instid1(VALU_DEP_1)
	v_mul_f32_e32 v10, v30, v10
	v_add_f32_e32 v10, v32, v10
	s_delay_alu instid0(VALU_DEP_1) | instskip(NEXT) | instid1(VALU_DEP_1)
	v_add_f32_e32 v30, v31, v10
	v_mul_f32_e32 v32, v30, v30
	s_wait_alu 0xfffe
	s_delay_alu instid0(VALU_DEP_1) | instskip(SKIP_1) | instid1(VALU_DEP_2)
	v_fmaak_f32 v33, s15, v32, 0x3ecc95a3
	v_mul_f32_e32 v34, v30, v32
	v_fmaak_f32 v32, v32, v33, 0x3f2aaada
	v_ldexp_f32 v33, v30, 1
	v_sub_f32_e32 v30, v30, v31
	s_delay_alu instid0(VALU_DEP_3) | instskip(SKIP_1) | instid1(VALU_DEP_2)
	v_mul_f32_e32 v32, v34, v32
	v_mul_f32_e32 v34, 0x3f317218, v9
	v_dual_sub_f32 v10, v10, v30 :: v_dual_add_f32 v31, v33, v32
	s_delay_alu instid0(VALU_DEP_1) | instskip(NEXT) | instid1(VALU_DEP_2)
	v_ldexp_f32 v10, v10, 1
	v_sub_f32_e32 v30, v31, v33
	s_delay_alu instid0(VALU_DEP_4) | instskip(NEXT) | instid1(VALU_DEP_1)
	v_fma_f32 v33, 0x3f317218, v9, -v34
	v_dual_sub_f32 v30, v32, v30 :: v_dual_fmamk_f32 v9, v9, 0xb102e308, v33
	s_delay_alu instid0(VALU_DEP_1) | instskip(NEXT) | instid1(VALU_DEP_2)
	v_add_f32_e32 v10, v10, v30
	v_add_f32_e32 v30, v34, v9
	s_delay_alu instid0(VALU_DEP_2) | instskip(NEXT) | instid1(VALU_DEP_2)
	v_add_f32_e32 v32, v31, v10
	v_sub_f32_e32 v34, v30, v34
	s_delay_alu instid0(VALU_DEP_2) | instskip(SKIP_1) | instid1(VALU_DEP_3)
	v_add_f32_e32 v33, v30, v32
	v_sub_f32_e32 v31, v32, v31
	v_sub_f32_e32 v9, v9, v34
	s_delay_alu instid0(VALU_DEP_2) | instskip(NEXT) | instid1(VALU_DEP_1)
	v_dual_sub_f32 v35, v33, v30 :: v_dual_sub_f32 v10, v10, v31
	v_sub_f32_e32 v36, v33, v35
	s_delay_alu instid0(VALU_DEP_2) | instskip(NEXT) | instid1(VALU_DEP_2)
	v_dual_sub_f32 v31, v32, v35 :: v_dual_add_f32 v32, v9, v10
	v_sub_f32_e32 v30, v30, v36
	s_delay_alu instid0(VALU_DEP_1) | instskip(NEXT) | instid1(VALU_DEP_1)
	v_dual_add_f32 v30, v31, v30 :: v_dual_sub_f32 v31, v32, v9
	v_add_f32_e32 v30, v32, v30
	s_delay_alu instid0(VALU_DEP_2) | instskip(SKIP_1) | instid1(VALU_DEP_3)
	v_sub_f32_e32 v32, v32, v31
	v_sub_f32_e32 v10, v10, v31
	v_add_f32_e32 v34, v33, v30
	s_delay_alu instid0(VALU_DEP_3) | instskip(NEXT) | instid1(VALU_DEP_2)
	v_sub_f32_e32 v9, v9, v32
	v_sub_f32_e32 v31, v34, v33
	s_delay_alu instid0(VALU_DEP_2) | instskip(NEXT) | instid1(VALU_DEP_2)
	v_add_f32_e32 v9, v10, v9
	v_sub_f32_e32 v10, v30, v31
	s_delay_alu instid0(VALU_DEP_1) | instskip(NEXT) | instid1(VALU_DEP_1)
	v_add_f32_e32 v9, v9, v10
	v_add_f32_e32 v9, v34, v9
	s_wait_alu 0xfffd
	s_delay_alu instid0(VALU_DEP_1) | instskip(SKIP_2) | instid1(VALU_DEP_2)
	v_cndmask_b32_e32 v9, 0x7f800000, v9, vcc_lo
	v_cmp_gt_f32_e64 vcc_lo, 0x33800000, |v7|
	s_wait_alu 0xfffd
	v_cndmask_b32_e32 v7, v9, v7, vcc_lo
	s_delay_alu instid0(VALU_DEP_1) | instskip(NEXT) | instid1(VALU_DEP_1)
	v_add_f32_e32 v7, v8, v7
	v_cvt_f16_f32_e32 v7, v7
	s_delay_alu instid0(VALU_DEP_1)
	v_cvt_f32_f16_e32 v31, v7
.LBB421_179:
	s_wait_alu 0xfffe
	s_or_b32 exec_lo, exec_lo, s14
	s_delay_alu instid0(VALU_DEP_1) | instskip(SKIP_3) | instid1(VALU_DEP_4)
	v_dual_max_num_f32 v8, v13, v13 :: v_dual_max_num_f32 v9, v31, v31
	v_cmp_u_f16_e32 vcc_lo, v7, v7
	v_mov_b32_e32 v32, v7
	v_mov_b32_e32 v30, v7
	v_min_num_f32_e32 v10, v9, v8
	s_wait_alu 0xfffd
	s_delay_alu instid0(VALU_DEP_1) | instskip(NEXT) | instid1(VALU_DEP_1)
	v_dual_max_num_f32 v8, v9, v8 :: v_dual_cndmask_b32 v9, v10, v31
	v_cndmask_b32_e32 v8, v8, v31, vcc_lo
	s_delay_alu instid0(VALU_DEP_2) | instskip(NEXT) | instid1(VALU_DEP_2)
	v_cndmask_b32_e64 v9, v9, v13, s1
	v_cndmask_b32_e64 v8, v8, v13, s1
	s_delay_alu instid0(VALU_DEP_2) | instskip(NEXT) | instid1(VALU_DEP_2)
	v_cmp_class_f32_e64 s1, v9, 0x1f8
	v_cmp_neq_f32_e32 vcc_lo, v9, v8
	s_or_b32 s14, vcc_lo, s1
	s_wait_alu 0xfffe
	s_and_saveexec_b32 s1, s14
	s_cbranch_execz .LBB421_181
; %bb.180:
	v_sub_f32_e32 v9, v9, v8
	s_mov_b32 s14, 0x3e9b6dac
	s_delay_alu instid0(VALU_DEP_1) | instskip(NEXT) | instid1(VALU_DEP_1)
	v_mul_f32_e32 v10, 0x3fb8aa3b, v9
	v_fma_f32 v30, 0x3fb8aa3b, v9, -v10
	v_rndne_f32_e32 v31, v10
	s_delay_alu instid0(VALU_DEP_1) | instskip(NEXT) | instid1(VALU_DEP_3)
	v_sub_f32_e32 v10, v10, v31
	v_fmamk_f32 v30, v9, 0x32a5705f, v30
	v_cmp_ngt_f32_e32 vcc_lo, 0xc2ce8ed0, v9
	s_delay_alu instid0(VALU_DEP_2) | instskip(SKIP_1) | instid1(VALU_DEP_2)
	v_add_f32_e32 v10, v10, v30
	v_cvt_i32_f32_e32 v30, v31
	v_exp_f32_e32 v10, v10
	s_delay_alu instid0(TRANS32_DEP_1) | instskip(SKIP_1) | instid1(VALU_DEP_1)
	v_ldexp_f32 v10, v10, v30
	s_wait_alu 0xfffd
	v_cndmask_b32_e32 v10, 0, v10, vcc_lo
	v_cmp_nlt_f32_e32 vcc_lo, 0x42b17218, v9
	s_wait_alu 0xfffd
	s_delay_alu instid0(VALU_DEP_2) | instskip(NEXT) | instid1(VALU_DEP_1)
	v_cndmask_b32_e32 v30, 0x7f800000, v10, vcc_lo
	v_add_f32_e32 v31, 1.0, v30
	s_delay_alu instid0(VALU_DEP_1) | instskip(NEXT) | instid1(VALU_DEP_1)
	v_cvt_f64_f32_e32 v[9:10], v31
	v_frexp_exp_i32_f64_e32 v9, v[9:10]
	v_frexp_mant_f32_e32 v10, v31
	s_delay_alu instid0(VALU_DEP_1) | instskip(SKIP_1) | instid1(VALU_DEP_1)
	v_cmp_gt_f32_e32 vcc_lo, 0x3f2aaaab, v10
	v_add_f32_e32 v10, -1.0, v31
	v_sub_f32_e32 v33, v10, v31
	s_delay_alu instid0(VALU_DEP_1) | instskip(SKIP_2) | instid1(VALU_DEP_1)
	v_add_f32_e32 v33, 1.0, v33
	s_wait_alu 0xfffd
	v_subrev_co_ci_u32_e64 v9, null, 0, v9, vcc_lo
	v_sub_nc_u32_e32 v32, 0, v9
	v_cvt_f32_i32_e32 v9, v9
	s_delay_alu instid0(VALU_DEP_2) | instskip(SKIP_1) | instid1(VALU_DEP_1)
	v_ldexp_f32 v31, v31, v32
	v_sub_f32_e32 v10, v30, v10
	v_add_f32_e32 v10, v10, v33
	s_delay_alu instid0(VALU_DEP_1) | instskip(NEXT) | instid1(VALU_DEP_4)
	v_ldexp_f32 v10, v10, v32
	v_add_f32_e32 v34, 1.0, v31
	s_delay_alu instid0(VALU_DEP_1) | instskip(NEXT) | instid1(VALU_DEP_1)
	v_add_f32_e32 v33, -1.0, v34
	v_sub_f32_e32 v33, v31, v33
	s_delay_alu instid0(VALU_DEP_1) | instskip(NEXT) | instid1(VALU_DEP_1)
	v_dual_add_f32 v33, v10, v33 :: v_dual_add_f32 v32, -1.0, v31
	v_add_f32_e32 v35, 1.0, v32
	v_cmp_neq_f32_e32 vcc_lo, 0x7f800000, v30
	s_delay_alu instid0(VALU_DEP_2) | instskip(NEXT) | instid1(VALU_DEP_4)
	v_sub_f32_e32 v31, v31, v35
	v_add_f32_e32 v35, v34, v33
	s_delay_alu instid0(VALU_DEP_1) | instskip(NEXT) | instid1(VALU_DEP_3)
	v_sub_f32_e32 v34, v34, v35
	v_add_f32_e32 v10, v10, v31
	v_rcp_f32_e32 v31, v35
	s_delay_alu instid0(VALU_DEP_2) | instskip(NEXT) | instid1(VALU_DEP_2)
	v_add_f32_e32 v33, v33, v34
	v_add_f32_e32 v36, v32, v10
	s_delay_alu instid0(VALU_DEP_1)
	v_sub_f32_e32 v32, v32, v36
	s_delay_alu instid0(TRANS32_DEP_1) | instid1(VALU_DEP_1)
	v_dual_mul_f32 v37, v36, v31 :: v_dual_add_f32 v10, v10, v32
	s_delay_alu instid0(VALU_DEP_1) | instskip(NEXT) | instid1(VALU_DEP_1)
	v_mul_f32_e32 v38, v35, v37
	v_fma_f32 v34, v37, v35, -v38
	s_delay_alu instid0(VALU_DEP_1) | instskip(NEXT) | instid1(VALU_DEP_1)
	v_fmac_f32_e32 v34, v37, v33
	v_add_f32_e32 v39, v38, v34
	s_delay_alu instid0(VALU_DEP_1) | instskip(SKIP_1) | instid1(VALU_DEP_2)
	v_sub_f32_e32 v40, v36, v39
	v_sub_f32_e32 v32, v39, v38
	;; [unrolled: 1-line block ×3, first 2 shown]
	s_delay_alu instid0(VALU_DEP_2) | instskip(NEXT) | instid1(VALU_DEP_2)
	v_sub_f32_e32 v32, v32, v34
	v_sub_f32_e32 v36, v36, v39
	s_delay_alu instid0(VALU_DEP_1) | instskip(NEXT) | instid1(VALU_DEP_1)
	v_add_f32_e32 v10, v10, v36
	v_add_f32_e32 v10, v32, v10
	s_delay_alu instid0(VALU_DEP_1) | instskip(NEXT) | instid1(VALU_DEP_1)
	v_add_f32_e32 v32, v40, v10
	v_mul_f32_e32 v34, v31, v32
	s_delay_alu instid0(VALU_DEP_1) | instskip(NEXT) | instid1(VALU_DEP_1)
	v_dual_sub_f32 v39, v40, v32 :: v_dual_mul_f32 v36, v35, v34
	v_add_f32_e32 v10, v10, v39
	s_delay_alu instid0(VALU_DEP_2) | instskip(NEXT) | instid1(VALU_DEP_1)
	v_fma_f32 v35, v34, v35, -v36
	v_fmac_f32_e32 v35, v34, v33
	s_delay_alu instid0(VALU_DEP_1) | instskip(NEXT) | instid1(VALU_DEP_1)
	v_add_f32_e32 v33, v36, v35
	v_sub_f32_e32 v38, v32, v33
	v_sub_f32_e32 v36, v33, v36
	s_delay_alu instid0(VALU_DEP_2) | instskip(NEXT) | instid1(VALU_DEP_1)
	v_sub_f32_e32 v32, v32, v38
	v_sub_f32_e32 v32, v32, v33
	s_delay_alu instid0(VALU_DEP_1) | instskip(SKIP_1) | instid1(VALU_DEP_1)
	v_dual_sub_f32 v33, v36, v35 :: v_dual_add_f32 v10, v10, v32
	v_add_f32_e32 v32, v37, v34
	v_dual_add_f32 v10, v33, v10 :: v_dual_sub_f32 v33, v32, v37
	s_delay_alu instid0(VALU_DEP_1) | instskip(NEXT) | instid1(VALU_DEP_1)
	v_add_f32_e32 v10, v38, v10
	v_dual_sub_f32 v33, v34, v33 :: v_dual_mul_f32 v10, v31, v10
	s_delay_alu instid0(VALU_DEP_1) | instskip(NEXT) | instid1(VALU_DEP_1)
	v_add_f32_e32 v10, v33, v10
	v_add_f32_e32 v31, v32, v10
	s_delay_alu instid0(VALU_DEP_1) | instskip(SKIP_1) | instid1(VALU_DEP_1)
	v_mul_f32_e32 v33, v31, v31
	s_wait_alu 0xfffe
	v_fmaak_f32 v34, s14, v33, 0x3ecc95a3
	v_mul_f32_e32 v35, v31, v33
	s_delay_alu instid0(VALU_DEP_2) | instskip(SKIP_2) | instid1(VALU_DEP_3)
	v_fmaak_f32 v33, v33, v34, 0x3f2aaada
	v_ldexp_f32 v34, v31, 1
	v_sub_f32_e32 v31, v31, v32
	v_mul_f32_e32 v33, v35, v33
	s_delay_alu instid0(VALU_DEP_2) | instskip(NEXT) | instid1(VALU_DEP_2)
	v_dual_mul_f32 v35, 0x3f317218, v9 :: v_dual_sub_f32 v10, v10, v31
	v_add_f32_e32 v32, v34, v33
	s_delay_alu instid0(VALU_DEP_2) | instskip(NEXT) | instid1(VALU_DEP_2)
	v_ldexp_f32 v10, v10, 1
	v_sub_f32_e32 v31, v32, v34
	s_delay_alu instid0(VALU_DEP_4) | instskip(NEXT) | instid1(VALU_DEP_2)
	v_fma_f32 v34, 0x3f317218, v9, -v35
	v_sub_f32_e32 v31, v33, v31
	s_delay_alu instid0(VALU_DEP_1) | instskip(NEXT) | instid1(VALU_DEP_1)
	v_dual_fmamk_f32 v9, v9, 0xb102e308, v34 :: v_dual_add_f32 v10, v10, v31
	v_add_f32_e32 v31, v35, v9
	s_delay_alu instid0(VALU_DEP_2) | instskip(NEXT) | instid1(VALU_DEP_2)
	v_add_f32_e32 v33, v32, v10
	v_sub_f32_e32 v35, v31, v35
	s_delay_alu instid0(VALU_DEP_2) | instskip(SKIP_1) | instid1(VALU_DEP_3)
	v_add_f32_e32 v34, v31, v33
	v_sub_f32_e32 v32, v33, v32
	v_sub_f32_e32 v9, v9, v35
	s_delay_alu instid0(VALU_DEP_3) | instskip(NEXT) | instid1(VALU_DEP_3)
	v_sub_f32_e32 v36, v34, v31
	v_sub_f32_e32 v10, v10, v32
	s_delay_alu instid0(VALU_DEP_2) | instskip(SKIP_1) | instid1(VALU_DEP_3)
	v_sub_f32_e32 v37, v34, v36
	v_sub_f32_e32 v32, v33, v36
	v_add_f32_e32 v33, v9, v10
	s_delay_alu instid0(VALU_DEP_3) | instskip(NEXT) | instid1(VALU_DEP_1)
	v_sub_f32_e32 v31, v31, v37
	v_dual_add_f32 v31, v32, v31 :: v_dual_sub_f32 v32, v33, v9
	s_delay_alu instid0(VALU_DEP_1) | instskip(NEXT) | instid1(VALU_DEP_2)
	v_add_f32_e32 v31, v33, v31
	v_sub_f32_e32 v33, v33, v32
	v_sub_f32_e32 v10, v10, v32
	s_delay_alu instid0(VALU_DEP_3) | instskip(NEXT) | instid1(VALU_DEP_1)
	v_add_f32_e32 v35, v34, v31
	v_dual_sub_f32 v9, v9, v33 :: v_dual_sub_f32 v32, v35, v34
	s_delay_alu instid0(VALU_DEP_1) | instskip(NEXT) | instid1(VALU_DEP_1)
	v_dual_add_f32 v9, v10, v9 :: v_dual_sub_f32 v10, v31, v32
	v_add_f32_e32 v9, v9, v10
	s_delay_alu instid0(VALU_DEP_1) | instskip(SKIP_1) | instid1(VALU_DEP_1)
	v_add_f32_e32 v9, v35, v9
	s_wait_alu 0xfffd
	v_cndmask_b32_e32 v9, 0x7f800000, v9, vcc_lo
	v_cmp_gt_f32_e64 vcc_lo, 0x33800000, |v30|
	s_wait_alu 0xfffd
	s_delay_alu instid0(VALU_DEP_2) | instskip(NEXT) | instid1(VALU_DEP_1)
	v_cndmask_b32_e32 v9, v9, v30, vcc_lo
	v_add_f32_e32 v8, v8, v9
	s_delay_alu instid0(VALU_DEP_1) | instskip(NEXT) | instid1(VALU_DEP_1)
	v_cvt_f16_f32_e32 v32, v8
	v_cvt_f32_f16_e32 v31, v32
	v_mov_b32_e32 v30, v32
.LBB421_181:
	s_wait_alu 0xfffe
	s_or_b32 exec_lo, exec_lo, s1
	s_delay_alu instid0(VALU_DEP_2) | instskip(SKIP_1) | instid1(VALU_DEP_2)
	v_dual_max_num_f32 v8, v20, v20 :: v_dual_max_num_f32 v9, v31, v31
	v_cmp_u_f16_e32 vcc_lo, v32, v32
	v_min_num_f32_e32 v10, v9, v8
	s_wait_alu 0xfffd
	s_delay_alu instid0(VALU_DEP_1) | instskip(NEXT) | instid1(VALU_DEP_1)
	v_dual_max_num_f32 v8, v9, v8 :: v_dual_cndmask_b32 v9, v10, v31
	v_cndmask_b32_e32 v8, v8, v31, vcc_lo
	s_delay_alu instid0(VALU_DEP_2) | instskip(NEXT) | instid1(VALU_DEP_2)
	v_cndmask_b32_e64 v10, v9, v20, s4
	v_cndmask_b32_e64 v9, v8, v20, s4
	v_mov_b32_e32 v8, v30
	s_delay_alu instid0(VALU_DEP_3) | instskip(NEXT) | instid1(VALU_DEP_3)
	v_cmp_class_f32_e64 s1, v10, 0x1f8
	v_cmp_neq_f32_e32 vcc_lo, v10, v9
	s_or_b32 s4, vcc_lo, s1
	s_wait_alu 0xfffe
	s_and_saveexec_b32 s1, s4
	s_cbranch_execz .LBB421_183
; %bb.182:
	v_sub_f32_e32 v8, v10, v9
	s_mov_b32 s4, 0x3e9b6dac
	s_delay_alu instid0(VALU_DEP_1) | instskip(SKIP_1) | instid1(VALU_DEP_2)
	v_mul_f32_e32 v10, 0x3fb8aa3b, v8
	v_cmp_ngt_f32_e32 vcc_lo, 0xc2ce8ed0, v8
	v_fma_f32 v20, 0x3fb8aa3b, v8, -v10
	v_rndne_f32_e32 v31, v10
	s_delay_alu instid0(VALU_DEP_2) | instskip(NEXT) | instid1(VALU_DEP_2)
	v_fmamk_f32 v20, v8, 0x32a5705f, v20
	v_sub_f32_e32 v10, v10, v31
	s_delay_alu instid0(VALU_DEP_1) | instskip(SKIP_1) | instid1(VALU_DEP_2)
	v_add_f32_e32 v10, v10, v20
	v_cvt_i32_f32_e32 v20, v31
	v_exp_f32_e32 v10, v10
	s_delay_alu instid0(TRANS32_DEP_1) | instskip(SKIP_1) | instid1(VALU_DEP_1)
	v_ldexp_f32 v10, v10, v20
	s_wait_alu 0xfffd
	v_cndmask_b32_e32 v10, 0, v10, vcc_lo
	v_cmp_nlt_f32_e32 vcc_lo, 0x42b17218, v8
	s_wait_alu 0xfffd
	s_delay_alu instid0(VALU_DEP_2) | instskip(NEXT) | instid1(VALU_DEP_1)
	v_cndmask_b32_e32 v8, 0x7f800000, v10, vcc_lo
	v_add_f32_e32 v10, 1.0, v8
	s_delay_alu instid0(VALU_DEP_1) | instskip(NEXT) | instid1(VALU_DEP_1)
	v_cvt_f64_f32_e32 v[31:32], v10
	v_frexp_exp_i32_f64_e32 v20, v[31:32]
	v_frexp_mant_f32_e32 v31, v10
	s_delay_alu instid0(VALU_DEP_1) | instskip(SKIP_1) | instid1(VALU_DEP_1)
	v_cmp_gt_f32_e32 vcc_lo, 0x3f2aaaab, v31
	v_add_f32_e32 v31, -1.0, v10
	v_sub_f32_e32 v33, v31, v10
	v_sub_f32_e32 v31, v8, v31
	s_delay_alu instid0(VALU_DEP_2) | instskip(NEXT) | instid1(VALU_DEP_1)
	v_add_f32_e32 v33, 1.0, v33
	v_add_f32_e32 v31, v31, v33
	s_wait_alu 0xfffd
	v_subrev_co_ci_u32_e64 v20, null, 0, v20, vcc_lo
	s_delay_alu instid0(VALU_DEP_1) | instskip(SKIP_1) | instid1(VALU_DEP_2)
	v_sub_nc_u32_e32 v32, 0, v20
	v_cvt_f32_i32_e32 v20, v20
	v_ldexp_f32 v10, v10, v32
	v_ldexp_f32 v31, v31, v32
	s_delay_alu instid0(VALU_DEP_2) | instskip(NEXT) | instid1(VALU_DEP_1)
	v_add_f32_e32 v34, 1.0, v10
	v_add_f32_e32 v33, -1.0, v34
	s_delay_alu instid0(VALU_DEP_1) | instskip(SKIP_1) | instid1(VALU_DEP_2)
	v_sub_f32_e32 v33, v10, v33
	v_cmp_neq_f32_e32 vcc_lo, 0x7f800000, v8
	v_dual_add_f32 v33, v31, v33 :: v_dual_add_f32 v32, -1.0, v10
	s_delay_alu instid0(VALU_DEP_1) | instskip(NEXT) | instid1(VALU_DEP_1)
	v_add_f32_e32 v35, 1.0, v32
	v_sub_f32_e32 v10, v10, v35
	s_delay_alu instid0(VALU_DEP_3) | instskip(NEXT) | instid1(VALU_DEP_1)
	v_add_f32_e32 v35, v34, v33
	v_sub_f32_e32 v34, v34, v35
	s_delay_alu instid0(VALU_DEP_1) | instskip(NEXT) | instid1(VALU_DEP_4)
	v_add_f32_e32 v33, v33, v34
	v_add_f32_e32 v10, v31, v10
	v_rcp_f32_e32 v31, v35
	s_delay_alu instid0(VALU_DEP_1) | instskip(NEXT) | instid1(VALU_DEP_1)
	v_add_f32_e32 v36, v32, v10
	v_sub_f32_e32 v32, v32, v36
	s_delay_alu instid0(TRANS32_DEP_1) | instid1(VALU_DEP_1)
	v_dual_mul_f32 v37, v36, v31 :: v_dual_add_f32 v10, v10, v32
	s_delay_alu instid0(VALU_DEP_1) | instskip(NEXT) | instid1(VALU_DEP_1)
	v_mul_f32_e32 v38, v35, v37
	v_fma_f32 v34, v37, v35, -v38
	s_delay_alu instid0(VALU_DEP_1) | instskip(NEXT) | instid1(VALU_DEP_1)
	v_fmac_f32_e32 v34, v37, v33
	v_add_f32_e32 v39, v38, v34
	s_delay_alu instid0(VALU_DEP_1) | instskip(SKIP_1) | instid1(VALU_DEP_2)
	v_sub_f32_e32 v40, v36, v39
	v_sub_f32_e32 v32, v39, v38
	;; [unrolled: 1-line block ×3, first 2 shown]
	s_delay_alu instid0(VALU_DEP_2) | instskip(NEXT) | instid1(VALU_DEP_2)
	v_sub_f32_e32 v32, v32, v34
	v_sub_f32_e32 v36, v36, v39
	s_delay_alu instid0(VALU_DEP_1) | instskip(NEXT) | instid1(VALU_DEP_1)
	v_add_f32_e32 v10, v10, v36
	v_add_f32_e32 v10, v32, v10
	s_delay_alu instid0(VALU_DEP_1) | instskip(NEXT) | instid1(VALU_DEP_1)
	v_add_f32_e32 v32, v40, v10
	v_mul_f32_e32 v34, v31, v32
	s_delay_alu instid0(VALU_DEP_1) | instskip(NEXT) | instid1(VALU_DEP_1)
	v_dual_sub_f32 v39, v40, v32 :: v_dual_mul_f32 v36, v35, v34
	v_add_f32_e32 v10, v10, v39
	s_delay_alu instid0(VALU_DEP_2) | instskip(NEXT) | instid1(VALU_DEP_1)
	v_fma_f32 v35, v34, v35, -v36
	v_fmac_f32_e32 v35, v34, v33
	s_delay_alu instid0(VALU_DEP_1) | instskip(NEXT) | instid1(VALU_DEP_1)
	v_add_f32_e32 v33, v36, v35
	v_sub_f32_e32 v38, v32, v33
	v_sub_f32_e32 v36, v33, v36
	s_delay_alu instid0(VALU_DEP_2) | instskip(NEXT) | instid1(VALU_DEP_1)
	v_sub_f32_e32 v32, v32, v38
	v_sub_f32_e32 v32, v32, v33
	s_delay_alu instid0(VALU_DEP_1) | instskip(SKIP_1) | instid1(VALU_DEP_1)
	v_dual_sub_f32 v33, v36, v35 :: v_dual_add_f32 v10, v10, v32
	v_add_f32_e32 v32, v37, v34
	v_dual_add_f32 v10, v33, v10 :: v_dual_sub_f32 v33, v32, v37
	s_delay_alu instid0(VALU_DEP_1) | instskip(NEXT) | instid1(VALU_DEP_1)
	v_add_f32_e32 v10, v38, v10
	v_dual_sub_f32 v33, v34, v33 :: v_dual_mul_f32 v10, v31, v10
	s_delay_alu instid0(VALU_DEP_1) | instskip(NEXT) | instid1(VALU_DEP_1)
	v_add_f32_e32 v10, v33, v10
	v_add_f32_e32 v31, v32, v10
	s_delay_alu instid0(VALU_DEP_1) | instskip(SKIP_1) | instid1(VALU_DEP_1)
	v_mul_f32_e32 v33, v31, v31
	s_wait_alu 0xfffe
	v_fmaak_f32 v34, s4, v33, 0x3ecc95a3
	v_mul_f32_e32 v35, v31, v33
	s_delay_alu instid0(VALU_DEP_2) | instskip(SKIP_2) | instid1(VALU_DEP_3)
	v_fmaak_f32 v33, v33, v34, 0x3f2aaada
	v_ldexp_f32 v34, v31, 1
	v_sub_f32_e32 v31, v31, v32
	v_mul_f32_e32 v33, v35, v33
	s_delay_alu instid0(VALU_DEP_2) | instskip(NEXT) | instid1(VALU_DEP_2)
	v_dual_mul_f32 v35, 0x3f317218, v20 :: v_dual_sub_f32 v10, v10, v31
	v_add_f32_e32 v32, v34, v33
	s_delay_alu instid0(VALU_DEP_2) | instskip(NEXT) | instid1(VALU_DEP_2)
	v_ldexp_f32 v10, v10, 1
	v_sub_f32_e32 v31, v32, v34
	s_delay_alu instid0(VALU_DEP_4) | instskip(NEXT) | instid1(VALU_DEP_1)
	v_fma_f32 v34, 0x3f317218, v20, -v35
	v_dual_sub_f32 v31, v33, v31 :: v_dual_fmamk_f32 v20, v20, 0xb102e308, v34
	s_delay_alu instid0(VALU_DEP_1) | instskip(NEXT) | instid1(VALU_DEP_1)
	v_dual_add_f32 v10, v10, v31 :: v_dual_add_f32 v31, v35, v20
	v_add_f32_e32 v33, v32, v10
	s_delay_alu instid0(VALU_DEP_2) | instskip(NEXT) | instid1(VALU_DEP_2)
	v_sub_f32_e32 v35, v31, v35
	v_add_f32_e32 v34, v31, v33
	v_sub_f32_e32 v32, v33, v32
	s_delay_alu instid0(VALU_DEP_3) | instskip(NEXT) | instid1(VALU_DEP_3)
	v_sub_f32_e32 v20, v20, v35
	v_sub_f32_e32 v36, v34, v31
	s_delay_alu instid0(VALU_DEP_3) | instskip(NEXT) | instid1(VALU_DEP_2)
	v_sub_f32_e32 v10, v10, v32
	v_sub_f32_e32 v37, v34, v36
	s_delay_alu instid0(VALU_DEP_2) | instskip(NEXT) | instid1(VALU_DEP_2)
	v_dual_sub_f32 v32, v33, v36 :: v_dual_add_f32 v33, v20, v10
	v_sub_f32_e32 v31, v31, v37
	s_delay_alu instid0(VALU_DEP_1) | instskip(NEXT) | instid1(VALU_DEP_1)
	v_dual_add_f32 v31, v32, v31 :: v_dual_sub_f32 v32, v33, v20
	v_add_f32_e32 v31, v33, v31
	s_delay_alu instid0(VALU_DEP_2) | instskip(SKIP_1) | instid1(VALU_DEP_2)
	v_sub_f32_e32 v33, v33, v32
	v_sub_f32_e32 v10, v10, v32
	v_dual_add_f32 v35, v34, v31 :: v_dual_sub_f32 v20, v20, v33
	s_delay_alu instid0(VALU_DEP_1) | instskip(NEXT) | instid1(VALU_DEP_2)
	v_sub_f32_e32 v32, v35, v34
	v_add_f32_e32 v10, v10, v20
	s_delay_alu instid0(VALU_DEP_2) | instskip(NEXT) | instid1(VALU_DEP_1)
	v_sub_f32_e32 v20, v31, v32
	v_add_f32_e32 v10, v10, v20
	s_delay_alu instid0(VALU_DEP_1) | instskip(SKIP_1) | instid1(VALU_DEP_1)
	v_add_f32_e32 v10, v35, v10
	s_wait_alu 0xfffd
	v_cndmask_b32_e32 v10, 0x7f800000, v10, vcc_lo
	v_cmp_gt_f32_e64 vcc_lo, 0x33800000, |v8|
	s_wait_alu 0xfffd
	s_delay_alu instid0(VALU_DEP_2) | instskip(NEXT) | instid1(VALU_DEP_1)
	v_cndmask_b32_e32 v8, v10, v8, vcc_lo
	v_add_f32_e32 v8, v9, v8
	s_delay_alu instid0(VALU_DEP_1) | instskip(NEXT) | instid1(VALU_DEP_1)
	v_cvt_f16_f32_e32 v32, v8
	v_cvt_f32_f16_e32 v31, v32
	v_mov_b32_e32 v8, v32
.LBB421_183:
	s_wait_alu 0xfffe
	s_or_b32 exec_lo, exec_lo, s1
	s_delay_alu instid0(VALU_DEP_2) | instskip(SKIP_1) | instid1(VALU_DEP_2)
	v_dual_max_num_f32 v9, v21, v21 :: v_dual_max_num_f32 v10, v31, v31
	v_cmp_u_f16_e32 vcc_lo, v32, v32
	v_min_num_f32_e32 v20, v10, v9
	v_max_num_f32_e32 v9, v10, v9
	s_wait_alu 0xfffd
	s_delay_alu instid0(VALU_DEP_1) | instskip(NEXT) | instid1(VALU_DEP_3)
	v_cndmask_b32_e32 v9, v9, v31, vcc_lo
	v_cndmask_b32_e32 v10, v20, v31, vcc_lo
	v_mov_b32_e32 v20, v8
	s_delay_alu instid0(VALU_DEP_3) | instskip(NEXT) | instid1(VALU_DEP_3)
	v_cndmask_b32_e64 v9, v9, v21, s5
	v_cndmask_b32_e64 v10, v10, v21, s5
	s_delay_alu instid0(VALU_DEP_1)
	v_cmp_neq_f32_e32 vcc_lo, v10, v9
	v_cmp_class_f32_e64 s1, v10, 0x1f8
	s_or_b32 s4, vcc_lo, s1
	s_wait_alu 0xfffe
	s_and_saveexec_b32 s1, s4
	s_cbranch_execz .LBB421_185
; %bb.184:
	v_sub_f32_e32 v10, v10, v9
	s_mov_b32 s4, 0x3e9b6dac
	s_delay_alu instid0(VALU_DEP_1) | instskip(SKIP_1) | instid1(VALU_DEP_2)
	v_mul_f32_e32 v20, 0x3fb8aa3b, v10
	v_cmp_ngt_f32_e32 vcc_lo, 0xc2ce8ed0, v10
	v_fma_f32 v21, 0x3fb8aa3b, v10, -v20
	v_rndne_f32_e32 v31, v20
	s_delay_alu instid0(VALU_DEP_1) | instskip(NEXT) | instid1(VALU_DEP_1)
	v_dual_fmamk_f32 v21, v10, 0x32a5705f, v21 :: v_dual_sub_f32 v20, v20, v31
	v_add_f32_e32 v20, v20, v21
	v_cvt_i32_f32_e32 v21, v31
	s_delay_alu instid0(VALU_DEP_2) | instskip(NEXT) | instid1(TRANS32_DEP_1)
	v_exp_f32_e32 v20, v20
	v_ldexp_f32 v20, v20, v21
	s_wait_alu 0xfffd
	s_delay_alu instid0(VALU_DEP_1) | instskip(SKIP_2) | instid1(VALU_DEP_2)
	v_cndmask_b32_e32 v20, 0, v20, vcc_lo
	v_cmp_nlt_f32_e32 vcc_lo, 0x42b17218, v10
	s_wait_alu 0xfffd
	v_cndmask_b32_e32 v10, 0x7f800000, v20, vcc_lo
	s_delay_alu instid0(VALU_DEP_1) | instskip(NEXT) | instid1(VALU_DEP_1)
	v_add_f32_e32 v31, 1.0, v10
	v_cvt_f64_f32_e32 v[20:21], v31
	s_delay_alu instid0(VALU_DEP_1) | instskip(SKIP_1) | instid1(VALU_DEP_1)
	v_frexp_exp_i32_f64_e32 v20, v[20:21]
	v_frexp_mant_f32_e32 v21, v31
	v_cmp_gt_f32_e32 vcc_lo, 0x3f2aaaab, v21
	v_add_f32_e32 v21, -1.0, v31
	s_delay_alu instid0(VALU_DEP_1) | instskip(NEXT) | instid1(VALU_DEP_1)
	v_sub_f32_e32 v33, v21, v31
	v_add_f32_e32 v33, 1.0, v33
	v_sub_f32_e32 v21, v10, v21
	s_delay_alu instid0(VALU_DEP_1) | instskip(SKIP_3) | instid1(VALU_DEP_2)
	v_add_f32_e32 v21, v21, v33
	s_wait_alu 0xfffd
	v_subrev_co_ci_u32_e64 v20, null, 0, v20, vcc_lo
	v_cmp_neq_f32_e32 vcc_lo, 0x7f800000, v10
	v_sub_nc_u32_e32 v32, 0, v20
	v_cvt_f32_i32_e32 v20, v20
	s_delay_alu instid0(VALU_DEP_2) | instskip(SKIP_1) | instid1(VALU_DEP_2)
	v_ldexp_f32 v31, v31, v32
	v_ldexp_f32 v21, v21, v32
	v_add_f32_e32 v34, 1.0, v31
	s_delay_alu instid0(VALU_DEP_1) | instskip(NEXT) | instid1(VALU_DEP_1)
	v_dual_add_f32 v32, -1.0, v31 :: v_dual_add_f32 v33, -1.0, v34
	v_add_f32_e32 v35, 1.0, v32
	s_delay_alu instid0(VALU_DEP_2) | instskip(NEXT) | instid1(VALU_DEP_2)
	v_sub_f32_e32 v33, v31, v33
	v_sub_f32_e32 v31, v31, v35
	s_delay_alu instid0(VALU_DEP_2) | instskip(NEXT) | instid1(VALU_DEP_2)
	v_add_f32_e32 v33, v21, v33
	v_add_f32_e32 v21, v21, v31
	s_delay_alu instid0(VALU_DEP_1) | instskip(NEXT) | instid1(VALU_DEP_1)
	v_add_f32_e32 v36, v32, v21
	v_dual_add_f32 v35, v34, v33 :: v_dual_sub_f32 v32, v32, v36
	s_delay_alu instid0(VALU_DEP_1) | instskip(SKIP_1) | instid1(VALU_DEP_1)
	v_rcp_f32_e32 v31, v35
	v_sub_f32_e32 v34, v34, v35
	v_add_f32_e32 v33, v33, v34
	s_delay_alu instid0(TRANS32_DEP_1) | instskip(NEXT) | instid1(VALU_DEP_1)
	v_mul_f32_e32 v37, v36, v31
	v_mul_f32_e32 v38, v35, v37
	s_delay_alu instid0(VALU_DEP_1) | instskip(NEXT) | instid1(VALU_DEP_1)
	v_fma_f32 v34, v37, v35, -v38
	v_fmac_f32_e32 v34, v37, v33
	s_delay_alu instid0(VALU_DEP_1) | instskip(NEXT) | instid1(VALU_DEP_1)
	v_add_f32_e32 v39, v38, v34
	v_sub_f32_e32 v40, v36, v39
	s_delay_alu instid0(VALU_DEP_1) | instskip(SKIP_1) | instid1(VALU_DEP_2)
	v_sub_f32_e32 v36, v36, v40
	v_dual_add_f32 v21, v21, v32 :: v_dual_sub_f32 v32, v39, v38
	v_sub_f32_e32 v36, v36, v39
	s_delay_alu instid0(VALU_DEP_1) | instskip(NEXT) | instid1(VALU_DEP_1)
	v_dual_sub_f32 v32, v32, v34 :: v_dual_add_f32 v21, v21, v36
	v_add_f32_e32 v21, v32, v21
	s_delay_alu instid0(VALU_DEP_1) | instskip(NEXT) | instid1(VALU_DEP_1)
	v_add_f32_e32 v32, v40, v21
	v_mul_f32_e32 v34, v31, v32
	s_delay_alu instid0(VALU_DEP_1) | instskip(NEXT) | instid1(VALU_DEP_1)
	v_dual_sub_f32 v39, v40, v32 :: v_dual_mul_f32 v36, v35, v34
	v_add_f32_e32 v21, v21, v39
	s_delay_alu instid0(VALU_DEP_2) | instskip(NEXT) | instid1(VALU_DEP_1)
	v_fma_f32 v35, v34, v35, -v36
	v_fmac_f32_e32 v35, v34, v33
	s_delay_alu instid0(VALU_DEP_1) | instskip(NEXT) | instid1(VALU_DEP_1)
	v_add_f32_e32 v33, v36, v35
	v_sub_f32_e32 v38, v32, v33
	s_delay_alu instid0(VALU_DEP_1) | instskip(NEXT) | instid1(VALU_DEP_1)
	v_sub_f32_e32 v32, v32, v38
	v_sub_f32_e32 v32, v32, v33
	s_delay_alu instid0(VALU_DEP_1) | instskip(SKIP_2) | instid1(VALU_DEP_1)
	v_add_f32_e32 v21, v21, v32
	v_add_f32_e32 v32, v37, v34
	v_sub_f32_e32 v36, v33, v36
	v_sub_f32_e32 v33, v36, v35
	s_delay_alu instid0(VALU_DEP_1) | instskip(NEXT) | instid1(VALU_DEP_4)
	v_add_f32_e32 v21, v33, v21
	v_sub_f32_e32 v33, v32, v37
	s_delay_alu instid0(VALU_DEP_2) | instskip(NEXT) | instid1(VALU_DEP_2)
	v_add_f32_e32 v21, v38, v21
	v_sub_f32_e32 v33, v34, v33
	s_delay_alu instid0(VALU_DEP_2) | instskip(NEXT) | instid1(VALU_DEP_1)
	v_mul_f32_e32 v21, v31, v21
	v_add_f32_e32 v21, v33, v21
	s_delay_alu instid0(VALU_DEP_1) | instskip(NEXT) | instid1(VALU_DEP_1)
	v_add_f32_e32 v31, v32, v21
	v_mul_f32_e32 v33, v31, v31
	s_wait_alu 0xfffe
	s_delay_alu instid0(VALU_DEP_1) | instskip(SKIP_1) | instid1(VALU_DEP_2)
	v_fmaak_f32 v34, s4, v33, 0x3ecc95a3
	v_mul_f32_e32 v35, v31, v33
	v_fmaak_f32 v33, v33, v34, 0x3f2aaada
	v_ldexp_f32 v34, v31, 1
	v_sub_f32_e32 v31, v31, v32
	s_delay_alu instid0(VALU_DEP_3) | instskip(NEXT) | instid1(VALU_DEP_1)
	v_mul_f32_e32 v33, v35, v33
	v_dual_sub_f32 v21, v21, v31 :: v_dual_add_f32 v32, v34, v33
	s_delay_alu instid0(VALU_DEP_1) | instskip(NEXT) | instid1(VALU_DEP_2)
	v_ldexp_f32 v21, v21, 1
	v_sub_f32_e32 v31, v32, v34
	s_delay_alu instid0(VALU_DEP_1) | instskip(NEXT) | instid1(VALU_DEP_1)
	v_sub_f32_e32 v31, v33, v31
	v_add_f32_e32 v21, v21, v31
	s_delay_alu instid0(VALU_DEP_1) | instskip(SKIP_1) | instid1(VALU_DEP_2)
	v_add_f32_e32 v33, v32, v21
	v_mul_f32_e32 v35, 0x3f317218, v20
	v_sub_f32_e32 v32, v33, v32
	s_delay_alu instid0(VALU_DEP_2) | instskip(NEXT) | instid1(VALU_DEP_1)
	v_fma_f32 v34, 0x3f317218, v20, -v35
	v_dual_sub_f32 v21, v21, v32 :: v_dual_fmamk_f32 v20, v20, 0xb102e308, v34
	s_delay_alu instid0(VALU_DEP_1) | instskip(NEXT) | instid1(VALU_DEP_1)
	v_add_f32_e32 v31, v35, v20
	v_add_f32_e32 v34, v31, v33
	v_sub_f32_e32 v35, v31, v35
	s_delay_alu instid0(VALU_DEP_2) | instskip(NEXT) | instid1(VALU_DEP_1)
	v_sub_f32_e32 v36, v34, v31
	v_dual_sub_f32 v20, v20, v35 :: v_dual_sub_f32 v37, v34, v36
	s_delay_alu instid0(VALU_DEP_1) | instskip(NEXT) | instid1(VALU_DEP_2)
	v_dual_sub_f32 v32, v33, v36 :: v_dual_add_f32 v33, v20, v21
	v_sub_f32_e32 v31, v31, v37
	s_delay_alu instid0(VALU_DEP_1) | instskip(NEXT) | instid1(VALU_DEP_1)
	v_dual_add_f32 v31, v32, v31 :: v_dual_sub_f32 v32, v33, v20
	v_add_f32_e32 v31, v33, v31
	s_delay_alu instid0(VALU_DEP_2) | instskip(SKIP_1) | instid1(VALU_DEP_2)
	v_sub_f32_e32 v33, v33, v32
	v_sub_f32_e32 v21, v21, v32
	v_dual_add_f32 v35, v34, v31 :: v_dual_sub_f32 v20, v20, v33
	s_delay_alu instid0(VALU_DEP_1) | instskip(NEXT) | instid1(VALU_DEP_2)
	v_sub_f32_e32 v32, v35, v34
	v_add_f32_e32 v20, v21, v20
	s_delay_alu instid0(VALU_DEP_2) | instskip(NEXT) | instid1(VALU_DEP_1)
	v_sub_f32_e32 v21, v31, v32
	v_add_f32_e32 v20, v20, v21
	s_delay_alu instid0(VALU_DEP_1) | instskip(SKIP_1) | instid1(VALU_DEP_1)
	v_add_f32_e32 v20, v35, v20
	s_wait_alu 0xfffd
	v_cndmask_b32_e32 v20, 0x7f800000, v20, vcc_lo
	v_cmp_gt_f32_e64 vcc_lo, 0x33800000, |v10|
	s_wait_alu 0xfffd
	s_delay_alu instid0(VALU_DEP_2) | instskip(NEXT) | instid1(VALU_DEP_1)
	v_cndmask_b32_e32 v10, v20, v10, vcc_lo
	v_add_f32_e32 v9, v9, v10
	s_delay_alu instid0(VALU_DEP_1) | instskip(NEXT) | instid1(VALU_DEP_1)
	v_cvt_f16_f32_e32 v32, v9
	v_cvt_f32_f16_e32 v31, v32
	v_mov_b32_e32 v20, v32
.LBB421_185:
	s_wait_alu 0xfffe
	s_or_b32 exec_lo, exec_lo, s1
	s_delay_alu instid0(VALU_DEP_2) | instskip(SKIP_1) | instid1(VALU_DEP_2)
	v_dual_max_num_f32 v9, v22, v22 :: v_dual_max_num_f32 v10, v31, v31
	v_cmp_u_f16_e32 vcc_lo, v32, v32
	v_min_num_f32_e32 v21, v10, v9
	s_wait_alu 0xfffd
	s_delay_alu instid0(VALU_DEP_1) | instskip(NEXT) | instid1(VALU_DEP_1)
	v_dual_max_num_f32 v9, v10, v9 :: v_dual_cndmask_b32 v10, v21, v31
	v_cndmask_b32_e32 v9, v9, v31, vcc_lo
	s_delay_alu instid0(VALU_DEP_2) | instskip(NEXT) | instid1(VALU_DEP_2)
	v_cndmask_b32_e64 v21, v10, v22, s6
	v_cndmask_b32_e64 v10, v9, v22, s6
	v_mov_b32_e32 v9, v20
	s_delay_alu instid0(VALU_DEP_3) | instskip(NEXT) | instid1(VALU_DEP_3)
	v_cmp_class_f32_e64 s1, v21, 0x1f8
	v_cmp_neq_f32_e32 vcc_lo, v21, v10
	s_or_b32 s4, vcc_lo, s1
	s_wait_alu 0xfffe
	s_and_saveexec_b32 s1, s4
	s_cbranch_execz .LBB421_187
; %bb.186:
	v_sub_f32_e32 v9, v21, v10
	s_mov_b32 s4, 0x3e9b6dac
	s_delay_alu instid0(VALU_DEP_1) | instskip(SKIP_1) | instid1(VALU_DEP_2)
	v_mul_f32_e32 v21, 0x3fb8aa3b, v9
	v_cmp_ngt_f32_e32 vcc_lo, 0xc2ce8ed0, v9
	v_fma_f32 v22, 0x3fb8aa3b, v9, -v21
	v_rndne_f32_e32 v31, v21
	s_delay_alu instid0(VALU_DEP_2) | instskip(NEXT) | instid1(VALU_DEP_2)
	v_fmamk_f32 v22, v9, 0x32a5705f, v22
	v_sub_f32_e32 v21, v21, v31
	s_delay_alu instid0(VALU_DEP_1) | instskip(SKIP_1) | instid1(VALU_DEP_2)
	v_add_f32_e32 v21, v21, v22
	v_cvt_i32_f32_e32 v22, v31
	v_exp_f32_e32 v21, v21
	s_delay_alu instid0(TRANS32_DEP_1) | instskip(SKIP_1) | instid1(VALU_DEP_1)
	v_ldexp_f32 v21, v21, v22
	s_wait_alu 0xfffd
	v_cndmask_b32_e32 v21, 0, v21, vcc_lo
	v_cmp_nlt_f32_e32 vcc_lo, 0x42b17218, v9
	s_wait_alu 0xfffd
	s_delay_alu instid0(VALU_DEP_2) | instskip(NEXT) | instid1(VALU_DEP_1)
	v_cndmask_b32_e32 v9, 0x7f800000, v21, vcc_lo
	v_add_f32_e32 v31, 1.0, v9
	s_delay_alu instid0(VALU_DEP_1) | instskip(NEXT) | instid1(VALU_DEP_1)
	v_cvt_f64_f32_e32 v[21:22], v31
	v_frexp_exp_i32_f64_e32 v21, v[21:22]
	v_frexp_mant_f32_e32 v22, v31
	s_delay_alu instid0(VALU_DEP_1) | instskip(SKIP_1) | instid1(VALU_DEP_1)
	v_cmp_gt_f32_e32 vcc_lo, 0x3f2aaaab, v22
	v_add_f32_e32 v22, -1.0, v31
	v_dual_sub_f32 v33, v22, v31 :: v_dual_sub_f32 v22, v9, v22
	s_delay_alu instid0(VALU_DEP_1) | instskip(NEXT) | instid1(VALU_DEP_1)
	v_add_f32_e32 v33, 1.0, v33
	v_add_f32_e32 v22, v22, v33
	s_wait_alu 0xfffd
	v_subrev_co_ci_u32_e64 v21, null, 0, v21, vcc_lo
	s_delay_alu instid0(VALU_DEP_1) | instskip(SKIP_1) | instid1(VALU_DEP_2)
	v_sub_nc_u32_e32 v32, 0, v21
	v_cvt_f32_i32_e32 v21, v21
	v_ldexp_f32 v31, v31, v32
	v_ldexp_f32 v22, v22, v32
	s_delay_alu instid0(VALU_DEP_2) | instskip(SKIP_2) | instid1(VALU_DEP_3)
	v_add_f32_e32 v34, 1.0, v31
	v_add_f32_e32 v32, -1.0, v31
	v_cmp_neq_f32_e32 vcc_lo, 0x7f800000, v9
	v_add_f32_e32 v33, -1.0, v34
	s_delay_alu instid0(VALU_DEP_3) | instskip(NEXT) | instid1(VALU_DEP_2)
	v_add_f32_e32 v35, 1.0, v32
	v_sub_f32_e32 v33, v31, v33
	s_delay_alu instid0(VALU_DEP_2) | instskip(NEXT) | instid1(VALU_DEP_2)
	v_sub_f32_e32 v31, v31, v35
	v_add_f32_e32 v33, v22, v33
	s_delay_alu instid0(VALU_DEP_2) | instskip(NEXT) | instid1(VALU_DEP_1)
	v_add_f32_e32 v22, v22, v31
	v_add_f32_e32 v36, v32, v22
	s_delay_alu instid0(VALU_DEP_1) | instskip(NEXT) | instid1(VALU_DEP_1)
	v_dual_sub_f32 v32, v32, v36 :: v_dual_add_f32 v35, v34, v33
	v_add_f32_e32 v22, v22, v32
	s_delay_alu instid0(VALU_DEP_2) | instskip(SKIP_1) | instid1(VALU_DEP_1)
	v_rcp_f32_e32 v31, v35
	v_sub_f32_e32 v34, v34, v35
	v_add_f32_e32 v33, v33, v34
	s_delay_alu instid0(TRANS32_DEP_1) | instskip(NEXT) | instid1(VALU_DEP_1)
	v_mul_f32_e32 v37, v36, v31
	v_mul_f32_e32 v38, v35, v37
	s_delay_alu instid0(VALU_DEP_1) | instskip(NEXT) | instid1(VALU_DEP_1)
	v_fma_f32 v34, v37, v35, -v38
	v_fmac_f32_e32 v34, v37, v33
	s_delay_alu instid0(VALU_DEP_1) | instskip(NEXT) | instid1(VALU_DEP_1)
	v_add_f32_e32 v39, v38, v34
	v_sub_f32_e32 v40, v36, v39
	v_sub_f32_e32 v32, v39, v38
	s_delay_alu instid0(VALU_DEP_2) | instskip(NEXT) | instid1(VALU_DEP_1)
	v_sub_f32_e32 v36, v36, v40
	v_sub_f32_e32 v36, v36, v39
	s_delay_alu instid0(VALU_DEP_3) | instskip(NEXT) | instid1(VALU_DEP_2)
	v_sub_f32_e32 v32, v32, v34
	v_add_f32_e32 v22, v22, v36
	s_delay_alu instid0(VALU_DEP_1) | instskip(NEXT) | instid1(VALU_DEP_1)
	v_add_f32_e32 v22, v32, v22
	v_add_f32_e32 v32, v40, v22
	s_delay_alu instid0(VALU_DEP_1) | instskip(NEXT) | instid1(VALU_DEP_1)
	v_mul_f32_e32 v34, v31, v32
	v_dual_sub_f32 v39, v40, v32 :: v_dual_mul_f32 v36, v35, v34
	s_delay_alu instid0(VALU_DEP_1) | instskip(NEXT) | instid1(VALU_DEP_2)
	v_add_f32_e32 v22, v22, v39
	v_fma_f32 v35, v34, v35, -v36
	s_delay_alu instid0(VALU_DEP_1) | instskip(NEXT) | instid1(VALU_DEP_1)
	v_fmac_f32_e32 v35, v34, v33
	v_add_f32_e32 v33, v36, v35
	s_delay_alu instid0(VALU_DEP_1) | instskip(NEXT) | instid1(VALU_DEP_1)
	v_sub_f32_e32 v38, v32, v33
	v_sub_f32_e32 v32, v32, v38
	s_delay_alu instid0(VALU_DEP_1) | instskip(NEXT) | instid1(VALU_DEP_1)
	v_sub_f32_e32 v32, v32, v33
	v_add_f32_e32 v22, v22, v32
	v_add_f32_e32 v32, v37, v34
	v_sub_f32_e32 v36, v33, v36
	s_delay_alu instid0(VALU_DEP_1) | instskip(NEXT) | instid1(VALU_DEP_1)
	v_sub_f32_e32 v33, v36, v35
	v_dual_add_f32 v22, v33, v22 :: v_dual_sub_f32 v33, v32, v37
	s_delay_alu instid0(VALU_DEP_1) | instskip(NEXT) | instid1(VALU_DEP_1)
	v_add_f32_e32 v22, v38, v22
	v_dual_sub_f32 v33, v34, v33 :: v_dual_mul_f32 v22, v31, v22
	s_delay_alu instid0(VALU_DEP_1) | instskip(NEXT) | instid1(VALU_DEP_1)
	v_add_f32_e32 v22, v33, v22
	v_add_f32_e32 v31, v32, v22
	s_delay_alu instid0(VALU_DEP_1) | instskip(SKIP_1) | instid1(VALU_DEP_1)
	v_mul_f32_e32 v33, v31, v31
	s_wait_alu 0xfffe
	v_fmaak_f32 v34, s4, v33, 0x3ecc95a3
	v_mul_f32_e32 v35, v31, v33
	s_delay_alu instid0(VALU_DEP_2) | instskip(SKIP_1) | instid1(VALU_DEP_2)
	v_fmaak_f32 v33, v33, v34, 0x3f2aaada
	v_ldexp_f32 v34, v31, 1
	v_mul_f32_e32 v33, v35, v33
	v_mul_f32_e32 v35, 0x3f317218, v21
	s_delay_alu instid0(VALU_DEP_2) | instskip(NEXT) | instid1(VALU_DEP_1)
	v_dual_sub_f32 v31, v31, v32 :: v_dual_add_f32 v32, v34, v33
	v_dual_sub_f32 v22, v22, v31 :: v_dual_sub_f32 v31, v32, v34
	s_delay_alu instid0(VALU_DEP_3) | instskip(NEXT) | instid1(VALU_DEP_2)
	v_fma_f32 v34, 0x3f317218, v21, -v35
	v_ldexp_f32 v22, v22, 1
	s_delay_alu instid0(VALU_DEP_3) | instskip(NEXT) | instid1(VALU_DEP_1)
	v_sub_f32_e32 v31, v33, v31
	v_dual_fmamk_f32 v21, v21, 0xb102e308, v34 :: v_dual_add_f32 v22, v22, v31
	s_delay_alu instid0(VALU_DEP_1) | instskip(NEXT) | instid1(VALU_DEP_1)
	v_add_f32_e32 v31, v35, v21
	v_sub_f32_e32 v35, v31, v35
	s_delay_alu instid0(VALU_DEP_3) | instskip(NEXT) | instid1(VALU_DEP_1)
	v_add_f32_e32 v33, v32, v22
	v_dual_sub_f32 v21, v21, v35 :: v_dual_add_f32 v34, v31, v33
	v_sub_f32_e32 v32, v33, v32
	s_delay_alu instid0(VALU_DEP_2) | instskip(NEXT) | instid1(VALU_DEP_1)
	v_sub_f32_e32 v36, v34, v31
	v_sub_f32_e32 v37, v34, v36
	s_delay_alu instid0(VALU_DEP_1) | instskip(SKIP_1) | instid1(VALU_DEP_1)
	v_dual_sub_f32 v31, v31, v37 :: v_dual_sub_f32 v22, v22, v32
	v_sub_f32_e32 v32, v33, v36
	v_add_f32_e32 v31, v32, v31
	s_delay_alu instid0(VALU_DEP_3) | instskip(NEXT) | instid1(VALU_DEP_1)
	v_add_f32_e32 v33, v21, v22
	v_sub_f32_e32 v32, v33, v21
	s_delay_alu instid0(VALU_DEP_1) | instskip(NEXT) | instid1(VALU_DEP_1)
	v_dual_add_f32 v31, v33, v31 :: v_dual_sub_f32 v22, v22, v32
	v_add_f32_e32 v35, v34, v31
	s_delay_alu instid0(VALU_DEP_1) | instskip(NEXT) | instid1(VALU_DEP_1)
	v_dual_sub_f32 v33, v33, v32 :: v_dual_sub_f32 v32, v35, v34
	v_sub_f32_e32 v21, v21, v33
	s_delay_alu instid0(VALU_DEP_1) | instskip(NEXT) | instid1(VALU_DEP_1)
	v_dual_add_f32 v21, v22, v21 :: v_dual_sub_f32 v22, v31, v32
	v_add_f32_e32 v21, v21, v22
	s_delay_alu instid0(VALU_DEP_1) | instskip(SKIP_1) | instid1(VALU_DEP_1)
	v_add_f32_e32 v21, v35, v21
	s_wait_alu 0xfffd
	v_cndmask_b32_e32 v21, 0x7f800000, v21, vcc_lo
	v_cmp_gt_f32_e64 vcc_lo, 0x33800000, |v9|
	s_wait_alu 0xfffd
	s_delay_alu instid0(VALU_DEP_2) | instskip(NEXT) | instid1(VALU_DEP_1)
	v_cndmask_b32_e32 v9, v21, v9, vcc_lo
	v_add_f32_e32 v9, v10, v9
	s_delay_alu instid0(VALU_DEP_1) | instskip(NEXT) | instid1(VALU_DEP_1)
	v_cvt_f16_f32_e32 v32, v9
	v_cvt_f32_f16_e32 v31, v32
	v_mov_b32_e32 v9, v32
.LBB421_187:
	s_wait_alu 0xfffe
	s_or_b32 exec_lo, exec_lo, s1
	v_max_num_f32_e32 v10, v23, v23
	v_max_num_f32_e32 v21, v31, v31
	v_cmp_u_f16_e32 vcc_lo, v32, v32
	s_delay_alu instid0(VALU_DEP_2) | instskip(SKIP_1) | instid1(VALU_DEP_1)
	v_min_num_f32_e32 v22, v21, v10
	s_wait_alu 0xfffd
	v_dual_max_num_f32 v10, v21, v10 :: v_dual_cndmask_b32 v21, v22, v31
	s_delay_alu instid0(VALU_DEP_1) | instskip(NEXT) | instid1(VALU_DEP_2)
	v_cndmask_b32_e32 v10, v10, v31, vcc_lo
	v_cndmask_b32_e64 v22, v21, v23, s7
	s_delay_alu instid0(VALU_DEP_2) | instskip(SKIP_1) | instid1(VALU_DEP_3)
	v_cndmask_b32_e64 v10, v10, v23, s7
	v_mov_b32_e32 v21, v9
	v_cmp_class_f32_e64 s1, v22, 0x1f8
	s_delay_alu instid0(VALU_DEP_3)
	v_cmp_neq_f32_e32 vcc_lo, v22, v10
	s_or_b32 s4, vcc_lo, s1
	s_wait_alu 0xfffe
	s_and_saveexec_b32 s1, s4
	s_cbranch_execz .LBB421_189
; %bb.188:
	v_sub_f32_e32 v21, v22, v10
	s_mov_b32 s4, 0x3e9b6dac
	s_delay_alu instid0(VALU_DEP_1) | instskip(SKIP_1) | instid1(VALU_DEP_2)
	v_mul_f32_e32 v22, 0x3fb8aa3b, v21
	v_cmp_ngt_f32_e32 vcc_lo, 0xc2ce8ed0, v21
	v_fma_f32 v23, 0x3fb8aa3b, v21, -v22
	v_rndne_f32_e32 v31, v22
	s_delay_alu instid0(VALU_DEP_1) | instskip(NEXT) | instid1(VALU_DEP_1)
	v_dual_fmamk_f32 v23, v21, 0x32a5705f, v23 :: v_dual_sub_f32 v22, v22, v31
	v_add_f32_e32 v22, v22, v23
	v_cvt_i32_f32_e32 v23, v31
	s_delay_alu instid0(VALU_DEP_2) | instskip(NEXT) | instid1(TRANS32_DEP_1)
	v_exp_f32_e32 v22, v22
	v_ldexp_f32 v22, v22, v23
	s_wait_alu 0xfffd
	s_delay_alu instid0(VALU_DEP_1) | instskip(SKIP_2) | instid1(VALU_DEP_2)
	v_cndmask_b32_e32 v22, 0, v22, vcc_lo
	v_cmp_nlt_f32_e32 vcc_lo, 0x42b17218, v21
	s_wait_alu 0xfffd
	v_cndmask_b32_e32 v23, 0x7f800000, v22, vcc_lo
	s_delay_alu instid0(VALU_DEP_1) | instskip(NEXT) | instid1(VALU_DEP_1)
	v_add_f32_e32 v31, 1.0, v23
	v_cvt_f64_f32_e32 v[21:22], v31
	s_delay_alu instid0(VALU_DEP_1) | instskip(SKIP_1) | instid1(VALU_DEP_1)
	v_frexp_exp_i32_f64_e32 v21, v[21:22]
	v_frexp_mant_f32_e32 v22, v31
	v_cmp_gt_f32_e32 vcc_lo, 0x3f2aaaab, v22
	v_add_f32_e32 v22, -1.0, v31
	s_delay_alu instid0(VALU_DEP_1) | instskip(SKIP_2) | instid1(VALU_DEP_1)
	v_sub_f32_e32 v33, v22, v31
	s_wait_alu 0xfffd
	v_subrev_co_ci_u32_e64 v21, null, 0, v21, vcc_lo
	v_sub_nc_u32_e32 v32, 0, v21
	v_cvt_f32_i32_e32 v21, v21
	s_delay_alu instid0(VALU_DEP_2) | instskip(NEXT) | instid1(VALU_DEP_1)
	v_ldexp_f32 v31, v31, v32
	v_add_f32_e32 v34, 1.0, v31
	v_dual_sub_f32 v22, v23, v22 :: v_dual_add_f32 v33, 1.0, v33
	v_cmp_neq_f32_e32 vcc_lo, 0x7f800000, v23
	s_delay_alu instid0(VALU_DEP_2) | instskip(NEXT) | instid1(VALU_DEP_1)
	v_dual_add_f32 v22, v22, v33 :: v_dual_add_f32 v33, -1.0, v34
	v_ldexp_f32 v22, v22, v32
	s_delay_alu instid0(VALU_DEP_2) | instskip(NEXT) | instid1(VALU_DEP_1)
	v_dual_sub_f32 v33, v31, v33 :: v_dual_add_f32 v32, -1.0, v31
	v_add_f32_e32 v33, v22, v33
	s_delay_alu instid0(VALU_DEP_2) | instskip(NEXT) | instid1(VALU_DEP_1)
	v_add_f32_e32 v35, 1.0, v32
	v_sub_f32_e32 v31, v31, v35
	s_delay_alu instid0(VALU_DEP_1) | instskip(NEXT) | instid1(VALU_DEP_1)
	v_add_f32_e32 v22, v22, v31
	v_dual_add_f32 v36, v32, v22 :: v_dual_add_f32 v35, v34, v33
	s_delay_alu instid0(VALU_DEP_1) | instskip(NEXT) | instid1(VALU_DEP_2)
	v_sub_f32_e32 v32, v32, v36
	v_rcp_f32_e32 v31, v35
	v_sub_f32_e32 v34, v34, v35
	s_delay_alu instid0(VALU_DEP_1) | instskip(NEXT) | instid1(TRANS32_DEP_1)
	v_dual_add_f32 v22, v22, v32 :: v_dual_add_f32 v33, v33, v34
	v_mul_f32_e32 v37, v36, v31
	s_delay_alu instid0(VALU_DEP_1) | instskip(NEXT) | instid1(VALU_DEP_1)
	v_mul_f32_e32 v38, v35, v37
	v_fma_f32 v34, v37, v35, -v38
	s_delay_alu instid0(VALU_DEP_1) | instskip(NEXT) | instid1(VALU_DEP_1)
	v_fmac_f32_e32 v34, v37, v33
	v_add_f32_e32 v39, v38, v34
	s_delay_alu instid0(VALU_DEP_1) | instskip(NEXT) | instid1(VALU_DEP_1)
	v_sub_f32_e32 v40, v36, v39
	v_sub_f32_e32 v36, v36, v40
	;; [unrolled: 1-line block ×3, first 2 shown]
	s_delay_alu instid0(VALU_DEP_2) | instskip(NEXT) | instid1(VALU_DEP_2)
	v_sub_f32_e32 v36, v36, v39
	v_sub_f32_e32 v32, v32, v34
	s_delay_alu instid0(VALU_DEP_2) | instskip(NEXT) | instid1(VALU_DEP_1)
	v_add_f32_e32 v22, v22, v36
	v_add_f32_e32 v22, v32, v22
	s_delay_alu instid0(VALU_DEP_1) | instskip(NEXT) | instid1(VALU_DEP_1)
	v_add_f32_e32 v32, v40, v22
	v_mul_f32_e32 v34, v31, v32
	s_delay_alu instid0(VALU_DEP_1) | instskip(NEXT) | instid1(VALU_DEP_1)
	v_dual_sub_f32 v39, v40, v32 :: v_dual_mul_f32 v36, v35, v34
	v_add_f32_e32 v22, v22, v39
	s_delay_alu instid0(VALU_DEP_2) | instskip(NEXT) | instid1(VALU_DEP_1)
	v_fma_f32 v35, v34, v35, -v36
	v_fmac_f32_e32 v35, v34, v33
	s_delay_alu instid0(VALU_DEP_1) | instskip(NEXT) | instid1(VALU_DEP_1)
	v_add_f32_e32 v33, v36, v35
	v_sub_f32_e32 v38, v32, v33
	v_sub_f32_e32 v36, v33, v36
	s_delay_alu instid0(VALU_DEP_2) | instskip(NEXT) | instid1(VALU_DEP_1)
	v_sub_f32_e32 v32, v32, v38
	v_sub_f32_e32 v32, v32, v33
	s_delay_alu instid0(VALU_DEP_1) | instskip(SKIP_1) | instid1(VALU_DEP_1)
	v_dual_sub_f32 v33, v36, v35 :: v_dual_add_f32 v22, v22, v32
	v_add_f32_e32 v32, v37, v34
	v_dual_add_f32 v22, v33, v22 :: v_dual_sub_f32 v33, v32, v37
	s_delay_alu instid0(VALU_DEP_1) | instskip(NEXT) | instid1(VALU_DEP_1)
	v_add_f32_e32 v22, v38, v22
	v_dual_sub_f32 v33, v34, v33 :: v_dual_mul_f32 v22, v31, v22
	s_delay_alu instid0(VALU_DEP_1) | instskip(NEXT) | instid1(VALU_DEP_1)
	v_add_f32_e32 v22, v33, v22
	v_add_f32_e32 v31, v32, v22
	s_delay_alu instid0(VALU_DEP_1) | instskip(SKIP_1) | instid1(VALU_DEP_1)
	v_mul_f32_e32 v33, v31, v31
	s_wait_alu 0xfffe
	v_fmaak_f32 v34, s4, v33, 0x3ecc95a3
	v_mul_f32_e32 v35, v31, v33
	s_delay_alu instid0(VALU_DEP_2) | instskip(SKIP_2) | instid1(VALU_DEP_3)
	v_fmaak_f32 v33, v33, v34, 0x3f2aaada
	v_ldexp_f32 v34, v31, 1
	v_sub_f32_e32 v31, v31, v32
	v_mul_f32_e32 v33, v35, v33
	s_delay_alu instid0(VALU_DEP_2) | instskip(NEXT) | instid1(VALU_DEP_2)
	v_dual_mul_f32 v35, 0x3f317218, v21 :: v_dual_sub_f32 v22, v22, v31
	v_add_f32_e32 v32, v34, v33
	s_delay_alu instid0(VALU_DEP_2) | instskip(NEXT) | instid1(VALU_DEP_2)
	v_ldexp_f32 v22, v22, 1
	v_sub_f32_e32 v31, v32, v34
	s_delay_alu instid0(VALU_DEP_4) | instskip(NEXT) | instid1(VALU_DEP_2)
	v_fma_f32 v34, 0x3f317218, v21, -v35
	v_sub_f32_e32 v31, v33, v31
	s_delay_alu instid0(VALU_DEP_1) | instskip(NEXT) | instid1(VALU_DEP_1)
	v_dual_fmamk_f32 v21, v21, 0xb102e308, v34 :: v_dual_add_f32 v22, v22, v31
	v_add_f32_e32 v31, v35, v21
	s_delay_alu instid0(VALU_DEP_2) | instskip(NEXT) | instid1(VALU_DEP_2)
	v_add_f32_e32 v33, v32, v22
	v_sub_f32_e32 v35, v31, v35
	s_delay_alu instid0(VALU_DEP_2) | instskip(SKIP_1) | instid1(VALU_DEP_3)
	v_add_f32_e32 v34, v31, v33
	v_sub_f32_e32 v32, v33, v32
	v_sub_f32_e32 v21, v21, v35
	s_delay_alu instid0(VALU_DEP_3) | instskip(NEXT) | instid1(VALU_DEP_3)
	v_sub_f32_e32 v36, v34, v31
	v_sub_f32_e32 v22, v22, v32
	s_delay_alu instid0(VALU_DEP_2) | instskip(SKIP_1) | instid1(VALU_DEP_3)
	v_sub_f32_e32 v37, v34, v36
	v_sub_f32_e32 v32, v33, v36
	v_add_f32_e32 v33, v21, v22
	s_delay_alu instid0(VALU_DEP_3) | instskip(NEXT) | instid1(VALU_DEP_1)
	v_sub_f32_e32 v31, v31, v37
	v_dual_add_f32 v31, v32, v31 :: v_dual_sub_f32 v32, v33, v21
	s_delay_alu instid0(VALU_DEP_1) | instskip(NEXT) | instid1(VALU_DEP_2)
	v_add_f32_e32 v31, v33, v31
	v_sub_f32_e32 v33, v33, v32
	v_sub_f32_e32 v22, v22, v32
	s_delay_alu instid0(VALU_DEP_3) | instskip(NEXT) | instid1(VALU_DEP_1)
	v_add_f32_e32 v35, v34, v31
	v_dual_sub_f32 v21, v21, v33 :: v_dual_sub_f32 v32, v35, v34
	s_delay_alu instid0(VALU_DEP_1) | instskip(NEXT) | instid1(VALU_DEP_1)
	v_dual_add_f32 v21, v22, v21 :: v_dual_sub_f32 v22, v31, v32
	v_add_f32_e32 v21, v21, v22
	s_delay_alu instid0(VALU_DEP_1) | instskip(SKIP_1) | instid1(VALU_DEP_1)
	v_add_f32_e32 v21, v35, v21
	s_wait_alu 0xfffd
	v_cndmask_b32_e32 v21, 0x7f800000, v21, vcc_lo
	v_cmp_gt_f32_e64 vcc_lo, 0x33800000, |v23|
	s_wait_alu 0xfffd
	s_delay_alu instid0(VALU_DEP_2) | instskip(NEXT) | instid1(VALU_DEP_1)
	v_cndmask_b32_e32 v21, v21, v23, vcc_lo
	v_add_f32_e32 v10, v10, v21
	s_delay_alu instid0(VALU_DEP_1) | instskip(NEXT) | instid1(VALU_DEP_1)
	v_cvt_f16_f32_e32 v32, v10
	v_cvt_f32_f16_e32 v31, v32
	v_mov_b32_e32 v21, v32
.LBB421_189:
	s_wait_alu 0xfffe
	s_or_b32 exec_lo, exec_lo, s1
	v_max_num_f32_e32 v10, v24, v24
	v_max_num_f32_e32 v22, v31, v31
	v_cmp_u_f16_e32 vcc_lo, v32, v32
	s_delay_alu instid0(VALU_DEP_2) | instskip(SKIP_2) | instid1(VALU_DEP_2)
	v_min_num_f32_e32 v23, v22, v10
	v_max_num_f32_e32 v10, v22, v10
	s_wait_alu 0xfffd
	v_cndmask_b32_e32 v22, v23, v31, vcc_lo
	s_delay_alu instid0(VALU_DEP_2) | instskip(NEXT) | instid1(VALU_DEP_2)
	v_cndmask_b32_e32 v10, v10, v31, vcc_lo
	v_cndmask_b32_e64 v23, v22, v24, s8
	s_delay_alu instid0(VALU_DEP_2) | instskip(SKIP_1) | instid1(VALU_DEP_3)
	v_cndmask_b32_e64 v22, v10, v24, s8
	v_mov_b32_e32 v10, v21
	v_cmp_class_f32_e64 s1, v23, 0x1f8
	s_delay_alu instid0(VALU_DEP_3)
	v_cmp_neq_f32_e32 vcc_lo, v23, v22
	s_or_b32 s4, vcc_lo, s1
	s_wait_alu 0xfffe
	s_and_saveexec_b32 s1, s4
	s_cbranch_execz .LBB421_191
; %bb.190:
	v_sub_f32_e32 v10, v23, v22
	s_mov_b32 s4, 0x3e9b6dac
	s_delay_alu instid0(VALU_DEP_1) | instskip(SKIP_1) | instid1(VALU_DEP_2)
	v_mul_f32_e32 v23, 0x3fb8aa3b, v10
	v_cmp_ngt_f32_e32 vcc_lo, 0xc2ce8ed0, v10
	v_fma_f32 v24, 0x3fb8aa3b, v10, -v23
	v_rndne_f32_e32 v31, v23
	s_delay_alu instid0(VALU_DEP_1) | instskip(NEXT) | instid1(VALU_DEP_1)
	v_dual_fmamk_f32 v24, v10, 0x32a5705f, v24 :: v_dual_sub_f32 v23, v23, v31
	v_add_f32_e32 v23, v23, v24
	v_cvt_i32_f32_e32 v24, v31
	s_delay_alu instid0(VALU_DEP_2) | instskip(NEXT) | instid1(TRANS32_DEP_1)
	v_exp_f32_e32 v23, v23
	v_ldexp_f32 v23, v23, v24
	s_wait_alu 0xfffd
	s_delay_alu instid0(VALU_DEP_1) | instskip(SKIP_2) | instid1(VALU_DEP_2)
	v_cndmask_b32_e32 v23, 0, v23, vcc_lo
	v_cmp_nlt_f32_e32 vcc_lo, 0x42b17218, v10
	s_wait_alu 0xfffd
	v_cndmask_b32_e32 v10, 0x7f800000, v23, vcc_lo
	s_delay_alu instid0(VALU_DEP_1) | instskip(NEXT) | instid1(VALU_DEP_1)
	v_add_f32_e32 v31, 1.0, v10
	v_cvt_f64_f32_e32 v[23:24], v31
	s_delay_alu instid0(VALU_DEP_1) | instskip(SKIP_1) | instid1(VALU_DEP_1)
	v_frexp_exp_i32_f64_e32 v23, v[23:24]
	v_frexp_mant_f32_e32 v24, v31
	v_cmp_gt_f32_e32 vcc_lo, 0x3f2aaaab, v24
	v_add_f32_e32 v24, -1.0, v31
	s_delay_alu instid0(VALU_DEP_1) | instskip(NEXT) | instid1(VALU_DEP_1)
	v_sub_f32_e32 v33, v24, v31
	v_dual_add_f32 v33, 1.0, v33 :: v_dual_sub_f32 v24, v10, v24
	s_wait_alu 0xfffd
	v_subrev_co_ci_u32_e64 v23, null, 0, v23, vcc_lo
	v_cmp_neq_f32_e32 vcc_lo, 0x7f800000, v10
	s_delay_alu instid0(VALU_DEP_2) | instskip(SKIP_1) | instid1(VALU_DEP_2)
	v_sub_nc_u32_e32 v32, 0, v23
	v_cvt_f32_i32_e32 v23, v23
	v_ldexp_f32 v31, v31, v32
	s_delay_alu instid0(VALU_DEP_1) | instskip(NEXT) | instid1(VALU_DEP_1)
	v_add_f32_e32 v34, 1.0, v31
	v_dual_add_f32 v24, v24, v33 :: v_dual_add_f32 v33, -1.0, v34
	s_delay_alu instid0(VALU_DEP_1) | instskip(NEXT) | instid1(VALU_DEP_2)
	v_ldexp_f32 v24, v24, v32
	v_dual_add_f32 v32, -1.0, v31 :: v_dual_sub_f32 v33, v31, v33
	s_delay_alu instid0(VALU_DEP_1) | instskip(NEXT) | instid1(VALU_DEP_2)
	v_add_f32_e32 v35, 1.0, v32
	v_add_f32_e32 v33, v24, v33
	s_delay_alu instid0(VALU_DEP_2) | instskip(NEXT) | instid1(VALU_DEP_1)
	v_sub_f32_e32 v31, v31, v35
	v_add_f32_e32 v24, v24, v31
	s_delay_alu instid0(VALU_DEP_1) | instskip(NEXT) | instid1(VALU_DEP_1)
	v_dual_add_f32 v36, v32, v24 :: v_dual_add_f32 v35, v34, v33
	v_sub_f32_e32 v32, v32, v36
	s_delay_alu instid0(VALU_DEP_2) | instskip(SKIP_1) | instid1(VALU_DEP_1)
	v_rcp_f32_e32 v31, v35
	v_sub_f32_e32 v34, v34, v35
	v_dual_add_f32 v33, v33, v34 :: v_dual_add_f32 v24, v24, v32
	s_delay_alu instid0(TRANS32_DEP_1) | instskip(NEXT) | instid1(VALU_DEP_1)
	v_mul_f32_e32 v37, v36, v31
	v_mul_f32_e32 v38, v35, v37
	s_delay_alu instid0(VALU_DEP_1) | instskip(NEXT) | instid1(VALU_DEP_1)
	v_fma_f32 v34, v37, v35, -v38
	v_fmac_f32_e32 v34, v37, v33
	s_delay_alu instid0(VALU_DEP_1) | instskip(NEXT) | instid1(VALU_DEP_1)
	v_add_f32_e32 v39, v38, v34
	v_sub_f32_e32 v40, v36, v39
	s_delay_alu instid0(VALU_DEP_1) | instskip(SKIP_1) | instid1(VALU_DEP_2)
	v_sub_f32_e32 v36, v36, v40
	v_sub_f32_e32 v32, v39, v38
	;; [unrolled: 1-line block ×3, first 2 shown]
	s_delay_alu instid0(VALU_DEP_2) | instskip(NEXT) | instid1(VALU_DEP_2)
	v_sub_f32_e32 v32, v32, v34
	v_add_f32_e32 v24, v24, v36
	s_delay_alu instid0(VALU_DEP_1) | instskip(NEXT) | instid1(VALU_DEP_1)
	v_add_f32_e32 v24, v32, v24
	v_add_f32_e32 v32, v40, v24
	s_delay_alu instid0(VALU_DEP_1) | instskip(NEXT) | instid1(VALU_DEP_1)
	v_mul_f32_e32 v34, v31, v32
	v_dual_sub_f32 v39, v40, v32 :: v_dual_mul_f32 v36, v35, v34
	s_delay_alu instid0(VALU_DEP_1) | instskip(NEXT) | instid1(VALU_DEP_2)
	v_add_f32_e32 v24, v24, v39
	v_fma_f32 v35, v34, v35, -v36
	s_delay_alu instid0(VALU_DEP_1) | instskip(NEXT) | instid1(VALU_DEP_1)
	v_fmac_f32_e32 v35, v34, v33
	v_add_f32_e32 v33, v36, v35
	s_delay_alu instid0(VALU_DEP_1) | instskip(SKIP_1) | instid1(VALU_DEP_2)
	v_sub_f32_e32 v38, v32, v33
	v_sub_f32_e32 v36, v33, v36
	;; [unrolled: 1-line block ×3, first 2 shown]
	s_delay_alu instid0(VALU_DEP_1) | instskip(NEXT) | instid1(VALU_DEP_3)
	v_sub_f32_e32 v32, v32, v33
	v_sub_f32_e32 v33, v36, v35
	s_delay_alu instid0(VALU_DEP_2) | instskip(SKIP_1) | instid1(VALU_DEP_1)
	v_add_f32_e32 v24, v24, v32
	v_add_f32_e32 v32, v37, v34
	v_dual_add_f32 v24, v33, v24 :: v_dual_sub_f32 v33, v32, v37
	s_delay_alu instid0(VALU_DEP_1) | instskip(NEXT) | instid1(VALU_DEP_1)
	v_add_f32_e32 v24, v38, v24
	v_dual_sub_f32 v33, v34, v33 :: v_dual_mul_f32 v24, v31, v24
	s_delay_alu instid0(VALU_DEP_1) | instskip(NEXT) | instid1(VALU_DEP_1)
	v_add_f32_e32 v24, v33, v24
	v_add_f32_e32 v31, v32, v24
	s_delay_alu instid0(VALU_DEP_1) | instskip(SKIP_1) | instid1(VALU_DEP_1)
	v_mul_f32_e32 v33, v31, v31
	s_wait_alu 0xfffe
	v_fmaak_f32 v34, s4, v33, 0x3ecc95a3
	v_mul_f32_e32 v35, v31, v33
	s_delay_alu instid0(VALU_DEP_2) | instskip(SKIP_2) | instid1(VALU_DEP_3)
	v_fmaak_f32 v33, v33, v34, 0x3f2aaada
	v_ldexp_f32 v34, v31, 1
	v_sub_f32_e32 v31, v31, v32
	v_mul_f32_e32 v33, v35, v33
	v_mul_f32_e32 v35, 0x3f317218, v23
	s_delay_alu instid0(VALU_DEP_3) | instskip(NEXT) | instid1(VALU_DEP_3)
	v_sub_f32_e32 v24, v24, v31
	v_add_f32_e32 v32, v34, v33
	s_delay_alu instid0(VALU_DEP_2) | instskip(NEXT) | instid1(VALU_DEP_2)
	v_ldexp_f32 v24, v24, 1
	v_sub_f32_e32 v31, v32, v34
	v_fma_f32 v34, 0x3f317218, v23, -v35
	s_delay_alu instid0(VALU_DEP_2) | instskip(NEXT) | instid1(VALU_DEP_1)
	v_sub_f32_e32 v31, v33, v31
	v_dual_fmamk_f32 v23, v23, 0xb102e308, v34 :: v_dual_add_f32 v24, v24, v31
	s_delay_alu instid0(VALU_DEP_1) | instskip(NEXT) | instid1(VALU_DEP_2)
	v_add_f32_e32 v31, v35, v23
	v_add_f32_e32 v33, v32, v24
	s_delay_alu instid0(VALU_DEP_2) | instskip(NEXT) | instid1(VALU_DEP_2)
	v_sub_f32_e32 v35, v31, v35
	v_add_f32_e32 v34, v31, v33
	s_delay_alu instid0(VALU_DEP_2) | instskip(NEXT) | instid1(VALU_DEP_2)
	v_sub_f32_e32 v23, v23, v35
	v_sub_f32_e32 v36, v34, v31
	;; [unrolled: 1-line block ×3, first 2 shown]
	s_delay_alu instid0(VALU_DEP_2) | instskip(NEXT) | instid1(VALU_DEP_2)
	v_sub_f32_e32 v37, v34, v36
	v_sub_f32_e32 v24, v24, v32
	s_delay_alu instid0(VALU_DEP_2) | instskip(NEXT) | instid1(VALU_DEP_2)
	v_dual_sub_f32 v32, v33, v36 :: v_dual_sub_f32 v31, v31, v37
	v_add_f32_e32 v33, v23, v24
	s_delay_alu instid0(VALU_DEP_2) | instskip(NEXT) | instid1(VALU_DEP_2)
	v_add_f32_e32 v31, v32, v31
	v_sub_f32_e32 v32, v33, v23
	s_delay_alu instid0(VALU_DEP_2) | instskip(NEXT) | instid1(VALU_DEP_2)
	v_add_f32_e32 v31, v33, v31
	v_sub_f32_e32 v33, v33, v32
	s_delay_alu instid0(VALU_DEP_2) | instskip(NEXT) | instid1(VALU_DEP_2)
	v_add_f32_e32 v35, v34, v31
	v_dual_sub_f32 v23, v23, v33 :: v_dual_sub_f32 v24, v24, v32
	s_delay_alu instid0(VALU_DEP_1) | instskip(NEXT) | instid1(VALU_DEP_1)
	v_dual_sub_f32 v32, v35, v34 :: v_dual_add_f32 v23, v24, v23
	v_sub_f32_e32 v24, v31, v32
	s_delay_alu instid0(VALU_DEP_1) | instskip(NEXT) | instid1(VALU_DEP_1)
	v_add_f32_e32 v23, v23, v24
	v_add_f32_e32 v23, v35, v23
	s_wait_alu 0xfffd
	s_delay_alu instid0(VALU_DEP_1) | instskip(SKIP_2) | instid1(VALU_DEP_2)
	v_cndmask_b32_e32 v23, 0x7f800000, v23, vcc_lo
	v_cmp_gt_f32_e64 vcc_lo, 0x33800000, |v10|
	s_wait_alu 0xfffd
	v_cndmask_b32_e32 v10, v23, v10, vcc_lo
	s_delay_alu instid0(VALU_DEP_1) | instskip(NEXT) | instid1(VALU_DEP_1)
	v_add_f32_e32 v10, v22, v10
	v_cvt_f16_f32_e32 v32, v10
	s_delay_alu instid0(VALU_DEP_1)
	v_cvt_f32_f16_e32 v31, v32
	v_mov_b32_e32 v10, v32
.LBB421_191:
	s_wait_alu 0xfffe
	s_or_b32 exec_lo, exec_lo, s1
	s_delay_alu instid0(VALU_DEP_2) | instskip(SKIP_1) | instid1(VALU_DEP_2)
	v_dual_max_num_f32 v22, v25, v25 :: v_dual_max_num_f32 v23, v31, v31
	v_cmp_u_f16_e32 vcc_lo, v32, v32
	v_min_num_f32_e32 v24, v23, v22
	s_wait_alu 0xfffd
	s_delay_alu instid0(VALU_DEP_1) | instskip(NEXT) | instid1(VALU_DEP_1)
	v_dual_max_num_f32 v22, v23, v22 :: v_dual_cndmask_b32 v23, v24, v31
	v_cndmask_b32_e32 v22, v22, v31, vcc_lo
	s_delay_alu instid0(VALU_DEP_2) | instskip(NEXT) | instid1(VALU_DEP_2)
	v_cndmask_b32_e64 v24, v23, v25, s9
	v_cndmask_b32_e64 v23, v22, v25, s9
	v_mov_b32_e32 v22, v10
	s_delay_alu instid0(VALU_DEP_3) | instskip(NEXT) | instid1(VALU_DEP_3)
	v_cmp_class_f32_e64 s1, v24, 0x1f8
	v_cmp_neq_f32_e32 vcc_lo, v24, v23
	s_or_b32 s4, vcc_lo, s1
	s_wait_alu 0xfffe
	s_and_saveexec_b32 s1, s4
	s_cbranch_execz .LBB421_193
; %bb.192:
	v_sub_f32_e32 v22, v24, v23
	s_mov_b32 s4, 0x3e9b6dac
	s_delay_alu instid0(VALU_DEP_1) | instskip(SKIP_1) | instid1(VALU_DEP_2)
	v_mul_f32_e32 v24, 0x3fb8aa3b, v22
	v_cmp_ngt_f32_e32 vcc_lo, 0xc2ce8ed0, v22
	v_fma_f32 v25, 0x3fb8aa3b, v22, -v24
	v_rndne_f32_e32 v31, v24
	s_delay_alu instid0(VALU_DEP_1) | instskip(NEXT) | instid1(VALU_DEP_1)
	v_dual_fmamk_f32 v25, v22, 0x32a5705f, v25 :: v_dual_sub_f32 v24, v24, v31
	v_add_f32_e32 v24, v24, v25
	v_cvt_i32_f32_e32 v25, v31
	s_delay_alu instid0(VALU_DEP_2) | instskip(NEXT) | instid1(TRANS32_DEP_1)
	v_exp_f32_e32 v24, v24
	v_ldexp_f32 v24, v24, v25
	s_wait_alu 0xfffd
	s_delay_alu instid0(VALU_DEP_1) | instskip(SKIP_2) | instid1(VALU_DEP_2)
	v_cndmask_b32_e32 v24, 0, v24, vcc_lo
	v_cmp_nlt_f32_e32 vcc_lo, 0x42b17218, v22
	s_wait_alu 0xfffd
	v_cndmask_b32_e32 v22, 0x7f800000, v24, vcc_lo
	s_delay_alu instid0(VALU_DEP_1) | instskip(NEXT) | instid1(VALU_DEP_1)
	v_add_f32_e32 v31, 1.0, v22
	v_cvt_f64_f32_e32 v[24:25], v31
	s_delay_alu instid0(VALU_DEP_1) | instskip(SKIP_1) | instid1(VALU_DEP_1)
	v_frexp_exp_i32_f64_e32 v24, v[24:25]
	v_frexp_mant_f32_e32 v25, v31
	v_cmp_gt_f32_e32 vcc_lo, 0x3f2aaaab, v25
	v_add_f32_e32 v25, -1.0, v31
	s_delay_alu instid0(VALU_DEP_1) | instskip(NEXT) | instid1(VALU_DEP_1)
	v_sub_f32_e32 v33, v25, v31
	v_add_f32_e32 v33, 1.0, v33
	s_wait_alu 0xfffd
	v_subrev_co_ci_u32_e64 v24, null, 0, v24, vcc_lo
	s_delay_alu instid0(VALU_DEP_1) | instskip(SKIP_1) | instid1(VALU_DEP_2)
	v_sub_nc_u32_e32 v32, 0, v24
	v_cvt_f32_i32_e32 v24, v24
	v_ldexp_f32 v31, v31, v32
	s_delay_alu instid0(VALU_DEP_1) | instskip(NEXT) | instid1(VALU_DEP_1)
	v_dual_sub_f32 v25, v22, v25 :: v_dual_add_f32 v34, 1.0, v31
	v_add_f32_e32 v25, v25, v33
	v_cmp_neq_f32_e32 vcc_lo, 0x7f800000, v22
	s_delay_alu instid0(VALU_DEP_3) | instskip(NEXT) | instid1(VALU_DEP_3)
	v_add_f32_e32 v33, -1.0, v34
	v_ldexp_f32 v25, v25, v32
	s_delay_alu instid0(VALU_DEP_2) | instskip(NEXT) | instid1(VALU_DEP_1)
	v_dual_add_f32 v32, -1.0, v31 :: v_dual_sub_f32 v33, v31, v33
	v_add_f32_e32 v35, 1.0, v32
	s_delay_alu instid0(VALU_DEP_2) | instskip(NEXT) | instid1(VALU_DEP_2)
	v_add_f32_e32 v33, v25, v33
	v_sub_f32_e32 v31, v31, v35
	s_delay_alu instid0(VALU_DEP_1) | instskip(NEXT) | instid1(VALU_DEP_1)
	v_add_f32_e32 v25, v25, v31
	v_add_f32_e32 v36, v32, v25
	s_delay_alu instid0(VALU_DEP_1) | instskip(NEXT) | instid1(VALU_DEP_1)
	v_dual_add_f32 v35, v34, v33 :: v_dual_sub_f32 v32, v32, v36
	v_rcp_f32_e32 v31, v35
	v_sub_f32_e32 v34, v34, v35
	s_delay_alu instid0(VALU_DEP_1) | instskip(NEXT) | instid1(TRANS32_DEP_1)
	v_add_f32_e32 v33, v33, v34
	v_mul_f32_e32 v37, v36, v31
	s_delay_alu instid0(VALU_DEP_1) | instskip(NEXT) | instid1(VALU_DEP_1)
	v_mul_f32_e32 v38, v35, v37
	v_fma_f32 v34, v37, v35, -v38
	s_delay_alu instid0(VALU_DEP_1) | instskip(NEXT) | instid1(VALU_DEP_1)
	v_fmac_f32_e32 v34, v37, v33
	v_add_f32_e32 v39, v38, v34
	s_delay_alu instid0(VALU_DEP_1) | instskip(NEXT) | instid1(VALU_DEP_1)
	v_sub_f32_e32 v40, v36, v39
	v_sub_f32_e32 v36, v36, v40
	v_dual_add_f32 v25, v25, v32 :: v_dual_sub_f32 v32, v39, v38
	s_delay_alu instid0(VALU_DEP_2) | instskip(NEXT) | instid1(VALU_DEP_1)
	v_sub_f32_e32 v36, v36, v39
	v_dual_sub_f32 v32, v32, v34 :: v_dual_add_f32 v25, v25, v36
	s_delay_alu instid0(VALU_DEP_1) | instskip(NEXT) | instid1(VALU_DEP_1)
	v_add_f32_e32 v25, v32, v25
	v_add_f32_e32 v32, v40, v25
	s_delay_alu instid0(VALU_DEP_1) | instskip(NEXT) | instid1(VALU_DEP_1)
	v_mul_f32_e32 v34, v31, v32
	v_dual_sub_f32 v39, v40, v32 :: v_dual_mul_f32 v36, v35, v34
	s_delay_alu instid0(VALU_DEP_1) | instskip(NEXT) | instid1(VALU_DEP_2)
	v_add_f32_e32 v25, v25, v39
	v_fma_f32 v35, v34, v35, -v36
	s_delay_alu instid0(VALU_DEP_1) | instskip(NEXT) | instid1(VALU_DEP_1)
	v_fmac_f32_e32 v35, v34, v33
	v_add_f32_e32 v33, v36, v35
	s_delay_alu instid0(VALU_DEP_1) | instskip(NEXT) | instid1(VALU_DEP_1)
	v_sub_f32_e32 v38, v32, v33
	v_sub_f32_e32 v32, v32, v38
	s_delay_alu instid0(VALU_DEP_1) | instskip(NEXT) | instid1(VALU_DEP_1)
	v_sub_f32_e32 v32, v32, v33
	v_add_f32_e32 v25, v25, v32
	v_add_f32_e32 v32, v37, v34
	v_sub_f32_e32 v36, v33, v36
	s_delay_alu instid0(VALU_DEP_1) | instskip(NEXT) | instid1(VALU_DEP_1)
	v_sub_f32_e32 v33, v36, v35
	v_add_f32_e32 v25, v33, v25
	s_delay_alu instid0(VALU_DEP_4) | instskip(NEXT) | instid1(VALU_DEP_2)
	v_sub_f32_e32 v33, v32, v37
	v_add_f32_e32 v25, v38, v25
	s_delay_alu instid0(VALU_DEP_2) | instskip(NEXT) | instid1(VALU_DEP_2)
	v_sub_f32_e32 v33, v34, v33
	v_mul_f32_e32 v25, v31, v25
	s_delay_alu instid0(VALU_DEP_1) | instskip(NEXT) | instid1(VALU_DEP_1)
	v_add_f32_e32 v25, v33, v25
	v_add_f32_e32 v31, v32, v25
	s_delay_alu instid0(VALU_DEP_1) | instskip(SKIP_1) | instid1(VALU_DEP_1)
	v_mul_f32_e32 v33, v31, v31
	s_wait_alu 0xfffe
	v_fmaak_f32 v34, s4, v33, 0x3ecc95a3
	v_mul_f32_e32 v35, v31, v33
	s_delay_alu instid0(VALU_DEP_2) | instskip(SKIP_2) | instid1(VALU_DEP_3)
	v_fmaak_f32 v33, v33, v34, 0x3f2aaada
	v_ldexp_f32 v34, v31, 1
	v_sub_f32_e32 v31, v31, v32
	v_mul_f32_e32 v33, v35, v33
	s_delay_alu instid0(VALU_DEP_1) | instskip(NEXT) | instid1(VALU_DEP_1)
	v_dual_sub_f32 v25, v25, v31 :: v_dual_add_f32 v32, v34, v33
	v_ldexp_f32 v25, v25, 1
	s_delay_alu instid0(VALU_DEP_2) | instskip(NEXT) | instid1(VALU_DEP_1)
	v_sub_f32_e32 v31, v32, v34
	v_sub_f32_e32 v31, v33, v31
	s_delay_alu instid0(VALU_DEP_1) | instskip(NEXT) | instid1(VALU_DEP_1)
	v_add_f32_e32 v25, v25, v31
	v_add_f32_e32 v33, v32, v25
	v_mul_f32_e32 v35, 0x3f317218, v24
	s_delay_alu instid0(VALU_DEP_2) | instskip(NEXT) | instid1(VALU_DEP_2)
	v_sub_f32_e32 v32, v33, v32
	v_fma_f32 v34, 0x3f317218, v24, -v35
	s_delay_alu instid0(VALU_DEP_1) | instskip(NEXT) | instid1(VALU_DEP_1)
	v_dual_sub_f32 v25, v25, v32 :: v_dual_fmamk_f32 v24, v24, 0xb102e308, v34
	v_add_f32_e32 v31, v35, v24
	s_delay_alu instid0(VALU_DEP_1) | instskip(SKIP_1) | instid1(VALU_DEP_2)
	v_add_f32_e32 v34, v31, v33
	v_sub_f32_e32 v35, v31, v35
	v_sub_f32_e32 v36, v34, v31
	s_delay_alu instid0(VALU_DEP_1) | instskip(NEXT) | instid1(VALU_DEP_1)
	v_dual_sub_f32 v24, v24, v35 :: v_dual_sub_f32 v37, v34, v36
	v_dual_sub_f32 v32, v33, v36 :: v_dual_add_f32 v33, v24, v25
	s_delay_alu instid0(VALU_DEP_2) | instskip(NEXT) | instid1(VALU_DEP_1)
	v_sub_f32_e32 v31, v31, v37
	v_dual_add_f32 v31, v32, v31 :: v_dual_sub_f32 v32, v33, v24
	s_delay_alu instid0(VALU_DEP_1) | instskip(NEXT) | instid1(VALU_DEP_2)
	v_add_f32_e32 v31, v33, v31
	v_sub_f32_e32 v33, v33, v32
	v_sub_f32_e32 v25, v25, v32
	s_delay_alu instid0(VALU_DEP_2) | instskip(NEXT) | instid1(VALU_DEP_1)
	v_dual_add_f32 v35, v34, v31 :: v_dual_sub_f32 v24, v24, v33
	v_sub_f32_e32 v32, v35, v34
	s_delay_alu instid0(VALU_DEP_2) | instskip(NEXT) | instid1(VALU_DEP_2)
	v_add_f32_e32 v24, v25, v24
	v_sub_f32_e32 v25, v31, v32
	s_delay_alu instid0(VALU_DEP_1) | instskip(NEXT) | instid1(VALU_DEP_1)
	v_add_f32_e32 v24, v24, v25
	v_add_f32_e32 v24, v35, v24
	s_wait_alu 0xfffd
	s_delay_alu instid0(VALU_DEP_1) | instskip(SKIP_2) | instid1(VALU_DEP_2)
	v_cndmask_b32_e32 v24, 0x7f800000, v24, vcc_lo
	v_cmp_gt_f32_e64 vcc_lo, 0x33800000, |v22|
	s_wait_alu 0xfffd
	v_cndmask_b32_e32 v22, v24, v22, vcc_lo
	s_delay_alu instid0(VALU_DEP_1) | instskip(NEXT) | instid1(VALU_DEP_1)
	v_add_f32_e32 v22, v23, v22
	v_cvt_f16_f32_e32 v32, v22
	s_delay_alu instid0(VALU_DEP_1)
	v_cvt_f32_f16_e32 v31, v32
	v_mov_b32_e32 v22, v32
.LBB421_193:
	s_wait_alu 0xfffe
	s_or_b32 exec_lo, exec_lo, s1
	s_delay_alu instid0(VALU_DEP_2) | instskip(SKIP_1) | instid1(VALU_DEP_2)
	v_dual_max_num_f32 v23, v26, v26 :: v_dual_max_num_f32 v24, v31, v31
	v_cmp_u_f16_e32 vcc_lo, v32, v32
	v_min_num_f32_e32 v25, v24, v23
	v_max_num_f32_e32 v23, v24, v23
	s_wait_alu 0xfffd
	s_delay_alu instid0(VALU_DEP_2) | instskip(NEXT) | instid1(VALU_DEP_2)
	v_cndmask_b32_e32 v24, v25, v31, vcc_lo
	v_cndmask_b32_e32 v23, v23, v31, vcc_lo
	s_delay_alu instid0(VALU_DEP_2) | instskip(NEXT) | instid1(VALU_DEP_2)
	v_cndmask_b32_e64 v25, v24, v26, s10
	v_cndmask_b32_e64 v24, v23, v26, s10
	v_mov_b32_e32 v23, v22
	s_delay_alu instid0(VALU_DEP_3) | instskip(NEXT) | instid1(VALU_DEP_3)
	v_cmp_class_f32_e64 s1, v25, 0x1f8
	v_cmp_neq_f32_e32 vcc_lo, v25, v24
	s_or_b32 s4, vcc_lo, s1
	s_wait_alu 0xfffe
	s_and_saveexec_b32 s1, s4
	s_cbranch_execz .LBB421_195
; %bb.194:
	v_sub_f32_e32 v23, v25, v24
	s_mov_b32 s4, 0x3e9b6dac
	s_delay_alu instid0(VALU_DEP_1) | instskip(SKIP_1) | instid1(VALU_DEP_2)
	v_mul_f32_e32 v25, 0x3fb8aa3b, v23
	v_cmp_ngt_f32_e32 vcc_lo, 0xc2ce8ed0, v23
	v_fma_f32 v26, 0x3fb8aa3b, v23, -v25
	v_rndne_f32_e32 v31, v25
	s_delay_alu instid0(VALU_DEP_1) | instskip(NEXT) | instid1(VALU_DEP_1)
	v_dual_fmamk_f32 v26, v23, 0x32a5705f, v26 :: v_dual_sub_f32 v25, v25, v31
	v_add_f32_e32 v25, v25, v26
	v_cvt_i32_f32_e32 v26, v31
	s_delay_alu instid0(VALU_DEP_2) | instskip(NEXT) | instid1(TRANS32_DEP_1)
	v_exp_f32_e32 v25, v25
	v_ldexp_f32 v25, v25, v26
	s_wait_alu 0xfffd
	s_delay_alu instid0(VALU_DEP_1) | instskip(SKIP_2) | instid1(VALU_DEP_2)
	v_cndmask_b32_e32 v25, 0, v25, vcc_lo
	v_cmp_nlt_f32_e32 vcc_lo, 0x42b17218, v23
	s_wait_alu 0xfffd
	v_cndmask_b32_e32 v23, 0x7f800000, v25, vcc_lo
	s_delay_alu instid0(VALU_DEP_1) | instskip(NEXT) | instid1(VALU_DEP_1)
	v_add_f32_e32 v31, 1.0, v23
	v_cvt_f64_f32_e32 v[25:26], v31
	s_delay_alu instid0(VALU_DEP_1) | instskip(SKIP_1) | instid1(VALU_DEP_1)
	v_frexp_exp_i32_f64_e32 v25, v[25:26]
	v_frexp_mant_f32_e32 v26, v31
	v_cmp_gt_f32_e32 vcc_lo, 0x3f2aaaab, v26
	v_add_f32_e32 v26, -1.0, v31
	s_delay_alu instid0(VALU_DEP_1) | instskip(NEXT) | instid1(VALU_DEP_1)
	v_dual_sub_f32 v33, v26, v31 :: v_dual_sub_f32 v26, v23, v26
	v_add_f32_e32 v33, 1.0, v33
	s_delay_alu instid0(VALU_DEP_1) | instskip(SKIP_2) | instid1(VALU_DEP_1)
	v_add_f32_e32 v26, v26, v33
	s_wait_alu 0xfffd
	v_subrev_co_ci_u32_e64 v25, null, 0, v25, vcc_lo
	v_sub_nc_u32_e32 v32, 0, v25
	v_cvt_f32_i32_e32 v25, v25
	s_delay_alu instid0(VALU_DEP_2) | instskip(SKIP_1) | instid1(VALU_DEP_2)
	v_ldexp_f32 v31, v31, v32
	v_ldexp_f32 v26, v26, v32
	v_add_f32_e32 v34, 1.0, v31
	s_delay_alu instid0(VALU_DEP_1) | instskip(NEXT) | instid1(VALU_DEP_1)
	v_dual_add_f32 v32, -1.0, v31 :: v_dual_add_f32 v33, -1.0, v34
	v_add_f32_e32 v35, 1.0, v32
	s_delay_alu instid0(VALU_DEP_2) | instskip(NEXT) | instid1(VALU_DEP_2)
	v_sub_f32_e32 v33, v31, v33
	v_sub_f32_e32 v31, v31, v35
	s_delay_alu instid0(VALU_DEP_2) | instskip(NEXT) | instid1(VALU_DEP_2)
	v_add_f32_e32 v33, v26, v33
	v_add_f32_e32 v26, v26, v31
	v_cmp_neq_f32_e32 vcc_lo, 0x7f800000, v23
	s_delay_alu instid0(VALU_DEP_2) | instskip(NEXT) | instid1(VALU_DEP_1)
	v_add_f32_e32 v36, v32, v26
	v_dual_sub_f32 v32, v32, v36 :: v_dual_add_f32 v35, v34, v33
	s_delay_alu instid0(VALU_DEP_1) | instskip(NEXT) | instid1(VALU_DEP_2)
	v_add_f32_e32 v26, v26, v32
	v_rcp_f32_e32 v31, v35
	v_sub_f32_e32 v34, v34, v35
	s_delay_alu instid0(VALU_DEP_1) | instskip(NEXT) | instid1(TRANS32_DEP_1)
	v_add_f32_e32 v33, v33, v34
	v_mul_f32_e32 v37, v36, v31
	s_delay_alu instid0(VALU_DEP_1) | instskip(NEXT) | instid1(VALU_DEP_1)
	v_mul_f32_e32 v38, v35, v37
	v_fma_f32 v34, v37, v35, -v38
	s_delay_alu instid0(VALU_DEP_1) | instskip(NEXT) | instid1(VALU_DEP_1)
	v_fmac_f32_e32 v34, v37, v33
	v_add_f32_e32 v39, v38, v34
	s_delay_alu instid0(VALU_DEP_1) | instskip(SKIP_1) | instid1(VALU_DEP_2)
	v_sub_f32_e32 v40, v36, v39
	v_sub_f32_e32 v32, v39, v38
	;; [unrolled: 1-line block ×3, first 2 shown]
	s_delay_alu instid0(VALU_DEP_1) | instskip(NEXT) | instid1(VALU_DEP_3)
	v_sub_f32_e32 v36, v36, v39
	v_sub_f32_e32 v32, v32, v34
	s_delay_alu instid0(VALU_DEP_2) | instskip(NEXT) | instid1(VALU_DEP_1)
	v_add_f32_e32 v26, v26, v36
	v_add_f32_e32 v26, v32, v26
	s_delay_alu instid0(VALU_DEP_1) | instskip(NEXT) | instid1(VALU_DEP_1)
	v_add_f32_e32 v32, v40, v26
	v_mul_f32_e32 v34, v31, v32
	s_delay_alu instid0(VALU_DEP_1) | instskip(NEXT) | instid1(VALU_DEP_1)
	v_dual_sub_f32 v39, v40, v32 :: v_dual_mul_f32 v36, v35, v34
	v_add_f32_e32 v26, v26, v39
	s_delay_alu instid0(VALU_DEP_2) | instskip(NEXT) | instid1(VALU_DEP_1)
	v_fma_f32 v35, v34, v35, -v36
	v_fmac_f32_e32 v35, v34, v33
	s_delay_alu instid0(VALU_DEP_1) | instskip(NEXT) | instid1(VALU_DEP_1)
	v_add_f32_e32 v33, v36, v35
	v_sub_f32_e32 v38, v32, v33
	s_delay_alu instid0(VALU_DEP_1) | instskip(NEXT) | instid1(VALU_DEP_1)
	v_sub_f32_e32 v32, v32, v38
	v_sub_f32_e32 v32, v32, v33
	s_delay_alu instid0(VALU_DEP_1) | instskip(SKIP_2) | instid1(VALU_DEP_1)
	v_add_f32_e32 v26, v26, v32
	v_add_f32_e32 v32, v37, v34
	v_sub_f32_e32 v36, v33, v36
	v_sub_f32_e32 v33, v36, v35
	s_delay_alu instid0(VALU_DEP_1) | instskip(NEXT) | instid1(VALU_DEP_1)
	v_dual_add_f32 v26, v33, v26 :: v_dual_sub_f32 v33, v32, v37
	v_add_f32_e32 v26, v38, v26
	s_delay_alu instid0(VALU_DEP_1) | instskip(NEXT) | instid1(VALU_DEP_1)
	v_dual_sub_f32 v33, v34, v33 :: v_dual_mul_f32 v26, v31, v26
	v_add_f32_e32 v26, v33, v26
	s_delay_alu instid0(VALU_DEP_1) | instskip(NEXT) | instid1(VALU_DEP_1)
	v_add_f32_e32 v31, v32, v26
	v_mul_f32_e32 v33, v31, v31
	s_wait_alu 0xfffe
	s_delay_alu instid0(VALU_DEP_1) | instskip(SKIP_1) | instid1(VALU_DEP_2)
	v_fmaak_f32 v34, s4, v33, 0x3ecc95a3
	v_mul_f32_e32 v35, v31, v33
	v_fmaak_f32 v33, v33, v34, 0x3f2aaada
	v_ldexp_f32 v34, v31, 1
	s_delay_alu instid0(VALU_DEP_2) | instskip(SKIP_1) | instid1(VALU_DEP_2)
	v_mul_f32_e32 v33, v35, v33
	v_mul_f32_e32 v35, 0x3f317218, v25
	v_dual_sub_f32 v31, v31, v32 :: v_dual_add_f32 v32, v34, v33
	s_delay_alu instid0(VALU_DEP_1) | instskip(NEXT) | instid1(VALU_DEP_3)
	v_dual_sub_f32 v26, v26, v31 :: v_dual_sub_f32 v31, v32, v34
	v_fma_f32 v34, 0x3f317218, v25, -v35
	s_delay_alu instid0(VALU_DEP_2) | instskip(NEXT) | instid1(VALU_DEP_3)
	v_ldexp_f32 v26, v26, 1
	v_sub_f32_e32 v31, v33, v31
	s_delay_alu instid0(VALU_DEP_1) | instskip(NEXT) | instid1(VALU_DEP_1)
	v_dual_fmamk_f32 v25, v25, 0xb102e308, v34 :: v_dual_add_f32 v26, v26, v31
	v_add_f32_e32 v31, v35, v25
	s_delay_alu instid0(VALU_DEP_1) | instskip(NEXT) | instid1(VALU_DEP_3)
	v_sub_f32_e32 v35, v31, v35
	v_add_f32_e32 v33, v32, v26
	s_delay_alu instid0(VALU_DEP_1) | instskip(SKIP_1) | instid1(VALU_DEP_2)
	v_dual_sub_f32 v25, v25, v35 :: v_dual_add_f32 v34, v31, v33
	v_sub_f32_e32 v32, v33, v32
	v_sub_f32_e32 v36, v34, v31
	s_delay_alu instid0(VALU_DEP_1) | instskip(NEXT) | instid1(VALU_DEP_1)
	v_sub_f32_e32 v37, v34, v36
	v_dual_sub_f32 v31, v31, v37 :: v_dual_sub_f32 v26, v26, v32
	v_sub_f32_e32 v32, v33, v36
	s_delay_alu instid0(VALU_DEP_1) | instskip(NEXT) | instid1(VALU_DEP_3)
	v_add_f32_e32 v31, v32, v31
	v_add_f32_e32 v33, v25, v26
	s_delay_alu instid0(VALU_DEP_1) | instskip(NEXT) | instid1(VALU_DEP_1)
	v_sub_f32_e32 v32, v33, v25
	v_dual_add_f32 v31, v33, v31 :: v_dual_sub_f32 v26, v26, v32
	s_delay_alu instid0(VALU_DEP_1) | instskip(NEXT) | instid1(VALU_DEP_1)
	v_add_f32_e32 v35, v34, v31
	v_dual_sub_f32 v33, v33, v32 :: v_dual_sub_f32 v32, v35, v34
	s_delay_alu instid0(VALU_DEP_1) | instskip(NEXT) | instid1(VALU_DEP_1)
	v_sub_f32_e32 v25, v25, v33
	v_dual_add_f32 v25, v26, v25 :: v_dual_sub_f32 v26, v31, v32
	s_delay_alu instid0(VALU_DEP_1) | instskip(NEXT) | instid1(VALU_DEP_1)
	v_add_f32_e32 v25, v25, v26
	v_add_f32_e32 v25, v35, v25
	s_wait_alu 0xfffd
	s_delay_alu instid0(VALU_DEP_1) | instskip(SKIP_2) | instid1(VALU_DEP_2)
	v_cndmask_b32_e32 v25, 0x7f800000, v25, vcc_lo
	v_cmp_gt_f32_e64 vcc_lo, 0x33800000, |v23|
	s_wait_alu 0xfffd
	v_cndmask_b32_e32 v23, v25, v23, vcc_lo
	s_delay_alu instid0(VALU_DEP_1) | instskip(NEXT) | instid1(VALU_DEP_1)
	v_add_f32_e32 v23, v24, v23
	v_cvt_f16_f32_e32 v32, v23
	s_delay_alu instid0(VALU_DEP_1)
	v_cvt_f32_f16_e32 v31, v32
	v_mov_b32_e32 v23, v32
.LBB421_195:
	s_wait_alu 0xfffe
	s_or_b32 exec_lo, exec_lo, s1
	v_max_num_f32_e32 v24, v27, v27
	v_max_num_f32_e32 v25, v31, v31
	v_cmp_u_f16_e32 vcc_lo, v32, v32
	s_delay_alu instid0(VALU_DEP_2) | instskip(SKIP_1) | instid1(VALU_DEP_1)
	v_min_num_f32_e32 v26, v25, v24
	s_wait_alu 0xfffd
	v_dual_max_num_f32 v24, v25, v24 :: v_dual_cndmask_b32 v25, v26, v31
	s_delay_alu instid0(VALU_DEP_1) | instskip(NEXT) | instid1(VALU_DEP_2)
	v_cndmask_b32_e32 v24, v24, v31, vcc_lo
	v_cndmask_b32_e64 v26, v25, v27, s11
	s_delay_alu instid0(VALU_DEP_2) | instskip(SKIP_1) | instid1(VALU_DEP_3)
	v_cndmask_b32_e64 v25, v24, v27, s11
	v_mov_b32_e32 v24, v23
	v_cmp_class_f32_e64 s1, v26, 0x1f8
	s_delay_alu instid0(VALU_DEP_3)
	v_cmp_neq_f32_e32 vcc_lo, v26, v25
	s_or_b32 s4, vcc_lo, s1
	s_wait_alu 0xfffe
	s_and_saveexec_b32 s1, s4
	s_cbranch_execz .LBB421_197
; %bb.196:
	v_sub_f32_e32 v24, v26, v25
	s_mov_b32 s4, 0x3e9b6dac
	s_delay_alu instid0(VALU_DEP_1) | instskip(SKIP_1) | instid1(VALU_DEP_2)
	v_mul_f32_e32 v26, 0x3fb8aa3b, v24
	v_cmp_ngt_f32_e32 vcc_lo, 0xc2ce8ed0, v24
	v_fma_f32 v27, 0x3fb8aa3b, v24, -v26
	v_rndne_f32_e32 v31, v26
	s_delay_alu instid0(VALU_DEP_1) | instskip(NEXT) | instid1(VALU_DEP_1)
	v_dual_fmamk_f32 v27, v24, 0x32a5705f, v27 :: v_dual_sub_f32 v26, v26, v31
	v_add_f32_e32 v26, v26, v27
	v_cvt_i32_f32_e32 v27, v31
	s_delay_alu instid0(VALU_DEP_2) | instskip(NEXT) | instid1(TRANS32_DEP_1)
	v_exp_f32_e32 v26, v26
	v_ldexp_f32 v26, v26, v27
	s_wait_alu 0xfffd
	s_delay_alu instid0(VALU_DEP_1) | instskip(SKIP_2) | instid1(VALU_DEP_2)
	v_cndmask_b32_e32 v26, 0, v26, vcc_lo
	v_cmp_nlt_f32_e32 vcc_lo, 0x42b17218, v24
	s_wait_alu 0xfffd
	v_cndmask_b32_e32 v24, 0x7f800000, v26, vcc_lo
	s_delay_alu instid0(VALU_DEP_1) | instskip(NEXT) | instid1(VALU_DEP_1)
	v_add_f32_e32 v31, 1.0, v24
	v_cvt_f64_f32_e32 v[26:27], v31
	s_delay_alu instid0(VALU_DEP_1) | instskip(SKIP_1) | instid1(VALU_DEP_1)
	v_frexp_exp_i32_f64_e32 v26, v[26:27]
	v_frexp_mant_f32_e32 v27, v31
	v_cmp_gt_f32_e32 vcc_lo, 0x3f2aaaab, v27
	v_add_f32_e32 v27, -1.0, v31
	s_delay_alu instid0(VALU_DEP_1) | instskip(NEXT) | instid1(VALU_DEP_1)
	v_sub_f32_e32 v33, v27, v31
	v_add_f32_e32 v33, 1.0, v33
	v_sub_f32_e32 v27, v24, v27
	s_delay_alu instid0(VALU_DEP_1) | instskip(SKIP_3) | instid1(VALU_DEP_2)
	v_add_f32_e32 v27, v27, v33
	s_wait_alu 0xfffd
	v_subrev_co_ci_u32_e64 v26, null, 0, v26, vcc_lo
	v_cmp_neq_f32_e32 vcc_lo, 0x7f800000, v24
	v_sub_nc_u32_e32 v32, 0, v26
	v_cvt_f32_i32_e32 v26, v26
	s_delay_alu instid0(VALU_DEP_2) | instskip(SKIP_1) | instid1(VALU_DEP_2)
	v_ldexp_f32 v31, v31, v32
	v_ldexp_f32 v27, v27, v32
	v_add_f32_e32 v34, 1.0, v31
	s_delay_alu instid0(VALU_DEP_1) | instskip(NEXT) | instid1(VALU_DEP_1)
	v_dual_add_f32 v32, -1.0, v31 :: v_dual_add_f32 v33, -1.0, v34
	v_add_f32_e32 v35, 1.0, v32
	s_delay_alu instid0(VALU_DEP_2) | instskip(NEXT) | instid1(VALU_DEP_2)
	v_sub_f32_e32 v33, v31, v33
	v_sub_f32_e32 v31, v31, v35
	s_delay_alu instid0(VALU_DEP_2) | instskip(NEXT) | instid1(VALU_DEP_2)
	v_add_f32_e32 v33, v27, v33
	v_add_f32_e32 v27, v27, v31
	s_delay_alu instid0(VALU_DEP_1) | instskip(NEXT) | instid1(VALU_DEP_1)
	v_dual_add_f32 v36, v32, v27 :: v_dual_add_f32 v35, v34, v33
	v_sub_f32_e32 v32, v32, v36
	s_delay_alu instid0(VALU_DEP_2) | instskip(SKIP_1) | instid1(VALU_DEP_1)
	v_rcp_f32_e32 v31, v35
	v_sub_f32_e32 v34, v34, v35
	v_add_f32_e32 v33, v33, v34
	s_delay_alu instid0(TRANS32_DEP_1) | instskip(NEXT) | instid1(VALU_DEP_1)
	v_mul_f32_e32 v37, v36, v31
	v_mul_f32_e32 v38, v35, v37
	s_delay_alu instid0(VALU_DEP_1) | instskip(NEXT) | instid1(VALU_DEP_1)
	v_fma_f32 v34, v37, v35, -v38
	v_fmac_f32_e32 v34, v37, v33
	s_delay_alu instid0(VALU_DEP_1) | instskip(NEXT) | instid1(VALU_DEP_1)
	v_add_f32_e32 v39, v38, v34
	v_sub_f32_e32 v40, v36, v39
	s_delay_alu instid0(VALU_DEP_1) | instskip(SKIP_2) | instid1(VALU_DEP_3)
	v_sub_f32_e32 v36, v36, v40
	v_add_f32_e32 v27, v27, v32
	v_sub_f32_e32 v32, v39, v38
	v_sub_f32_e32 v36, v36, v39
	s_delay_alu instid0(VALU_DEP_1) | instskip(NEXT) | instid1(VALU_DEP_1)
	v_dual_sub_f32 v32, v32, v34 :: v_dual_add_f32 v27, v27, v36
	v_add_f32_e32 v27, v32, v27
	s_delay_alu instid0(VALU_DEP_1) | instskip(NEXT) | instid1(VALU_DEP_1)
	v_add_f32_e32 v32, v40, v27
	v_mul_f32_e32 v34, v31, v32
	s_delay_alu instid0(VALU_DEP_1) | instskip(NEXT) | instid1(VALU_DEP_1)
	v_dual_sub_f32 v39, v40, v32 :: v_dual_mul_f32 v36, v35, v34
	v_add_f32_e32 v27, v27, v39
	s_delay_alu instid0(VALU_DEP_2) | instskip(NEXT) | instid1(VALU_DEP_1)
	v_fma_f32 v35, v34, v35, -v36
	v_fmac_f32_e32 v35, v34, v33
	s_delay_alu instid0(VALU_DEP_1) | instskip(NEXT) | instid1(VALU_DEP_1)
	v_add_f32_e32 v33, v36, v35
	v_sub_f32_e32 v38, v32, v33
	s_delay_alu instid0(VALU_DEP_1) | instskip(NEXT) | instid1(VALU_DEP_1)
	v_sub_f32_e32 v32, v32, v38
	v_sub_f32_e32 v32, v32, v33
	s_delay_alu instid0(VALU_DEP_1) | instskip(SKIP_1) | instid1(VALU_DEP_1)
	v_dual_add_f32 v27, v27, v32 :: v_dual_add_f32 v32, v37, v34
	v_sub_f32_e32 v36, v33, v36
	v_sub_f32_e32 v33, v36, v35
	s_delay_alu instid0(VALU_DEP_1) | instskip(NEXT) | instid1(VALU_DEP_4)
	v_add_f32_e32 v27, v33, v27
	v_sub_f32_e32 v33, v32, v37
	s_delay_alu instid0(VALU_DEP_2) | instskip(NEXT) | instid1(VALU_DEP_2)
	v_add_f32_e32 v27, v38, v27
	v_sub_f32_e32 v33, v34, v33
	s_delay_alu instid0(VALU_DEP_2) | instskip(NEXT) | instid1(VALU_DEP_1)
	v_mul_f32_e32 v27, v31, v27
	v_add_f32_e32 v27, v33, v27
	s_delay_alu instid0(VALU_DEP_1) | instskip(NEXT) | instid1(VALU_DEP_1)
	v_add_f32_e32 v31, v32, v27
	v_mul_f32_e32 v33, v31, v31
	s_wait_alu 0xfffe
	s_delay_alu instid0(VALU_DEP_1) | instskip(SKIP_1) | instid1(VALU_DEP_2)
	v_fmaak_f32 v34, s4, v33, 0x3ecc95a3
	v_mul_f32_e32 v35, v31, v33
	v_fmaak_f32 v33, v33, v34, 0x3f2aaada
	v_ldexp_f32 v34, v31, 1
	v_sub_f32_e32 v31, v31, v32
	s_delay_alu instid0(VALU_DEP_3) | instskip(SKIP_1) | instid1(VALU_DEP_2)
	v_mul_f32_e32 v33, v35, v33
	v_mul_f32_e32 v35, 0x3f317218, v26
	v_dual_sub_f32 v27, v27, v31 :: v_dual_add_f32 v32, v34, v33
	s_delay_alu instid0(VALU_DEP_1) | instskip(NEXT) | instid1(VALU_DEP_2)
	v_ldexp_f32 v27, v27, 1
	v_sub_f32_e32 v31, v32, v34
	s_delay_alu instid0(VALU_DEP_4) | instskip(NEXT) | instid1(VALU_DEP_1)
	v_fma_f32 v34, 0x3f317218, v26, -v35
	v_dual_sub_f32 v31, v33, v31 :: v_dual_fmamk_f32 v26, v26, 0xb102e308, v34
	s_delay_alu instid0(VALU_DEP_1) | instskip(NEXT) | instid1(VALU_DEP_2)
	v_add_f32_e32 v27, v27, v31
	v_add_f32_e32 v31, v35, v26
	s_delay_alu instid0(VALU_DEP_2) | instskip(NEXT) | instid1(VALU_DEP_2)
	v_add_f32_e32 v33, v32, v27
	v_sub_f32_e32 v35, v31, v35
	s_delay_alu instid0(VALU_DEP_2) | instskip(SKIP_1) | instid1(VALU_DEP_3)
	v_add_f32_e32 v34, v31, v33
	v_sub_f32_e32 v32, v33, v32
	v_sub_f32_e32 v26, v26, v35
	s_delay_alu instid0(VALU_DEP_2) | instskip(NEXT) | instid1(VALU_DEP_1)
	v_dual_sub_f32 v36, v34, v31 :: v_dual_sub_f32 v27, v27, v32
	v_sub_f32_e32 v37, v34, v36
	s_delay_alu instid0(VALU_DEP_2) | instskip(NEXT) | instid1(VALU_DEP_2)
	v_dual_sub_f32 v32, v33, v36 :: v_dual_add_f32 v33, v26, v27
	v_sub_f32_e32 v31, v31, v37
	s_delay_alu instid0(VALU_DEP_1) | instskip(NEXT) | instid1(VALU_DEP_1)
	v_dual_add_f32 v31, v32, v31 :: v_dual_sub_f32 v32, v33, v26
	v_add_f32_e32 v31, v33, v31
	s_delay_alu instid0(VALU_DEP_2) | instskip(SKIP_1) | instid1(VALU_DEP_3)
	v_sub_f32_e32 v33, v33, v32
	v_sub_f32_e32 v27, v27, v32
	v_add_f32_e32 v35, v34, v31
	s_delay_alu instid0(VALU_DEP_3) | instskip(NEXT) | instid1(VALU_DEP_2)
	v_sub_f32_e32 v26, v26, v33
	v_sub_f32_e32 v32, v35, v34
	s_delay_alu instid0(VALU_DEP_2) | instskip(NEXT) | instid1(VALU_DEP_2)
	v_add_f32_e32 v26, v27, v26
	v_sub_f32_e32 v27, v31, v32
	s_delay_alu instid0(VALU_DEP_1) | instskip(NEXT) | instid1(VALU_DEP_1)
	v_add_f32_e32 v26, v26, v27
	v_add_f32_e32 v26, v35, v26
	s_wait_alu 0xfffd
	s_delay_alu instid0(VALU_DEP_1) | instskip(SKIP_2) | instid1(VALU_DEP_2)
	v_cndmask_b32_e32 v26, 0x7f800000, v26, vcc_lo
	v_cmp_gt_f32_e64 vcc_lo, 0x33800000, |v24|
	s_wait_alu 0xfffd
	v_cndmask_b32_e32 v24, v26, v24, vcc_lo
	s_delay_alu instid0(VALU_DEP_1) | instskip(NEXT) | instid1(VALU_DEP_1)
	v_add_f32_e32 v24, v25, v24
	v_cvt_f16_f32_e32 v32, v24
	s_delay_alu instid0(VALU_DEP_1)
	v_cvt_f32_f16_e32 v31, v32
	v_mov_b32_e32 v24, v32
.LBB421_197:
	s_wait_alu 0xfffe
	s_or_b32 exec_lo, exec_lo, s1
	s_delay_alu instid0(VALU_DEP_2) | instskip(SKIP_1) | instid1(VALU_DEP_2)
	v_dual_max_num_f32 v25, v28, v28 :: v_dual_max_num_f32 v26, v31, v31
	v_cmp_u_f16_e32 vcc_lo, v32, v32
	v_min_num_f32_e32 v27, v26, v25
	s_wait_alu 0xfffd
	s_delay_alu instid0(VALU_DEP_1) | instskip(NEXT) | instid1(VALU_DEP_1)
	v_dual_max_num_f32 v25, v26, v25 :: v_dual_cndmask_b32 v26, v27, v31
	v_cndmask_b32_e32 v25, v25, v31, vcc_lo
	s_delay_alu instid0(VALU_DEP_2) | instskip(NEXT) | instid1(VALU_DEP_2)
	v_cndmask_b32_e64 v27, v26, v28, s12
	v_cndmask_b32_e64 v26, v25, v28, s12
	v_mov_b32_e32 v25, v24
	s_delay_alu instid0(VALU_DEP_3) | instskip(NEXT) | instid1(VALU_DEP_3)
	v_cmp_class_f32_e64 s1, v27, 0x1f8
	v_cmp_neq_f32_e32 vcc_lo, v27, v26
	s_or_b32 s4, vcc_lo, s1
	s_wait_alu 0xfffe
	s_and_saveexec_b32 s1, s4
	s_cbranch_execz .LBB421_199
; %bb.198:
	v_sub_f32_e32 v25, v27, v26
	s_mov_b32 s4, 0x3e9b6dac
	s_delay_alu instid0(VALU_DEP_1) | instskip(SKIP_1) | instid1(VALU_DEP_2)
	v_mul_f32_e32 v27, 0x3fb8aa3b, v25
	v_cmp_ngt_f32_e32 vcc_lo, 0xc2ce8ed0, v25
	v_fma_f32 v28, 0x3fb8aa3b, v25, -v27
	v_rndne_f32_e32 v31, v27
	s_delay_alu instid0(VALU_DEP_1) | instskip(NEXT) | instid1(VALU_DEP_1)
	v_dual_fmamk_f32 v28, v25, 0x32a5705f, v28 :: v_dual_sub_f32 v27, v27, v31
	v_add_f32_e32 v27, v27, v28
	v_cvt_i32_f32_e32 v28, v31
	s_delay_alu instid0(VALU_DEP_2) | instskip(NEXT) | instid1(TRANS32_DEP_1)
	v_exp_f32_e32 v27, v27
	v_ldexp_f32 v27, v27, v28
	s_wait_alu 0xfffd
	s_delay_alu instid0(VALU_DEP_1) | instskip(SKIP_2) | instid1(VALU_DEP_2)
	v_cndmask_b32_e32 v27, 0, v27, vcc_lo
	v_cmp_nlt_f32_e32 vcc_lo, 0x42b17218, v25
	s_wait_alu 0xfffd
	v_cndmask_b32_e32 v25, 0x7f800000, v27, vcc_lo
	s_delay_alu instid0(VALU_DEP_1) | instskip(NEXT) | instid1(VALU_DEP_1)
	v_add_f32_e32 v31, 1.0, v25
	v_cvt_f64_f32_e32 v[27:28], v31
	s_delay_alu instid0(VALU_DEP_1) | instskip(SKIP_1) | instid1(VALU_DEP_1)
	v_frexp_exp_i32_f64_e32 v27, v[27:28]
	v_frexp_mant_f32_e32 v28, v31
	v_cmp_gt_f32_e32 vcc_lo, 0x3f2aaaab, v28
	v_add_f32_e32 v28, -1.0, v31
	s_delay_alu instid0(VALU_DEP_1) | instskip(SKIP_2) | instid1(VALU_DEP_1)
	v_dual_sub_f32 v33, v28, v31 :: v_dual_sub_f32 v28, v25, v28
	s_wait_alu 0xfffd
	v_subrev_co_ci_u32_e64 v27, null, 0, v27, vcc_lo
	v_sub_nc_u32_e32 v32, 0, v27
	v_cvt_f32_i32_e32 v27, v27
	s_delay_alu instid0(VALU_DEP_2) | instskip(NEXT) | instid1(VALU_DEP_1)
	v_ldexp_f32 v31, v31, v32
	v_dual_add_f32 v33, 1.0, v33 :: v_dual_add_f32 v34, 1.0, v31
	s_delay_alu instid0(VALU_DEP_1) | instskip(NEXT) | instid1(VALU_DEP_1)
	v_add_f32_e32 v28, v28, v33
	v_ldexp_f32 v28, v28, v32
	s_delay_alu instid0(VALU_DEP_3) | instskip(NEXT) | instid1(VALU_DEP_1)
	v_dual_add_f32 v32, -1.0, v31 :: v_dual_add_f32 v33, -1.0, v34
	v_add_f32_e32 v35, 1.0, v32
	s_delay_alu instid0(VALU_DEP_2) | instskip(NEXT) | instid1(VALU_DEP_2)
	v_sub_f32_e32 v33, v31, v33
	v_sub_f32_e32 v31, v31, v35
	s_delay_alu instid0(VALU_DEP_2) | instskip(NEXT) | instid1(VALU_DEP_2)
	v_add_f32_e32 v33, v28, v33
	v_add_f32_e32 v28, v28, v31
	s_delay_alu instid0(VALU_DEP_1) | instskip(SKIP_1) | instid1(VALU_DEP_2)
	v_dual_add_f32 v36, v32, v28 :: v_dual_add_f32 v35, v34, v33
	v_cmp_neq_f32_e32 vcc_lo, 0x7f800000, v25
	v_sub_f32_e32 v32, v32, v36
	s_delay_alu instid0(VALU_DEP_3) | instskip(SKIP_1) | instid1(VALU_DEP_1)
	v_rcp_f32_e32 v31, v35
	v_sub_f32_e32 v34, v34, v35
	v_dual_add_f32 v28, v28, v32 :: v_dual_add_f32 v33, v33, v34
	s_delay_alu instid0(TRANS32_DEP_1) | instskip(NEXT) | instid1(VALU_DEP_1)
	v_mul_f32_e32 v37, v36, v31
	v_mul_f32_e32 v38, v35, v37
	s_delay_alu instid0(VALU_DEP_1) | instskip(NEXT) | instid1(VALU_DEP_1)
	v_fma_f32 v34, v37, v35, -v38
	v_fmac_f32_e32 v34, v37, v33
	s_delay_alu instid0(VALU_DEP_1) | instskip(NEXT) | instid1(VALU_DEP_1)
	v_add_f32_e32 v39, v38, v34
	v_sub_f32_e32 v40, v36, v39
	s_delay_alu instid0(VALU_DEP_1) | instskip(NEXT) | instid1(VALU_DEP_1)
	v_sub_f32_e32 v36, v36, v40
	v_sub_f32_e32 v36, v36, v39
	s_delay_alu instid0(VALU_DEP_1) | instskip(SKIP_1) | instid1(VALU_DEP_1)
	v_add_f32_e32 v28, v28, v36
	v_sub_f32_e32 v32, v39, v38
	v_sub_f32_e32 v32, v32, v34
	s_delay_alu instid0(VALU_DEP_1) | instskip(NEXT) | instid1(VALU_DEP_1)
	v_add_f32_e32 v28, v32, v28
	v_add_f32_e32 v32, v40, v28
	s_delay_alu instid0(VALU_DEP_1) | instskip(NEXT) | instid1(VALU_DEP_1)
	v_mul_f32_e32 v34, v31, v32
	v_dual_sub_f32 v39, v40, v32 :: v_dual_mul_f32 v36, v35, v34
	s_delay_alu instid0(VALU_DEP_1) | instskip(NEXT) | instid1(VALU_DEP_2)
	v_add_f32_e32 v28, v28, v39
	v_fma_f32 v35, v34, v35, -v36
	s_delay_alu instid0(VALU_DEP_1) | instskip(NEXT) | instid1(VALU_DEP_1)
	v_fmac_f32_e32 v35, v34, v33
	v_add_f32_e32 v33, v36, v35
	s_delay_alu instid0(VALU_DEP_1) | instskip(NEXT) | instid1(VALU_DEP_1)
	v_sub_f32_e32 v38, v32, v33
	v_sub_f32_e32 v32, v32, v38
	s_delay_alu instid0(VALU_DEP_1) | instskip(NEXT) | instid1(VALU_DEP_1)
	v_sub_f32_e32 v32, v32, v33
	v_add_f32_e32 v28, v28, v32
	v_add_f32_e32 v32, v37, v34
	v_sub_f32_e32 v36, v33, v36
	s_delay_alu instid0(VALU_DEP_1) | instskip(NEXT) | instid1(VALU_DEP_1)
	v_sub_f32_e32 v33, v36, v35
	v_dual_add_f32 v28, v33, v28 :: v_dual_sub_f32 v33, v32, v37
	s_delay_alu instid0(VALU_DEP_1) | instskip(NEXT) | instid1(VALU_DEP_1)
	v_add_f32_e32 v28, v38, v28
	v_dual_sub_f32 v33, v34, v33 :: v_dual_mul_f32 v28, v31, v28
	s_delay_alu instid0(VALU_DEP_1) | instskip(NEXT) | instid1(VALU_DEP_1)
	v_add_f32_e32 v28, v33, v28
	v_add_f32_e32 v31, v32, v28
	s_delay_alu instid0(VALU_DEP_1) | instskip(SKIP_1) | instid1(VALU_DEP_1)
	v_mul_f32_e32 v33, v31, v31
	s_wait_alu 0xfffe
	v_fmaak_f32 v34, s4, v33, 0x3ecc95a3
	v_mul_f32_e32 v35, v31, v33
	s_delay_alu instid0(VALU_DEP_2) | instskip(SKIP_2) | instid1(VALU_DEP_3)
	v_fmaak_f32 v33, v33, v34, 0x3f2aaada
	v_ldexp_f32 v34, v31, 1
	v_sub_f32_e32 v31, v31, v32
	v_mul_f32_e32 v33, v35, v33
	v_mul_f32_e32 v35, 0x3f317218, v27
	s_delay_alu instid0(VALU_DEP_3) | instskip(NEXT) | instid1(VALU_DEP_3)
	v_sub_f32_e32 v28, v28, v31
	v_add_f32_e32 v32, v34, v33
	s_delay_alu instid0(VALU_DEP_2) | instskip(NEXT) | instid1(VALU_DEP_2)
	v_ldexp_f32 v28, v28, 1
	v_sub_f32_e32 v31, v32, v34
	v_fma_f32 v34, 0x3f317218, v27, -v35
	s_delay_alu instid0(VALU_DEP_2) | instskip(NEXT) | instid1(VALU_DEP_1)
	v_sub_f32_e32 v31, v33, v31
	v_dual_fmamk_f32 v27, v27, 0xb102e308, v34 :: v_dual_add_f32 v28, v28, v31
	s_delay_alu instid0(VALU_DEP_1) | instskip(NEXT) | instid1(VALU_DEP_2)
	v_add_f32_e32 v31, v35, v27
	v_add_f32_e32 v33, v32, v28
	s_delay_alu instid0(VALU_DEP_1) | instskip(NEXT) | instid1(VALU_DEP_1)
	v_add_f32_e32 v34, v31, v33
	v_sub_f32_e32 v36, v34, v31
	v_dual_sub_f32 v35, v31, v35 :: v_dual_sub_f32 v32, v33, v32
	s_delay_alu instid0(VALU_DEP_2) | instskip(NEXT) | instid1(VALU_DEP_1)
	v_sub_f32_e32 v37, v34, v36
	v_sub_f32_e32 v31, v31, v37
	s_delay_alu instid0(VALU_DEP_3) | instskip(SKIP_1) | instid1(VALU_DEP_2)
	v_dual_sub_f32 v27, v27, v35 :: v_dual_sub_f32 v28, v28, v32
	v_sub_f32_e32 v32, v33, v36
	v_add_f32_e32 v33, v27, v28
	s_delay_alu instid0(VALU_DEP_2) | instskip(NEXT) | instid1(VALU_DEP_2)
	v_add_f32_e32 v31, v32, v31
	v_sub_f32_e32 v32, v33, v27
	s_delay_alu instid0(VALU_DEP_2) | instskip(NEXT) | instid1(VALU_DEP_1)
	v_add_f32_e32 v31, v33, v31
	v_add_f32_e32 v35, v34, v31
	s_delay_alu instid0(VALU_DEP_3) | instskip(NEXT) | instid1(VALU_DEP_1)
	v_sub_f32_e32 v33, v33, v32
	v_dual_sub_f32 v27, v27, v33 :: v_dual_sub_f32 v28, v28, v32
	s_delay_alu instid0(VALU_DEP_1) | instskip(NEXT) | instid1(VALU_DEP_1)
	v_dual_sub_f32 v32, v35, v34 :: v_dual_add_f32 v27, v28, v27
	v_sub_f32_e32 v28, v31, v32
	s_delay_alu instid0(VALU_DEP_1) | instskip(NEXT) | instid1(VALU_DEP_1)
	v_add_f32_e32 v27, v27, v28
	v_add_f32_e32 v27, v35, v27
	s_wait_alu 0xfffd
	s_delay_alu instid0(VALU_DEP_1) | instskip(SKIP_2) | instid1(VALU_DEP_2)
	v_cndmask_b32_e32 v27, 0x7f800000, v27, vcc_lo
	v_cmp_gt_f32_e64 vcc_lo, 0x33800000, |v25|
	s_wait_alu 0xfffd
	v_cndmask_b32_e32 v25, v27, v25, vcc_lo
	s_delay_alu instid0(VALU_DEP_1) | instskip(NEXT) | instid1(VALU_DEP_1)
	v_add_f32_e32 v25, v26, v25
	v_cvt_f16_f32_e32 v32, v25
	s_delay_alu instid0(VALU_DEP_1)
	v_cvt_f32_f16_e32 v31, v32
	v_mov_b32_e32 v25, v32
.LBB421_199:
	s_wait_alu 0xfffe
	s_or_b32 exec_lo, exec_lo, s1
	s_delay_alu instid0(VALU_DEP_2) | instskip(SKIP_1) | instid1(VALU_DEP_2)
	v_dual_max_num_f32 v26, v29, v29 :: v_dual_max_num_f32 v27, v31, v31
	v_cmp_u_f16_e32 vcc_lo, v32, v32
	v_min_num_f32_e32 v28, v27, v26
	s_wait_alu 0xfffd
	s_delay_alu instid0(VALU_DEP_1) | instskip(NEXT) | instid1(VALU_DEP_1)
	v_dual_max_num_f32 v26, v27, v26 :: v_dual_cndmask_b32 v27, v28, v31
	v_cndmask_b32_e32 v26, v26, v31, vcc_lo
	s_delay_alu instid0(VALU_DEP_2) | instskip(NEXT) | instid1(VALU_DEP_2)
	v_cndmask_b32_e64 v28, v27, v29, s13
	v_cndmask_b32_e64 v26, v26, v29, s13
	v_mov_b32_e32 v27, v25
	s_delay_alu instid0(VALU_DEP_3) | instskip(NEXT) | instid1(VALU_DEP_3)
	v_cmp_class_f32_e64 s1, v28, 0x1f8
	v_cmp_neq_f32_e32 vcc_lo, v28, v26
	s_or_b32 s4, vcc_lo, s1
	s_wait_alu 0xfffe
	s_and_saveexec_b32 s1, s4
	s_cbranch_execz .LBB421_201
; %bb.200:
	v_sub_f32_e32 v27, v28, v26
	s_mov_b32 s4, 0x3e9b6dac
	s_delay_alu instid0(VALU_DEP_1) | instskip(SKIP_1) | instid1(VALU_DEP_2)
	v_mul_f32_e32 v28, 0x3fb8aa3b, v27
	v_cmp_ngt_f32_e32 vcc_lo, 0xc2ce8ed0, v27
	v_fma_f32 v29, 0x3fb8aa3b, v27, -v28
	v_rndne_f32_e32 v31, v28
	s_delay_alu instid0(VALU_DEP_1) | instskip(NEXT) | instid1(VALU_DEP_1)
	v_dual_fmamk_f32 v29, v27, 0x32a5705f, v29 :: v_dual_sub_f32 v28, v28, v31
	v_add_f32_e32 v28, v28, v29
	v_cvt_i32_f32_e32 v29, v31
	s_delay_alu instid0(VALU_DEP_2) | instskip(NEXT) | instid1(TRANS32_DEP_1)
	v_exp_f32_e32 v28, v28
	v_ldexp_f32 v28, v28, v29
	s_wait_alu 0xfffd
	s_delay_alu instid0(VALU_DEP_1) | instskip(SKIP_2) | instid1(VALU_DEP_2)
	v_cndmask_b32_e32 v28, 0, v28, vcc_lo
	v_cmp_nlt_f32_e32 vcc_lo, 0x42b17218, v27
	s_wait_alu 0xfffd
	v_cndmask_b32_e32 v29, 0x7f800000, v28, vcc_lo
	s_delay_alu instid0(VALU_DEP_1) | instskip(NEXT) | instid1(VALU_DEP_1)
	v_add_f32_e32 v31, 1.0, v29
	v_cvt_f64_f32_e32 v[27:28], v31
	s_delay_alu instid0(VALU_DEP_1) | instskip(SKIP_1) | instid1(VALU_DEP_1)
	v_frexp_exp_i32_f64_e32 v27, v[27:28]
	v_frexp_mant_f32_e32 v28, v31
	v_cmp_gt_f32_e32 vcc_lo, 0x3f2aaaab, v28
	v_add_f32_e32 v28, -1.0, v31
	s_delay_alu instid0(VALU_DEP_1) | instskip(SKIP_3) | instid1(VALU_DEP_2)
	v_dual_sub_f32 v33, v28, v31 :: v_dual_sub_f32 v28, v29, v28
	s_wait_alu 0xfffd
	v_subrev_co_ci_u32_e64 v27, null, 0, v27, vcc_lo
	v_cmp_neq_f32_e32 vcc_lo, 0x7f800000, v29
	v_sub_nc_u32_e32 v32, 0, v27
	v_cvt_f32_i32_e32 v27, v27
	s_delay_alu instid0(VALU_DEP_2) | instskip(NEXT) | instid1(VALU_DEP_1)
	v_ldexp_f32 v31, v31, v32
	v_dual_add_f32 v33, 1.0, v33 :: v_dual_add_f32 v34, 1.0, v31
	s_delay_alu instid0(VALU_DEP_1) | instskip(NEXT) | instid1(VALU_DEP_1)
	v_dual_add_f32 v28, v28, v33 :: v_dual_add_f32 v33, -1.0, v34
	v_ldexp_f32 v28, v28, v32
	s_delay_alu instid0(VALU_DEP_2) | instskip(NEXT) | instid1(VALU_DEP_1)
	v_dual_add_f32 v32, -1.0, v31 :: v_dual_sub_f32 v33, v31, v33
	v_add_f32_e32 v35, 1.0, v32
	s_delay_alu instid0(VALU_DEP_2) | instskip(NEXT) | instid1(VALU_DEP_2)
	v_add_f32_e32 v33, v28, v33
	v_sub_f32_e32 v31, v31, v35
	s_delay_alu instid0(VALU_DEP_1) | instskip(NEXT) | instid1(VALU_DEP_1)
	v_dual_add_f32 v35, v34, v33 :: v_dual_add_f32 v28, v28, v31
	v_rcp_f32_e32 v31, v35
	v_sub_f32_e32 v34, v34, v35
	s_delay_alu instid0(VALU_DEP_1) | instskip(NEXT) | instid1(VALU_DEP_1)
	v_dual_add_f32 v36, v32, v28 :: v_dual_add_f32 v33, v33, v34
	v_sub_f32_e32 v32, v32, v36
	s_delay_alu instid0(TRANS32_DEP_1) | instskip(NEXT) | instid1(VALU_DEP_2)
	v_mul_f32_e32 v37, v36, v31
	v_add_f32_e32 v28, v28, v32
	s_delay_alu instid0(VALU_DEP_2) | instskip(NEXT) | instid1(VALU_DEP_1)
	v_mul_f32_e32 v38, v35, v37
	v_fma_f32 v34, v37, v35, -v38
	s_delay_alu instid0(VALU_DEP_1) | instskip(NEXT) | instid1(VALU_DEP_1)
	v_fmac_f32_e32 v34, v37, v33
	v_add_f32_e32 v39, v38, v34
	s_delay_alu instid0(VALU_DEP_1) | instskip(SKIP_1) | instid1(VALU_DEP_2)
	v_sub_f32_e32 v40, v36, v39
	v_sub_f32_e32 v32, v39, v38
	;; [unrolled: 1-line block ×3, first 2 shown]
	s_delay_alu instid0(VALU_DEP_2) | instskip(NEXT) | instid1(VALU_DEP_2)
	v_sub_f32_e32 v32, v32, v34
	v_sub_f32_e32 v36, v36, v39
	s_delay_alu instid0(VALU_DEP_1) | instskip(NEXT) | instid1(VALU_DEP_1)
	v_add_f32_e32 v28, v28, v36
	v_add_f32_e32 v28, v32, v28
	s_delay_alu instid0(VALU_DEP_1) | instskip(NEXT) | instid1(VALU_DEP_1)
	v_add_f32_e32 v32, v40, v28
	v_mul_f32_e32 v34, v31, v32
	s_delay_alu instid0(VALU_DEP_1) | instskip(NEXT) | instid1(VALU_DEP_1)
	v_mul_f32_e32 v36, v35, v34
	v_fma_f32 v35, v34, v35, -v36
	s_delay_alu instid0(VALU_DEP_1) | instskip(SKIP_1) | instid1(VALU_DEP_2)
	v_fmac_f32_e32 v35, v34, v33
	v_sub_f32_e32 v39, v40, v32
	v_add_f32_e32 v33, v36, v35
	s_delay_alu instid0(VALU_DEP_2) | instskip(NEXT) | instid1(VALU_DEP_2)
	v_add_f32_e32 v28, v28, v39
	v_sub_f32_e32 v38, v32, v33
	v_sub_f32_e32 v36, v33, v36
	s_delay_alu instid0(VALU_DEP_2) | instskip(NEXT) | instid1(VALU_DEP_1)
	v_sub_f32_e32 v32, v32, v38
	v_sub_f32_e32 v32, v32, v33
	s_delay_alu instid0(VALU_DEP_3) | instskip(NEXT) | instid1(VALU_DEP_2)
	v_sub_f32_e32 v33, v36, v35
	v_add_f32_e32 v28, v28, v32
	v_add_f32_e32 v32, v37, v34
	s_delay_alu instid0(VALU_DEP_1) | instskip(NEXT) | instid1(VALU_DEP_1)
	v_dual_add_f32 v28, v33, v28 :: v_dual_sub_f32 v33, v32, v37
	v_add_f32_e32 v28, v38, v28
	s_delay_alu instid0(VALU_DEP_1) | instskip(NEXT) | instid1(VALU_DEP_1)
	v_dual_sub_f32 v33, v34, v33 :: v_dual_mul_f32 v28, v31, v28
	v_add_f32_e32 v28, v33, v28
	s_delay_alu instid0(VALU_DEP_1) | instskip(NEXT) | instid1(VALU_DEP_1)
	v_add_f32_e32 v31, v32, v28
	v_mul_f32_e32 v33, v31, v31
	s_wait_alu 0xfffe
	s_delay_alu instid0(VALU_DEP_1) | instskip(SKIP_1) | instid1(VALU_DEP_2)
	v_fmaak_f32 v34, s4, v33, 0x3ecc95a3
	v_mul_f32_e32 v35, v31, v33
	v_fmaak_f32 v33, v33, v34, 0x3f2aaada
	v_ldexp_f32 v34, v31, 1
	v_sub_f32_e32 v31, v31, v32
	s_delay_alu instid0(VALU_DEP_3) | instskip(SKIP_1) | instid1(VALU_DEP_3)
	v_mul_f32_e32 v33, v35, v33
	v_mul_f32_e32 v35, 0x3f317218, v27
	v_sub_f32_e32 v28, v28, v31
	s_delay_alu instid0(VALU_DEP_3) | instskip(NEXT) | instid1(VALU_DEP_2)
	v_add_f32_e32 v32, v34, v33
	v_ldexp_f32 v28, v28, 1
	s_delay_alu instid0(VALU_DEP_2) | instskip(SKIP_1) | instid1(VALU_DEP_2)
	v_sub_f32_e32 v31, v32, v34
	v_fma_f32 v34, 0x3f317218, v27, -v35
	v_sub_f32_e32 v31, v33, v31
	s_delay_alu instid0(VALU_DEP_1) | instskip(NEXT) | instid1(VALU_DEP_1)
	v_dual_fmamk_f32 v27, v27, 0xb102e308, v34 :: v_dual_add_f32 v28, v28, v31
	v_add_f32_e32 v31, v35, v27
	s_delay_alu instid0(VALU_DEP_2) | instskip(NEXT) | instid1(VALU_DEP_2)
	v_add_f32_e32 v33, v32, v28
	v_sub_f32_e32 v35, v31, v35
	s_delay_alu instid0(VALU_DEP_2) | instskip(NEXT) | instid1(VALU_DEP_2)
	v_add_f32_e32 v34, v31, v33
	v_sub_f32_e32 v27, v27, v35
	s_delay_alu instid0(VALU_DEP_2) | instskip(SKIP_1) | instid1(VALU_DEP_2)
	v_sub_f32_e32 v36, v34, v31
	v_sub_f32_e32 v32, v33, v32
	;; [unrolled: 1-line block ×3, first 2 shown]
	s_delay_alu instid0(VALU_DEP_2) | instskip(NEXT) | instid1(VALU_DEP_2)
	v_sub_f32_e32 v28, v28, v32
	v_dual_sub_f32 v32, v33, v36 :: v_dual_sub_f32 v31, v31, v37
	s_delay_alu instid0(VALU_DEP_2) | instskip(NEXT) | instid1(VALU_DEP_2)
	v_add_f32_e32 v33, v27, v28
	v_add_f32_e32 v31, v32, v31
	s_delay_alu instid0(VALU_DEP_2) | instskip(NEXT) | instid1(VALU_DEP_2)
	v_sub_f32_e32 v32, v33, v27
	v_add_f32_e32 v31, v33, v31
	s_delay_alu instid0(VALU_DEP_2) | instskip(NEXT) | instid1(VALU_DEP_2)
	v_sub_f32_e32 v33, v33, v32
	v_dual_sub_f32 v28, v28, v32 :: v_dual_add_f32 v35, v34, v31
	s_delay_alu instid0(VALU_DEP_2) | instskip(NEXT) | instid1(VALU_DEP_1)
	v_sub_f32_e32 v27, v27, v33
	v_dual_sub_f32 v32, v35, v34 :: v_dual_add_f32 v27, v28, v27
	s_delay_alu instid0(VALU_DEP_1) | instskip(NEXT) | instid1(VALU_DEP_1)
	v_sub_f32_e32 v28, v31, v32
	v_add_f32_e32 v27, v27, v28
	s_delay_alu instid0(VALU_DEP_1) | instskip(SKIP_1) | instid1(VALU_DEP_1)
	v_add_f32_e32 v27, v35, v27
	s_wait_alu 0xfffd
	v_cndmask_b32_e32 v27, 0x7f800000, v27, vcc_lo
	v_cmp_gt_f32_e64 vcc_lo, 0x33800000, |v29|
	s_wait_alu 0xfffd
	s_delay_alu instid0(VALU_DEP_2) | instskip(NEXT) | instid1(VALU_DEP_1)
	v_cndmask_b32_e32 v27, v27, v29, vcc_lo
	v_add_f32_e32 v26, v26, v27
	s_delay_alu instid0(VALU_DEP_1)
	v_cvt_f16_f32_e32 v27, v26
.LBB421_201:
	s_wait_alu 0xfffe
	s_or_b32 exec_lo, exec_lo, s1
	s_branch .LBB421_309
.LBB421_202:
	s_cmp_lg_u64 s[24:25], 0
	s_cselect_b32 s1, -1, 0
	s_wait_alu 0xfffe
	s_and_b32 s4, s3, s1
	s_wait_alu 0xfffe
	s_and_saveexec_b32 s1, s4
	s_cbranch_execz .LBB421_206
; %bb.203:
	v_cvt_f32_f16_e32 v9, v1
	v_mov_b32_e32 v7, 0
	global_load_u16 v7, v7, s[20:21]
	s_wait_loadcnt 0x0
	v_cvt_f32_f16_e32 v8, v7
	v_cmp_u_f16_e32 vcc_lo, v7, v7
	s_delay_alu instid0(VALU_DEP_2) | instskip(SKIP_1) | instid1(VALU_DEP_1)
	v_min_num_f32_e32 v10, v8, v9
	v_max_num_f32_e32 v20, v8, v9
	v_cndmask_b32_e32 v20, v20, v8, vcc_lo
	s_delay_alu instid0(VALU_DEP_3) | instskip(SKIP_2) | instid1(VALU_DEP_3)
	v_cndmask_b32_e32 v10, v10, v8, vcc_lo
	v_cmp_u_f16_e32 vcc_lo, v1, v1
	s_wait_alu 0xfffd
	v_cndmask_b32_e32 v1, v20, v9, vcc_lo
	s_delay_alu instid0(VALU_DEP_3) | instskip(NEXT) | instid1(VALU_DEP_1)
	v_cndmask_b32_e32 v8, v10, v9, vcc_lo
	v_cmp_neq_f32_e32 vcc_lo, v8, v1
	v_cmp_class_f32_e64 s4, v8, 0x1f8
	s_or_b32 s5, vcc_lo, s4
	s_wait_alu 0xfffe
	s_and_saveexec_b32 s4, s5
	s_cbranch_execz .LBB421_205
; %bb.204:
	v_sub_f32_e32 v7, v8, v1
	s_mov_b32 s5, 0x3e9b6dac
	s_delay_alu instid0(VALU_DEP_1) | instskip(SKIP_1) | instid1(VALU_DEP_2)
	v_mul_f32_e32 v8, 0x3fb8aa3b, v7
	v_cmp_ngt_f32_e32 vcc_lo, 0xc2ce8ed0, v7
	v_fma_f32 v9, 0x3fb8aa3b, v7, -v8
	v_rndne_f32_e32 v10, v8
	s_delay_alu instid0(VALU_DEP_1) | instskip(NEXT) | instid1(VALU_DEP_1)
	v_dual_fmamk_f32 v9, v7, 0x32a5705f, v9 :: v_dual_sub_f32 v8, v8, v10
	v_add_f32_e32 v8, v8, v9
	v_cvt_i32_f32_e32 v9, v10
	s_delay_alu instid0(VALU_DEP_2) | instskip(NEXT) | instid1(TRANS32_DEP_1)
	v_exp_f32_e32 v8, v8
	v_ldexp_f32 v8, v8, v9
	s_wait_alu 0xfffd
	s_delay_alu instid0(VALU_DEP_1) | instskip(SKIP_2) | instid1(VALU_DEP_2)
	v_cndmask_b32_e32 v8, 0, v8, vcc_lo
	v_cmp_nlt_f32_e32 vcc_lo, 0x42b17218, v7
	s_wait_alu 0xfffd
	v_cndmask_b32_e32 v9, 0x7f800000, v8, vcc_lo
	s_delay_alu instid0(VALU_DEP_1) | instskip(NEXT) | instid1(VALU_DEP_1)
	v_add_f32_e32 v10, 1.0, v9
	v_cvt_f64_f32_e32 v[7:8], v10
	s_delay_alu instid0(VALU_DEP_1) | instskip(SKIP_1) | instid1(VALU_DEP_1)
	v_frexp_exp_i32_f64_e32 v7, v[7:8]
	v_frexp_mant_f32_e32 v8, v10
	v_cmp_gt_f32_e32 vcc_lo, 0x3f2aaaab, v8
	v_add_f32_e32 v8, -1.0, v10
	s_delay_alu instid0(VALU_DEP_1) | instskip(NEXT) | instid1(VALU_DEP_1)
	v_dual_sub_f32 v21, v8, v10 :: v_dual_sub_f32 v8, v9, v8
	v_add_f32_e32 v21, 1.0, v21
	s_delay_alu instid0(VALU_DEP_1) | instskip(SKIP_3) | instid1(VALU_DEP_2)
	v_add_f32_e32 v8, v8, v21
	s_wait_alu 0xfffd
	v_subrev_co_ci_u32_e64 v7, null, 0, v7, vcc_lo
	v_cmp_neq_f32_e32 vcc_lo, 0x7f800000, v9
	v_sub_nc_u32_e32 v20, 0, v7
	v_cvt_f32_i32_e32 v7, v7
	s_delay_alu instid0(VALU_DEP_2) | instskip(SKIP_1) | instid1(VALU_DEP_2)
	v_ldexp_f32 v10, v10, v20
	v_ldexp_f32 v8, v8, v20
	v_add_f32_e32 v22, 1.0, v10
	s_delay_alu instid0(VALU_DEP_1) | instskip(NEXT) | instid1(VALU_DEP_1)
	v_add_f32_e32 v21, -1.0, v22
	v_dual_sub_f32 v21, v10, v21 :: v_dual_add_f32 v20, -1.0, v10
	s_delay_alu instid0(VALU_DEP_1) | instskip(NEXT) | instid1(VALU_DEP_2)
	v_add_f32_e32 v21, v8, v21
	v_add_f32_e32 v23, 1.0, v20
	s_delay_alu instid0(VALU_DEP_1) | instskip(NEXT) | instid1(VALU_DEP_1)
	v_sub_f32_e32 v10, v10, v23
	v_dual_add_f32 v23, v22, v21 :: v_dual_add_f32 v8, v8, v10
	s_delay_alu instid0(VALU_DEP_1) | instskip(SKIP_1) | instid1(VALU_DEP_1)
	v_rcp_f32_e32 v10, v23
	v_sub_f32_e32 v22, v22, v23
	v_dual_add_f32 v24, v20, v8 :: v_dual_add_f32 v21, v21, v22
	s_delay_alu instid0(TRANS32_DEP_1) | instid1(VALU_DEP_1)
	v_mul_f32_e32 v25, v24, v10
	s_delay_alu instid0(VALU_DEP_1) | instskip(NEXT) | instid1(VALU_DEP_1)
	v_mul_f32_e32 v26, v23, v25
	v_fma_f32 v22, v25, v23, -v26
	s_delay_alu instid0(VALU_DEP_1) | instskip(NEXT) | instid1(VALU_DEP_1)
	v_fmac_f32_e32 v22, v25, v21
	v_dual_add_f32 v27, v26, v22 :: v_dual_sub_f32 v20, v20, v24
	s_delay_alu instid0(VALU_DEP_1) | instskip(NEXT) | instid1(VALU_DEP_2)
	v_sub_f32_e32 v28, v24, v27
	v_add_f32_e32 v8, v8, v20
	v_sub_f32_e32 v20, v27, v26
	s_delay_alu instid0(VALU_DEP_3) | instskip(NEXT) | instid1(VALU_DEP_2)
	v_sub_f32_e32 v24, v24, v28
	v_sub_f32_e32 v20, v20, v22
	s_delay_alu instid0(VALU_DEP_2) | instskip(NEXT) | instid1(VALU_DEP_1)
	v_sub_f32_e32 v24, v24, v27
	v_add_f32_e32 v8, v8, v24
	s_delay_alu instid0(VALU_DEP_1) | instskip(NEXT) | instid1(VALU_DEP_1)
	v_add_f32_e32 v8, v20, v8
	v_add_f32_e32 v20, v28, v8
	s_delay_alu instid0(VALU_DEP_1) | instskip(NEXT) | instid1(VALU_DEP_1)
	v_mul_f32_e32 v22, v10, v20
	v_mul_f32_e32 v24, v23, v22
	s_delay_alu instid0(VALU_DEP_1) | instskip(NEXT) | instid1(VALU_DEP_1)
	v_fma_f32 v23, v22, v23, -v24
	v_fmac_f32_e32 v23, v22, v21
	v_sub_f32_e32 v27, v28, v20
	s_delay_alu instid0(VALU_DEP_2) | instskip(NEXT) | instid1(VALU_DEP_2)
	v_add_f32_e32 v21, v24, v23
	v_add_f32_e32 v8, v8, v27
	s_delay_alu instid0(VALU_DEP_2) | instskip(SKIP_1) | instid1(VALU_DEP_2)
	v_sub_f32_e32 v26, v20, v21
	v_sub_f32_e32 v24, v21, v24
	;; [unrolled: 1-line block ×3, first 2 shown]
	s_delay_alu instid0(VALU_DEP_1) | instskip(NEXT) | instid1(VALU_DEP_3)
	v_sub_f32_e32 v20, v20, v21
	v_sub_f32_e32 v21, v24, v23
	s_delay_alu instid0(VALU_DEP_2) | instskip(SKIP_1) | instid1(VALU_DEP_1)
	v_add_f32_e32 v8, v8, v20
	v_add_f32_e32 v20, v25, v22
	v_dual_add_f32 v8, v21, v8 :: v_dual_sub_f32 v21, v20, v25
	s_delay_alu instid0(VALU_DEP_1) | instskip(NEXT) | instid1(VALU_DEP_2)
	v_add_f32_e32 v8, v26, v8
	v_sub_f32_e32 v21, v22, v21
	s_delay_alu instid0(VALU_DEP_2) | instskip(NEXT) | instid1(VALU_DEP_1)
	v_mul_f32_e32 v8, v10, v8
	v_add_f32_e32 v8, v21, v8
	s_delay_alu instid0(VALU_DEP_1) | instskip(NEXT) | instid1(VALU_DEP_1)
	v_add_f32_e32 v10, v20, v8
	v_mul_f32_e32 v21, v10, v10
	s_wait_alu 0xfffe
	s_delay_alu instid0(VALU_DEP_1) | instskip(SKIP_1) | instid1(VALU_DEP_2)
	v_fmaak_f32 v22, s5, v21, 0x3ecc95a3
	v_mul_f32_e32 v23, v10, v21
	v_fmaak_f32 v21, v21, v22, 0x3f2aaada
	v_ldexp_f32 v22, v10, 1
	s_delay_alu instid0(VALU_DEP_2) | instskip(NEXT) | instid1(VALU_DEP_1)
	v_dual_sub_f32 v10, v10, v20 :: v_dual_mul_f32 v21, v23, v21
	v_dual_mul_f32 v23, 0x3f317218, v7 :: v_dual_sub_f32 v8, v8, v10
	s_delay_alu instid0(VALU_DEP_2) | instskip(NEXT) | instid1(VALU_DEP_2)
	v_add_f32_e32 v20, v22, v21
	v_ldexp_f32 v8, v8, 1
	s_delay_alu instid0(VALU_DEP_2) | instskip(NEXT) | instid1(VALU_DEP_4)
	v_sub_f32_e32 v10, v20, v22
	v_fma_f32 v22, 0x3f317218, v7, -v23
	s_delay_alu instid0(VALU_DEP_1) | instskip(NEXT) | instid1(VALU_DEP_1)
	v_dual_sub_f32 v10, v21, v10 :: v_dual_fmamk_f32 v7, v7, 0xb102e308, v22
	v_add_f32_e32 v8, v8, v10
	s_delay_alu instid0(VALU_DEP_1) | instskip(NEXT) | instid1(VALU_DEP_1)
	v_dual_add_f32 v10, v23, v7 :: v_dual_add_f32 v21, v20, v8
	v_sub_f32_e32 v23, v10, v23
	s_delay_alu instid0(VALU_DEP_2) | instskip(NEXT) | instid1(VALU_DEP_2)
	v_add_f32_e32 v22, v10, v21
	v_dual_sub_f32 v20, v21, v20 :: v_dual_sub_f32 v7, v7, v23
	s_delay_alu instid0(VALU_DEP_2) | instskip(NEXT) | instid1(VALU_DEP_2)
	v_sub_f32_e32 v24, v22, v10
	v_sub_f32_e32 v8, v8, v20
	s_delay_alu instid0(VALU_DEP_2) | instskip(SKIP_1) | instid1(VALU_DEP_2)
	v_sub_f32_e32 v25, v22, v24
	v_sub_f32_e32 v20, v21, v24
	v_dual_add_f32 v21, v7, v8 :: v_dual_sub_f32 v10, v10, v25
	s_delay_alu instid0(VALU_DEP_1) | instskip(NEXT) | instid1(VALU_DEP_2)
	v_add_f32_e32 v10, v20, v10
	v_sub_f32_e32 v20, v21, v7
	s_delay_alu instid0(VALU_DEP_2) | instskip(NEXT) | instid1(VALU_DEP_2)
	v_add_f32_e32 v10, v21, v10
	v_sub_f32_e32 v21, v21, v20
	s_delay_alu instid0(VALU_DEP_2) | instskip(NEXT) | instid1(VALU_DEP_2)
	v_dual_sub_f32 v8, v8, v20 :: v_dual_add_f32 v23, v22, v10
	v_sub_f32_e32 v7, v7, v21
	s_delay_alu instid0(VALU_DEP_1) | instskip(NEXT) | instid1(VALU_DEP_1)
	v_dual_sub_f32 v20, v23, v22 :: v_dual_add_f32 v7, v8, v7
	v_sub_f32_e32 v8, v10, v20
	s_delay_alu instid0(VALU_DEP_1) | instskip(NEXT) | instid1(VALU_DEP_1)
	v_add_f32_e32 v7, v7, v8
	v_add_f32_e32 v7, v23, v7
	s_wait_alu 0xfffd
	s_delay_alu instid0(VALU_DEP_1) | instskip(SKIP_2) | instid1(VALU_DEP_2)
	v_cndmask_b32_e32 v7, 0x7f800000, v7, vcc_lo
	v_cmp_gt_f32_e64 vcc_lo, 0x33800000, |v9|
	s_wait_alu 0xfffd
	v_cndmask_b32_e32 v7, v7, v9, vcc_lo
	s_delay_alu instid0(VALU_DEP_1) | instskip(NEXT) | instid1(VALU_DEP_1)
	v_add_f32_e32 v1, v1, v7
	v_cvt_f16_f32_e32 v7, v1
.LBB421_205:
	s_wait_alu 0xfffe
	s_or_b32 exec_lo, exec_lo, s4
	s_delay_alu instid0(VALU_DEP_1)
	v_mov_b32_e32 v1, v7
.LBB421_206:
	s_wait_alu 0xfffe
	s_or_b32 exec_lo, exec_lo, s1
	s_delay_alu instid0(VALU_DEP_1) | instskip(SKIP_3) | instid1(VALU_DEP_4)
	v_cvt_f32_f16_e32 v7, v1
	v_cmp_u_f16_e64 s13, v1, v1
	v_cmp_u_f16_e32 vcc_lo, v19, v19
	v_dual_mov_b32 v22, v1 :: v_dual_mov_b32 v19, v1
	v_min_num_f32_e32 v20, v7, v13
	v_max_num_f32_e32 v21, v7, v13
	v_mov_b32_e32 v23, v7
	s_delay_alu instid0(VALU_DEP_3) | instskip(NEXT) | instid1(VALU_DEP_3)
	v_cndmask_b32_e64 v8, v20, v7, s13
	v_cndmask_b32_e64 v10, v21, v7, s13
	s_wait_alu 0xfffd
	s_delay_alu instid0(VALU_DEP_2) | instskip(NEXT) | instid1(VALU_DEP_2)
	v_cndmask_b32_e32 v9, v8, v13, vcc_lo
	v_cndmask_b32_e32 v8, v10, v13, vcc_lo
	s_delay_alu instid0(VALU_DEP_2) | instskip(NEXT) | instid1(VALU_DEP_2)
	v_cmp_class_f32_e64 s4, v9, 0x1f8
	v_cmp_neq_f32_e64 s1, v9, v8
	s_or_b32 s1, s1, s4
	s_wait_alu 0xfffe
	s_and_saveexec_b32 s4, s1
	s_cbranch_execz .LBB421_208
; %bb.207:
	v_sub_f32_e32 v9, v9, v8
	s_delay_alu instid0(VALU_DEP_1) | instskip(NEXT) | instid1(VALU_DEP_1)
	v_mul_f32_e32 v10, 0x3fb8aa3b, v9
	v_fma_f32 v19, 0x3fb8aa3b, v9, -v10
	v_rndne_f32_e32 v22, v10
	s_delay_alu instid0(VALU_DEP_1) | instskip(SKIP_1) | instid1(VALU_DEP_2)
	v_dual_sub_f32 v10, v10, v22 :: v_dual_fmamk_f32 v19, v9, 0x32a5705f, v19
	v_cmp_ngt_f32_e64 s1, 0xc2ce8ed0, v9
	v_add_f32_e32 v10, v10, v19
	v_cvt_i32_f32_e32 v19, v22
	s_delay_alu instid0(VALU_DEP_2) | instskip(NEXT) | instid1(TRANS32_DEP_1)
	v_exp_f32_e32 v10, v10
	v_ldexp_f32 v10, v10, v19
	s_wait_alu 0xf1ff
	s_delay_alu instid0(VALU_DEP_1) | instskip(SKIP_2) | instid1(VALU_DEP_1)
	v_cndmask_b32_e64 v10, 0, v10, s1
	v_cmp_nlt_f32_e64 s1, 0x42b17218, v9
	s_wait_alu 0xf1ff
	v_cndmask_b32_e64 v19, 0x7f800000, v10, s1
	s_delay_alu instid0(VALU_DEP_1) | instskip(NEXT) | instid1(VALU_DEP_1)
	v_add_f32_e32 v22, 1.0, v19
	v_cvt_f64_f32_e32 v[9:10], v22
	s_delay_alu instid0(VALU_DEP_1) | instskip(SKIP_1) | instid1(VALU_DEP_1)
	v_frexp_exp_i32_f64_e32 v9, v[9:10]
	v_frexp_mant_f32_e32 v10, v22
	v_cmp_gt_f32_e64 s1, 0x3f2aaaab, v10
	v_add_f32_e32 v10, -1.0, v22
	s_delay_alu instid0(VALU_DEP_1)
	v_sub_f32_e32 v24, v10, v22
	v_sub_f32_e32 v10, v19, v10
	s_wait_alu 0xf1ff
	v_subrev_co_ci_u32_e64 v9, null, 0, v9, s1
	s_mov_b32 s1, 0x3e9b6dac
	v_sub_nc_u32_e32 v23, 0, v9
	v_cvt_f32_i32_e32 v9, v9
	s_delay_alu instid0(VALU_DEP_2) | instskip(NEXT) | instid1(VALU_DEP_1)
	v_ldexp_f32 v22, v22, v23
	v_dual_add_f32 v25, 1.0, v22 :: v_dual_add_f32 v24, 1.0, v24
	s_delay_alu instid0(VALU_DEP_1) | instskip(NEXT) | instid1(VALU_DEP_2)
	v_add_f32_e32 v10, v10, v24
	v_add_f32_e32 v24, -1.0, v25
	s_delay_alu instid0(VALU_DEP_2) | instskip(NEXT) | instid1(VALU_DEP_2)
	v_ldexp_f32 v10, v10, v23
	v_dual_add_f32 v23, -1.0, v22 :: v_dual_sub_f32 v24, v22, v24
	s_delay_alu instid0(VALU_DEP_1) | instskip(NEXT) | instid1(VALU_DEP_2)
	v_add_f32_e32 v26, 1.0, v23
	v_add_f32_e32 v24, v10, v24
	s_delay_alu instid0(VALU_DEP_2) | instskip(NEXT) | instid1(VALU_DEP_2)
	v_sub_f32_e32 v22, v22, v26
	v_add_f32_e32 v26, v25, v24
	s_delay_alu instid0(VALU_DEP_2) | instskip(NEXT) | instid1(VALU_DEP_2)
	v_add_f32_e32 v10, v10, v22
	v_rcp_f32_e32 v22, v26
	v_sub_f32_e32 v25, v25, v26
	s_delay_alu instid0(VALU_DEP_1) | instskip(NEXT) | instid1(VALU_DEP_1)
	v_dual_add_f32 v27, v23, v10 :: v_dual_add_f32 v24, v24, v25
	v_sub_f32_e32 v23, v23, v27
	s_delay_alu instid0(TRANS32_DEP_1) | instskip(NEXT) | instid1(VALU_DEP_2)
	v_mul_f32_e32 v28, v27, v22
	v_add_f32_e32 v10, v10, v23
	s_delay_alu instid0(VALU_DEP_2) | instskip(NEXT) | instid1(VALU_DEP_1)
	v_mul_f32_e32 v29, v26, v28
	v_fma_f32 v25, v28, v26, -v29
	s_delay_alu instid0(VALU_DEP_1) | instskip(NEXT) | instid1(VALU_DEP_1)
	v_fmac_f32_e32 v25, v28, v24
	v_add_f32_e32 v30, v29, v25
	s_delay_alu instid0(VALU_DEP_1) | instskip(SKIP_1) | instid1(VALU_DEP_2)
	v_sub_f32_e32 v31, v27, v30
	v_sub_f32_e32 v23, v30, v29
	;; [unrolled: 1-line block ×3, first 2 shown]
	s_delay_alu instid0(VALU_DEP_2) | instskip(NEXT) | instid1(VALU_DEP_2)
	v_sub_f32_e32 v23, v23, v25
	v_sub_f32_e32 v27, v27, v30
	s_delay_alu instid0(VALU_DEP_1) | instskip(NEXT) | instid1(VALU_DEP_1)
	v_add_f32_e32 v10, v10, v27
	v_add_f32_e32 v10, v23, v10
	s_delay_alu instid0(VALU_DEP_1) | instskip(NEXT) | instid1(VALU_DEP_1)
	v_add_f32_e32 v23, v31, v10
	v_mul_f32_e32 v25, v22, v23
	s_delay_alu instid0(VALU_DEP_1) | instskip(NEXT) | instid1(VALU_DEP_1)
	v_dual_sub_f32 v30, v31, v23 :: v_dual_mul_f32 v27, v26, v25
	v_add_f32_e32 v10, v10, v30
	s_delay_alu instid0(VALU_DEP_2) | instskip(NEXT) | instid1(VALU_DEP_1)
	v_fma_f32 v26, v25, v26, -v27
	v_fmac_f32_e32 v26, v25, v24
	s_delay_alu instid0(VALU_DEP_1) | instskip(NEXT) | instid1(VALU_DEP_1)
	v_add_f32_e32 v24, v27, v26
	v_sub_f32_e32 v29, v23, v24
	v_sub_f32_e32 v27, v24, v27
	s_delay_alu instid0(VALU_DEP_2) | instskip(NEXT) | instid1(VALU_DEP_1)
	v_sub_f32_e32 v23, v23, v29
	v_sub_f32_e32 v23, v23, v24
	s_delay_alu instid0(VALU_DEP_3) | instskip(NEXT) | instid1(VALU_DEP_2)
	v_sub_f32_e32 v24, v27, v26
	v_dual_add_f32 v10, v10, v23 :: v_dual_add_f32 v23, v28, v25
	s_delay_alu instid0(VALU_DEP_1) | instskip(NEXT) | instid1(VALU_DEP_2)
	v_add_f32_e32 v10, v24, v10
	v_sub_f32_e32 v24, v23, v28
	s_delay_alu instid0(VALU_DEP_2) | instskip(NEXT) | instid1(VALU_DEP_2)
	v_add_f32_e32 v10, v29, v10
	v_sub_f32_e32 v24, v25, v24
	s_delay_alu instid0(VALU_DEP_2) | instskip(NEXT) | instid1(VALU_DEP_1)
	v_mul_f32_e32 v10, v22, v10
	v_add_f32_e32 v10, v24, v10
	s_delay_alu instid0(VALU_DEP_1) | instskip(NEXT) | instid1(VALU_DEP_1)
	v_add_f32_e32 v22, v23, v10
	v_mul_f32_e32 v24, v22, v22
	s_wait_alu 0xfffe
	s_delay_alu instid0(VALU_DEP_1) | instskip(SKIP_2) | instid1(VALU_DEP_3)
	v_fmaak_f32 v25, s1, v24, 0x3ecc95a3
	v_mul_f32_e32 v26, v22, v24
	v_cmp_neq_f32_e64 s1, 0x7f800000, v19
	v_fmaak_f32 v24, v24, v25, 0x3f2aaada
	v_ldexp_f32 v25, v22, 1
	v_sub_f32_e32 v22, v22, v23
	s_delay_alu instid0(VALU_DEP_3) | instskip(SKIP_1) | instid1(VALU_DEP_2)
	v_mul_f32_e32 v24, v26, v24
	v_mul_f32_e32 v26, 0x3f317218, v9
	v_dual_sub_f32 v10, v10, v22 :: v_dual_add_f32 v23, v25, v24
	s_delay_alu instid0(VALU_DEP_1) | instskip(NEXT) | instid1(VALU_DEP_2)
	v_ldexp_f32 v10, v10, 1
	v_sub_f32_e32 v22, v23, v25
	s_delay_alu instid0(VALU_DEP_4) | instskip(NEXT) | instid1(VALU_DEP_1)
	v_fma_f32 v25, 0x3f317218, v9, -v26
	v_dual_sub_f32 v22, v24, v22 :: v_dual_fmamk_f32 v9, v9, 0xb102e308, v25
	s_delay_alu instid0(VALU_DEP_1) | instskip(NEXT) | instid1(VALU_DEP_2)
	v_add_f32_e32 v10, v10, v22
	v_add_f32_e32 v22, v26, v9
	s_delay_alu instid0(VALU_DEP_2) | instskip(NEXT) | instid1(VALU_DEP_2)
	v_add_f32_e32 v24, v23, v10
	v_sub_f32_e32 v26, v22, v26
	s_delay_alu instid0(VALU_DEP_2) | instskip(SKIP_1) | instid1(VALU_DEP_3)
	v_add_f32_e32 v25, v22, v24
	v_sub_f32_e32 v23, v24, v23
	v_sub_f32_e32 v9, v9, v26
	s_delay_alu instid0(VALU_DEP_2) | instskip(NEXT) | instid1(VALU_DEP_1)
	v_dual_sub_f32 v27, v25, v22 :: v_dual_sub_f32 v10, v10, v23
	v_sub_f32_e32 v28, v25, v27
	s_delay_alu instid0(VALU_DEP_2) | instskip(NEXT) | instid1(VALU_DEP_2)
	v_dual_sub_f32 v23, v24, v27 :: v_dual_add_f32 v24, v9, v10
	v_sub_f32_e32 v22, v22, v28
	s_delay_alu instid0(VALU_DEP_1) | instskip(NEXT) | instid1(VALU_DEP_1)
	v_dual_add_f32 v22, v23, v22 :: v_dual_sub_f32 v23, v24, v9
	v_add_f32_e32 v22, v24, v22
	s_delay_alu instid0(VALU_DEP_2) | instskip(SKIP_1) | instid1(VALU_DEP_3)
	v_sub_f32_e32 v24, v24, v23
	v_sub_f32_e32 v10, v10, v23
	v_add_f32_e32 v26, v25, v22
	s_delay_alu instid0(VALU_DEP_3) | instskip(NEXT) | instid1(VALU_DEP_2)
	v_sub_f32_e32 v9, v9, v24
	v_sub_f32_e32 v23, v26, v25
	s_delay_alu instid0(VALU_DEP_2) | instskip(NEXT) | instid1(VALU_DEP_2)
	v_add_f32_e32 v9, v10, v9
	v_sub_f32_e32 v10, v22, v23
	s_delay_alu instid0(VALU_DEP_1) | instskip(NEXT) | instid1(VALU_DEP_1)
	v_add_f32_e32 v9, v9, v10
	v_add_f32_e32 v9, v26, v9
	s_wait_alu 0xf1ff
	s_delay_alu instid0(VALU_DEP_1) | instskip(SKIP_2) | instid1(VALU_DEP_1)
	v_cndmask_b32_e64 v9, 0x7f800000, v9, s1
	v_cmp_gt_f32_e64 s1, 0x33800000, |v19|
	s_wait_alu 0xf1ff
	v_cndmask_b32_e64 v9, v9, v19, s1
	s_delay_alu instid0(VALU_DEP_1) | instskip(NEXT) | instid1(VALU_DEP_1)
	v_add_f32_e32 v8, v8, v9
	v_cvt_f16_f32_e32 v22, v8
	s_delay_alu instid0(VALU_DEP_1)
	v_cvt_f32_f16_e32 v23, v22
	v_mov_b32_e32 v19, v22
.LBB421_208:
	s_wait_alu 0xfffe
	s_or_b32 exec_lo, exec_lo, s4
	v_cvt_f32_f16_e32 v8, v2
	v_max_num_f32_e32 v9, v23, v23
	v_cmp_u_f16_e64 s1, v22, v22
	s_delay_alu instid0(VALU_DEP_2) | instskip(SKIP_2) | instid1(VALU_DEP_2)
	v_min_num_f32_e32 v10, v9, v8
	v_max_num_f32_e32 v9, v9, v8
	s_wait_alu 0xf1ff
	v_cndmask_b32_e64 v10, v10, v23, s1
	s_delay_alu instid0(VALU_DEP_2) | instskip(SKIP_2) | instid1(VALU_DEP_1)
	v_cndmask_b32_e64 v24, v9, v23, s1
	v_cmp_u_f16_e64 s1, v2, v2
	s_wait_alu 0xf1ff
	v_cndmask_b32_e64 v9, v10, v8, s1
	s_delay_alu instid0(VALU_DEP_3) | instskip(NEXT) | instid1(VALU_DEP_2)
	v_cndmask_b32_e64 v2, v24, v8, s1
	v_cmp_class_f32_e64 s5, v9, 0x1f8
	s_delay_alu instid0(VALU_DEP_2)
	v_cmp_neq_f32_e64 s4, v9, v2
	s_or_b32 s4, s4, s5
	s_wait_alu 0xfffe
	s_and_saveexec_b32 s5, s4
	s_cbranch_execz .LBB421_210
; %bb.209:
	v_sub_f32_e32 v9, v9, v2
	s_delay_alu instid0(VALU_DEP_1) | instskip(NEXT) | instid1(VALU_DEP_1)
	v_mul_f32_e32 v10, 0x3fb8aa3b, v9
	v_fma_f32 v19, 0x3fb8aa3b, v9, -v10
	v_rndne_f32_e32 v22, v10
	s_delay_alu instid0(VALU_DEP_1) | instskip(NEXT) | instid1(VALU_DEP_1)
	v_dual_fmamk_f32 v19, v9, 0x32a5705f, v19 :: v_dual_sub_f32 v10, v10, v22
	v_add_f32_e32 v10, v10, v19
	v_cvt_i32_f32_e32 v19, v22
	v_cmp_ngt_f32_e64 s4, 0xc2ce8ed0, v9
	s_delay_alu instid0(VALU_DEP_3) | instskip(NEXT) | instid1(TRANS32_DEP_1)
	v_exp_f32_e32 v10, v10
	v_ldexp_f32 v10, v10, v19
	s_wait_alu 0xf1ff
	s_delay_alu instid0(VALU_DEP_1) | instskip(SKIP_2) | instid1(VALU_DEP_1)
	v_cndmask_b32_e64 v10, 0, v10, s4
	v_cmp_nlt_f32_e64 s4, 0x42b17218, v9
	s_wait_alu 0xf1ff
	v_cndmask_b32_e64 v19, 0x7f800000, v10, s4
	s_delay_alu instid0(VALU_DEP_1) | instskip(NEXT) | instid1(VALU_DEP_1)
	v_add_f32_e32 v22, 1.0, v19
	v_cvt_f64_f32_e32 v[9:10], v22
	s_delay_alu instid0(VALU_DEP_1) | instskip(SKIP_1) | instid1(VALU_DEP_1)
	v_frexp_exp_i32_f64_e32 v9, v[9:10]
	v_frexp_mant_f32_e32 v10, v22
	v_cmp_gt_f32_e64 s4, 0x3f2aaaab, v10
	v_add_f32_e32 v10, -1.0, v22
	s_delay_alu instid0(VALU_DEP_1)
	v_sub_f32_e32 v24, v10, v22
	v_sub_f32_e32 v10, v19, v10
	s_wait_alu 0xf1ff
	v_subrev_co_ci_u32_e64 v9, null, 0, v9, s4
	s_mov_b32 s4, 0x3e9b6dac
	v_sub_nc_u32_e32 v23, 0, v9
	v_cvt_f32_i32_e32 v9, v9
	s_delay_alu instid0(VALU_DEP_2) | instskip(NEXT) | instid1(VALU_DEP_1)
	v_ldexp_f32 v22, v22, v23
	v_dual_add_f32 v24, 1.0, v24 :: v_dual_add_f32 v25, 1.0, v22
	s_delay_alu instid0(VALU_DEP_1) | instskip(NEXT) | instid1(VALU_DEP_2)
	v_add_f32_e32 v10, v10, v24
	v_add_f32_e32 v24, -1.0, v25
	s_delay_alu instid0(VALU_DEP_2) | instskip(NEXT) | instid1(VALU_DEP_2)
	v_ldexp_f32 v10, v10, v23
	v_dual_add_f32 v23, -1.0, v22 :: v_dual_sub_f32 v24, v22, v24
	s_delay_alu instid0(VALU_DEP_1) | instskip(NEXT) | instid1(VALU_DEP_2)
	v_add_f32_e32 v26, 1.0, v23
	v_add_f32_e32 v24, v10, v24
	s_delay_alu instid0(VALU_DEP_2) | instskip(NEXT) | instid1(VALU_DEP_2)
	v_sub_f32_e32 v22, v22, v26
	v_add_f32_e32 v26, v25, v24
	s_delay_alu instid0(VALU_DEP_2) | instskip(NEXT) | instid1(VALU_DEP_2)
	v_add_f32_e32 v10, v10, v22
	v_rcp_f32_e32 v22, v26
	v_sub_f32_e32 v25, v25, v26
	s_delay_alu instid0(VALU_DEP_1) | instskip(NEXT) | instid1(VALU_DEP_1)
	v_dual_add_f32 v27, v23, v10 :: v_dual_add_f32 v24, v24, v25
	v_sub_f32_e32 v23, v23, v27
	s_delay_alu instid0(TRANS32_DEP_1) | instskip(NEXT) | instid1(VALU_DEP_2)
	v_mul_f32_e32 v28, v27, v22
	v_add_f32_e32 v10, v10, v23
	s_delay_alu instid0(VALU_DEP_2) | instskip(NEXT) | instid1(VALU_DEP_1)
	v_mul_f32_e32 v29, v26, v28
	v_fma_f32 v25, v28, v26, -v29
	s_delay_alu instid0(VALU_DEP_1) | instskip(NEXT) | instid1(VALU_DEP_1)
	v_fmac_f32_e32 v25, v28, v24
	v_add_f32_e32 v30, v29, v25
	s_delay_alu instid0(VALU_DEP_1) | instskip(SKIP_1) | instid1(VALU_DEP_2)
	v_sub_f32_e32 v31, v27, v30
	v_sub_f32_e32 v23, v30, v29
	;; [unrolled: 1-line block ×3, first 2 shown]
	s_delay_alu instid0(VALU_DEP_2) | instskip(NEXT) | instid1(VALU_DEP_2)
	v_sub_f32_e32 v23, v23, v25
	v_sub_f32_e32 v27, v27, v30
	s_delay_alu instid0(VALU_DEP_1) | instskip(NEXT) | instid1(VALU_DEP_1)
	v_add_f32_e32 v10, v10, v27
	v_add_f32_e32 v10, v23, v10
	s_delay_alu instid0(VALU_DEP_1) | instskip(NEXT) | instid1(VALU_DEP_1)
	v_add_f32_e32 v23, v31, v10
	v_mul_f32_e32 v25, v22, v23
	s_delay_alu instid0(VALU_DEP_1) | instskip(NEXT) | instid1(VALU_DEP_1)
	v_dual_sub_f32 v30, v31, v23 :: v_dual_mul_f32 v27, v26, v25
	v_add_f32_e32 v10, v10, v30
	s_delay_alu instid0(VALU_DEP_2) | instskip(NEXT) | instid1(VALU_DEP_1)
	v_fma_f32 v26, v25, v26, -v27
	v_fmac_f32_e32 v26, v25, v24
	s_delay_alu instid0(VALU_DEP_1) | instskip(NEXT) | instid1(VALU_DEP_1)
	v_add_f32_e32 v24, v27, v26
	v_sub_f32_e32 v29, v23, v24
	v_sub_f32_e32 v27, v24, v27
	s_delay_alu instid0(VALU_DEP_2) | instskip(NEXT) | instid1(VALU_DEP_1)
	v_sub_f32_e32 v23, v23, v29
	v_sub_f32_e32 v23, v23, v24
	s_delay_alu instid0(VALU_DEP_1) | instskip(NEXT) | instid1(VALU_DEP_4)
	v_dual_add_f32 v10, v10, v23 :: v_dual_add_f32 v23, v28, v25
	v_sub_f32_e32 v24, v27, v26
	s_delay_alu instid0(VALU_DEP_1) | instskip(NEXT) | instid1(VALU_DEP_3)
	v_add_f32_e32 v10, v24, v10
	v_sub_f32_e32 v24, v23, v28
	s_delay_alu instid0(VALU_DEP_2) | instskip(NEXT) | instid1(VALU_DEP_2)
	v_add_f32_e32 v10, v29, v10
	v_sub_f32_e32 v24, v25, v24
	s_delay_alu instid0(VALU_DEP_2) | instskip(NEXT) | instid1(VALU_DEP_1)
	v_mul_f32_e32 v10, v22, v10
	v_add_f32_e32 v10, v24, v10
	s_delay_alu instid0(VALU_DEP_1) | instskip(NEXT) | instid1(VALU_DEP_1)
	v_add_f32_e32 v22, v23, v10
	v_mul_f32_e32 v24, v22, v22
	s_wait_alu 0xfffe
	s_delay_alu instid0(VALU_DEP_1) | instskip(SKIP_2) | instid1(VALU_DEP_3)
	v_fmaak_f32 v25, s4, v24, 0x3ecc95a3
	v_mul_f32_e32 v26, v22, v24
	v_cmp_neq_f32_e64 s4, 0x7f800000, v19
	v_fmaak_f32 v24, v24, v25, 0x3f2aaada
	v_ldexp_f32 v25, v22, 1
	v_sub_f32_e32 v22, v22, v23
	s_delay_alu instid0(VALU_DEP_3) | instskip(SKIP_1) | instid1(VALU_DEP_2)
	v_mul_f32_e32 v24, v26, v24
	v_mul_f32_e32 v26, 0x3f317218, v9
	v_dual_sub_f32 v10, v10, v22 :: v_dual_add_f32 v23, v25, v24
	s_delay_alu instid0(VALU_DEP_1) | instskip(NEXT) | instid1(VALU_DEP_2)
	v_ldexp_f32 v10, v10, 1
	v_sub_f32_e32 v22, v23, v25
	s_delay_alu instid0(VALU_DEP_4) | instskip(NEXT) | instid1(VALU_DEP_1)
	v_fma_f32 v25, 0x3f317218, v9, -v26
	v_dual_sub_f32 v22, v24, v22 :: v_dual_fmamk_f32 v9, v9, 0xb102e308, v25
	s_delay_alu instid0(VALU_DEP_1) | instskip(NEXT) | instid1(VALU_DEP_2)
	v_add_f32_e32 v10, v10, v22
	v_add_f32_e32 v22, v26, v9
	s_delay_alu instid0(VALU_DEP_2) | instskip(NEXT) | instid1(VALU_DEP_2)
	v_add_f32_e32 v24, v23, v10
	v_sub_f32_e32 v26, v22, v26
	s_delay_alu instid0(VALU_DEP_2) | instskip(SKIP_1) | instid1(VALU_DEP_3)
	v_add_f32_e32 v25, v22, v24
	v_sub_f32_e32 v23, v24, v23
	v_sub_f32_e32 v9, v9, v26
	s_delay_alu instid0(VALU_DEP_2) | instskip(NEXT) | instid1(VALU_DEP_1)
	v_dual_sub_f32 v27, v25, v22 :: v_dual_sub_f32 v10, v10, v23
	v_sub_f32_e32 v28, v25, v27
	s_delay_alu instid0(VALU_DEP_2) | instskip(NEXT) | instid1(VALU_DEP_2)
	v_dual_sub_f32 v23, v24, v27 :: v_dual_add_f32 v24, v9, v10
	v_sub_f32_e32 v22, v22, v28
	s_delay_alu instid0(VALU_DEP_1) | instskip(NEXT) | instid1(VALU_DEP_1)
	v_dual_add_f32 v22, v23, v22 :: v_dual_sub_f32 v23, v24, v9
	v_add_f32_e32 v22, v24, v22
	s_delay_alu instid0(VALU_DEP_2) | instskip(SKIP_1) | instid1(VALU_DEP_3)
	v_sub_f32_e32 v24, v24, v23
	v_sub_f32_e32 v10, v10, v23
	v_add_f32_e32 v26, v25, v22
	s_delay_alu instid0(VALU_DEP_3) | instskip(NEXT) | instid1(VALU_DEP_2)
	v_sub_f32_e32 v9, v9, v24
	v_sub_f32_e32 v23, v26, v25
	s_delay_alu instid0(VALU_DEP_2) | instskip(NEXT) | instid1(VALU_DEP_2)
	v_add_f32_e32 v9, v10, v9
	v_sub_f32_e32 v10, v22, v23
	s_delay_alu instid0(VALU_DEP_1) | instskip(NEXT) | instid1(VALU_DEP_1)
	v_add_f32_e32 v9, v9, v10
	v_add_f32_e32 v9, v26, v9
	s_wait_alu 0xf1ff
	s_delay_alu instid0(VALU_DEP_1) | instskip(SKIP_2) | instid1(VALU_DEP_1)
	v_cndmask_b32_e64 v9, 0x7f800000, v9, s4
	v_cmp_gt_f32_e64 s4, 0x33800000, |v19|
	s_wait_alu 0xf1ff
	v_cndmask_b32_e64 v9, v9, v19, s4
	s_delay_alu instid0(VALU_DEP_1) | instskip(NEXT) | instid1(VALU_DEP_1)
	v_add_f32_e32 v2, v2, v9
	v_cvt_f16_f32_e32 v22, v2
	s_delay_alu instid0(VALU_DEP_1)
	v_cvt_f32_f16_e32 v23, v22
	v_mov_b32_e32 v19, v22
.LBB421_210:
	s_wait_alu 0xfffe
	s_or_b32 exec_lo, exec_lo, s5
	v_cvt_f32_f16_e32 v2, v18
	v_max_num_f32_e32 v9, v23, v23
	v_cmp_u_f16_e64 s4, v22, v22
	s_delay_alu instid0(VALU_DEP_2) | instskip(SKIP_2) | instid1(VALU_DEP_2)
	v_min_num_f32_e32 v10, v9, v2
	v_max_num_f32_e32 v9, v9, v2
	s_wait_alu 0xf1ff
	v_cndmask_b32_e64 v10, v10, v23, s4
	s_delay_alu instid0(VALU_DEP_2) | instskip(SKIP_2) | instid1(VALU_DEP_1)
	v_cndmask_b32_e64 v9, v9, v23, s4
	v_cmp_u_f16_e64 s4, v18, v18
	s_wait_alu 0xf1ff
	v_cndmask_b32_e64 v10, v10, v2, s4
	s_delay_alu instid0(VALU_DEP_3) | instskip(NEXT) | instid1(VALU_DEP_2)
	v_cndmask_b32_e64 v9, v9, v2, s4
	v_cmp_class_f32_e64 s6, v10, 0x1f8
	s_delay_alu instid0(VALU_DEP_2)
	v_cmp_neq_f32_e64 s5, v10, v9
	s_or_b32 s5, s5, s6
	s_wait_alu 0xfffe
	s_and_saveexec_b32 s6, s5
	s_cbranch_execz .LBB421_212
; %bb.211:
	v_sub_f32_e32 v10, v10, v9
	s_delay_alu instid0(VALU_DEP_1) | instskip(SKIP_1) | instid1(VALU_DEP_2)
	v_mul_f32_e32 v18, 0x3fb8aa3b, v10
	v_cmp_ngt_f32_e64 s5, 0xc2ce8ed0, v10
	v_fma_f32 v19, 0x3fb8aa3b, v10, -v18
	v_rndne_f32_e32 v22, v18
	s_delay_alu instid0(VALU_DEP_2) | instskip(NEXT) | instid1(VALU_DEP_2)
	v_fmamk_f32 v19, v10, 0x32a5705f, v19
	v_sub_f32_e32 v18, v18, v22
	s_delay_alu instid0(VALU_DEP_1) | instskip(SKIP_1) | instid1(VALU_DEP_2)
	v_add_f32_e32 v18, v18, v19
	v_cvt_i32_f32_e32 v19, v22
	v_exp_f32_e32 v18, v18
	s_delay_alu instid0(TRANS32_DEP_1) | instskip(SKIP_1) | instid1(VALU_DEP_1)
	v_ldexp_f32 v18, v18, v19
	s_wait_alu 0xf1ff
	v_cndmask_b32_e64 v18, 0, v18, s5
	v_cmp_nlt_f32_e64 s5, 0x42b17218, v10
	s_wait_alu 0xf1ff
	s_delay_alu instid0(VALU_DEP_1) | instskip(NEXT) | instid1(VALU_DEP_1)
	v_cndmask_b32_e64 v10, 0x7f800000, v18, s5
	v_add_f32_e32 v22, 1.0, v10
	s_delay_alu instid0(VALU_DEP_1) | instskip(NEXT) | instid1(VALU_DEP_1)
	v_cvt_f64_f32_e32 v[18:19], v22
	v_frexp_exp_i32_f64_e32 v18, v[18:19]
	v_frexp_mant_f32_e32 v19, v22
	s_delay_alu instid0(VALU_DEP_1) | instskip(SKIP_1) | instid1(VALU_DEP_1)
	v_cmp_gt_f32_e64 s5, 0x3f2aaaab, v19
	v_add_f32_e32 v19, -1.0, v22
	v_dual_sub_f32 v24, v19, v22 :: v_dual_sub_f32 v19, v10, v19
	s_wait_alu 0xf1ff
	s_delay_alu instid0(VALU_DEP_3) | instskip(SKIP_3) | instid1(VALU_DEP_2)
	v_subrev_co_ci_u32_e64 v18, null, 0, v18, s5
	s_mov_b32 s5, 0x3e9b6dac
	v_sub_nc_u32_e32 v23, 0, v18
	v_cvt_f32_i32_e32 v18, v18
	v_ldexp_f32 v22, v22, v23
	s_delay_alu instid0(VALU_DEP_1) | instskip(NEXT) | instid1(VALU_DEP_1)
	v_dual_add_f32 v24, 1.0, v24 :: v_dual_add_f32 v25, 1.0, v22
	v_add_f32_e32 v19, v19, v24
	s_delay_alu instid0(VALU_DEP_1) | instskip(NEXT) | instid1(VALU_DEP_3)
	v_ldexp_f32 v19, v19, v23
	v_dual_add_f32 v23, -1.0, v22 :: v_dual_add_f32 v24, -1.0, v25
	s_delay_alu instid0(VALU_DEP_1) | instskip(NEXT) | instid1(VALU_DEP_2)
	v_add_f32_e32 v26, 1.0, v23
	v_sub_f32_e32 v24, v22, v24
	s_delay_alu instid0(VALU_DEP_2) | instskip(NEXT) | instid1(VALU_DEP_2)
	v_sub_f32_e32 v22, v22, v26
	v_add_f32_e32 v24, v19, v24
	s_delay_alu instid0(VALU_DEP_2) | instskip(NEXT) | instid1(VALU_DEP_1)
	v_add_f32_e32 v19, v19, v22
	v_dual_add_f32 v27, v23, v19 :: v_dual_add_f32 v26, v25, v24
	s_delay_alu instid0(VALU_DEP_1) | instskip(NEXT) | instid1(VALU_DEP_2)
	v_sub_f32_e32 v23, v23, v27
	v_rcp_f32_e32 v22, v26
	v_sub_f32_e32 v25, v25, v26
	s_delay_alu instid0(VALU_DEP_1) | instskip(NEXT) | instid1(TRANS32_DEP_1)
	v_dual_add_f32 v19, v19, v23 :: v_dual_add_f32 v24, v24, v25
	v_mul_f32_e32 v28, v27, v22
	s_delay_alu instid0(VALU_DEP_1) | instskip(NEXT) | instid1(VALU_DEP_1)
	v_mul_f32_e32 v29, v26, v28
	v_fma_f32 v25, v28, v26, -v29
	s_delay_alu instid0(VALU_DEP_1) | instskip(NEXT) | instid1(VALU_DEP_1)
	v_fmac_f32_e32 v25, v28, v24
	v_add_f32_e32 v30, v29, v25
	s_delay_alu instid0(VALU_DEP_1) | instskip(SKIP_1) | instid1(VALU_DEP_2)
	v_sub_f32_e32 v31, v27, v30
	v_sub_f32_e32 v23, v30, v29
	;; [unrolled: 1-line block ×3, first 2 shown]
	s_delay_alu instid0(VALU_DEP_2) | instskip(NEXT) | instid1(VALU_DEP_2)
	v_sub_f32_e32 v23, v23, v25
	v_sub_f32_e32 v27, v27, v30
	s_delay_alu instid0(VALU_DEP_1) | instskip(NEXT) | instid1(VALU_DEP_1)
	v_add_f32_e32 v19, v19, v27
	v_add_f32_e32 v19, v23, v19
	s_delay_alu instid0(VALU_DEP_1) | instskip(NEXT) | instid1(VALU_DEP_1)
	v_add_f32_e32 v23, v31, v19
	v_mul_f32_e32 v25, v22, v23
	s_delay_alu instid0(VALU_DEP_1) | instskip(NEXT) | instid1(VALU_DEP_1)
	v_dual_sub_f32 v30, v31, v23 :: v_dual_mul_f32 v27, v26, v25
	v_add_f32_e32 v19, v19, v30
	s_delay_alu instid0(VALU_DEP_2) | instskip(NEXT) | instid1(VALU_DEP_1)
	v_fma_f32 v26, v25, v26, -v27
	v_fmac_f32_e32 v26, v25, v24
	s_delay_alu instid0(VALU_DEP_1) | instskip(NEXT) | instid1(VALU_DEP_1)
	v_add_f32_e32 v24, v27, v26
	v_sub_f32_e32 v29, v23, v24
	s_delay_alu instid0(VALU_DEP_1) | instskip(NEXT) | instid1(VALU_DEP_1)
	v_sub_f32_e32 v23, v23, v29
	v_sub_f32_e32 v23, v23, v24
	s_delay_alu instid0(VALU_DEP_1) | instskip(SKIP_2) | instid1(VALU_DEP_1)
	v_add_f32_e32 v19, v19, v23
	v_add_f32_e32 v23, v28, v25
	v_sub_f32_e32 v27, v24, v27
	v_sub_f32_e32 v24, v27, v26
	s_delay_alu instid0(VALU_DEP_1) | instskip(NEXT) | instid1(VALU_DEP_1)
	v_dual_add_f32 v19, v24, v19 :: v_dual_sub_f32 v24, v23, v28
	v_add_f32_e32 v19, v29, v19
	s_delay_alu instid0(VALU_DEP_1) | instskip(NEXT) | instid1(VALU_DEP_1)
	v_dual_sub_f32 v24, v25, v24 :: v_dual_mul_f32 v19, v22, v19
	v_add_f32_e32 v19, v24, v19
	s_delay_alu instid0(VALU_DEP_1) | instskip(NEXT) | instid1(VALU_DEP_1)
	v_add_f32_e32 v22, v23, v19
	v_mul_f32_e32 v24, v22, v22
	s_wait_alu 0xfffe
	s_delay_alu instid0(VALU_DEP_1) | instskip(SKIP_2) | instid1(VALU_DEP_3)
	v_fmaak_f32 v25, s5, v24, 0x3ecc95a3
	v_mul_f32_e32 v26, v22, v24
	v_cmp_neq_f32_e64 s5, 0x7f800000, v10
	v_fmaak_f32 v24, v24, v25, 0x3f2aaada
	v_ldexp_f32 v25, v22, 1
	v_sub_f32_e32 v22, v22, v23
	s_delay_alu instid0(VALU_DEP_3) | instskip(SKIP_1) | instid1(VALU_DEP_3)
	v_mul_f32_e32 v24, v26, v24
	v_mul_f32_e32 v26, 0x3f317218, v18
	v_sub_f32_e32 v19, v19, v22
	s_delay_alu instid0(VALU_DEP_3) | instskip(NEXT) | instid1(VALU_DEP_2)
	v_add_f32_e32 v23, v25, v24
	v_ldexp_f32 v19, v19, 1
	s_delay_alu instid0(VALU_DEP_2) | instskip(SKIP_1) | instid1(VALU_DEP_2)
	v_sub_f32_e32 v22, v23, v25
	v_fma_f32 v25, 0x3f317218, v18, -v26
	v_sub_f32_e32 v22, v24, v22
	s_delay_alu instid0(VALU_DEP_1) | instskip(NEXT) | instid1(VALU_DEP_1)
	v_dual_fmamk_f32 v18, v18, 0xb102e308, v25 :: v_dual_add_f32 v19, v19, v22
	v_add_f32_e32 v22, v26, v18
	s_delay_alu instid0(VALU_DEP_1) | instskip(NEXT) | instid1(VALU_DEP_1)
	v_sub_f32_e32 v26, v22, v26
	v_sub_f32_e32 v18, v18, v26
	s_delay_alu instid0(VALU_DEP_4) | instskip(NEXT) | instid1(VALU_DEP_1)
	v_add_f32_e32 v24, v23, v19
	v_add_f32_e32 v25, v22, v24
	s_delay_alu instid0(VALU_DEP_1) | instskip(SKIP_1) | instid1(VALU_DEP_2)
	v_sub_f32_e32 v27, v25, v22
	v_sub_f32_e32 v23, v24, v23
	;; [unrolled: 1-line block ×3, first 2 shown]
	s_delay_alu instid0(VALU_DEP_1) | instskip(SKIP_1) | instid1(VALU_DEP_2)
	v_dual_sub_f32 v22, v22, v28 :: v_dual_sub_f32 v19, v19, v23
	v_sub_f32_e32 v23, v24, v27
	v_add_f32_e32 v24, v18, v19
	s_delay_alu instid0(VALU_DEP_2) | instskip(NEXT) | instid1(VALU_DEP_2)
	v_add_f32_e32 v22, v23, v22
	v_sub_f32_e32 v23, v24, v18
	s_delay_alu instid0(VALU_DEP_2) | instskip(NEXT) | instid1(VALU_DEP_1)
	v_add_f32_e32 v22, v24, v22
	v_add_f32_e32 v26, v25, v22
	s_delay_alu instid0(VALU_DEP_3) | instskip(NEXT) | instid1(VALU_DEP_1)
	v_sub_f32_e32 v24, v24, v23
	v_dual_sub_f32 v18, v18, v24 :: v_dual_sub_f32 v19, v19, v23
	s_delay_alu instid0(VALU_DEP_1) | instskip(NEXT) | instid1(VALU_DEP_1)
	v_dual_sub_f32 v23, v26, v25 :: v_dual_add_f32 v18, v19, v18
	v_sub_f32_e32 v19, v22, v23
	s_delay_alu instid0(VALU_DEP_1) | instskip(NEXT) | instid1(VALU_DEP_1)
	v_add_f32_e32 v18, v18, v19
	v_add_f32_e32 v18, v26, v18
	s_wait_alu 0xf1ff
	s_delay_alu instid0(VALU_DEP_1) | instskip(SKIP_2) | instid1(VALU_DEP_1)
	v_cndmask_b32_e64 v18, 0x7f800000, v18, s5
	v_cmp_gt_f32_e64 s5, 0x33800000, |v10|
	s_wait_alu 0xf1ff
	v_cndmask_b32_e64 v10, v18, v10, s5
	s_delay_alu instid0(VALU_DEP_1) | instskip(NEXT) | instid1(VALU_DEP_1)
	v_add_f32_e32 v9, v9, v10
	v_cvt_f16_f32_e32 v22, v9
	s_delay_alu instid0(VALU_DEP_1)
	v_cvt_f32_f16_e32 v23, v22
	v_mov_b32_e32 v19, v22
.LBB421_212:
	s_wait_alu 0xfffe
	s_or_b32 exec_lo, exec_lo, s6
	v_cvt_f32_f16_e32 v9, v3
	v_max_num_f32_e32 v10, v23, v23
	v_cmp_u_f16_e64 s5, v22, v22
	s_delay_alu instid0(VALU_DEP_2) | instskip(SKIP_2) | instid1(VALU_DEP_2)
	v_min_num_f32_e32 v18, v10, v9
	v_max_num_f32_e32 v10, v10, v9
	s_wait_alu 0xf1ff
	v_cndmask_b32_e64 v18, v18, v23, s5
	s_delay_alu instid0(VALU_DEP_2) | instskip(SKIP_2) | instid1(VALU_DEP_1)
	v_cndmask_b32_e64 v24, v10, v23, s5
	v_cmp_u_f16_e64 s5, v3, v3
	s_wait_alu 0xf1ff
	v_cndmask_b32_e64 v10, v18, v9, s5
	s_delay_alu instid0(VALU_DEP_3) | instskip(NEXT) | instid1(VALU_DEP_2)
	v_cndmask_b32_e64 v3, v24, v9, s5
	v_cmp_class_f32_e64 s7, v10, 0x1f8
	s_delay_alu instid0(VALU_DEP_2)
	v_cmp_neq_f32_e64 s6, v10, v3
	s_or_b32 s6, s6, s7
	s_wait_alu 0xfffe
	s_and_saveexec_b32 s7, s6
	s_cbranch_execz .LBB421_214
; %bb.213:
	v_sub_f32_e32 v10, v10, v3
	s_delay_alu instid0(VALU_DEP_1) | instskip(SKIP_1) | instid1(VALU_DEP_2)
	v_mul_f32_e32 v18, 0x3fb8aa3b, v10
	v_cmp_ngt_f32_e64 s6, 0xc2ce8ed0, v10
	v_fma_f32 v19, 0x3fb8aa3b, v10, -v18
	v_rndne_f32_e32 v22, v18
	s_delay_alu instid0(VALU_DEP_2) | instskip(NEXT) | instid1(VALU_DEP_2)
	v_fmamk_f32 v19, v10, 0x32a5705f, v19
	v_sub_f32_e32 v18, v18, v22
	s_delay_alu instid0(VALU_DEP_1) | instskip(SKIP_1) | instid1(VALU_DEP_2)
	v_add_f32_e32 v18, v18, v19
	v_cvt_i32_f32_e32 v19, v22
	v_exp_f32_e32 v18, v18
	s_delay_alu instid0(TRANS32_DEP_1) | instskip(SKIP_1) | instid1(VALU_DEP_1)
	v_ldexp_f32 v18, v18, v19
	s_wait_alu 0xf1ff
	v_cndmask_b32_e64 v18, 0, v18, s6
	v_cmp_nlt_f32_e64 s6, 0x42b17218, v10
	s_wait_alu 0xf1ff
	s_delay_alu instid0(VALU_DEP_1) | instskip(NEXT) | instid1(VALU_DEP_1)
	v_cndmask_b32_e64 v10, 0x7f800000, v18, s6
	v_add_f32_e32 v22, 1.0, v10
	s_delay_alu instid0(VALU_DEP_1) | instskip(NEXT) | instid1(VALU_DEP_1)
	v_cvt_f64_f32_e32 v[18:19], v22
	v_frexp_exp_i32_f64_e32 v18, v[18:19]
	v_frexp_mant_f32_e32 v19, v22
	s_delay_alu instid0(VALU_DEP_1) | instskip(SKIP_1) | instid1(VALU_DEP_1)
	v_cmp_gt_f32_e64 s6, 0x3f2aaaab, v19
	v_add_f32_e32 v19, -1.0, v22
	v_dual_sub_f32 v24, v19, v22 :: v_dual_sub_f32 v19, v10, v19
	s_wait_alu 0xf1ff
	s_delay_alu instid0(VALU_DEP_3) | instskip(SKIP_3) | instid1(VALU_DEP_2)
	v_subrev_co_ci_u32_e64 v18, null, 0, v18, s6
	s_mov_b32 s6, 0x3e9b6dac
	v_sub_nc_u32_e32 v23, 0, v18
	v_cvt_f32_i32_e32 v18, v18
	v_ldexp_f32 v22, v22, v23
	s_delay_alu instid0(VALU_DEP_1) | instskip(NEXT) | instid1(VALU_DEP_1)
	v_dual_add_f32 v24, 1.0, v24 :: v_dual_add_f32 v25, 1.0, v22
	v_add_f32_e32 v19, v19, v24
	s_delay_alu instid0(VALU_DEP_1) | instskip(NEXT) | instid1(VALU_DEP_3)
	v_ldexp_f32 v19, v19, v23
	v_dual_add_f32 v23, -1.0, v22 :: v_dual_add_f32 v24, -1.0, v25
	s_delay_alu instid0(VALU_DEP_1) | instskip(NEXT) | instid1(VALU_DEP_2)
	v_add_f32_e32 v26, 1.0, v23
	v_sub_f32_e32 v24, v22, v24
	s_delay_alu instid0(VALU_DEP_2) | instskip(NEXT) | instid1(VALU_DEP_2)
	v_sub_f32_e32 v22, v22, v26
	v_add_f32_e32 v24, v19, v24
	s_delay_alu instid0(VALU_DEP_2) | instskip(NEXT) | instid1(VALU_DEP_1)
	v_add_f32_e32 v19, v19, v22
	v_dual_add_f32 v27, v23, v19 :: v_dual_add_f32 v26, v25, v24
	s_delay_alu instid0(VALU_DEP_1) | instskip(NEXT) | instid1(VALU_DEP_2)
	v_sub_f32_e32 v23, v23, v27
	v_rcp_f32_e32 v22, v26
	v_sub_f32_e32 v25, v25, v26
	s_delay_alu instid0(VALU_DEP_1) | instskip(NEXT) | instid1(TRANS32_DEP_1)
	v_dual_add_f32 v19, v19, v23 :: v_dual_add_f32 v24, v24, v25
	v_mul_f32_e32 v28, v27, v22
	s_delay_alu instid0(VALU_DEP_1) | instskip(NEXT) | instid1(VALU_DEP_1)
	v_mul_f32_e32 v29, v26, v28
	v_fma_f32 v25, v28, v26, -v29
	s_delay_alu instid0(VALU_DEP_1) | instskip(NEXT) | instid1(VALU_DEP_1)
	v_fmac_f32_e32 v25, v28, v24
	v_add_f32_e32 v30, v29, v25
	s_delay_alu instid0(VALU_DEP_1) | instskip(SKIP_1) | instid1(VALU_DEP_2)
	v_sub_f32_e32 v31, v27, v30
	v_sub_f32_e32 v23, v30, v29
	;; [unrolled: 1-line block ×3, first 2 shown]
	s_delay_alu instid0(VALU_DEP_2) | instskip(NEXT) | instid1(VALU_DEP_2)
	v_sub_f32_e32 v23, v23, v25
	v_sub_f32_e32 v27, v27, v30
	s_delay_alu instid0(VALU_DEP_1) | instskip(NEXT) | instid1(VALU_DEP_1)
	v_add_f32_e32 v19, v19, v27
	v_add_f32_e32 v19, v23, v19
	s_delay_alu instid0(VALU_DEP_1) | instskip(NEXT) | instid1(VALU_DEP_1)
	v_add_f32_e32 v23, v31, v19
	v_mul_f32_e32 v25, v22, v23
	s_delay_alu instid0(VALU_DEP_1) | instskip(NEXT) | instid1(VALU_DEP_1)
	v_dual_sub_f32 v30, v31, v23 :: v_dual_mul_f32 v27, v26, v25
	v_add_f32_e32 v19, v19, v30
	s_delay_alu instid0(VALU_DEP_2) | instskip(NEXT) | instid1(VALU_DEP_1)
	v_fma_f32 v26, v25, v26, -v27
	v_fmac_f32_e32 v26, v25, v24
	s_delay_alu instid0(VALU_DEP_1) | instskip(NEXT) | instid1(VALU_DEP_1)
	v_add_f32_e32 v24, v27, v26
	v_sub_f32_e32 v29, v23, v24
	s_delay_alu instid0(VALU_DEP_1) | instskip(NEXT) | instid1(VALU_DEP_1)
	v_sub_f32_e32 v23, v23, v29
	v_sub_f32_e32 v23, v23, v24
	s_delay_alu instid0(VALU_DEP_1) | instskip(SKIP_2) | instid1(VALU_DEP_1)
	v_add_f32_e32 v19, v19, v23
	v_add_f32_e32 v23, v28, v25
	v_sub_f32_e32 v27, v24, v27
	v_sub_f32_e32 v24, v27, v26
	s_delay_alu instid0(VALU_DEP_1) | instskip(NEXT) | instid1(VALU_DEP_1)
	v_dual_add_f32 v19, v24, v19 :: v_dual_sub_f32 v24, v23, v28
	v_add_f32_e32 v19, v29, v19
	s_delay_alu instid0(VALU_DEP_1) | instskip(NEXT) | instid1(VALU_DEP_1)
	v_dual_sub_f32 v24, v25, v24 :: v_dual_mul_f32 v19, v22, v19
	v_add_f32_e32 v19, v24, v19
	s_delay_alu instid0(VALU_DEP_1) | instskip(NEXT) | instid1(VALU_DEP_1)
	v_add_f32_e32 v22, v23, v19
	v_mul_f32_e32 v24, v22, v22
	s_wait_alu 0xfffe
	s_delay_alu instid0(VALU_DEP_1) | instskip(SKIP_2) | instid1(VALU_DEP_3)
	v_fmaak_f32 v25, s6, v24, 0x3ecc95a3
	v_mul_f32_e32 v26, v22, v24
	v_cmp_neq_f32_e64 s6, 0x7f800000, v10
	v_fmaak_f32 v24, v24, v25, 0x3f2aaada
	v_ldexp_f32 v25, v22, 1
	v_sub_f32_e32 v22, v22, v23
	s_delay_alu instid0(VALU_DEP_3) | instskip(SKIP_1) | instid1(VALU_DEP_3)
	v_mul_f32_e32 v24, v26, v24
	v_mul_f32_e32 v26, 0x3f317218, v18
	v_sub_f32_e32 v19, v19, v22
	s_delay_alu instid0(VALU_DEP_3) | instskip(NEXT) | instid1(VALU_DEP_2)
	v_add_f32_e32 v23, v25, v24
	v_ldexp_f32 v19, v19, 1
	s_delay_alu instid0(VALU_DEP_2) | instskip(SKIP_1) | instid1(VALU_DEP_2)
	v_sub_f32_e32 v22, v23, v25
	v_fma_f32 v25, 0x3f317218, v18, -v26
	v_sub_f32_e32 v22, v24, v22
	s_delay_alu instid0(VALU_DEP_1) | instskip(NEXT) | instid1(VALU_DEP_1)
	v_dual_fmamk_f32 v18, v18, 0xb102e308, v25 :: v_dual_add_f32 v19, v19, v22
	v_add_f32_e32 v22, v26, v18
	s_delay_alu instid0(VALU_DEP_1) | instskip(NEXT) | instid1(VALU_DEP_1)
	v_sub_f32_e32 v26, v22, v26
	v_sub_f32_e32 v18, v18, v26
	s_delay_alu instid0(VALU_DEP_4) | instskip(NEXT) | instid1(VALU_DEP_1)
	v_add_f32_e32 v24, v23, v19
	v_add_f32_e32 v25, v22, v24
	s_delay_alu instid0(VALU_DEP_1) | instskip(SKIP_1) | instid1(VALU_DEP_2)
	v_sub_f32_e32 v27, v25, v22
	v_sub_f32_e32 v23, v24, v23
	;; [unrolled: 1-line block ×3, first 2 shown]
	s_delay_alu instid0(VALU_DEP_1) | instskip(SKIP_1) | instid1(VALU_DEP_2)
	v_dual_sub_f32 v22, v22, v28 :: v_dual_sub_f32 v19, v19, v23
	v_sub_f32_e32 v23, v24, v27
	v_add_f32_e32 v24, v18, v19
	s_delay_alu instid0(VALU_DEP_2) | instskip(NEXT) | instid1(VALU_DEP_2)
	v_add_f32_e32 v22, v23, v22
	v_sub_f32_e32 v23, v24, v18
	s_delay_alu instid0(VALU_DEP_2) | instskip(NEXT) | instid1(VALU_DEP_1)
	v_add_f32_e32 v22, v24, v22
	v_add_f32_e32 v26, v25, v22
	s_delay_alu instid0(VALU_DEP_3) | instskip(NEXT) | instid1(VALU_DEP_1)
	v_sub_f32_e32 v24, v24, v23
	v_dual_sub_f32 v18, v18, v24 :: v_dual_sub_f32 v19, v19, v23
	s_delay_alu instid0(VALU_DEP_1) | instskip(NEXT) | instid1(VALU_DEP_1)
	v_dual_sub_f32 v23, v26, v25 :: v_dual_add_f32 v18, v19, v18
	v_sub_f32_e32 v19, v22, v23
	s_delay_alu instid0(VALU_DEP_1) | instskip(NEXT) | instid1(VALU_DEP_1)
	v_add_f32_e32 v18, v18, v19
	v_add_f32_e32 v18, v26, v18
	s_wait_alu 0xf1ff
	s_delay_alu instid0(VALU_DEP_1) | instskip(SKIP_2) | instid1(VALU_DEP_1)
	v_cndmask_b32_e64 v18, 0x7f800000, v18, s6
	v_cmp_gt_f32_e64 s6, 0x33800000, |v10|
	s_wait_alu 0xf1ff
	v_cndmask_b32_e64 v10, v18, v10, s6
	s_delay_alu instid0(VALU_DEP_1) | instskip(NEXT) | instid1(VALU_DEP_1)
	v_add_f32_e32 v3, v3, v10
	v_cvt_f16_f32_e32 v22, v3
	s_delay_alu instid0(VALU_DEP_1)
	v_cvt_f32_f16_e32 v23, v22
	v_mov_b32_e32 v19, v22
.LBB421_214:
	s_wait_alu 0xfffe
	s_or_b32 exec_lo, exec_lo, s7
	v_cvt_f32_f16_e32 v3, v17
	v_max_num_f32_e32 v10, v23, v23
	v_cmp_u_f16_e64 s6, v22, v22
	s_delay_alu instid0(VALU_DEP_2) | instskip(SKIP_2) | instid1(VALU_DEP_2)
	v_min_num_f32_e32 v18, v10, v3
	v_max_num_f32_e32 v10, v10, v3
	s_wait_alu 0xf1ff
	v_cndmask_b32_e64 v18, v18, v23, s6
	s_delay_alu instid0(VALU_DEP_2) | instskip(SKIP_2) | instid1(VALU_DEP_1)
	v_cndmask_b32_e64 v10, v10, v23, s6
	v_cmp_u_f16_e64 s6, v17, v17
	s_wait_alu 0xf1ff
	v_cndmask_b32_e64 v17, v18, v3, s6
	s_delay_alu instid0(VALU_DEP_3) | instskip(NEXT) | instid1(VALU_DEP_2)
	v_cndmask_b32_e64 v10, v10, v3, s6
	v_cmp_class_f32_e64 s8, v17, 0x1f8
	s_delay_alu instid0(VALU_DEP_2)
	v_cmp_neq_f32_e64 s7, v17, v10
	s_or_b32 s7, s7, s8
	s_wait_alu 0xfffe
	s_and_saveexec_b32 s8, s7
	s_cbranch_execz .LBB421_216
; %bb.215:
	v_sub_f32_e32 v17, v17, v10
	s_delay_alu instid0(VALU_DEP_1) | instskip(NEXT) | instid1(VALU_DEP_1)
	v_mul_f32_e32 v18, 0x3fb8aa3b, v17
	v_fma_f32 v19, 0x3fb8aa3b, v17, -v18
	v_rndne_f32_e32 v22, v18
	s_delay_alu instid0(VALU_DEP_1) | instskip(NEXT) | instid1(VALU_DEP_1)
	v_dual_fmamk_f32 v19, v17, 0x32a5705f, v19 :: v_dual_sub_f32 v18, v18, v22
	v_add_f32_e32 v18, v18, v19
	v_cvt_i32_f32_e32 v19, v22
	v_cmp_ngt_f32_e64 s7, 0xc2ce8ed0, v17
	s_delay_alu instid0(VALU_DEP_3) | instskip(NEXT) | instid1(TRANS32_DEP_1)
	v_exp_f32_e32 v18, v18
	v_ldexp_f32 v18, v18, v19
	s_wait_alu 0xf1ff
	s_delay_alu instid0(VALU_DEP_1) | instskip(SKIP_2) | instid1(VALU_DEP_1)
	v_cndmask_b32_e64 v18, 0, v18, s7
	v_cmp_nlt_f32_e64 s7, 0x42b17218, v17
	s_wait_alu 0xf1ff
	v_cndmask_b32_e64 v19, 0x7f800000, v18, s7
	s_delay_alu instid0(VALU_DEP_1) | instskip(NEXT) | instid1(VALU_DEP_1)
	v_add_f32_e32 v22, 1.0, v19
	v_cvt_f64_f32_e32 v[17:18], v22
	s_delay_alu instid0(VALU_DEP_1) | instskip(SKIP_1) | instid1(VALU_DEP_1)
	v_frexp_exp_i32_f64_e32 v17, v[17:18]
	v_frexp_mant_f32_e32 v18, v22
	v_cmp_gt_f32_e64 s7, 0x3f2aaaab, v18
	v_add_f32_e32 v18, -1.0, v22
	s_delay_alu instid0(VALU_DEP_1)
	v_sub_f32_e32 v24, v18, v22
	v_sub_f32_e32 v18, v19, v18
	s_wait_alu 0xf1ff
	v_subrev_co_ci_u32_e64 v17, null, 0, v17, s7
	s_mov_b32 s7, 0x3e9b6dac
	v_sub_nc_u32_e32 v23, 0, v17
	v_cvt_f32_i32_e32 v17, v17
	s_delay_alu instid0(VALU_DEP_2) | instskip(NEXT) | instid1(VALU_DEP_1)
	v_ldexp_f32 v22, v22, v23
	v_dual_add_f32 v24, 1.0, v24 :: v_dual_add_f32 v25, 1.0, v22
	s_delay_alu instid0(VALU_DEP_1) | instskip(NEXT) | instid1(VALU_DEP_2)
	v_add_f32_e32 v18, v18, v24
	v_add_f32_e32 v24, -1.0, v25
	s_delay_alu instid0(VALU_DEP_2) | instskip(NEXT) | instid1(VALU_DEP_2)
	v_ldexp_f32 v18, v18, v23
	v_dual_add_f32 v23, -1.0, v22 :: v_dual_sub_f32 v24, v22, v24
	s_delay_alu instid0(VALU_DEP_1) | instskip(NEXT) | instid1(VALU_DEP_2)
	v_add_f32_e32 v26, 1.0, v23
	v_add_f32_e32 v24, v18, v24
	s_delay_alu instid0(VALU_DEP_2) | instskip(NEXT) | instid1(VALU_DEP_2)
	v_sub_f32_e32 v22, v22, v26
	v_add_f32_e32 v26, v25, v24
	s_delay_alu instid0(VALU_DEP_2) | instskip(NEXT) | instid1(VALU_DEP_2)
	v_add_f32_e32 v18, v18, v22
	v_rcp_f32_e32 v22, v26
	v_sub_f32_e32 v25, v25, v26
	s_delay_alu instid0(VALU_DEP_1) | instskip(NEXT) | instid1(VALU_DEP_1)
	v_dual_add_f32 v27, v23, v18 :: v_dual_add_f32 v24, v24, v25
	v_sub_f32_e32 v23, v23, v27
	s_delay_alu instid0(TRANS32_DEP_1) | instskip(NEXT) | instid1(VALU_DEP_2)
	v_mul_f32_e32 v28, v27, v22
	v_add_f32_e32 v18, v18, v23
	s_delay_alu instid0(VALU_DEP_2) | instskip(NEXT) | instid1(VALU_DEP_1)
	v_mul_f32_e32 v29, v26, v28
	v_fma_f32 v25, v28, v26, -v29
	s_delay_alu instid0(VALU_DEP_1) | instskip(NEXT) | instid1(VALU_DEP_1)
	v_fmac_f32_e32 v25, v28, v24
	v_add_f32_e32 v30, v29, v25
	s_delay_alu instid0(VALU_DEP_1) | instskip(SKIP_1) | instid1(VALU_DEP_2)
	v_sub_f32_e32 v31, v27, v30
	v_sub_f32_e32 v23, v30, v29
	;; [unrolled: 1-line block ×3, first 2 shown]
	s_delay_alu instid0(VALU_DEP_2) | instskip(NEXT) | instid1(VALU_DEP_2)
	v_sub_f32_e32 v23, v23, v25
	v_sub_f32_e32 v27, v27, v30
	s_delay_alu instid0(VALU_DEP_1) | instskip(NEXT) | instid1(VALU_DEP_1)
	v_add_f32_e32 v18, v18, v27
	v_add_f32_e32 v18, v23, v18
	s_delay_alu instid0(VALU_DEP_1) | instskip(NEXT) | instid1(VALU_DEP_1)
	v_add_f32_e32 v23, v31, v18
	v_mul_f32_e32 v25, v22, v23
	s_delay_alu instid0(VALU_DEP_1) | instskip(NEXT) | instid1(VALU_DEP_1)
	v_dual_sub_f32 v30, v31, v23 :: v_dual_mul_f32 v27, v26, v25
	v_add_f32_e32 v18, v18, v30
	s_delay_alu instid0(VALU_DEP_2) | instskip(NEXT) | instid1(VALU_DEP_1)
	v_fma_f32 v26, v25, v26, -v27
	v_fmac_f32_e32 v26, v25, v24
	s_delay_alu instid0(VALU_DEP_1) | instskip(NEXT) | instid1(VALU_DEP_1)
	v_add_f32_e32 v24, v27, v26
	v_sub_f32_e32 v29, v23, v24
	v_sub_f32_e32 v27, v24, v27
	s_delay_alu instid0(VALU_DEP_2) | instskip(NEXT) | instid1(VALU_DEP_1)
	v_sub_f32_e32 v23, v23, v29
	v_sub_f32_e32 v23, v23, v24
	s_delay_alu instid0(VALU_DEP_1) | instskip(NEXT) | instid1(VALU_DEP_4)
	v_dual_add_f32 v18, v18, v23 :: v_dual_add_f32 v23, v28, v25
	v_sub_f32_e32 v24, v27, v26
	s_delay_alu instid0(VALU_DEP_1) | instskip(NEXT) | instid1(VALU_DEP_3)
	v_add_f32_e32 v18, v24, v18
	v_sub_f32_e32 v24, v23, v28
	s_delay_alu instid0(VALU_DEP_2) | instskip(NEXT) | instid1(VALU_DEP_2)
	v_add_f32_e32 v18, v29, v18
	v_sub_f32_e32 v24, v25, v24
	s_delay_alu instid0(VALU_DEP_2) | instskip(NEXT) | instid1(VALU_DEP_1)
	v_mul_f32_e32 v18, v22, v18
	v_add_f32_e32 v18, v24, v18
	s_delay_alu instid0(VALU_DEP_1) | instskip(NEXT) | instid1(VALU_DEP_1)
	v_add_f32_e32 v22, v23, v18
	v_mul_f32_e32 v24, v22, v22
	s_wait_alu 0xfffe
	s_delay_alu instid0(VALU_DEP_1) | instskip(SKIP_2) | instid1(VALU_DEP_3)
	v_fmaak_f32 v25, s7, v24, 0x3ecc95a3
	v_mul_f32_e32 v26, v22, v24
	v_cmp_neq_f32_e64 s7, 0x7f800000, v19
	v_fmaak_f32 v24, v24, v25, 0x3f2aaada
	v_ldexp_f32 v25, v22, 1
	v_sub_f32_e32 v22, v22, v23
	s_delay_alu instid0(VALU_DEP_3) | instskip(SKIP_1) | instid1(VALU_DEP_2)
	v_mul_f32_e32 v24, v26, v24
	v_mul_f32_e32 v26, 0x3f317218, v17
	v_dual_sub_f32 v18, v18, v22 :: v_dual_add_f32 v23, v25, v24
	s_delay_alu instid0(VALU_DEP_1) | instskip(NEXT) | instid1(VALU_DEP_2)
	v_ldexp_f32 v18, v18, 1
	v_sub_f32_e32 v22, v23, v25
	s_delay_alu instid0(VALU_DEP_4) | instskip(NEXT) | instid1(VALU_DEP_1)
	v_fma_f32 v25, 0x3f317218, v17, -v26
	v_dual_sub_f32 v22, v24, v22 :: v_dual_fmamk_f32 v17, v17, 0xb102e308, v25
	s_delay_alu instid0(VALU_DEP_1) | instskip(NEXT) | instid1(VALU_DEP_2)
	v_add_f32_e32 v18, v18, v22
	v_add_f32_e32 v22, v26, v17
	s_delay_alu instid0(VALU_DEP_2) | instskip(NEXT) | instid1(VALU_DEP_2)
	v_add_f32_e32 v24, v23, v18
	v_sub_f32_e32 v26, v22, v26
	s_delay_alu instid0(VALU_DEP_2) | instskip(SKIP_1) | instid1(VALU_DEP_3)
	v_add_f32_e32 v25, v22, v24
	v_sub_f32_e32 v23, v24, v23
	v_sub_f32_e32 v17, v17, v26
	s_delay_alu instid0(VALU_DEP_2) | instskip(NEXT) | instid1(VALU_DEP_1)
	v_dual_sub_f32 v27, v25, v22 :: v_dual_sub_f32 v18, v18, v23
	v_sub_f32_e32 v28, v25, v27
	s_delay_alu instid0(VALU_DEP_2) | instskip(NEXT) | instid1(VALU_DEP_2)
	v_dual_sub_f32 v23, v24, v27 :: v_dual_add_f32 v24, v17, v18
	v_sub_f32_e32 v22, v22, v28
	s_delay_alu instid0(VALU_DEP_1) | instskip(NEXT) | instid1(VALU_DEP_1)
	v_dual_add_f32 v22, v23, v22 :: v_dual_sub_f32 v23, v24, v17
	v_add_f32_e32 v22, v24, v22
	s_delay_alu instid0(VALU_DEP_2) | instskip(SKIP_1) | instid1(VALU_DEP_3)
	v_sub_f32_e32 v24, v24, v23
	v_sub_f32_e32 v18, v18, v23
	v_add_f32_e32 v26, v25, v22
	s_delay_alu instid0(VALU_DEP_3) | instskip(NEXT) | instid1(VALU_DEP_2)
	v_sub_f32_e32 v17, v17, v24
	v_sub_f32_e32 v23, v26, v25
	s_delay_alu instid0(VALU_DEP_2) | instskip(NEXT) | instid1(VALU_DEP_2)
	v_add_f32_e32 v17, v18, v17
	v_sub_f32_e32 v18, v22, v23
	s_delay_alu instid0(VALU_DEP_1) | instskip(NEXT) | instid1(VALU_DEP_1)
	v_add_f32_e32 v17, v17, v18
	v_add_f32_e32 v17, v26, v17
	s_wait_alu 0xf1ff
	s_delay_alu instid0(VALU_DEP_1) | instskip(SKIP_2) | instid1(VALU_DEP_1)
	v_cndmask_b32_e64 v17, 0x7f800000, v17, s7
	v_cmp_gt_f32_e64 s7, 0x33800000, |v19|
	s_wait_alu 0xf1ff
	v_cndmask_b32_e64 v17, v17, v19, s7
	s_delay_alu instid0(VALU_DEP_1) | instskip(NEXT) | instid1(VALU_DEP_1)
	v_add_f32_e32 v10, v10, v17
	v_cvt_f16_f32_e32 v22, v10
	s_delay_alu instid0(VALU_DEP_1)
	v_cvt_f32_f16_e32 v23, v22
	v_mov_b32_e32 v19, v22
.LBB421_216:
	s_or_b32 exec_lo, exec_lo, s8
	v_cvt_f32_f16_e32 v10, v4
	s_delay_alu instid0(VALU_DEP_3) | instskip(SKIP_1) | instid1(VALU_DEP_2)
	v_max_num_f32_e32 v17, v23, v23
	v_cmp_u_f16_e64 s7, v22, v22
	v_min_num_f32_e32 v18, v17, v10
	v_max_num_f32_e32 v17, v17, v10
	s_wait_alu 0xf1ff
	s_delay_alu instid0(VALU_DEP_2) | instskip(NEXT) | instid1(VALU_DEP_2)
	v_cndmask_b32_e64 v18, v18, v23, s7
	v_cndmask_b32_e64 v24, v17, v23, s7
	v_cmp_u_f16_e64 s7, v4, v4
	s_wait_alu 0xf1ff
	s_delay_alu instid0(VALU_DEP_1) | instskip(NEXT) | instid1(VALU_DEP_3)
	v_cndmask_b32_e64 v17, v18, v10, s7
	v_cndmask_b32_e64 v4, v24, v10, s7
	s_delay_alu instid0(VALU_DEP_2) | instskip(NEXT) | instid1(VALU_DEP_2)
	v_cmp_class_f32_e64 s9, v17, 0x1f8
	v_cmp_neq_f32_e64 s8, v17, v4
	s_or_b32 s8, s8, s9
	s_delay_alu instid0(SALU_CYCLE_1)
	s_and_saveexec_b32 s9, s8
	s_cbranch_execz .LBB421_218
; %bb.217:
	v_sub_f32_e32 v17, v17, v4
	s_delay_alu instid0(VALU_DEP_1) | instskip(NEXT) | instid1(VALU_DEP_1)
	v_mul_f32_e32 v18, 0x3fb8aa3b, v17
	v_fma_f32 v19, 0x3fb8aa3b, v17, -v18
	v_rndne_f32_e32 v22, v18
	s_delay_alu instid0(VALU_DEP_1) | instskip(SKIP_1) | instid1(VALU_DEP_2)
	v_dual_sub_f32 v18, v18, v22 :: v_dual_fmamk_f32 v19, v17, 0x32a5705f, v19
	v_cmp_ngt_f32_e64 s8, 0xc2ce8ed0, v17
	v_add_f32_e32 v18, v18, v19
	v_cvt_i32_f32_e32 v19, v22
	s_delay_alu instid0(VALU_DEP_2) | instskip(NEXT) | instid1(TRANS32_DEP_1)
	v_exp_f32_e32 v18, v18
	v_ldexp_f32 v18, v18, v19
	s_delay_alu instid0(VALU_DEP_1) | instskip(SKIP_2) | instid1(VALU_DEP_1)
	v_cndmask_b32_e64 v18, 0, v18, s8
	v_cmp_nlt_f32_e64 s8, 0x42b17218, v17
	s_wait_alu 0xf1ff
	v_cndmask_b32_e64 v19, 0x7f800000, v18, s8
	s_delay_alu instid0(VALU_DEP_1) | instskip(NEXT) | instid1(VALU_DEP_1)
	v_add_f32_e32 v22, 1.0, v19
	v_cvt_f64_f32_e32 v[17:18], v22
	s_delay_alu instid0(VALU_DEP_1) | instskip(SKIP_1) | instid1(VALU_DEP_1)
	v_frexp_exp_i32_f64_e32 v17, v[17:18]
	v_frexp_mant_f32_e32 v18, v22
	v_cmp_gt_f32_e64 s8, 0x3f2aaaab, v18
	v_add_f32_e32 v18, -1.0, v22
	s_delay_alu instid0(VALU_DEP_1)
	v_sub_f32_e32 v24, v18, v22
	v_sub_f32_e32 v18, v19, v18
	s_wait_alu 0xf1ff
	v_subrev_co_ci_u32_e64 v17, null, 0, v17, s8
	s_mov_b32 s8, 0x3e9b6dac
	v_sub_nc_u32_e32 v23, 0, v17
	v_cvt_f32_i32_e32 v17, v17
	s_delay_alu instid0(VALU_DEP_2) | instskip(NEXT) | instid1(VALU_DEP_1)
	v_ldexp_f32 v22, v22, v23
	v_dual_add_f32 v25, 1.0, v22 :: v_dual_add_f32 v24, 1.0, v24
	s_delay_alu instid0(VALU_DEP_1) | instskip(NEXT) | instid1(VALU_DEP_2)
	v_add_f32_e32 v18, v18, v24
	v_add_f32_e32 v24, -1.0, v25
	s_delay_alu instid0(VALU_DEP_2) | instskip(NEXT) | instid1(VALU_DEP_2)
	v_ldexp_f32 v18, v18, v23
	v_dual_add_f32 v23, -1.0, v22 :: v_dual_sub_f32 v24, v22, v24
	s_delay_alu instid0(VALU_DEP_1) | instskip(NEXT) | instid1(VALU_DEP_2)
	v_add_f32_e32 v26, 1.0, v23
	v_add_f32_e32 v24, v18, v24
	s_delay_alu instid0(VALU_DEP_2) | instskip(NEXT) | instid1(VALU_DEP_2)
	v_sub_f32_e32 v22, v22, v26
	v_add_f32_e32 v26, v25, v24
	s_delay_alu instid0(VALU_DEP_2) | instskip(NEXT) | instid1(VALU_DEP_2)
	v_add_f32_e32 v18, v18, v22
	v_rcp_f32_e32 v22, v26
	v_sub_f32_e32 v25, v25, v26
	s_delay_alu instid0(VALU_DEP_1) | instskip(NEXT) | instid1(VALU_DEP_1)
	v_dual_add_f32 v27, v23, v18 :: v_dual_add_f32 v24, v24, v25
	v_sub_f32_e32 v23, v23, v27
	s_delay_alu instid0(TRANS32_DEP_1) | instskip(NEXT) | instid1(VALU_DEP_2)
	v_mul_f32_e32 v28, v27, v22
	v_add_f32_e32 v18, v18, v23
	s_delay_alu instid0(VALU_DEP_2) | instskip(NEXT) | instid1(VALU_DEP_1)
	v_mul_f32_e32 v29, v26, v28
	v_fma_f32 v25, v28, v26, -v29
	s_delay_alu instid0(VALU_DEP_1) | instskip(NEXT) | instid1(VALU_DEP_1)
	v_fmac_f32_e32 v25, v28, v24
	v_add_f32_e32 v30, v29, v25
	s_delay_alu instid0(VALU_DEP_1) | instskip(SKIP_1) | instid1(VALU_DEP_2)
	v_sub_f32_e32 v31, v27, v30
	v_sub_f32_e32 v23, v30, v29
	;; [unrolled: 1-line block ×3, first 2 shown]
	s_delay_alu instid0(VALU_DEP_2) | instskip(NEXT) | instid1(VALU_DEP_2)
	v_sub_f32_e32 v23, v23, v25
	v_sub_f32_e32 v27, v27, v30
	s_delay_alu instid0(VALU_DEP_1) | instskip(NEXT) | instid1(VALU_DEP_1)
	v_add_f32_e32 v18, v18, v27
	v_add_f32_e32 v18, v23, v18
	s_delay_alu instid0(VALU_DEP_1) | instskip(NEXT) | instid1(VALU_DEP_1)
	v_add_f32_e32 v23, v31, v18
	v_mul_f32_e32 v25, v22, v23
	s_delay_alu instid0(VALU_DEP_1) | instskip(NEXT) | instid1(VALU_DEP_1)
	v_dual_sub_f32 v30, v31, v23 :: v_dual_mul_f32 v27, v26, v25
	v_add_f32_e32 v18, v18, v30
	s_delay_alu instid0(VALU_DEP_2) | instskip(NEXT) | instid1(VALU_DEP_1)
	v_fma_f32 v26, v25, v26, -v27
	v_fmac_f32_e32 v26, v25, v24
	s_delay_alu instid0(VALU_DEP_1) | instskip(NEXT) | instid1(VALU_DEP_1)
	v_add_f32_e32 v24, v27, v26
	v_sub_f32_e32 v29, v23, v24
	v_sub_f32_e32 v27, v24, v27
	s_delay_alu instid0(VALU_DEP_2) | instskip(NEXT) | instid1(VALU_DEP_1)
	v_sub_f32_e32 v23, v23, v29
	v_sub_f32_e32 v23, v23, v24
	s_delay_alu instid0(VALU_DEP_3) | instskip(NEXT) | instid1(VALU_DEP_2)
	v_sub_f32_e32 v24, v27, v26
	v_dual_add_f32 v18, v18, v23 :: v_dual_add_f32 v23, v28, v25
	s_delay_alu instid0(VALU_DEP_1) | instskip(NEXT) | instid1(VALU_DEP_2)
	v_add_f32_e32 v18, v24, v18
	v_sub_f32_e32 v24, v23, v28
	s_delay_alu instid0(VALU_DEP_2) | instskip(NEXT) | instid1(VALU_DEP_2)
	v_add_f32_e32 v18, v29, v18
	v_sub_f32_e32 v24, v25, v24
	s_delay_alu instid0(VALU_DEP_2) | instskip(NEXT) | instid1(VALU_DEP_1)
	v_mul_f32_e32 v18, v22, v18
	v_add_f32_e32 v18, v24, v18
	s_delay_alu instid0(VALU_DEP_1) | instskip(NEXT) | instid1(VALU_DEP_1)
	v_add_f32_e32 v22, v23, v18
	v_mul_f32_e32 v24, v22, v22
	s_wait_alu 0xfffe
	s_delay_alu instid0(VALU_DEP_1) | instskip(SKIP_2) | instid1(VALU_DEP_3)
	v_fmaak_f32 v25, s8, v24, 0x3ecc95a3
	v_mul_f32_e32 v26, v22, v24
	v_cmp_neq_f32_e64 s8, 0x7f800000, v19
	v_fmaak_f32 v24, v24, v25, 0x3f2aaada
	v_ldexp_f32 v25, v22, 1
	v_sub_f32_e32 v22, v22, v23
	s_delay_alu instid0(VALU_DEP_3) | instskip(SKIP_1) | instid1(VALU_DEP_2)
	v_mul_f32_e32 v24, v26, v24
	v_mul_f32_e32 v26, 0x3f317218, v17
	v_dual_sub_f32 v18, v18, v22 :: v_dual_add_f32 v23, v25, v24
	s_delay_alu instid0(VALU_DEP_1) | instskip(NEXT) | instid1(VALU_DEP_2)
	v_ldexp_f32 v18, v18, 1
	v_sub_f32_e32 v22, v23, v25
	s_delay_alu instid0(VALU_DEP_4) | instskip(NEXT) | instid1(VALU_DEP_1)
	v_fma_f32 v25, 0x3f317218, v17, -v26
	v_dual_sub_f32 v22, v24, v22 :: v_dual_fmamk_f32 v17, v17, 0xb102e308, v25
	s_delay_alu instid0(VALU_DEP_1) | instskip(NEXT) | instid1(VALU_DEP_2)
	v_add_f32_e32 v18, v18, v22
	v_add_f32_e32 v22, v26, v17
	s_delay_alu instid0(VALU_DEP_2) | instskip(NEXT) | instid1(VALU_DEP_2)
	v_add_f32_e32 v24, v23, v18
	v_sub_f32_e32 v26, v22, v26
	s_delay_alu instid0(VALU_DEP_2) | instskip(SKIP_1) | instid1(VALU_DEP_3)
	v_add_f32_e32 v25, v22, v24
	v_sub_f32_e32 v23, v24, v23
	v_sub_f32_e32 v17, v17, v26
	s_delay_alu instid0(VALU_DEP_2) | instskip(NEXT) | instid1(VALU_DEP_1)
	v_dual_sub_f32 v27, v25, v22 :: v_dual_sub_f32 v18, v18, v23
	v_sub_f32_e32 v28, v25, v27
	s_delay_alu instid0(VALU_DEP_2) | instskip(NEXT) | instid1(VALU_DEP_2)
	v_dual_sub_f32 v23, v24, v27 :: v_dual_add_f32 v24, v17, v18
	v_sub_f32_e32 v22, v22, v28
	s_delay_alu instid0(VALU_DEP_1) | instskip(NEXT) | instid1(VALU_DEP_1)
	v_dual_add_f32 v22, v23, v22 :: v_dual_sub_f32 v23, v24, v17
	v_add_f32_e32 v22, v24, v22
	s_delay_alu instid0(VALU_DEP_2) | instskip(SKIP_1) | instid1(VALU_DEP_3)
	v_sub_f32_e32 v24, v24, v23
	v_sub_f32_e32 v18, v18, v23
	v_add_f32_e32 v26, v25, v22
	s_delay_alu instid0(VALU_DEP_3) | instskip(NEXT) | instid1(VALU_DEP_2)
	v_sub_f32_e32 v17, v17, v24
	v_sub_f32_e32 v23, v26, v25
	s_delay_alu instid0(VALU_DEP_2) | instskip(NEXT) | instid1(VALU_DEP_2)
	v_add_f32_e32 v17, v18, v17
	v_sub_f32_e32 v18, v22, v23
	s_delay_alu instid0(VALU_DEP_1) | instskip(NEXT) | instid1(VALU_DEP_1)
	v_add_f32_e32 v17, v17, v18
	v_add_f32_e32 v17, v26, v17
	s_wait_alu 0xf1ff
	s_delay_alu instid0(VALU_DEP_1) | instskip(SKIP_2) | instid1(VALU_DEP_1)
	v_cndmask_b32_e64 v17, 0x7f800000, v17, s8
	v_cmp_gt_f32_e64 s8, 0x33800000, |v19|
	s_wait_alu 0xf1ff
	v_cndmask_b32_e64 v17, v17, v19, s8
	s_delay_alu instid0(VALU_DEP_1) | instskip(NEXT) | instid1(VALU_DEP_1)
	v_add_f32_e32 v4, v4, v17
	v_cvt_f16_f32_e32 v22, v4
	s_delay_alu instid0(VALU_DEP_1)
	v_cvt_f32_f16_e32 v23, v22
	v_mov_b32_e32 v19, v22
.LBB421_218:
	s_or_b32 exec_lo, exec_lo, s9
	v_cvt_f32_f16_e32 v4, v16
	s_delay_alu instid0(VALU_DEP_3) | instskip(SKIP_1) | instid1(VALU_DEP_2)
	v_max_num_f32_e32 v17, v23, v23
	v_cmp_u_f16_e64 s8, v22, v22
	v_min_num_f32_e32 v18, v17, v4
	v_max_num_f32_e32 v17, v17, v4
	s_wait_alu 0xf1ff
	s_delay_alu instid0(VALU_DEP_2) | instskip(NEXT) | instid1(VALU_DEP_2)
	v_cndmask_b32_e64 v18, v18, v23, s8
	v_cndmask_b32_e64 v24, v17, v23, s8
	v_cmp_u_f16_e64 s8, v16, v16
	s_wait_alu 0xf1ff
	s_delay_alu instid0(VALU_DEP_1) | instskip(NEXT) | instid1(VALU_DEP_3)
	v_cndmask_b32_e64 v17, v18, v4, s8
	v_cndmask_b32_e64 v16, v24, v4, s8
	s_delay_alu instid0(VALU_DEP_2) | instskip(NEXT) | instid1(VALU_DEP_2)
	v_cmp_class_f32_e64 s10, v17, 0x1f8
	v_cmp_neq_f32_e64 s9, v17, v16
	s_or_b32 s9, s9, s10
	s_wait_alu 0xfffe
	s_and_saveexec_b32 s10, s9
	s_cbranch_execz .LBB421_220
; %bb.219:
	v_sub_f32_e32 v17, v17, v16
	s_delay_alu instid0(VALU_DEP_1) | instskip(NEXT) | instid1(VALU_DEP_1)
	v_mul_f32_e32 v18, 0x3fb8aa3b, v17
	v_fma_f32 v19, 0x3fb8aa3b, v17, -v18
	v_rndne_f32_e32 v22, v18
	s_delay_alu instid0(VALU_DEP_1) | instskip(SKIP_1) | instid1(VALU_DEP_2)
	v_dual_sub_f32 v18, v18, v22 :: v_dual_fmamk_f32 v19, v17, 0x32a5705f, v19
	v_cmp_ngt_f32_e64 s9, 0xc2ce8ed0, v17
	v_add_f32_e32 v18, v18, v19
	v_cvt_i32_f32_e32 v19, v22
	s_delay_alu instid0(VALU_DEP_2) | instskip(NEXT) | instid1(TRANS32_DEP_1)
	v_exp_f32_e32 v18, v18
	v_ldexp_f32 v18, v18, v19
	s_wait_alu 0xf1ff
	s_delay_alu instid0(VALU_DEP_1) | instskip(SKIP_2) | instid1(VALU_DEP_1)
	v_cndmask_b32_e64 v18, 0, v18, s9
	v_cmp_nlt_f32_e64 s9, 0x42b17218, v17
	s_wait_alu 0xf1ff
	v_cndmask_b32_e64 v19, 0x7f800000, v18, s9
	s_delay_alu instid0(VALU_DEP_1) | instskip(NEXT) | instid1(VALU_DEP_1)
	v_add_f32_e32 v22, 1.0, v19
	v_cvt_f64_f32_e32 v[17:18], v22
	s_delay_alu instid0(VALU_DEP_1) | instskip(SKIP_1) | instid1(VALU_DEP_1)
	v_frexp_exp_i32_f64_e32 v17, v[17:18]
	v_frexp_mant_f32_e32 v18, v22
	v_cmp_gt_f32_e64 s9, 0x3f2aaaab, v18
	v_add_f32_e32 v18, -1.0, v22
	s_delay_alu instid0(VALU_DEP_1)
	v_sub_f32_e32 v24, v18, v22
	v_sub_f32_e32 v18, v19, v18
	s_wait_alu 0xf1ff
	v_subrev_co_ci_u32_e64 v17, null, 0, v17, s9
	s_mov_b32 s9, 0x3e9b6dac
	v_sub_nc_u32_e32 v23, 0, v17
	v_cvt_f32_i32_e32 v17, v17
	s_delay_alu instid0(VALU_DEP_2) | instskip(NEXT) | instid1(VALU_DEP_1)
	v_ldexp_f32 v22, v22, v23
	v_dual_add_f32 v25, 1.0, v22 :: v_dual_add_f32 v24, 1.0, v24
	s_delay_alu instid0(VALU_DEP_1) | instskip(NEXT) | instid1(VALU_DEP_2)
	v_add_f32_e32 v18, v18, v24
	v_add_f32_e32 v24, -1.0, v25
	s_delay_alu instid0(VALU_DEP_2) | instskip(NEXT) | instid1(VALU_DEP_2)
	v_ldexp_f32 v18, v18, v23
	v_dual_add_f32 v23, -1.0, v22 :: v_dual_sub_f32 v24, v22, v24
	s_delay_alu instid0(VALU_DEP_1) | instskip(NEXT) | instid1(VALU_DEP_2)
	v_add_f32_e32 v26, 1.0, v23
	v_add_f32_e32 v24, v18, v24
	s_delay_alu instid0(VALU_DEP_2) | instskip(NEXT) | instid1(VALU_DEP_2)
	v_sub_f32_e32 v22, v22, v26
	v_add_f32_e32 v26, v25, v24
	s_delay_alu instid0(VALU_DEP_2) | instskip(NEXT) | instid1(VALU_DEP_2)
	v_add_f32_e32 v18, v18, v22
	v_rcp_f32_e32 v22, v26
	v_sub_f32_e32 v25, v25, v26
	s_delay_alu instid0(VALU_DEP_1) | instskip(NEXT) | instid1(VALU_DEP_1)
	v_dual_add_f32 v27, v23, v18 :: v_dual_add_f32 v24, v24, v25
	v_sub_f32_e32 v23, v23, v27
	s_delay_alu instid0(TRANS32_DEP_1) | instskip(NEXT) | instid1(VALU_DEP_2)
	v_mul_f32_e32 v28, v27, v22
	v_add_f32_e32 v18, v18, v23
	s_delay_alu instid0(VALU_DEP_2) | instskip(NEXT) | instid1(VALU_DEP_1)
	v_mul_f32_e32 v29, v26, v28
	v_fma_f32 v25, v28, v26, -v29
	s_delay_alu instid0(VALU_DEP_1) | instskip(NEXT) | instid1(VALU_DEP_1)
	v_fmac_f32_e32 v25, v28, v24
	v_add_f32_e32 v30, v29, v25
	s_delay_alu instid0(VALU_DEP_1) | instskip(SKIP_1) | instid1(VALU_DEP_2)
	v_sub_f32_e32 v31, v27, v30
	v_sub_f32_e32 v23, v30, v29
	;; [unrolled: 1-line block ×3, first 2 shown]
	s_delay_alu instid0(VALU_DEP_2) | instskip(NEXT) | instid1(VALU_DEP_2)
	v_sub_f32_e32 v23, v23, v25
	v_sub_f32_e32 v27, v27, v30
	s_delay_alu instid0(VALU_DEP_1) | instskip(NEXT) | instid1(VALU_DEP_1)
	v_add_f32_e32 v18, v18, v27
	v_add_f32_e32 v18, v23, v18
	s_delay_alu instid0(VALU_DEP_1) | instskip(NEXT) | instid1(VALU_DEP_1)
	v_add_f32_e32 v23, v31, v18
	v_mul_f32_e32 v25, v22, v23
	s_delay_alu instid0(VALU_DEP_1) | instskip(NEXT) | instid1(VALU_DEP_1)
	v_dual_sub_f32 v30, v31, v23 :: v_dual_mul_f32 v27, v26, v25
	v_add_f32_e32 v18, v18, v30
	s_delay_alu instid0(VALU_DEP_2) | instskip(NEXT) | instid1(VALU_DEP_1)
	v_fma_f32 v26, v25, v26, -v27
	v_fmac_f32_e32 v26, v25, v24
	s_delay_alu instid0(VALU_DEP_1) | instskip(NEXT) | instid1(VALU_DEP_1)
	v_add_f32_e32 v24, v27, v26
	v_sub_f32_e32 v29, v23, v24
	v_sub_f32_e32 v27, v24, v27
	s_delay_alu instid0(VALU_DEP_2) | instskip(NEXT) | instid1(VALU_DEP_1)
	v_sub_f32_e32 v23, v23, v29
	v_sub_f32_e32 v23, v23, v24
	s_delay_alu instid0(VALU_DEP_3) | instskip(NEXT) | instid1(VALU_DEP_2)
	v_sub_f32_e32 v24, v27, v26
	v_dual_add_f32 v18, v18, v23 :: v_dual_add_f32 v23, v28, v25
	s_delay_alu instid0(VALU_DEP_1) | instskip(NEXT) | instid1(VALU_DEP_2)
	v_add_f32_e32 v18, v24, v18
	v_sub_f32_e32 v24, v23, v28
	s_delay_alu instid0(VALU_DEP_2) | instskip(NEXT) | instid1(VALU_DEP_2)
	v_add_f32_e32 v18, v29, v18
	v_sub_f32_e32 v24, v25, v24
	s_delay_alu instid0(VALU_DEP_2) | instskip(NEXT) | instid1(VALU_DEP_1)
	v_mul_f32_e32 v18, v22, v18
	v_add_f32_e32 v18, v24, v18
	s_delay_alu instid0(VALU_DEP_1) | instskip(NEXT) | instid1(VALU_DEP_1)
	v_add_f32_e32 v22, v23, v18
	v_mul_f32_e32 v24, v22, v22
	s_wait_alu 0xfffe
	s_delay_alu instid0(VALU_DEP_1) | instskip(SKIP_2) | instid1(VALU_DEP_3)
	v_fmaak_f32 v25, s9, v24, 0x3ecc95a3
	v_mul_f32_e32 v26, v22, v24
	v_cmp_neq_f32_e64 s9, 0x7f800000, v19
	v_fmaak_f32 v24, v24, v25, 0x3f2aaada
	v_ldexp_f32 v25, v22, 1
	v_sub_f32_e32 v22, v22, v23
	s_delay_alu instid0(VALU_DEP_3) | instskip(SKIP_1) | instid1(VALU_DEP_2)
	v_mul_f32_e32 v24, v26, v24
	v_mul_f32_e32 v26, 0x3f317218, v17
	v_dual_sub_f32 v18, v18, v22 :: v_dual_add_f32 v23, v25, v24
	s_delay_alu instid0(VALU_DEP_1) | instskip(NEXT) | instid1(VALU_DEP_2)
	v_ldexp_f32 v18, v18, 1
	v_sub_f32_e32 v22, v23, v25
	s_delay_alu instid0(VALU_DEP_4) | instskip(NEXT) | instid1(VALU_DEP_1)
	v_fma_f32 v25, 0x3f317218, v17, -v26
	v_dual_sub_f32 v22, v24, v22 :: v_dual_fmamk_f32 v17, v17, 0xb102e308, v25
	s_delay_alu instid0(VALU_DEP_1) | instskip(NEXT) | instid1(VALU_DEP_2)
	v_add_f32_e32 v18, v18, v22
	v_add_f32_e32 v22, v26, v17
	s_delay_alu instid0(VALU_DEP_2) | instskip(NEXT) | instid1(VALU_DEP_2)
	v_add_f32_e32 v24, v23, v18
	v_sub_f32_e32 v26, v22, v26
	s_delay_alu instid0(VALU_DEP_2) | instskip(SKIP_1) | instid1(VALU_DEP_3)
	v_add_f32_e32 v25, v22, v24
	v_sub_f32_e32 v23, v24, v23
	v_sub_f32_e32 v17, v17, v26
	s_delay_alu instid0(VALU_DEP_2) | instskip(NEXT) | instid1(VALU_DEP_1)
	v_dual_sub_f32 v27, v25, v22 :: v_dual_sub_f32 v18, v18, v23
	v_sub_f32_e32 v28, v25, v27
	s_delay_alu instid0(VALU_DEP_2) | instskip(NEXT) | instid1(VALU_DEP_2)
	v_dual_sub_f32 v23, v24, v27 :: v_dual_add_f32 v24, v17, v18
	v_sub_f32_e32 v22, v22, v28
	s_delay_alu instid0(VALU_DEP_1) | instskip(NEXT) | instid1(VALU_DEP_1)
	v_dual_add_f32 v22, v23, v22 :: v_dual_sub_f32 v23, v24, v17
	v_add_f32_e32 v22, v24, v22
	s_delay_alu instid0(VALU_DEP_2) | instskip(SKIP_1) | instid1(VALU_DEP_3)
	v_sub_f32_e32 v24, v24, v23
	v_sub_f32_e32 v18, v18, v23
	v_add_f32_e32 v26, v25, v22
	s_delay_alu instid0(VALU_DEP_3) | instskip(NEXT) | instid1(VALU_DEP_2)
	v_sub_f32_e32 v17, v17, v24
	v_sub_f32_e32 v23, v26, v25
	s_delay_alu instid0(VALU_DEP_2) | instskip(NEXT) | instid1(VALU_DEP_2)
	v_add_f32_e32 v17, v18, v17
	v_sub_f32_e32 v18, v22, v23
	s_delay_alu instid0(VALU_DEP_1) | instskip(NEXT) | instid1(VALU_DEP_1)
	v_add_f32_e32 v17, v17, v18
	v_add_f32_e32 v17, v26, v17
	s_wait_alu 0xf1ff
	s_delay_alu instid0(VALU_DEP_1) | instskip(SKIP_2) | instid1(VALU_DEP_1)
	v_cndmask_b32_e64 v17, 0x7f800000, v17, s9
	v_cmp_gt_f32_e64 s9, 0x33800000, |v19|
	s_wait_alu 0xf1ff
	v_cndmask_b32_e64 v17, v17, v19, s9
	s_delay_alu instid0(VALU_DEP_1) | instskip(NEXT) | instid1(VALU_DEP_1)
	v_add_f32_e32 v16, v16, v17
	v_cvt_f16_f32_e32 v22, v16
	s_delay_alu instid0(VALU_DEP_1)
	v_cvt_f32_f16_e32 v23, v22
	v_mov_b32_e32 v19, v22
.LBB421_220:
	s_or_b32 exec_lo, exec_lo, s10
	v_cvt_f32_f16_e32 v16, v5
	s_delay_alu instid0(VALU_DEP_3) | instskip(SKIP_1) | instid1(VALU_DEP_2)
	v_max_num_f32_e32 v17, v23, v23
	v_cmp_u_f16_e64 s9, v22, v22
	v_min_num_f32_e32 v18, v17, v16
	v_max_num_f32_e32 v17, v17, v16
	s_wait_alu 0xf1ff
	s_delay_alu instid0(VALU_DEP_2) | instskip(NEXT) | instid1(VALU_DEP_2)
	v_cndmask_b32_e64 v18, v18, v23, s9
	v_cndmask_b32_e64 v24, v17, v23, s9
	v_cmp_u_f16_e64 s9, v5, v5
	s_wait_alu 0xf1ff
	s_delay_alu instid0(VALU_DEP_1) | instskip(NEXT) | instid1(VALU_DEP_3)
	v_cndmask_b32_e64 v17, v18, v16, s9
	v_cndmask_b32_e64 v5, v24, v16, s9
	s_delay_alu instid0(VALU_DEP_2) | instskip(NEXT) | instid1(VALU_DEP_2)
	v_cmp_class_f32_e64 s11, v17, 0x1f8
	v_cmp_neq_f32_e64 s10, v17, v5
	s_or_b32 s10, s10, s11
	s_delay_alu instid0(SALU_CYCLE_1)
	s_and_saveexec_b32 s11, s10
	s_cbranch_execz .LBB421_222
; %bb.221:
	v_sub_f32_e32 v17, v17, v5
	s_delay_alu instid0(VALU_DEP_1) | instskip(NEXT) | instid1(VALU_DEP_1)
	v_mul_f32_e32 v18, 0x3fb8aa3b, v17
	v_fma_f32 v19, 0x3fb8aa3b, v17, -v18
	v_rndne_f32_e32 v22, v18
	s_delay_alu instid0(VALU_DEP_1) | instskip(SKIP_1) | instid1(VALU_DEP_2)
	v_dual_sub_f32 v18, v18, v22 :: v_dual_fmamk_f32 v19, v17, 0x32a5705f, v19
	v_cmp_ngt_f32_e64 s10, 0xc2ce8ed0, v17
	v_add_f32_e32 v18, v18, v19
	v_cvt_i32_f32_e32 v19, v22
	s_delay_alu instid0(VALU_DEP_2) | instskip(NEXT) | instid1(TRANS32_DEP_1)
	v_exp_f32_e32 v18, v18
	v_ldexp_f32 v18, v18, v19
	s_delay_alu instid0(VALU_DEP_1) | instskip(SKIP_2) | instid1(VALU_DEP_1)
	v_cndmask_b32_e64 v18, 0, v18, s10
	v_cmp_nlt_f32_e64 s10, 0x42b17218, v17
	s_wait_alu 0xf1ff
	v_cndmask_b32_e64 v19, 0x7f800000, v18, s10
	s_delay_alu instid0(VALU_DEP_1) | instskip(NEXT) | instid1(VALU_DEP_1)
	v_add_f32_e32 v22, 1.0, v19
	v_cvt_f64_f32_e32 v[17:18], v22
	s_delay_alu instid0(VALU_DEP_1) | instskip(SKIP_1) | instid1(VALU_DEP_1)
	v_frexp_exp_i32_f64_e32 v17, v[17:18]
	v_frexp_mant_f32_e32 v18, v22
	v_cmp_gt_f32_e64 s10, 0x3f2aaaab, v18
	v_add_f32_e32 v18, -1.0, v22
	s_delay_alu instid0(VALU_DEP_1)
	v_sub_f32_e32 v24, v18, v22
	v_sub_f32_e32 v18, v19, v18
	s_wait_alu 0xf1ff
	v_subrev_co_ci_u32_e64 v17, null, 0, v17, s10
	s_mov_b32 s10, 0x3e9b6dac
	v_sub_nc_u32_e32 v23, 0, v17
	v_cvt_f32_i32_e32 v17, v17
	s_delay_alu instid0(VALU_DEP_2) | instskip(NEXT) | instid1(VALU_DEP_1)
	v_ldexp_f32 v22, v22, v23
	v_dual_add_f32 v25, 1.0, v22 :: v_dual_add_f32 v24, 1.0, v24
	s_delay_alu instid0(VALU_DEP_1) | instskip(NEXT) | instid1(VALU_DEP_2)
	v_add_f32_e32 v18, v18, v24
	v_add_f32_e32 v24, -1.0, v25
	s_delay_alu instid0(VALU_DEP_2) | instskip(NEXT) | instid1(VALU_DEP_2)
	v_ldexp_f32 v18, v18, v23
	v_dual_add_f32 v23, -1.0, v22 :: v_dual_sub_f32 v24, v22, v24
	s_delay_alu instid0(VALU_DEP_1) | instskip(NEXT) | instid1(VALU_DEP_2)
	v_add_f32_e32 v26, 1.0, v23
	v_add_f32_e32 v24, v18, v24
	s_delay_alu instid0(VALU_DEP_2) | instskip(NEXT) | instid1(VALU_DEP_2)
	v_sub_f32_e32 v22, v22, v26
	v_add_f32_e32 v26, v25, v24
	s_delay_alu instid0(VALU_DEP_2) | instskip(NEXT) | instid1(VALU_DEP_2)
	v_add_f32_e32 v18, v18, v22
	v_rcp_f32_e32 v22, v26
	v_sub_f32_e32 v25, v25, v26
	s_delay_alu instid0(VALU_DEP_1) | instskip(NEXT) | instid1(VALU_DEP_1)
	v_dual_add_f32 v27, v23, v18 :: v_dual_add_f32 v24, v24, v25
	v_sub_f32_e32 v23, v23, v27
	s_delay_alu instid0(TRANS32_DEP_1) | instskip(NEXT) | instid1(VALU_DEP_2)
	v_mul_f32_e32 v28, v27, v22
	v_add_f32_e32 v18, v18, v23
	s_delay_alu instid0(VALU_DEP_2) | instskip(NEXT) | instid1(VALU_DEP_1)
	v_mul_f32_e32 v29, v26, v28
	v_fma_f32 v25, v28, v26, -v29
	s_delay_alu instid0(VALU_DEP_1) | instskip(NEXT) | instid1(VALU_DEP_1)
	v_fmac_f32_e32 v25, v28, v24
	v_add_f32_e32 v30, v29, v25
	s_delay_alu instid0(VALU_DEP_1) | instskip(SKIP_1) | instid1(VALU_DEP_2)
	v_sub_f32_e32 v31, v27, v30
	v_sub_f32_e32 v23, v30, v29
	;; [unrolled: 1-line block ×3, first 2 shown]
	s_delay_alu instid0(VALU_DEP_2) | instskip(NEXT) | instid1(VALU_DEP_2)
	v_sub_f32_e32 v23, v23, v25
	v_sub_f32_e32 v27, v27, v30
	s_delay_alu instid0(VALU_DEP_1) | instskip(NEXT) | instid1(VALU_DEP_1)
	v_add_f32_e32 v18, v18, v27
	v_add_f32_e32 v18, v23, v18
	s_delay_alu instid0(VALU_DEP_1) | instskip(NEXT) | instid1(VALU_DEP_1)
	v_add_f32_e32 v23, v31, v18
	v_mul_f32_e32 v25, v22, v23
	s_delay_alu instid0(VALU_DEP_1) | instskip(NEXT) | instid1(VALU_DEP_1)
	v_dual_sub_f32 v30, v31, v23 :: v_dual_mul_f32 v27, v26, v25
	v_add_f32_e32 v18, v18, v30
	s_delay_alu instid0(VALU_DEP_2) | instskip(NEXT) | instid1(VALU_DEP_1)
	v_fma_f32 v26, v25, v26, -v27
	v_fmac_f32_e32 v26, v25, v24
	s_delay_alu instid0(VALU_DEP_1) | instskip(NEXT) | instid1(VALU_DEP_1)
	v_add_f32_e32 v24, v27, v26
	v_sub_f32_e32 v29, v23, v24
	v_sub_f32_e32 v27, v24, v27
	s_delay_alu instid0(VALU_DEP_2) | instskip(NEXT) | instid1(VALU_DEP_1)
	v_sub_f32_e32 v23, v23, v29
	v_sub_f32_e32 v23, v23, v24
	s_delay_alu instid0(VALU_DEP_3) | instskip(NEXT) | instid1(VALU_DEP_2)
	v_sub_f32_e32 v24, v27, v26
	v_dual_add_f32 v18, v18, v23 :: v_dual_add_f32 v23, v28, v25
	s_delay_alu instid0(VALU_DEP_1) | instskip(NEXT) | instid1(VALU_DEP_2)
	v_add_f32_e32 v18, v24, v18
	v_sub_f32_e32 v24, v23, v28
	s_delay_alu instid0(VALU_DEP_2) | instskip(NEXT) | instid1(VALU_DEP_2)
	v_add_f32_e32 v18, v29, v18
	v_sub_f32_e32 v24, v25, v24
	s_delay_alu instid0(VALU_DEP_2) | instskip(NEXT) | instid1(VALU_DEP_1)
	v_mul_f32_e32 v18, v22, v18
	v_add_f32_e32 v18, v24, v18
	s_delay_alu instid0(VALU_DEP_1) | instskip(NEXT) | instid1(VALU_DEP_1)
	v_add_f32_e32 v22, v23, v18
	v_mul_f32_e32 v24, v22, v22
	s_wait_alu 0xfffe
	s_delay_alu instid0(VALU_DEP_1) | instskip(SKIP_2) | instid1(VALU_DEP_3)
	v_fmaak_f32 v25, s10, v24, 0x3ecc95a3
	v_mul_f32_e32 v26, v22, v24
	v_cmp_neq_f32_e64 s10, 0x7f800000, v19
	v_fmaak_f32 v24, v24, v25, 0x3f2aaada
	v_ldexp_f32 v25, v22, 1
	v_sub_f32_e32 v22, v22, v23
	s_delay_alu instid0(VALU_DEP_3) | instskip(SKIP_1) | instid1(VALU_DEP_2)
	v_mul_f32_e32 v24, v26, v24
	v_mul_f32_e32 v26, 0x3f317218, v17
	v_dual_sub_f32 v18, v18, v22 :: v_dual_add_f32 v23, v25, v24
	s_delay_alu instid0(VALU_DEP_1) | instskip(NEXT) | instid1(VALU_DEP_2)
	v_ldexp_f32 v18, v18, 1
	v_sub_f32_e32 v22, v23, v25
	s_delay_alu instid0(VALU_DEP_4) | instskip(NEXT) | instid1(VALU_DEP_1)
	v_fma_f32 v25, 0x3f317218, v17, -v26
	v_dual_sub_f32 v22, v24, v22 :: v_dual_fmamk_f32 v17, v17, 0xb102e308, v25
	s_delay_alu instid0(VALU_DEP_1) | instskip(NEXT) | instid1(VALU_DEP_2)
	v_add_f32_e32 v18, v18, v22
	v_add_f32_e32 v22, v26, v17
	s_delay_alu instid0(VALU_DEP_2) | instskip(NEXT) | instid1(VALU_DEP_2)
	v_add_f32_e32 v24, v23, v18
	v_sub_f32_e32 v26, v22, v26
	s_delay_alu instid0(VALU_DEP_2) | instskip(SKIP_1) | instid1(VALU_DEP_3)
	v_add_f32_e32 v25, v22, v24
	v_sub_f32_e32 v23, v24, v23
	v_sub_f32_e32 v17, v17, v26
	s_delay_alu instid0(VALU_DEP_2) | instskip(NEXT) | instid1(VALU_DEP_1)
	v_dual_sub_f32 v27, v25, v22 :: v_dual_sub_f32 v18, v18, v23
	v_sub_f32_e32 v28, v25, v27
	s_delay_alu instid0(VALU_DEP_2) | instskip(NEXT) | instid1(VALU_DEP_2)
	v_dual_sub_f32 v23, v24, v27 :: v_dual_add_f32 v24, v17, v18
	v_sub_f32_e32 v22, v22, v28
	s_delay_alu instid0(VALU_DEP_1) | instskip(NEXT) | instid1(VALU_DEP_1)
	v_dual_add_f32 v22, v23, v22 :: v_dual_sub_f32 v23, v24, v17
	v_add_f32_e32 v22, v24, v22
	s_delay_alu instid0(VALU_DEP_2) | instskip(SKIP_1) | instid1(VALU_DEP_3)
	v_sub_f32_e32 v24, v24, v23
	v_sub_f32_e32 v18, v18, v23
	v_add_f32_e32 v26, v25, v22
	s_delay_alu instid0(VALU_DEP_3) | instskip(NEXT) | instid1(VALU_DEP_2)
	v_sub_f32_e32 v17, v17, v24
	v_sub_f32_e32 v23, v26, v25
	s_delay_alu instid0(VALU_DEP_2) | instskip(NEXT) | instid1(VALU_DEP_2)
	v_add_f32_e32 v17, v18, v17
	v_sub_f32_e32 v18, v22, v23
	s_delay_alu instid0(VALU_DEP_1) | instskip(NEXT) | instid1(VALU_DEP_1)
	v_add_f32_e32 v17, v17, v18
	v_add_f32_e32 v17, v26, v17
	s_wait_alu 0xf1ff
	s_delay_alu instid0(VALU_DEP_1) | instskip(SKIP_2) | instid1(VALU_DEP_1)
	v_cndmask_b32_e64 v17, 0x7f800000, v17, s10
	v_cmp_gt_f32_e64 s10, 0x33800000, |v19|
	s_wait_alu 0xf1ff
	v_cndmask_b32_e64 v17, v17, v19, s10
	s_delay_alu instid0(VALU_DEP_1) | instskip(NEXT) | instid1(VALU_DEP_1)
	v_add_f32_e32 v5, v5, v17
	v_cvt_f16_f32_e32 v22, v5
	s_delay_alu instid0(VALU_DEP_1)
	v_cvt_f32_f16_e32 v23, v22
	v_mov_b32_e32 v19, v22
.LBB421_222:
	s_or_b32 exec_lo, exec_lo, s11
	v_cvt_f32_f16_e32 v5, v15
	s_delay_alu instid0(VALU_DEP_3) | instskip(SKIP_1) | instid1(VALU_DEP_2)
	v_max_num_f32_e32 v17, v23, v23
	v_cmp_u_f16_e64 s10, v22, v22
	v_min_num_f32_e32 v18, v17, v5
	v_max_num_f32_e32 v17, v17, v5
	s_wait_alu 0xf1ff
	s_delay_alu instid0(VALU_DEP_2) | instskip(NEXT) | instid1(VALU_DEP_2)
	v_cndmask_b32_e64 v18, v18, v23, s10
	v_cndmask_b32_e64 v24, v17, v23, s10
	v_cmp_u_f16_e64 s10, v15, v15
	s_wait_alu 0xf1ff
	s_delay_alu instid0(VALU_DEP_1) | instskip(NEXT) | instid1(VALU_DEP_3)
	v_cndmask_b32_e64 v17, v18, v5, s10
	v_cndmask_b32_e64 v15, v24, v5, s10
	s_delay_alu instid0(VALU_DEP_2) | instskip(NEXT) | instid1(VALU_DEP_2)
	v_cmp_class_f32_e64 s12, v17, 0x1f8
	v_cmp_neq_f32_e64 s11, v17, v15
	s_or_b32 s11, s11, s12
	s_wait_alu 0xfffe
	s_and_saveexec_b32 s12, s11
	s_cbranch_execz .LBB421_224
; %bb.223:
	v_sub_f32_e32 v17, v17, v15
	s_delay_alu instid0(VALU_DEP_1) | instskip(NEXT) | instid1(VALU_DEP_1)
	v_mul_f32_e32 v18, 0x3fb8aa3b, v17
	v_fma_f32 v19, 0x3fb8aa3b, v17, -v18
	v_rndne_f32_e32 v22, v18
	s_delay_alu instid0(VALU_DEP_1) | instskip(SKIP_1) | instid1(VALU_DEP_2)
	v_dual_sub_f32 v18, v18, v22 :: v_dual_fmamk_f32 v19, v17, 0x32a5705f, v19
	v_cmp_ngt_f32_e64 s11, 0xc2ce8ed0, v17
	v_add_f32_e32 v18, v18, v19
	v_cvt_i32_f32_e32 v19, v22
	s_delay_alu instid0(VALU_DEP_2) | instskip(NEXT) | instid1(TRANS32_DEP_1)
	v_exp_f32_e32 v18, v18
	v_ldexp_f32 v18, v18, v19
	s_wait_alu 0xf1ff
	s_delay_alu instid0(VALU_DEP_1) | instskip(SKIP_2) | instid1(VALU_DEP_1)
	v_cndmask_b32_e64 v18, 0, v18, s11
	v_cmp_nlt_f32_e64 s11, 0x42b17218, v17
	s_wait_alu 0xf1ff
	v_cndmask_b32_e64 v19, 0x7f800000, v18, s11
	s_delay_alu instid0(VALU_DEP_1) | instskip(NEXT) | instid1(VALU_DEP_1)
	v_add_f32_e32 v22, 1.0, v19
	v_cvt_f64_f32_e32 v[17:18], v22
	s_delay_alu instid0(VALU_DEP_1) | instskip(SKIP_1) | instid1(VALU_DEP_1)
	v_frexp_exp_i32_f64_e32 v17, v[17:18]
	v_frexp_mant_f32_e32 v18, v22
	v_cmp_gt_f32_e64 s11, 0x3f2aaaab, v18
	v_add_f32_e32 v18, -1.0, v22
	s_delay_alu instid0(VALU_DEP_1)
	v_sub_f32_e32 v24, v18, v22
	v_sub_f32_e32 v18, v19, v18
	s_wait_alu 0xf1ff
	v_subrev_co_ci_u32_e64 v17, null, 0, v17, s11
	s_mov_b32 s11, 0x3e9b6dac
	v_sub_nc_u32_e32 v23, 0, v17
	v_cvt_f32_i32_e32 v17, v17
	s_delay_alu instid0(VALU_DEP_2) | instskip(NEXT) | instid1(VALU_DEP_1)
	v_ldexp_f32 v22, v22, v23
	v_dual_add_f32 v25, 1.0, v22 :: v_dual_add_f32 v24, 1.0, v24
	s_delay_alu instid0(VALU_DEP_1) | instskip(NEXT) | instid1(VALU_DEP_2)
	v_add_f32_e32 v18, v18, v24
	v_add_f32_e32 v24, -1.0, v25
	s_delay_alu instid0(VALU_DEP_2) | instskip(NEXT) | instid1(VALU_DEP_2)
	v_ldexp_f32 v18, v18, v23
	v_dual_add_f32 v23, -1.0, v22 :: v_dual_sub_f32 v24, v22, v24
	s_delay_alu instid0(VALU_DEP_1) | instskip(NEXT) | instid1(VALU_DEP_2)
	v_add_f32_e32 v26, 1.0, v23
	v_add_f32_e32 v24, v18, v24
	s_delay_alu instid0(VALU_DEP_2) | instskip(NEXT) | instid1(VALU_DEP_2)
	v_sub_f32_e32 v22, v22, v26
	v_add_f32_e32 v26, v25, v24
	s_delay_alu instid0(VALU_DEP_2) | instskip(NEXT) | instid1(VALU_DEP_2)
	v_add_f32_e32 v18, v18, v22
	v_rcp_f32_e32 v22, v26
	v_sub_f32_e32 v25, v25, v26
	s_delay_alu instid0(VALU_DEP_1) | instskip(NEXT) | instid1(VALU_DEP_1)
	v_dual_add_f32 v27, v23, v18 :: v_dual_add_f32 v24, v24, v25
	v_sub_f32_e32 v23, v23, v27
	s_delay_alu instid0(TRANS32_DEP_1) | instskip(NEXT) | instid1(VALU_DEP_2)
	v_mul_f32_e32 v28, v27, v22
	v_add_f32_e32 v18, v18, v23
	s_delay_alu instid0(VALU_DEP_2) | instskip(NEXT) | instid1(VALU_DEP_1)
	v_mul_f32_e32 v29, v26, v28
	v_fma_f32 v25, v28, v26, -v29
	s_delay_alu instid0(VALU_DEP_1) | instskip(NEXT) | instid1(VALU_DEP_1)
	v_fmac_f32_e32 v25, v28, v24
	v_add_f32_e32 v30, v29, v25
	s_delay_alu instid0(VALU_DEP_1) | instskip(SKIP_1) | instid1(VALU_DEP_2)
	v_sub_f32_e32 v31, v27, v30
	v_sub_f32_e32 v23, v30, v29
	;; [unrolled: 1-line block ×3, first 2 shown]
	s_delay_alu instid0(VALU_DEP_2) | instskip(NEXT) | instid1(VALU_DEP_2)
	v_sub_f32_e32 v23, v23, v25
	v_sub_f32_e32 v27, v27, v30
	s_delay_alu instid0(VALU_DEP_1) | instskip(NEXT) | instid1(VALU_DEP_1)
	v_add_f32_e32 v18, v18, v27
	v_add_f32_e32 v18, v23, v18
	s_delay_alu instid0(VALU_DEP_1) | instskip(NEXT) | instid1(VALU_DEP_1)
	v_add_f32_e32 v23, v31, v18
	v_mul_f32_e32 v25, v22, v23
	s_delay_alu instid0(VALU_DEP_1) | instskip(NEXT) | instid1(VALU_DEP_1)
	v_dual_sub_f32 v30, v31, v23 :: v_dual_mul_f32 v27, v26, v25
	v_add_f32_e32 v18, v18, v30
	s_delay_alu instid0(VALU_DEP_2) | instskip(NEXT) | instid1(VALU_DEP_1)
	v_fma_f32 v26, v25, v26, -v27
	v_fmac_f32_e32 v26, v25, v24
	s_delay_alu instid0(VALU_DEP_1) | instskip(NEXT) | instid1(VALU_DEP_1)
	v_add_f32_e32 v24, v27, v26
	v_sub_f32_e32 v29, v23, v24
	v_sub_f32_e32 v27, v24, v27
	s_delay_alu instid0(VALU_DEP_2) | instskip(NEXT) | instid1(VALU_DEP_1)
	v_sub_f32_e32 v23, v23, v29
	v_sub_f32_e32 v23, v23, v24
	s_delay_alu instid0(VALU_DEP_3) | instskip(NEXT) | instid1(VALU_DEP_2)
	v_sub_f32_e32 v24, v27, v26
	v_dual_add_f32 v18, v18, v23 :: v_dual_add_f32 v23, v28, v25
	s_delay_alu instid0(VALU_DEP_1) | instskip(NEXT) | instid1(VALU_DEP_2)
	v_add_f32_e32 v18, v24, v18
	v_sub_f32_e32 v24, v23, v28
	s_delay_alu instid0(VALU_DEP_2) | instskip(NEXT) | instid1(VALU_DEP_2)
	v_add_f32_e32 v18, v29, v18
	v_sub_f32_e32 v24, v25, v24
	s_delay_alu instid0(VALU_DEP_2) | instskip(NEXT) | instid1(VALU_DEP_1)
	v_mul_f32_e32 v18, v22, v18
	v_add_f32_e32 v18, v24, v18
	s_delay_alu instid0(VALU_DEP_1) | instskip(NEXT) | instid1(VALU_DEP_1)
	v_add_f32_e32 v22, v23, v18
	v_mul_f32_e32 v24, v22, v22
	s_wait_alu 0xfffe
	s_delay_alu instid0(VALU_DEP_1) | instskip(SKIP_2) | instid1(VALU_DEP_3)
	v_fmaak_f32 v25, s11, v24, 0x3ecc95a3
	v_mul_f32_e32 v26, v22, v24
	v_cmp_neq_f32_e64 s11, 0x7f800000, v19
	v_fmaak_f32 v24, v24, v25, 0x3f2aaada
	v_ldexp_f32 v25, v22, 1
	v_sub_f32_e32 v22, v22, v23
	s_delay_alu instid0(VALU_DEP_3) | instskip(SKIP_1) | instid1(VALU_DEP_2)
	v_mul_f32_e32 v24, v26, v24
	v_mul_f32_e32 v26, 0x3f317218, v17
	v_dual_sub_f32 v18, v18, v22 :: v_dual_add_f32 v23, v25, v24
	s_delay_alu instid0(VALU_DEP_1) | instskip(NEXT) | instid1(VALU_DEP_2)
	v_ldexp_f32 v18, v18, 1
	v_sub_f32_e32 v22, v23, v25
	s_delay_alu instid0(VALU_DEP_4) | instskip(NEXT) | instid1(VALU_DEP_1)
	v_fma_f32 v25, 0x3f317218, v17, -v26
	v_dual_sub_f32 v22, v24, v22 :: v_dual_fmamk_f32 v17, v17, 0xb102e308, v25
	s_delay_alu instid0(VALU_DEP_1) | instskip(NEXT) | instid1(VALU_DEP_2)
	v_add_f32_e32 v18, v18, v22
	v_add_f32_e32 v22, v26, v17
	s_delay_alu instid0(VALU_DEP_2) | instskip(NEXT) | instid1(VALU_DEP_2)
	v_add_f32_e32 v24, v23, v18
	v_sub_f32_e32 v26, v22, v26
	s_delay_alu instid0(VALU_DEP_2) | instskip(SKIP_1) | instid1(VALU_DEP_3)
	v_add_f32_e32 v25, v22, v24
	v_sub_f32_e32 v23, v24, v23
	v_sub_f32_e32 v17, v17, v26
	s_delay_alu instid0(VALU_DEP_2) | instskip(NEXT) | instid1(VALU_DEP_1)
	v_dual_sub_f32 v27, v25, v22 :: v_dual_sub_f32 v18, v18, v23
	v_sub_f32_e32 v28, v25, v27
	s_delay_alu instid0(VALU_DEP_2) | instskip(NEXT) | instid1(VALU_DEP_2)
	v_dual_sub_f32 v23, v24, v27 :: v_dual_add_f32 v24, v17, v18
	v_sub_f32_e32 v22, v22, v28
	s_delay_alu instid0(VALU_DEP_1) | instskip(NEXT) | instid1(VALU_DEP_1)
	v_dual_add_f32 v22, v23, v22 :: v_dual_sub_f32 v23, v24, v17
	v_add_f32_e32 v22, v24, v22
	s_delay_alu instid0(VALU_DEP_2) | instskip(SKIP_1) | instid1(VALU_DEP_3)
	v_sub_f32_e32 v24, v24, v23
	v_sub_f32_e32 v18, v18, v23
	v_add_f32_e32 v26, v25, v22
	s_delay_alu instid0(VALU_DEP_3) | instskip(NEXT) | instid1(VALU_DEP_2)
	v_sub_f32_e32 v17, v17, v24
	v_sub_f32_e32 v23, v26, v25
	s_delay_alu instid0(VALU_DEP_2) | instskip(NEXT) | instid1(VALU_DEP_2)
	v_add_f32_e32 v17, v18, v17
	v_sub_f32_e32 v18, v22, v23
	s_delay_alu instid0(VALU_DEP_1) | instskip(NEXT) | instid1(VALU_DEP_1)
	v_add_f32_e32 v17, v17, v18
	v_add_f32_e32 v17, v26, v17
	s_wait_alu 0xf1ff
	s_delay_alu instid0(VALU_DEP_1) | instskip(SKIP_2) | instid1(VALU_DEP_1)
	v_cndmask_b32_e64 v17, 0x7f800000, v17, s11
	v_cmp_gt_f32_e64 s11, 0x33800000, |v19|
	s_wait_alu 0xf1ff
	v_cndmask_b32_e64 v17, v17, v19, s11
	s_delay_alu instid0(VALU_DEP_1) | instskip(NEXT) | instid1(VALU_DEP_1)
	v_add_f32_e32 v15, v15, v17
	v_cvt_f16_f32_e32 v22, v15
	s_delay_alu instid0(VALU_DEP_1)
	v_cvt_f32_f16_e32 v23, v22
	v_mov_b32_e32 v19, v22
.LBB421_224:
	s_wait_alu 0xfffe
	s_or_b32 exec_lo, exec_lo, s12
	v_cvt_f32_f16_e32 v15, v6
	v_max_num_f32_e32 v17, v23, v23
	v_cmp_u_f16_e64 s11, v22, v22
	s_delay_alu instid0(VALU_DEP_2) | instskip(SKIP_2) | instid1(VALU_DEP_2)
	v_min_num_f32_e32 v18, v17, v15
	v_max_num_f32_e32 v17, v17, v15
	s_wait_alu 0xf1ff
	v_cndmask_b32_e64 v18, v18, v23, s11
	s_delay_alu instid0(VALU_DEP_2) | instskip(SKIP_2) | instid1(VALU_DEP_1)
	v_cndmask_b32_e64 v24, v17, v23, s11
	v_cmp_u_f16_e64 s11, v6, v6
	s_wait_alu 0xf1ff
	v_cndmask_b32_e64 v17, v18, v15, s11
	s_delay_alu instid0(VALU_DEP_3) | instskip(NEXT) | instid1(VALU_DEP_2)
	v_cndmask_b32_e64 v6, v24, v15, s11
	v_cmp_class_f32_e64 s14, v17, 0x1f8
	s_delay_alu instid0(VALU_DEP_2)
	v_cmp_neq_f32_e64 s12, v17, v6
	s_or_b32 s12, s12, s14
	s_wait_alu 0xfffe
	s_and_saveexec_b32 s14, s12
	s_cbranch_execz .LBB421_226
; %bb.225:
	v_sub_f32_e32 v17, v17, v6
	s_delay_alu instid0(VALU_DEP_1) | instskip(NEXT) | instid1(VALU_DEP_1)
	v_mul_f32_e32 v18, 0x3fb8aa3b, v17
	v_fma_f32 v19, 0x3fb8aa3b, v17, -v18
	v_rndne_f32_e32 v22, v18
	s_delay_alu instid0(VALU_DEP_1) | instskip(NEXT) | instid1(VALU_DEP_1)
	v_dual_fmamk_f32 v19, v17, 0x32a5705f, v19 :: v_dual_sub_f32 v18, v18, v22
	v_add_f32_e32 v18, v18, v19
	v_cvt_i32_f32_e32 v19, v22
	v_cmp_ngt_f32_e64 s12, 0xc2ce8ed0, v17
	s_delay_alu instid0(VALU_DEP_3) | instskip(NEXT) | instid1(TRANS32_DEP_1)
	v_exp_f32_e32 v18, v18
	v_ldexp_f32 v18, v18, v19
	s_wait_alu 0xf1ff
	s_delay_alu instid0(VALU_DEP_1) | instskip(SKIP_2) | instid1(VALU_DEP_1)
	v_cndmask_b32_e64 v18, 0, v18, s12
	v_cmp_nlt_f32_e64 s12, 0x42b17218, v17
	s_wait_alu 0xf1ff
	v_cndmask_b32_e64 v19, 0x7f800000, v18, s12
	s_delay_alu instid0(VALU_DEP_1) | instskip(NEXT) | instid1(VALU_DEP_1)
	v_add_f32_e32 v22, 1.0, v19
	v_cvt_f64_f32_e32 v[17:18], v22
	s_delay_alu instid0(VALU_DEP_1) | instskip(SKIP_1) | instid1(VALU_DEP_1)
	v_frexp_exp_i32_f64_e32 v17, v[17:18]
	v_frexp_mant_f32_e32 v18, v22
	v_cmp_gt_f32_e64 s12, 0x3f2aaaab, v18
	v_add_f32_e32 v18, -1.0, v22
	s_delay_alu instid0(VALU_DEP_1)
	v_sub_f32_e32 v24, v18, v22
	v_sub_f32_e32 v18, v19, v18
	s_wait_alu 0xf1ff
	v_subrev_co_ci_u32_e64 v17, null, 0, v17, s12
	s_mov_b32 s12, 0x3e9b6dac
	v_sub_nc_u32_e32 v23, 0, v17
	v_cvt_f32_i32_e32 v17, v17
	s_delay_alu instid0(VALU_DEP_2) | instskip(NEXT) | instid1(VALU_DEP_1)
	v_ldexp_f32 v22, v22, v23
	v_dual_add_f32 v24, 1.0, v24 :: v_dual_add_f32 v25, 1.0, v22
	s_delay_alu instid0(VALU_DEP_1) | instskip(NEXT) | instid1(VALU_DEP_2)
	v_add_f32_e32 v18, v18, v24
	v_add_f32_e32 v24, -1.0, v25
	s_delay_alu instid0(VALU_DEP_2) | instskip(NEXT) | instid1(VALU_DEP_2)
	v_ldexp_f32 v18, v18, v23
	v_dual_add_f32 v23, -1.0, v22 :: v_dual_sub_f32 v24, v22, v24
	s_delay_alu instid0(VALU_DEP_1) | instskip(NEXT) | instid1(VALU_DEP_2)
	v_add_f32_e32 v26, 1.0, v23
	v_add_f32_e32 v24, v18, v24
	s_delay_alu instid0(VALU_DEP_2) | instskip(NEXT) | instid1(VALU_DEP_2)
	v_sub_f32_e32 v22, v22, v26
	v_add_f32_e32 v26, v25, v24
	s_delay_alu instid0(VALU_DEP_2) | instskip(NEXT) | instid1(VALU_DEP_2)
	v_add_f32_e32 v18, v18, v22
	v_rcp_f32_e32 v22, v26
	v_sub_f32_e32 v25, v25, v26
	s_delay_alu instid0(VALU_DEP_1) | instskip(NEXT) | instid1(VALU_DEP_1)
	v_dual_add_f32 v27, v23, v18 :: v_dual_add_f32 v24, v24, v25
	v_sub_f32_e32 v23, v23, v27
	s_delay_alu instid0(TRANS32_DEP_1) | instskip(NEXT) | instid1(VALU_DEP_2)
	v_mul_f32_e32 v28, v27, v22
	v_add_f32_e32 v18, v18, v23
	s_delay_alu instid0(VALU_DEP_2) | instskip(NEXT) | instid1(VALU_DEP_1)
	v_mul_f32_e32 v29, v26, v28
	v_fma_f32 v25, v28, v26, -v29
	s_delay_alu instid0(VALU_DEP_1) | instskip(NEXT) | instid1(VALU_DEP_1)
	v_fmac_f32_e32 v25, v28, v24
	v_add_f32_e32 v30, v29, v25
	s_delay_alu instid0(VALU_DEP_1) | instskip(SKIP_1) | instid1(VALU_DEP_2)
	v_sub_f32_e32 v31, v27, v30
	v_sub_f32_e32 v23, v30, v29
	;; [unrolled: 1-line block ×3, first 2 shown]
	s_delay_alu instid0(VALU_DEP_2) | instskip(NEXT) | instid1(VALU_DEP_2)
	v_sub_f32_e32 v23, v23, v25
	v_sub_f32_e32 v27, v27, v30
	s_delay_alu instid0(VALU_DEP_1) | instskip(NEXT) | instid1(VALU_DEP_1)
	v_add_f32_e32 v18, v18, v27
	v_add_f32_e32 v18, v23, v18
	s_delay_alu instid0(VALU_DEP_1) | instskip(NEXT) | instid1(VALU_DEP_1)
	v_add_f32_e32 v23, v31, v18
	v_mul_f32_e32 v25, v22, v23
	s_delay_alu instid0(VALU_DEP_1) | instskip(NEXT) | instid1(VALU_DEP_1)
	v_dual_sub_f32 v30, v31, v23 :: v_dual_mul_f32 v27, v26, v25
	v_add_f32_e32 v18, v18, v30
	s_delay_alu instid0(VALU_DEP_2) | instskip(NEXT) | instid1(VALU_DEP_1)
	v_fma_f32 v26, v25, v26, -v27
	v_fmac_f32_e32 v26, v25, v24
	s_delay_alu instid0(VALU_DEP_1) | instskip(NEXT) | instid1(VALU_DEP_1)
	v_add_f32_e32 v24, v27, v26
	v_sub_f32_e32 v29, v23, v24
	v_sub_f32_e32 v27, v24, v27
	s_delay_alu instid0(VALU_DEP_2) | instskip(NEXT) | instid1(VALU_DEP_1)
	v_sub_f32_e32 v23, v23, v29
	v_sub_f32_e32 v23, v23, v24
	s_delay_alu instid0(VALU_DEP_1) | instskip(NEXT) | instid1(VALU_DEP_4)
	v_dual_add_f32 v18, v18, v23 :: v_dual_add_f32 v23, v28, v25
	v_sub_f32_e32 v24, v27, v26
	s_delay_alu instid0(VALU_DEP_1) | instskip(NEXT) | instid1(VALU_DEP_3)
	v_add_f32_e32 v18, v24, v18
	v_sub_f32_e32 v24, v23, v28
	s_delay_alu instid0(VALU_DEP_2) | instskip(NEXT) | instid1(VALU_DEP_2)
	v_add_f32_e32 v18, v29, v18
	v_sub_f32_e32 v24, v25, v24
	s_delay_alu instid0(VALU_DEP_2) | instskip(NEXT) | instid1(VALU_DEP_1)
	v_mul_f32_e32 v18, v22, v18
	v_add_f32_e32 v18, v24, v18
	s_delay_alu instid0(VALU_DEP_1) | instskip(NEXT) | instid1(VALU_DEP_1)
	v_add_f32_e32 v22, v23, v18
	v_mul_f32_e32 v24, v22, v22
	s_wait_alu 0xfffe
	s_delay_alu instid0(VALU_DEP_1) | instskip(SKIP_2) | instid1(VALU_DEP_3)
	v_fmaak_f32 v25, s12, v24, 0x3ecc95a3
	v_mul_f32_e32 v26, v22, v24
	v_cmp_neq_f32_e64 s12, 0x7f800000, v19
	v_fmaak_f32 v24, v24, v25, 0x3f2aaada
	v_ldexp_f32 v25, v22, 1
	v_sub_f32_e32 v22, v22, v23
	s_delay_alu instid0(VALU_DEP_3) | instskip(SKIP_1) | instid1(VALU_DEP_2)
	v_mul_f32_e32 v24, v26, v24
	v_mul_f32_e32 v26, 0x3f317218, v17
	v_dual_sub_f32 v18, v18, v22 :: v_dual_add_f32 v23, v25, v24
	s_delay_alu instid0(VALU_DEP_1) | instskip(NEXT) | instid1(VALU_DEP_2)
	v_ldexp_f32 v18, v18, 1
	v_sub_f32_e32 v22, v23, v25
	s_delay_alu instid0(VALU_DEP_4) | instskip(NEXT) | instid1(VALU_DEP_1)
	v_fma_f32 v25, 0x3f317218, v17, -v26
	v_dual_sub_f32 v22, v24, v22 :: v_dual_fmamk_f32 v17, v17, 0xb102e308, v25
	s_delay_alu instid0(VALU_DEP_1) | instskip(NEXT) | instid1(VALU_DEP_2)
	v_add_f32_e32 v18, v18, v22
	v_add_f32_e32 v22, v26, v17
	s_delay_alu instid0(VALU_DEP_2) | instskip(NEXT) | instid1(VALU_DEP_2)
	v_add_f32_e32 v24, v23, v18
	v_sub_f32_e32 v26, v22, v26
	s_delay_alu instid0(VALU_DEP_2) | instskip(SKIP_1) | instid1(VALU_DEP_3)
	v_add_f32_e32 v25, v22, v24
	v_sub_f32_e32 v23, v24, v23
	v_sub_f32_e32 v17, v17, v26
	s_delay_alu instid0(VALU_DEP_2) | instskip(NEXT) | instid1(VALU_DEP_1)
	v_dual_sub_f32 v27, v25, v22 :: v_dual_sub_f32 v18, v18, v23
	v_sub_f32_e32 v28, v25, v27
	s_delay_alu instid0(VALU_DEP_2) | instskip(NEXT) | instid1(VALU_DEP_2)
	v_dual_sub_f32 v23, v24, v27 :: v_dual_add_f32 v24, v17, v18
	v_sub_f32_e32 v22, v22, v28
	s_delay_alu instid0(VALU_DEP_1) | instskip(NEXT) | instid1(VALU_DEP_1)
	v_dual_add_f32 v22, v23, v22 :: v_dual_sub_f32 v23, v24, v17
	v_add_f32_e32 v22, v24, v22
	s_delay_alu instid0(VALU_DEP_2) | instskip(SKIP_1) | instid1(VALU_DEP_3)
	v_sub_f32_e32 v24, v24, v23
	v_sub_f32_e32 v18, v18, v23
	v_add_f32_e32 v26, v25, v22
	s_delay_alu instid0(VALU_DEP_3) | instskip(NEXT) | instid1(VALU_DEP_2)
	v_sub_f32_e32 v17, v17, v24
	v_sub_f32_e32 v23, v26, v25
	s_delay_alu instid0(VALU_DEP_2) | instskip(NEXT) | instid1(VALU_DEP_2)
	v_add_f32_e32 v17, v18, v17
	v_sub_f32_e32 v18, v22, v23
	s_delay_alu instid0(VALU_DEP_1) | instskip(NEXT) | instid1(VALU_DEP_1)
	v_add_f32_e32 v17, v17, v18
	v_add_f32_e32 v17, v26, v17
	s_wait_alu 0xf1ff
	s_delay_alu instid0(VALU_DEP_1) | instskip(SKIP_2) | instid1(VALU_DEP_1)
	v_cndmask_b32_e64 v17, 0x7f800000, v17, s12
	v_cmp_gt_f32_e64 s12, 0x33800000, |v19|
	s_wait_alu 0xf1ff
	v_cndmask_b32_e64 v17, v17, v19, s12
	s_delay_alu instid0(VALU_DEP_1) | instskip(NEXT) | instid1(VALU_DEP_1)
	v_add_f32_e32 v6, v6, v17
	v_cvt_f16_f32_e32 v22, v6
	s_delay_alu instid0(VALU_DEP_1)
	v_cvt_f32_f16_e32 v23, v22
	v_mov_b32_e32 v19, v22
.LBB421_226:
	s_or_b32 exec_lo, exec_lo, s14
	v_cvt_f32_f16_e32 v6, v14
	s_delay_alu instid0(VALU_DEP_3) | instskip(SKIP_1) | instid1(VALU_DEP_2)
	v_max_num_f32_e32 v17, v23, v23
	v_cmp_u_f16_e64 s12, v22, v22
	v_min_num_f32_e32 v18, v17, v6
	v_max_num_f32_e32 v17, v17, v6
	s_wait_alu 0xf1ff
	s_delay_alu instid0(VALU_DEP_2) | instskip(NEXT) | instid1(VALU_DEP_2)
	v_cndmask_b32_e64 v18, v18, v23, s12
	v_cndmask_b32_e64 v22, v17, v23, s12
	v_cmp_u_f16_e64 s12, v14, v14
	s_wait_alu 0xf1ff
	s_delay_alu instid0(VALU_DEP_1) | instskip(NEXT) | instid1(VALU_DEP_3)
	v_cndmask_b32_e64 v17, v18, v6, s12
	v_cndmask_b32_e64 v14, v22, v6, s12
	s_delay_alu instid0(VALU_DEP_2) | instskip(NEXT) | instid1(VALU_DEP_2)
	v_cmp_class_f32_e64 s15, v17, 0x1f8
	v_cmp_neq_f32_e64 s14, v17, v14
	s_or_b32 s14, s14, s15
	s_delay_alu instid0(SALU_CYCLE_1)
	s_and_saveexec_b32 s15, s14
	s_cbranch_execz .LBB421_228
; %bb.227:
	v_sub_f32_e32 v17, v17, v14
	s_delay_alu instid0(VALU_DEP_1) | instskip(NEXT) | instid1(VALU_DEP_1)
	v_mul_f32_e32 v18, 0x3fb8aa3b, v17
	v_fma_f32 v19, 0x3fb8aa3b, v17, -v18
	v_rndne_f32_e32 v22, v18
	s_delay_alu instid0(VALU_DEP_1) | instskip(NEXT) | instid1(VALU_DEP_1)
	v_dual_fmamk_f32 v19, v17, 0x32a5705f, v19 :: v_dual_sub_f32 v18, v18, v22
	v_add_f32_e32 v18, v18, v19
	v_cvt_i32_f32_e32 v19, v22
	v_cmp_ngt_f32_e64 s14, 0xc2ce8ed0, v17
	s_delay_alu instid0(VALU_DEP_3) | instskip(NEXT) | instid1(TRANS32_DEP_1)
	v_exp_f32_e32 v18, v18
	v_ldexp_f32 v18, v18, v19
	s_delay_alu instid0(VALU_DEP_1) | instskip(SKIP_2) | instid1(VALU_DEP_1)
	v_cndmask_b32_e64 v18, 0, v18, s14
	v_cmp_nlt_f32_e64 s14, 0x42b17218, v17
	s_wait_alu 0xf1ff
	v_cndmask_b32_e64 v19, 0x7f800000, v18, s14
	s_delay_alu instid0(VALU_DEP_1) | instskip(NEXT) | instid1(VALU_DEP_1)
	v_add_f32_e32 v22, 1.0, v19
	v_cvt_f64_f32_e32 v[17:18], v22
	s_delay_alu instid0(VALU_DEP_1) | instskip(SKIP_1) | instid1(VALU_DEP_1)
	v_frexp_exp_i32_f64_e32 v17, v[17:18]
	v_frexp_mant_f32_e32 v18, v22
	v_cmp_gt_f32_e64 s14, 0x3f2aaaab, v18
	v_add_f32_e32 v18, -1.0, v22
	s_delay_alu instid0(VALU_DEP_1)
	v_sub_f32_e32 v24, v18, v22
	v_sub_f32_e32 v18, v19, v18
	s_wait_alu 0xf1ff
	v_subrev_co_ci_u32_e64 v17, null, 0, v17, s14
	s_mov_b32 s14, 0x3e9b6dac
	v_sub_nc_u32_e32 v23, 0, v17
	v_cvt_f32_i32_e32 v17, v17
	s_delay_alu instid0(VALU_DEP_2) | instskip(NEXT) | instid1(VALU_DEP_1)
	v_ldexp_f32 v22, v22, v23
	v_dual_add_f32 v24, 1.0, v24 :: v_dual_add_f32 v25, 1.0, v22
	s_delay_alu instid0(VALU_DEP_1) | instskip(NEXT) | instid1(VALU_DEP_2)
	v_add_f32_e32 v18, v18, v24
	v_add_f32_e32 v24, -1.0, v25
	s_delay_alu instid0(VALU_DEP_2) | instskip(NEXT) | instid1(VALU_DEP_2)
	v_ldexp_f32 v18, v18, v23
	v_dual_add_f32 v23, -1.0, v22 :: v_dual_sub_f32 v24, v22, v24
	s_delay_alu instid0(VALU_DEP_1) | instskip(NEXT) | instid1(VALU_DEP_2)
	v_add_f32_e32 v26, 1.0, v23
	v_add_f32_e32 v24, v18, v24
	s_delay_alu instid0(VALU_DEP_2) | instskip(NEXT) | instid1(VALU_DEP_2)
	v_sub_f32_e32 v22, v22, v26
	v_add_f32_e32 v26, v25, v24
	s_delay_alu instid0(VALU_DEP_2) | instskip(NEXT) | instid1(VALU_DEP_2)
	v_add_f32_e32 v18, v18, v22
	v_rcp_f32_e32 v22, v26
	v_sub_f32_e32 v25, v25, v26
	s_delay_alu instid0(VALU_DEP_1) | instskip(NEXT) | instid1(VALU_DEP_1)
	v_dual_add_f32 v27, v23, v18 :: v_dual_add_f32 v24, v24, v25
	v_sub_f32_e32 v23, v23, v27
	s_delay_alu instid0(TRANS32_DEP_1) | instskip(NEXT) | instid1(VALU_DEP_2)
	v_mul_f32_e32 v28, v27, v22
	v_add_f32_e32 v18, v18, v23
	s_delay_alu instid0(VALU_DEP_2) | instskip(NEXT) | instid1(VALU_DEP_1)
	v_mul_f32_e32 v29, v26, v28
	v_fma_f32 v25, v28, v26, -v29
	s_delay_alu instid0(VALU_DEP_1) | instskip(NEXT) | instid1(VALU_DEP_1)
	v_fmac_f32_e32 v25, v28, v24
	v_add_f32_e32 v30, v29, v25
	s_delay_alu instid0(VALU_DEP_1) | instskip(SKIP_1) | instid1(VALU_DEP_2)
	v_sub_f32_e32 v31, v27, v30
	v_sub_f32_e32 v23, v30, v29
	;; [unrolled: 1-line block ×3, first 2 shown]
	s_delay_alu instid0(VALU_DEP_2) | instskip(NEXT) | instid1(VALU_DEP_2)
	v_sub_f32_e32 v23, v23, v25
	v_sub_f32_e32 v27, v27, v30
	s_delay_alu instid0(VALU_DEP_1) | instskip(NEXT) | instid1(VALU_DEP_1)
	v_add_f32_e32 v18, v18, v27
	v_add_f32_e32 v18, v23, v18
	s_delay_alu instid0(VALU_DEP_1) | instskip(NEXT) | instid1(VALU_DEP_1)
	v_add_f32_e32 v23, v31, v18
	v_mul_f32_e32 v25, v22, v23
	s_delay_alu instid0(VALU_DEP_1) | instskip(NEXT) | instid1(VALU_DEP_1)
	v_dual_sub_f32 v30, v31, v23 :: v_dual_mul_f32 v27, v26, v25
	v_add_f32_e32 v18, v18, v30
	s_delay_alu instid0(VALU_DEP_2) | instskip(NEXT) | instid1(VALU_DEP_1)
	v_fma_f32 v26, v25, v26, -v27
	v_fmac_f32_e32 v26, v25, v24
	s_delay_alu instid0(VALU_DEP_1) | instskip(NEXT) | instid1(VALU_DEP_1)
	v_add_f32_e32 v24, v27, v26
	v_sub_f32_e32 v29, v23, v24
	v_sub_f32_e32 v27, v24, v27
	s_delay_alu instid0(VALU_DEP_2) | instskip(NEXT) | instid1(VALU_DEP_1)
	v_sub_f32_e32 v23, v23, v29
	v_sub_f32_e32 v23, v23, v24
	s_delay_alu instid0(VALU_DEP_1) | instskip(NEXT) | instid1(VALU_DEP_4)
	v_dual_add_f32 v18, v18, v23 :: v_dual_add_f32 v23, v28, v25
	v_sub_f32_e32 v24, v27, v26
	s_delay_alu instid0(VALU_DEP_1) | instskip(NEXT) | instid1(VALU_DEP_3)
	v_add_f32_e32 v18, v24, v18
	v_sub_f32_e32 v24, v23, v28
	s_delay_alu instid0(VALU_DEP_2) | instskip(NEXT) | instid1(VALU_DEP_2)
	v_add_f32_e32 v18, v29, v18
	v_sub_f32_e32 v24, v25, v24
	s_delay_alu instid0(VALU_DEP_2) | instskip(NEXT) | instid1(VALU_DEP_1)
	v_mul_f32_e32 v18, v22, v18
	v_add_f32_e32 v18, v24, v18
	s_delay_alu instid0(VALU_DEP_1) | instskip(NEXT) | instid1(VALU_DEP_1)
	v_add_f32_e32 v22, v23, v18
	v_mul_f32_e32 v24, v22, v22
	s_wait_alu 0xfffe
	s_delay_alu instid0(VALU_DEP_1) | instskip(SKIP_2) | instid1(VALU_DEP_3)
	v_fmaak_f32 v25, s14, v24, 0x3ecc95a3
	v_mul_f32_e32 v26, v22, v24
	v_cmp_neq_f32_e64 s14, 0x7f800000, v19
	v_fmaak_f32 v24, v24, v25, 0x3f2aaada
	v_ldexp_f32 v25, v22, 1
	v_sub_f32_e32 v22, v22, v23
	s_delay_alu instid0(VALU_DEP_3) | instskip(SKIP_1) | instid1(VALU_DEP_2)
	v_mul_f32_e32 v24, v26, v24
	v_mul_f32_e32 v26, 0x3f317218, v17
	v_dual_sub_f32 v18, v18, v22 :: v_dual_add_f32 v23, v25, v24
	s_delay_alu instid0(VALU_DEP_1) | instskip(NEXT) | instid1(VALU_DEP_2)
	v_ldexp_f32 v18, v18, 1
	v_sub_f32_e32 v22, v23, v25
	s_delay_alu instid0(VALU_DEP_4) | instskip(NEXT) | instid1(VALU_DEP_1)
	v_fma_f32 v25, 0x3f317218, v17, -v26
	v_dual_sub_f32 v22, v24, v22 :: v_dual_fmamk_f32 v17, v17, 0xb102e308, v25
	s_delay_alu instid0(VALU_DEP_1) | instskip(NEXT) | instid1(VALU_DEP_2)
	v_add_f32_e32 v18, v18, v22
	v_add_f32_e32 v22, v26, v17
	s_delay_alu instid0(VALU_DEP_2) | instskip(NEXT) | instid1(VALU_DEP_2)
	v_add_f32_e32 v24, v23, v18
	v_sub_f32_e32 v26, v22, v26
	s_delay_alu instid0(VALU_DEP_2) | instskip(SKIP_1) | instid1(VALU_DEP_3)
	v_add_f32_e32 v25, v22, v24
	v_sub_f32_e32 v23, v24, v23
	v_sub_f32_e32 v17, v17, v26
	s_delay_alu instid0(VALU_DEP_2) | instskip(NEXT) | instid1(VALU_DEP_1)
	v_dual_sub_f32 v27, v25, v22 :: v_dual_sub_f32 v18, v18, v23
	v_sub_f32_e32 v28, v25, v27
	s_delay_alu instid0(VALU_DEP_2) | instskip(NEXT) | instid1(VALU_DEP_2)
	v_dual_sub_f32 v23, v24, v27 :: v_dual_add_f32 v24, v17, v18
	v_sub_f32_e32 v22, v22, v28
	s_delay_alu instid0(VALU_DEP_1) | instskip(NEXT) | instid1(VALU_DEP_1)
	v_dual_add_f32 v22, v23, v22 :: v_dual_sub_f32 v23, v24, v17
	v_add_f32_e32 v22, v24, v22
	s_delay_alu instid0(VALU_DEP_2) | instskip(SKIP_1) | instid1(VALU_DEP_3)
	v_sub_f32_e32 v24, v24, v23
	v_sub_f32_e32 v18, v18, v23
	v_add_f32_e32 v26, v25, v22
	s_delay_alu instid0(VALU_DEP_3) | instskip(NEXT) | instid1(VALU_DEP_2)
	v_sub_f32_e32 v17, v17, v24
	v_sub_f32_e32 v23, v26, v25
	s_delay_alu instid0(VALU_DEP_2) | instskip(NEXT) | instid1(VALU_DEP_2)
	v_add_f32_e32 v17, v18, v17
	v_sub_f32_e32 v18, v22, v23
	s_delay_alu instid0(VALU_DEP_1) | instskip(NEXT) | instid1(VALU_DEP_1)
	v_add_f32_e32 v17, v17, v18
	v_add_f32_e32 v17, v26, v17
	s_wait_alu 0xf1ff
	s_delay_alu instid0(VALU_DEP_1) | instskip(SKIP_2) | instid1(VALU_DEP_1)
	v_cndmask_b32_e64 v17, 0x7f800000, v17, s14
	v_cmp_gt_f32_e64 s14, 0x33800000, |v19|
	s_wait_alu 0xf1ff
	v_cndmask_b32_e64 v17, v17, v19, s14
	s_delay_alu instid0(VALU_DEP_1) | instskip(NEXT) | instid1(VALU_DEP_1)
	v_add_f32_e32 v14, v14, v17
	v_cvt_f16_f32_e32 v19, v14
.LBB421_228:
	s_or_b32 exec_lo, exec_lo, s15
	v_lshrrev_b32_e32 v14, 4, v0
	s_mov_b32 s16, exec_lo
	s_delay_alu instid0(VALU_DEP_1) | instskip(NEXT) | instid1(VALU_DEP_1)
	v_and_b32_e32 v14, 14, v14
	v_lshl_add_u32 v14, v0, 1, v14
	ds_store_b16 v14, v19
	s_wait_loadcnt_dscnt 0x0
	s_barrier_signal -1
	s_barrier_wait -1
	global_inv scope:SCOPE_SE
	v_cmpx_gt_u32_e32 32, v0
	s_cbranch_execz .LBB421_280
; %bb.229:
	v_lshrrev_b32_e32 v14, 1, v0
	v_lshlrev_b32_e32 v17, 4, v0
	s_delay_alu instid0(VALU_DEP_2) | instskip(NEXT) | instid1(VALU_DEP_1)
	v_and_b32_e32 v14, 0x7e, v14
	v_add_nc_u32_e32 v14, v14, v17
	ds_load_u16 v23, v14
	ds_load_u16 v18, v14 offset:2
	s_wait_dscnt 0x1
	v_cvt_f32_f16_e32 v17, v23
	s_wait_dscnt 0x0
	v_cvt_f32_f16_e32 v22, v18
	v_cmp_u_f16_e64 s14, v23, v23
	v_cmp_u_f16_e64 s15, v18, v18
	v_mov_b32_e32 v18, v17
	s_delay_alu instid0(VALU_DEP_4) | instskip(SKIP_2) | instid1(VALU_DEP_2)
	v_min_num_f32_e32 v24, v17, v22
	v_max_num_f32_e32 v25, v17, v22
	s_wait_alu 0xf1ff
	v_cndmask_b32_e64 v24, v24, v17, s14
	s_delay_alu instid0(VALU_DEP_2) | instskip(NEXT) | instid1(VALU_DEP_2)
	v_cndmask_b32_e64 v25, v25, v17, s14
	v_cndmask_b32_e64 v24, v24, v22, s15
	s_delay_alu instid0(VALU_DEP_2) | instskip(NEXT) | instid1(VALU_DEP_2)
	v_cndmask_b32_e64 v22, v25, v22, s15
	v_cmp_class_f32_e64 s17, v24, 0x1f8
	s_delay_alu instid0(VALU_DEP_2)
	v_cmp_neq_f32_e64 s15, v24, v22
	s_or_b32 s15, s15, s17
	s_wait_alu 0xfffe
	s_and_saveexec_b32 s17, s15
	s_cbranch_execz .LBB421_231
; %bb.230:
	v_sub_f32_e32 v18, v24, v22
	s_delay_alu instid0(VALU_DEP_1) | instskip(NEXT) | instid1(VALU_DEP_1)
	v_mul_f32_e32 v23, 0x3fb8aa3b, v18
	v_fma_f32 v24, 0x3fb8aa3b, v18, -v23
	v_rndne_f32_e32 v25, v23
	s_delay_alu instid0(VALU_DEP_1) | instskip(SKIP_1) | instid1(VALU_DEP_2)
	v_dual_sub_f32 v23, v23, v25 :: v_dual_fmamk_f32 v24, v18, 0x32a5705f, v24
	v_cmp_ngt_f32_e64 s15, 0xc2ce8ed0, v18
	v_add_f32_e32 v23, v23, v24
	v_cvt_i32_f32_e32 v24, v25
	s_delay_alu instid0(VALU_DEP_2) | instskip(NEXT) | instid1(TRANS32_DEP_1)
	v_exp_f32_e32 v23, v23
	v_ldexp_f32 v23, v23, v24
	s_wait_alu 0xf1ff
	s_delay_alu instid0(VALU_DEP_1) | instskip(SKIP_2) | instid1(VALU_DEP_1)
	v_cndmask_b32_e64 v23, 0, v23, s15
	v_cmp_nlt_f32_e64 s15, 0x42b17218, v18
	s_wait_alu 0xf1ff
	v_cndmask_b32_e64 v18, 0x7f800000, v23, s15
	s_delay_alu instid0(VALU_DEP_1) | instskip(NEXT) | instid1(VALU_DEP_1)
	v_add_f32_e32 v25, 1.0, v18
	v_cvt_f64_f32_e32 v[23:24], v25
	s_delay_alu instid0(VALU_DEP_1) | instskip(SKIP_1) | instid1(VALU_DEP_1)
	v_frexp_exp_i32_f64_e32 v23, v[23:24]
	v_frexp_mant_f32_e32 v24, v25
	v_cmp_gt_f32_e64 s15, 0x3f2aaaab, v24
	v_add_f32_e32 v24, -1.0, v25
	s_delay_alu instid0(VALU_DEP_1) | instskip(SKIP_1) | instid1(VALU_DEP_3)
	v_dual_sub_f32 v27, v24, v25 :: v_dual_sub_f32 v24, v18, v24
	s_wait_alu 0xf1ff
	v_subrev_co_ci_u32_e64 v23, null, 0, v23, s15
	s_mov_b32 s15, 0x3e9b6dac
	v_sub_nc_u32_e32 v26, 0, v23
	v_cvt_f32_i32_e32 v23, v23
	s_delay_alu instid0(VALU_DEP_2) | instskip(NEXT) | instid1(VALU_DEP_1)
	v_ldexp_f32 v25, v25, v26
	v_dual_add_f32 v27, 1.0, v27 :: v_dual_add_f32 v28, 1.0, v25
	s_delay_alu instid0(VALU_DEP_1) | instskip(NEXT) | instid1(VALU_DEP_1)
	v_dual_add_f32 v24, v24, v27 :: v_dual_add_f32 v27, -1.0, v28
	v_ldexp_f32 v24, v24, v26
	s_delay_alu instid0(VALU_DEP_2) | instskip(NEXT) | instid1(VALU_DEP_1)
	v_dual_add_f32 v26, -1.0, v25 :: v_dual_sub_f32 v27, v25, v27
	v_add_f32_e32 v29, 1.0, v26
	s_delay_alu instid0(VALU_DEP_2) | instskip(NEXT) | instid1(VALU_DEP_2)
	v_add_f32_e32 v27, v24, v27
	v_sub_f32_e32 v25, v25, v29
	s_delay_alu instid0(VALU_DEP_1) | instskip(NEXT) | instid1(VALU_DEP_1)
	v_add_f32_e32 v24, v24, v25
	v_dual_add_f32 v30, v26, v24 :: v_dual_add_f32 v29, v28, v27
	s_delay_alu instid0(VALU_DEP_1) | instskip(NEXT) | instid1(VALU_DEP_2)
	v_sub_f32_e32 v26, v26, v30
	v_rcp_f32_e32 v25, v29
	v_sub_f32_e32 v28, v28, v29
	s_delay_alu instid0(VALU_DEP_1) | instskip(NEXT) | instid1(TRANS32_DEP_1)
	v_dual_add_f32 v24, v24, v26 :: v_dual_add_f32 v27, v27, v28
	v_mul_f32_e32 v31, v30, v25
	s_delay_alu instid0(VALU_DEP_1) | instskip(NEXT) | instid1(VALU_DEP_1)
	v_mul_f32_e32 v32, v29, v31
	v_fma_f32 v28, v31, v29, -v32
	s_delay_alu instid0(VALU_DEP_1) | instskip(NEXT) | instid1(VALU_DEP_1)
	v_fmac_f32_e32 v28, v31, v27
	v_add_f32_e32 v33, v32, v28
	s_delay_alu instid0(VALU_DEP_1) | instskip(NEXT) | instid1(VALU_DEP_1)
	v_sub_f32_e32 v34, v30, v33
	v_sub_f32_e32 v30, v30, v34
	;; [unrolled: 1-line block ×3, first 2 shown]
	s_delay_alu instid0(VALU_DEP_2) | instskip(NEXT) | instid1(VALU_DEP_2)
	v_sub_f32_e32 v30, v30, v33
	v_sub_f32_e32 v26, v26, v28
	s_delay_alu instid0(VALU_DEP_2) | instskip(NEXT) | instid1(VALU_DEP_1)
	v_add_f32_e32 v24, v24, v30
	v_add_f32_e32 v24, v26, v24
	s_delay_alu instid0(VALU_DEP_1) | instskip(NEXT) | instid1(VALU_DEP_1)
	v_add_f32_e32 v26, v34, v24
	v_mul_f32_e32 v28, v25, v26
	s_delay_alu instid0(VALU_DEP_1) | instskip(NEXT) | instid1(VALU_DEP_1)
	v_dual_sub_f32 v33, v34, v26 :: v_dual_mul_f32 v30, v29, v28
	v_add_f32_e32 v24, v24, v33
	s_delay_alu instid0(VALU_DEP_2) | instskip(NEXT) | instid1(VALU_DEP_1)
	v_fma_f32 v29, v28, v29, -v30
	v_fmac_f32_e32 v29, v28, v27
	s_delay_alu instid0(VALU_DEP_1) | instskip(NEXT) | instid1(VALU_DEP_1)
	v_add_f32_e32 v27, v30, v29
	v_sub_f32_e32 v32, v26, v27
	v_sub_f32_e32 v30, v27, v30
	s_delay_alu instid0(VALU_DEP_2) | instskip(NEXT) | instid1(VALU_DEP_1)
	v_sub_f32_e32 v26, v26, v32
	v_sub_f32_e32 v26, v26, v27
	s_delay_alu instid0(VALU_DEP_1) | instskip(SKIP_1) | instid1(VALU_DEP_1)
	v_dual_sub_f32 v27, v30, v29 :: v_dual_add_f32 v24, v24, v26
	v_add_f32_e32 v26, v31, v28
	v_dual_add_f32 v24, v27, v24 :: v_dual_sub_f32 v27, v26, v31
	s_delay_alu instid0(VALU_DEP_1) | instskip(NEXT) | instid1(VALU_DEP_1)
	v_add_f32_e32 v24, v32, v24
	v_dual_sub_f32 v27, v28, v27 :: v_dual_mul_f32 v24, v25, v24
	s_delay_alu instid0(VALU_DEP_1) | instskip(NEXT) | instid1(VALU_DEP_1)
	v_add_f32_e32 v24, v27, v24
	v_add_f32_e32 v25, v26, v24
	s_delay_alu instid0(VALU_DEP_1) | instskip(SKIP_1) | instid1(VALU_DEP_1)
	v_mul_f32_e32 v27, v25, v25
	s_wait_alu 0xfffe
	v_fmaak_f32 v28, s15, v27, 0x3ecc95a3
	v_mul_f32_e32 v29, v25, v27
	v_cmp_neq_f32_e64 s15, 0x7f800000, v18
	s_delay_alu instid0(VALU_DEP_3) | instskip(SKIP_2) | instid1(VALU_DEP_3)
	v_fmaak_f32 v27, v27, v28, 0x3f2aaada
	v_ldexp_f32 v28, v25, 1
	v_sub_f32_e32 v25, v25, v26
	v_mul_f32_e32 v27, v29, v27
	s_delay_alu instid0(VALU_DEP_2) | instskip(NEXT) | instid1(VALU_DEP_2)
	v_dual_mul_f32 v29, 0x3f317218, v23 :: v_dual_sub_f32 v24, v24, v25
	v_add_f32_e32 v26, v28, v27
	s_delay_alu instid0(VALU_DEP_2) | instskip(NEXT) | instid1(VALU_DEP_2)
	v_ldexp_f32 v24, v24, 1
	v_sub_f32_e32 v25, v26, v28
	s_delay_alu instid0(VALU_DEP_4) | instskip(NEXT) | instid1(VALU_DEP_2)
	v_fma_f32 v28, 0x3f317218, v23, -v29
	v_sub_f32_e32 v25, v27, v25
	s_delay_alu instid0(VALU_DEP_1) | instskip(NEXT) | instid1(VALU_DEP_1)
	v_dual_fmamk_f32 v23, v23, 0xb102e308, v28 :: v_dual_add_f32 v24, v24, v25
	v_add_f32_e32 v25, v29, v23
	s_delay_alu instid0(VALU_DEP_1) | instskip(NEXT) | instid1(VALU_DEP_1)
	v_sub_f32_e32 v29, v25, v29
	v_sub_f32_e32 v23, v23, v29
	s_delay_alu instid0(VALU_DEP_4) | instskip(NEXT) | instid1(VALU_DEP_1)
	v_add_f32_e32 v27, v26, v24
	v_sub_f32_e32 v26, v27, v26
	s_delay_alu instid0(VALU_DEP_1) | instskip(SKIP_1) | instid1(VALU_DEP_1)
	v_sub_f32_e32 v24, v24, v26
	v_add_f32_e32 v28, v25, v27
	v_sub_f32_e32 v30, v28, v25
	s_delay_alu instid0(VALU_DEP_1) | instskip(NEXT) | instid1(VALU_DEP_4)
	v_sub_f32_e32 v26, v27, v30
	v_add_f32_e32 v27, v23, v24
	v_sub_f32_e32 v31, v28, v30
	s_delay_alu instid0(VALU_DEP_1) | instskip(NEXT) | instid1(VALU_DEP_1)
	v_sub_f32_e32 v25, v25, v31
	v_dual_add_f32 v25, v26, v25 :: v_dual_sub_f32 v26, v27, v23
	s_delay_alu instid0(VALU_DEP_1) | instskip(SKIP_1) | instid1(VALU_DEP_2)
	v_dual_add_f32 v25, v27, v25 :: v_dual_sub_f32 v24, v24, v26
	v_sub_f32_e32 v27, v27, v26
	v_add_f32_e32 v29, v28, v25
	s_delay_alu instid0(VALU_DEP_1) | instskip(NEXT) | instid1(VALU_DEP_1)
	v_dual_sub_f32 v23, v23, v27 :: v_dual_sub_f32 v26, v29, v28
	v_dual_add_f32 v23, v24, v23 :: v_dual_sub_f32 v24, v25, v26
	s_delay_alu instid0(VALU_DEP_1) | instskip(NEXT) | instid1(VALU_DEP_1)
	v_add_f32_e32 v23, v23, v24
	v_add_f32_e32 v23, v29, v23
	s_wait_alu 0xf1ff
	s_delay_alu instid0(VALU_DEP_1) | instskip(SKIP_2) | instid1(VALU_DEP_1)
	v_cndmask_b32_e64 v23, 0x7f800000, v23, s15
	v_cmp_gt_f32_e64 s15, 0x33800000, |v18|
	s_wait_alu 0xf1ff
	v_cndmask_b32_e64 v18, v23, v18, s15
	s_delay_alu instid0(VALU_DEP_1) | instskip(NEXT) | instid1(VALU_DEP_1)
	v_add_f32_e32 v18, v22, v18
	v_cvt_f16_f32_e32 v23, v18
	s_delay_alu instid0(VALU_DEP_1)
	v_cvt_f32_f16_e32 v18, v23
.LBB421_231:
	s_or_b32 exec_lo, exec_lo, s17
	ds_load_u16 v22, v14 offset:4
	v_max_num_f32_e32 v24, v18, v18
	v_cmp_u_f16_e64 s15, v23, v23
	s_wait_dscnt 0x0
	v_cvt_f32_f16_e32 v25, v22
	s_delay_alu instid0(VALU_DEP_1) | instskip(SKIP_2) | instid1(VALU_DEP_2)
	v_min_num_f32_e32 v26, v24, v25
	v_max_num_f32_e32 v24, v24, v25
	s_wait_alu 0xf1ff
	v_cndmask_b32_e64 v26, v26, v18, s15
	s_delay_alu instid0(VALU_DEP_2) | instskip(SKIP_2) | instid1(VALU_DEP_1)
	v_cndmask_b32_e64 v27, v24, v18, s15
	v_cmp_u_f16_e64 s15, v22, v22
	s_wait_alu 0xf1ff
	v_cndmask_b32_e64 v24, v26, v25, s15
	s_delay_alu instid0(VALU_DEP_3) | instskip(NEXT) | instid1(VALU_DEP_2)
	v_cndmask_b32_e64 v22, v27, v25, s15
	v_cmp_class_f32_e64 s17, v24, 0x1f8
	s_delay_alu instid0(VALU_DEP_2)
	v_cmp_neq_f32_e64 s15, v24, v22
	s_or_b32 s15, s15, s17
	s_wait_alu 0xfffe
	s_and_saveexec_b32 s17, s15
	s_cbranch_execz .LBB421_233
; %bb.232:
	v_sub_f32_e32 v18, v24, v22
	s_delay_alu instid0(VALU_DEP_1) | instskip(NEXT) | instid1(VALU_DEP_1)
	v_mul_f32_e32 v23, 0x3fb8aa3b, v18
	v_fma_f32 v24, 0x3fb8aa3b, v18, -v23
	v_rndne_f32_e32 v25, v23
	s_delay_alu instid0(VALU_DEP_1) | instskip(SKIP_1) | instid1(VALU_DEP_2)
	v_dual_sub_f32 v23, v23, v25 :: v_dual_fmamk_f32 v24, v18, 0x32a5705f, v24
	v_cmp_ngt_f32_e64 s15, 0xc2ce8ed0, v18
	v_add_f32_e32 v23, v23, v24
	v_cvt_i32_f32_e32 v24, v25
	s_delay_alu instid0(VALU_DEP_2) | instskip(NEXT) | instid1(TRANS32_DEP_1)
	v_exp_f32_e32 v23, v23
	v_ldexp_f32 v23, v23, v24
	s_wait_alu 0xf1ff
	s_delay_alu instid0(VALU_DEP_1) | instskip(SKIP_2) | instid1(VALU_DEP_1)
	v_cndmask_b32_e64 v23, 0, v23, s15
	v_cmp_nlt_f32_e64 s15, 0x42b17218, v18
	s_wait_alu 0xf1ff
	v_cndmask_b32_e64 v18, 0x7f800000, v23, s15
	s_delay_alu instid0(VALU_DEP_1) | instskip(NEXT) | instid1(VALU_DEP_1)
	v_add_f32_e32 v25, 1.0, v18
	v_cvt_f64_f32_e32 v[23:24], v25
	s_delay_alu instid0(VALU_DEP_1) | instskip(SKIP_1) | instid1(VALU_DEP_1)
	v_frexp_exp_i32_f64_e32 v23, v[23:24]
	v_frexp_mant_f32_e32 v24, v25
	v_cmp_gt_f32_e64 s15, 0x3f2aaaab, v24
	v_add_f32_e32 v24, -1.0, v25
	s_delay_alu instid0(VALU_DEP_1) | instskip(SKIP_1) | instid1(VALU_DEP_3)
	v_dual_sub_f32 v27, v24, v25 :: v_dual_sub_f32 v24, v18, v24
	s_wait_alu 0xf1ff
	v_subrev_co_ci_u32_e64 v23, null, 0, v23, s15
	s_mov_b32 s15, 0x3e9b6dac
	v_sub_nc_u32_e32 v26, 0, v23
	v_cvt_f32_i32_e32 v23, v23
	s_delay_alu instid0(VALU_DEP_2) | instskip(NEXT) | instid1(VALU_DEP_1)
	v_ldexp_f32 v25, v25, v26
	v_dual_add_f32 v27, 1.0, v27 :: v_dual_add_f32 v28, 1.0, v25
	s_delay_alu instid0(VALU_DEP_1) | instskip(NEXT) | instid1(VALU_DEP_1)
	v_dual_add_f32 v24, v24, v27 :: v_dual_add_f32 v27, -1.0, v28
	v_ldexp_f32 v24, v24, v26
	s_delay_alu instid0(VALU_DEP_2) | instskip(NEXT) | instid1(VALU_DEP_1)
	v_dual_add_f32 v26, -1.0, v25 :: v_dual_sub_f32 v27, v25, v27
	v_add_f32_e32 v29, 1.0, v26
	s_delay_alu instid0(VALU_DEP_2) | instskip(NEXT) | instid1(VALU_DEP_2)
	v_add_f32_e32 v27, v24, v27
	v_sub_f32_e32 v25, v25, v29
	s_delay_alu instid0(VALU_DEP_1) | instskip(NEXT) | instid1(VALU_DEP_1)
	v_add_f32_e32 v24, v24, v25
	v_dual_add_f32 v30, v26, v24 :: v_dual_add_f32 v29, v28, v27
	s_delay_alu instid0(VALU_DEP_1) | instskip(NEXT) | instid1(VALU_DEP_2)
	v_sub_f32_e32 v26, v26, v30
	v_rcp_f32_e32 v25, v29
	v_sub_f32_e32 v28, v28, v29
	s_delay_alu instid0(VALU_DEP_1) | instskip(NEXT) | instid1(TRANS32_DEP_1)
	v_dual_add_f32 v24, v24, v26 :: v_dual_add_f32 v27, v27, v28
	v_mul_f32_e32 v31, v30, v25
	s_delay_alu instid0(VALU_DEP_1) | instskip(NEXT) | instid1(VALU_DEP_1)
	v_mul_f32_e32 v32, v29, v31
	v_fma_f32 v28, v31, v29, -v32
	s_delay_alu instid0(VALU_DEP_1) | instskip(NEXT) | instid1(VALU_DEP_1)
	v_fmac_f32_e32 v28, v31, v27
	v_add_f32_e32 v33, v32, v28
	s_delay_alu instid0(VALU_DEP_1) | instskip(NEXT) | instid1(VALU_DEP_1)
	v_sub_f32_e32 v34, v30, v33
	v_sub_f32_e32 v30, v30, v34
	;; [unrolled: 1-line block ×3, first 2 shown]
	s_delay_alu instid0(VALU_DEP_2) | instskip(NEXT) | instid1(VALU_DEP_2)
	v_sub_f32_e32 v30, v30, v33
	v_sub_f32_e32 v26, v26, v28
	s_delay_alu instid0(VALU_DEP_2) | instskip(NEXT) | instid1(VALU_DEP_1)
	v_add_f32_e32 v24, v24, v30
	v_add_f32_e32 v24, v26, v24
	s_delay_alu instid0(VALU_DEP_1) | instskip(NEXT) | instid1(VALU_DEP_1)
	v_add_f32_e32 v26, v34, v24
	v_mul_f32_e32 v28, v25, v26
	s_delay_alu instid0(VALU_DEP_1) | instskip(NEXT) | instid1(VALU_DEP_1)
	v_dual_sub_f32 v33, v34, v26 :: v_dual_mul_f32 v30, v29, v28
	v_add_f32_e32 v24, v24, v33
	s_delay_alu instid0(VALU_DEP_2) | instskip(NEXT) | instid1(VALU_DEP_1)
	v_fma_f32 v29, v28, v29, -v30
	v_fmac_f32_e32 v29, v28, v27
	s_delay_alu instid0(VALU_DEP_1) | instskip(NEXT) | instid1(VALU_DEP_1)
	v_add_f32_e32 v27, v30, v29
	v_sub_f32_e32 v32, v26, v27
	v_sub_f32_e32 v30, v27, v30
	s_delay_alu instid0(VALU_DEP_2) | instskip(NEXT) | instid1(VALU_DEP_1)
	v_sub_f32_e32 v26, v26, v32
	v_sub_f32_e32 v26, v26, v27
	s_delay_alu instid0(VALU_DEP_1) | instskip(SKIP_1) | instid1(VALU_DEP_1)
	v_dual_sub_f32 v27, v30, v29 :: v_dual_add_f32 v24, v24, v26
	v_add_f32_e32 v26, v31, v28
	v_dual_add_f32 v24, v27, v24 :: v_dual_sub_f32 v27, v26, v31
	s_delay_alu instid0(VALU_DEP_1) | instskip(NEXT) | instid1(VALU_DEP_1)
	v_add_f32_e32 v24, v32, v24
	v_dual_sub_f32 v27, v28, v27 :: v_dual_mul_f32 v24, v25, v24
	s_delay_alu instid0(VALU_DEP_1) | instskip(NEXT) | instid1(VALU_DEP_1)
	v_add_f32_e32 v24, v27, v24
	v_add_f32_e32 v25, v26, v24
	s_delay_alu instid0(VALU_DEP_1) | instskip(SKIP_1) | instid1(VALU_DEP_1)
	v_mul_f32_e32 v27, v25, v25
	s_wait_alu 0xfffe
	v_fmaak_f32 v28, s15, v27, 0x3ecc95a3
	v_mul_f32_e32 v29, v25, v27
	v_cmp_neq_f32_e64 s15, 0x7f800000, v18
	s_delay_alu instid0(VALU_DEP_3) | instskip(SKIP_2) | instid1(VALU_DEP_3)
	v_fmaak_f32 v27, v27, v28, 0x3f2aaada
	v_ldexp_f32 v28, v25, 1
	v_sub_f32_e32 v25, v25, v26
	v_mul_f32_e32 v27, v29, v27
	s_delay_alu instid0(VALU_DEP_2) | instskip(NEXT) | instid1(VALU_DEP_2)
	v_dual_mul_f32 v29, 0x3f317218, v23 :: v_dual_sub_f32 v24, v24, v25
	v_add_f32_e32 v26, v28, v27
	s_delay_alu instid0(VALU_DEP_2) | instskip(NEXT) | instid1(VALU_DEP_2)
	v_ldexp_f32 v24, v24, 1
	v_sub_f32_e32 v25, v26, v28
	s_delay_alu instid0(VALU_DEP_4) | instskip(NEXT) | instid1(VALU_DEP_2)
	v_fma_f32 v28, 0x3f317218, v23, -v29
	v_sub_f32_e32 v25, v27, v25
	s_delay_alu instid0(VALU_DEP_1) | instskip(NEXT) | instid1(VALU_DEP_1)
	v_dual_fmamk_f32 v23, v23, 0xb102e308, v28 :: v_dual_add_f32 v24, v24, v25
	v_add_f32_e32 v25, v29, v23
	s_delay_alu instid0(VALU_DEP_1) | instskip(NEXT) | instid1(VALU_DEP_1)
	v_sub_f32_e32 v29, v25, v29
	v_sub_f32_e32 v23, v23, v29
	s_delay_alu instid0(VALU_DEP_4) | instskip(NEXT) | instid1(VALU_DEP_1)
	v_add_f32_e32 v27, v26, v24
	v_sub_f32_e32 v26, v27, v26
	s_delay_alu instid0(VALU_DEP_1) | instskip(SKIP_1) | instid1(VALU_DEP_1)
	v_sub_f32_e32 v24, v24, v26
	v_add_f32_e32 v28, v25, v27
	v_sub_f32_e32 v30, v28, v25
	s_delay_alu instid0(VALU_DEP_1) | instskip(NEXT) | instid1(VALU_DEP_4)
	v_sub_f32_e32 v26, v27, v30
	v_add_f32_e32 v27, v23, v24
	v_sub_f32_e32 v31, v28, v30
	s_delay_alu instid0(VALU_DEP_1) | instskip(NEXT) | instid1(VALU_DEP_1)
	v_sub_f32_e32 v25, v25, v31
	v_dual_add_f32 v25, v26, v25 :: v_dual_sub_f32 v26, v27, v23
	s_delay_alu instid0(VALU_DEP_1) | instskip(SKIP_1) | instid1(VALU_DEP_2)
	v_dual_add_f32 v25, v27, v25 :: v_dual_sub_f32 v24, v24, v26
	v_sub_f32_e32 v27, v27, v26
	v_add_f32_e32 v29, v28, v25
	s_delay_alu instid0(VALU_DEP_1) | instskip(NEXT) | instid1(VALU_DEP_1)
	v_dual_sub_f32 v23, v23, v27 :: v_dual_sub_f32 v26, v29, v28
	v_dual_add_f32 v23, v24, v23 :: v_dual_sub_f32 v24, v25, v26
	s_delay_alu instid0(VALU_DEP_1) | instskip(NEXT) | instid1(VALU_DEP_1)
	v_add_f32_e32 v23, v23, v24
	v_add_f32_e32 v23, v29, v23
	s_wait_alu 0xf1ff
	s_delay_alu instid0(VALU_DEP_1) | instskip(SKIP_2) | instid1(VALU_DEP_1)
	v_cndmask_b32_e64 v23, 0x7f800000, v23, s15
	v_cmp_gt_f32_e64 s15, 0x33800000, |v18|
	s_wait_alu 0xf1ff
	v_cndmask_b32_e64 v18, v23, v18, s15
	s_delay_alu instid0(VALU_DEP_1) | instskip(NEXT) | instid1(VALU_DEP_1)
	v_add_f32_e32 v18, v22, v18
	v_cvt_f16_f32_e32 v23, v18
	s_delay_alu instid0(VALU_DEP_1)
	v_cvt_f32_f16_e32 v18, v23
.LBB421_233:
	s_or_b32 exec_lo, exec_lo, s17
	ds_load_u16 v22, v14 offset:6
	v_max_num_f32_e32 v24, v18, v18
	v_cmp_u_f16_e64 s15, v23, v23
	s_wait_dscnt 0x0
	v_cvt_f32_f16_e32 v25, v22
	s_delay_alu instid0(VALU_DEP_1) | instskip(SKIP_2) | instid1(VALU_DEP_2)
	v_min_num_f32_e32 v26, v24, v25
	v_max_num_f32_e32 v24, v24, v25
	s_wait_alu 0xf1ff
	v_cndmask_b32_e64 v26, v26, v18, s15
	s_delay_alu instid0(VALU_DEP_2) | instskip(SKIP_2) | instid1(VALU_DEP_1)
	v_cndmask_b32_e64 v27, v24, v18, s15
	v_cmp_u_f16_e64 s15, v22, v22
	s_wait_alu 0xf1ff
	v_cndmask_b32_e64 v24, v26, v25, s15
	s_delay_alu instid0(VALU_DEP_3) | instskip(NEXT) | instid1(VALU_DEP_2)
	v_cndmask_b32_e64 v22, v27, v25, s15
	v_cmp_class_f32_e64 s17, v24, 0x1f8
	s_delay_alu instid0(VALU_DEP_2)
	v_cmp_neq_f32_e64 s15, v24, v22
	s_or_b32 s15, s15, s17
	s_wait_alu 0xfffe
	s_and_saveexec_b32 s17, s15
	s_cbranch_execz .LBB421_235
; %bb.234:
	v_sub_f32_e32 v18, v24, v22
	s_delay_alu instid0(VALU_DEP_1) | instskip(NEXT) | instid1(VALU_DEP_1)
	v_mul_f32_e32 v23, 0x3fb8aa3b, v18
	v_fma_f32 v24, 0x3fb8aa3b, v18, -v23
	v_rndne_f32_e32 v25, v23
	s_delay_alu instid0(VALU_DEP_1) | instskip(SKIP_1) | instid1(VALU_DEP_2)
	v_dual_sub_f32 v23, v23, v25 :: v_dual_fmamk_f32 v24, v18, 0x32a5705f, v24
	v_cmp_ngt_f32_e64 s15, 0xc2ce8ed0, v18
	v_add_f32_e32 v23, v23, v24
	v_cvt_i32_f32_e32 v24, v25
	s_delay_alu instid0(VALU_DEP_2) | instskip(NEXT) | instid1(TRANS32_DEP_1)
	v_exp_f32_e32 v23, v23
	v_ldexp_f32 v23, v23, v24
	s_wait_alu 0xf1ff
	s_delay_alu instid0(VALU_DEP_1) | instskip(SKIP_2) | instid1(VALU_DEP_1)
	v_cndmask_b32_e64 v23, 0, v23, s15
	v_cmp_nlt_f32_e64 s15, 0x42b17218, v18
	s_wait_alu 0xf1ff
	v_cndmask_b32_e64 v18, 0x7f800000, v23, s15
	s_delay_alu instid0(VALU_DEP_1) | instskip(NEXT) | instid1(VALU_DEP_1)
	v_add_f32_e32 v25, 1.0, v18
	v_cvt_f64_f32_e32 v[23:24], v25
	s_delay_alu instid0(VALU_DEP_1) | instskip(SKIP_1) | instid1(VALU_DEP_1)
	v_frexp_exp_i32_f64_e32 v23, v[23:24]
	v_frexp_mant_f32_e32 v24, v25
	v_cmp_gt_f32_e64 s15, 0x3f2aaaab, v24
	v_add_f32_e32 v24, -1.0, v25
	s_delay_alu instid0(VALU_DEP_1) | instskip(SKIP_1) | instid1(VALU_DEP_3)
	v_dual_sub_f32 v27, v24, v25 :: v_dual_sub_f32 v24, v18, v24
	s_wait_alu 0xf1ff
	v_subrev_co_ci_u32_e64 v23, null, 0, v23, s15
	s_mov_b32 s15, 0x3e9b6dac
	v_sub_nc_u32_e32 v26, 0, v23
	v_cvt_f32_i32_e32 v23, v23
	s_delay_alu instid0(VALU_DEP_2) | instskip(NEXT) | instid1(VALU_DEP_1)
	v_ldexp_f32 v25, v25, v26
	v_dual_add_f32 v27, 1.0, v27 :: v_dual_add_f32 v28, 1.0, v25
	s_delay_alu instid0(VALU_DEP_1) | instskip(NEXT) | instid1(VALU_DEP_1)
	v_dual_add_f32 v24, v24, v27 :: v_dual_add_f32 v27, -1.0, v28
	v_ldexp_f32 v24, v24, v26
	s_delay_alu instid0(VALU_DEP_2) | instskip(NEXT) | instid1(VALU_DEP_1)
	v_dual_add_f32 v26, -1.0, v25 :: v_dual_sub_f32 v27, v25, v27
	v_add_f32_e32 v29, 1.0, v26
	s_delay_alu instid0(VALU_DEP_2) | instskip(NEXT) | instid1(VALU_DEP_2)
	v_add_f32_e32 v27, v24, v27
	v_sub_f32_e32 v25, v25, v29
	s_delay_alu instid0(VALU_DEP_1) | instskip(NEXT) | instid1(VALU_DEP_1)
	v_add_f32_e32 v24, v24, v25
	v_dual_add_f32 v30, v26, v24 :: v_dual_add_f32 v29, v28, v27
	s_delay_alu instid0(VALU_DEP_1) | instskip(NEXT) | instid1(VALU_DEP_2)
	v_sub_f32_e32 v26, v26, v30
	v_rcp_f32_e32 v25, v29
	v_sub_f32_e32 v28, v28, v29
	s_delay_alu instid0(VALU_DEP_1) | instskip(NEXT) | instid1(TRANS32_DEP_1)
	v_dual_add_f32 v24, v24, v26 :: v_dual_add_f32 v27, v27, v28
	v_mul_f32_e32 v31, v30, v25
	s_delay_alu instid0(VALU_DEP_1) | instskip(NEXT) | instid1(VALU_DEP_1)
	v_mul_f32_e32 v32, v29, v31
	v_fma_f32 v28, v31, v29, -v32
	s_delay_alu instid0(VALU_DEP_1) | instskip(NEXT) | instid1(VALU_DEP_1)
	v_fmac_f32_e32 v28, v31, v27
	v_add_f32_e32 v33, v32, v28
	s_delay_alu instid0(VALU_DEP_1) | instskip(NEXT) | instid1(VALU_DEP_1)
	v_sub_f32_e32 v34, v30, v33
	v_sub_f32_e32 v30, v30, v34
	;; [unrolled: 1-line block ×3, first 2 shown]
	s_delay_alu instid0(VALU_DEP_2) | instskip(NEXT) | instid1(VALU_DEP_2)
	v_sub_f32_e32 v30, v30, v33
	v_sub_f32_e32 v26, v26, v28
	s_delay_alu instid0(VALU_DEP_2) | instskip(NEXT) | instid1(VALU_DEP_1)
	v_add_f32_e32 v24, v24, v30
	v_add_f32_e32 v24, v26, v24
	s_delay_alu instid0(VALU_DEP_1) | instskip(NEXT) | instid1(VALU_DEP_1)
	v_add_f32_e32 v26, v34, v24
	v_mul_f32_e32 v28, v25, v26
	s_delay_alu instid0(VALU_DEP_1) | instskip(NEXT) | instid1(VALU_DEP_1)
	v_dual_sub_f32 v33, v34, v26 :: v_dual_mul_f32 v30, v29, v28
	v_add_f32_e32 v24, v24, v33
	s_delay_alu instid0(VALU_DEP_2) | instskip(NEXT) | instid1(VALU_DEP_1)
	v_fma_f32 v29, v28, v29, -v30
	v_fmac_f32_e32 v29, v28, v27
	s_delay_alu instid0(VALU_DEP_1) | instskip(NEXT) | instid1(VALU_DEP_1)
	v_add_f32_e32 v27, v30, v29
	v_sub_f32_e32 v32, v26, v27
	v_sub_f32_e32 v30, v27, v30
	s_delay_alu instid0(VALU_DEP_2) | instskip(NEXT) | instid1(VALU_DEP_1)
	v_sub_f32_e32 v26, v26, v32
	v_sub_f32_e32 v26, v26, v27
	s_delay_alu instid0(VALU_DEP_1) | instskip(SKIP_1) | instid1(VALU_DEP_1)
	v_dual_sub_f32 v27, v30, v29 :: v_dual_add_f32 v24, v24, v26
	v_add_f32_e32 v26, v31, v28
	v_dual_add_f32 v24, v27, v24 :: v_dual_sub_f32 v27, v26, v31
	s_delay_alu instid0(VALU_DEP_1) | instskip(NEXT) | instid1(VALU_DEP_1)
	v_add_f32_e32 v24, v32, v24
	v_dual_sub_f32 v27, v28, v27 :: v_dual_mul_f32 v24, v25, v24
	s_delay_alu instid0(VALU_DEP_1) | instskip(NEXT) | instid1(VALU_DEP_1)
	v_add_f32_e32 v24, v27, v24
	v_add_f32_e32 v25, v26, v24
	s_delay_alu instid0(VALU_DEP_1) | instskip(SKIP_1) | instid1(VALU_DEP_1)
	v_mul_f32_e32 v27, v25, v25
	s_wait_alu 0xfffe
	v_fmaak_f32 v28, s15, v27, 0x3ecc95a3
	v_mul_f32_e32 v29, v25, v27
	v_cmp_neq_f32_e64 s15, 0x7f800000, v18
	s_delay_alu instid0(VALU_DEP_3) | instskip(SKIP_2) | instid1(VALU_DEP_3)
	v_fmaak_f32 v27, v27, v28, 0x3f2aaada
	v_ldexp_f32 v28, v25, 1
	v_sub_f32_e32 v25, v25, v26
	v_mul_f32_e32 v27, v29, v27
	s_delay_alu instid0(VALU_DEP_2) | instskip(NEXT) | instid1(VALU_DEP_2)
	v_dual_mul_f32 v29, 0x3f317218, v23 :: v_dual_sub_f32 v24, v24, v25
	v_add_f32_e32 v26, v28, v27
	s_delay_alu instid0(VALU_DEP_2) | instskip(NEXT) | instid1(VALU_DEP_2)
	v_ldexp_f32 v24, v24, 1
	v_sub_f32_e32 v25, v26, v28
	s_delay_alu instid0(VALU_DEP_4) | instskip(NEXT) | instid1(VALU_DEP_2)
	v_fma_f32 v28, 0x3f317218, v23, -v29
	v_sub_f32_e32 v25, v27, v25
	s_delay_alu instid0(VALU_DEP_1) | instskip(NEXT) | instid1(VALU_DEP_1)
	v_dual_fmamk_f32 v23, v23, 0xb102e308, v28 :: v_dual_add_f32 v24, v24, v25
	v_add_f32_e32 v25, v29, v23
	s_delay_alu instid0(VALU_DEP_1) | instskip(NEXT) | instid1(VALU_DEP_1)
	v_sub_f32_e32 v29, v25, v29
	v_sub_f32_e32 v23, v23, v29
	s_delay_alu instid0(VALU_DEP_4) | instskip(NEXT) | instid1(VALU_DEP_1)
	v_add_f32_e32 v27, v26, v24
	v_sub_f32_e32 v26, v27, v26
	s_delay_alu instid0(VALU_DEP_1) | instskip(SKIP_1) | instid1(VALU_DEP_1)
	v_sub_f32_e32 v24, v24, v26
	v_add_f32_e32 v28, v25, v27
	v_sub_f32_e32 v30, v28, v25
	s_delay_alu instid0(VALU_DEP_1) | instskip(NEXT) | instid1(VALU_DEP_4)
	v_sub_f32_e32 v26, v27, v30
	v_add_f32_e32 v27, v23, v24
	v_sub_f32_e32 v31, v28, v30
	s_delay_alu instid0(VALU_DEP_1) | instskip(NEXT) | instid1(VALU_DEP_1)
	v_sub_f32_e32 v25, v25, v31
	v_dual_add_f32 v25, v26, v25 :: v_dual_sub_f32 v26, v27, v23
	s_delay_alu instid0(VALU_DEP_1) | instskip(SKIP_1) | instid1(VALU_DEP_2)
	v_dual_add_f32 v25, v27, v25 :: v_dual_sub_f32 v24, v24, v26
	v_sub_f32_e32 v27, v27, v26
	v_add_f32_e32 v29, v28, v25
	s_delay_alu instid0(VALU_DEP_1) | instskip(NEXT) | instid1(VALU_DEP_1)
	v_dual_sub_f32 v23, v23, v27 :: v_dual_sub_f32 v26, v29, v28
	v_dual_add_f32 v23, v24, v23 :: v_dual_sub_f32 v24, v25, v26
	s_delay_alu instid0(VALU_DEP_1) | instskip(NEXT) | instid1(VALU_DEP_1)
	v_add_f32_e32 v23, v23, v24
	v_add_f32_e32 v23, v29, v23
	s_wait_alu 0xf1ff
	s_delay_alu instid0(VALU_DEP_1) | instskip(SKIP_2) | instid1(VALU_DEP_1)
	v_cndmask_b32_e64 v23, 0x7f800000, v23, s15
	v_cmp_gt_f32_e64 s15, 0x33800000, |v18|
	s_wait_alu 0xf1ff
	v_cndmask_b32_e64 v18, v23, v18, s15
	s_delay_alu instid0(VALU_DEP_1) | instskip(NEXT) | instid1(VALU_DEP_1)
	v_add_f32_e32 v18, v22, v18
	v_cvt_f16_f32_e32 v23, v18
	s_delay_alu instid0(VALU_DEP_1)
	v_cvt_f32_f16_e32 v18, v23
.LBB421_235:
	s_or_b32 exec_lo, exec_lo, s17
	ds_load_u16 v22, v14 offset:8
	v_max_num_f32_e32 v24, v18, v18
	v_cmp_u_f16_e64 s15, v23, v23
	s_wait_dscnt 0x0
	v_cvt_f32_f16_e32 v25, v22
	s_delay_alu instid0(VALU_DEP_1) | instskip(SKIP_2) | instid1(VALU_DEP_2)
	v_min_num_f32_e32 v26, v24, v25
	v_max_num_f32_e32 v24, v24, v25
	s_wait_alu 0xf1ff
	v_cndmask_b32_e64 v26, v26, v18, s15
	s_delay_alu instid0(VALU_DEP_2) | instskip(SKIP_2) | instid1(VALU_DEP_1)
	v_cndmask_b32_e64 v27, v24, v18, s15
	v_cmp_u_f16_e64 s15, v22, v22
	s_wait_alu 0xf1ff
	v_cndmask_b32_e64 v24, v26, v25, s15
	s_delay_alu instid0(VALU_DEP_3) | instskip(NEXT) | instid1(VALU_DEP_2)
	v_cndmask_b32_e64 v22, v27, v25, s15
	v_cmp_class_f32_e64 s17, v24, 0x1f8
	s_delay_alu instid0(VALU_DEP_2)
	v_cmp_neq_f32_e64 s15, v24, v22
	s_or_b32 s15, s15, s17
	s_wait_alu 0xfffe
	s_and_saveexec_b32 s17, s15
	s_cbranch_execz .LBB421_237
; %bb.236:
	v_sub_f32_e32 v18, v24, v22
	s_delay_alu instid0(VALU_DEP_1) | instskip(NEXT) | instid1(VALU_DEP_1)
	v_mul_f32_e32 v23, 0x3fb8aa3b, v18
	v_fma_f32 v24, 0x3fb8aa3b, v18, -v23
	v_rndne_f32_e32 v25, v23
	s_delay_alu instid0(VALU_DEP_1) | instskip(SKIP_1) | instid1(VALU_DEP_2)
	v_dual_sub_f32 v23, v23, v25 :: v_dual_fmamk_f32 v24, v18, 0x32a5705f, v24
	v_cmp_ngt_f32_e64 s15, 0xc2ce8ed0, v18
	v_add_f32_e32 v23, v23, v24
	v_cvt_i32_f32_e32 v24, v25
	s_delay_alu instid0(VALU_DEP_2) | instskip(NEXT) | instid1(TRANS32_DEP_1)
	v_exp_f32_e32 v23, v23
	v_ldexp_f32 v23, v23, v24
	s_wait_alu 0xf1ff
	s_delay_alu instid0(VALU_DEP_1) | instskip(SKIP_2) | instid1(VALU_DEP_1)
	v_cndmask_b32_e64 v23, 0, v23, s15
	v_cmp_nlt_f32_e64 s15, 0x42b17218, v18
	s_wait_alu 0xf1ff
	v_cndmask_b32_e64 v18, 0x7f800000, v23, s15
	s_delay_alu instid0(VALU_DEP_1) | instskip(NEXT) | instid1(VALU_DEP_1)
	v_add_f32_e32 v25, 1.0, v18
	v_cvt_f64_f32_e32 v[23:24], v25
	s_delay_alu instid0(VALU_DEP_1) | instskip(SKIP_1) | instid1(VALU_DEP_1)
	v_frexp_exp_i32_f64_e32 v23, v[23:24]
	v_frexp_mant_f32_e32 v24, v25
	v_cmp_gt_f32_e64 s15, 0x3f2aaaab, v24
	v_add_f32_e32 v24, -1.0, v25
	s_delay_alu instid0(VALU_DEP_1) | instskip(SKIP_1) | instid1(VALU_DEP_3)
	v_dual_sub_f32 v27, v24, v25 :: v_dual_sub_f32 v24, v18, v24
	s_wait_alu 0xf1ff
	v_subrev_co_ci_u32_e64 v23, null, 0, v23, s15
	s_mov_b32 s15, 0x3e9b6dac
	v_sub_nc_u32_e32 v26, 0, v23
	v_cvt_f32_i32_e32 v23, v23
	s_delay_alu instid0(VALU_DEP_2) | instskip(NEXT) | instid1(VALU_DEP_1)
	v_ldexp_f32 v25, v25, v26
	v_dual_add_f32 v27, 1.0, v27 :: v_dual_add_f32 v28, 1.0, v25
	s_delay_alu instid0(VALU_DEP_1) | instskip(NEXT) | instid1(VALU_DEP_1)
	v_dual_add_f32 v24, v24, v27 :: v_dual_add_f32 v27, -1.0, v28
	v_ldexp_f32 v24, v24, v26
	s_delay_alu instid0(VALU_DEP_2) | instskip(NEXT) | instid1(VALU_DEP_1)
	v_dual_add_f32 v26, -1.0, v25 :: v_dual_sub_f32 v27, v25, v27
	v_add_f32_e32 v29, 1.0, v26
	s_delay_alu instid0(VALU_DEP_2) | instskip(NEXT) | instid1(VALU_DEP_2)
	v_add_f32_e32 v27, v24, v27
	v_sub_f32_e32 v25, v25, v29
	s_delay_alu instid0(VALU_DEP_1) | instskip(NEXT) | instid1(VALU_DEP_1)
	v_add_f32_e32 v24, v24, v25
	v_dual_add_f32 v30, v26, v24 :: v_dual_add_f32 v29, v28, v27
	s_delay_alu instid0(VALU_DEP_1) | instskip(NEXT) | instid1(VALU_DEP_2)
	v_sub_f32_e32 v26, v26, v30
	v_rcp_f32_e32 v25, v29
	v_sub_f32_e32 v28, v28, v29
	s_delay_alu instid0(VALU_DEP_1) | instskip(NEXT) | instid1(TRANS32_DEP_1)
	v_dual_add_f32 v24, v24, v26 :: v_dual_add_f32 v27, v27, v28
	v_mul_f32_e32 v31, v30, v25
	s_delay_alu instid0(VALU_DEP_1) | instskip(NEXT) | instid1(VALU_DEP_1)
	v_mul_f32_e32 v32, v29, v31
	v_fma_f32 v28, v31, v29, -v32
	s_delay_alu instid0(VALU_DEP_1) | instskip(NEXT) | instid1(VALU_DEP_1)
	v_fmac_f32_e32 v28, v31, v27
	v_add_f32_e32 v33, v32, v28
	s_delay_alu instid0(VALU_DEP_1) | instskip(NEXT) | instid1(VALU_DEP_1)
	v_sub_f32_e32 v34, v30, v33
	v_sub_f32_e32 v30, v30, v34
	;; [unrolled: 1-line block ×3, first 2 shown]
	s_delay_alu instid0(VALU_DEP_2) | instskip(NEXT) | instid1(VALU_DEP_2)
	v_sub_f32_e32 v30, v30, v33
	v_sub_f32_e32 v26, v26, v28
	s_delay_alu instid0(VALU_DEP_2) | instskip(NEXT) | instid1(VALU_DEP_1)
	v_add_f32_e32 v24, v24, v30
	v_add_f32_e32 v24, v26, v24
	s_delay_alu instid0(VALU_DEP_1) | instskip(NEXT) | instid1(VALU_DEP_1)
	v_add_f32_e32 v26, v34, v24
	v_mul_f32_e32 v28, v25, v26
	s_delay_alu instid0(VALU_DEP_1) | instskip(NEXT) | instid1(VALU_DEP_1)
	v_dual_sub_f32 v33, v34, v26 :: v_dual_mul_f32 v30, v29, v28
	v_add_f32_e32 v24, v24, v33
	s_delay_alu instid0(VALU_DEP_2) | instskip(NEXT) | instid1(VALU_DEP_1)
	v_fma_f32 v29, v28, v29, -v30
	v_fmac_f32_e32 v29, v28, v27
	s_delay_alu instid0(VALU_DEP_1) | instskip(NEXT) | instid1(VALU_DEP_1)
	v_add_f32_e32 v27, v30, v29
	v_sub_f32_e32 v32, v26, v27
	v_sub_f32_e32 v30, v27, v30
	s_delay_alu instid0(VALU_DEP_2) | instskip(NEXT) | instid1(VALU_DEP_1)
	v_sub_f32_e32 v26, v26, v32
	v_sub_f32_e32 v26, v26, v27
	s_delay_alu instid0(VALU_DEP_1) | instskip(SKIP_1) | instid1(VALU_DEP_1)
	v_dual_sub_f32 v27, v30, v29 :: v_dual_add_f32 v24, v24, v26
	v_add_f32_e32 v26, v31, v28
	v_dual_add_f32 v24, v27, v24 :: v_dual_sub_f32 v27, v26, v31
	s_delay_alu instid0(VALU_DEP_1) | instskip(NEXT) | instid1(VALU_DEP_1)
	v_add_f32_e32 v24, v32, v24
	v_dual_sub_f32 v27, v28, v27 :: v_dual_mul_f32 v24, v25, v24
	s_delay_alu instid0(VALU_DEP_1) | instskip(NEXT) | instid1(VALU_DEP_1)
	v_add_f32_e32 v24, v27, v24
	v_add_f32_e32 v25, v26, v24
	s_delay_alu instid0(VALU_DEP_1) | instskip(SKIP_1) | instid1(VALU_DEP_1)
	v_mul_f32_e32 v27, v25, v25
	s_wait_alu 0xfffe
	v_fmaak_f32 v28, s15, v27, 0x3ecc95a3
	v_mul_f32_e32 v29, v25, v27
	v_cmp_neq_f32_e64 s15, 0x7f800000, v18
	s_delay_alu instid0(VALU_DEP_3) | instskip(SKIP_2) | instid1(VALU_DEP_3)
	v_fmaak_f32 v27, v27, v28, 0x3f2aaada
	v_ldexp_f32 v28, v25, 1
	v_sub_f32_e32 v25, v25, v26
	v_mul_f32_e32 v27, v29, v27
	s_delay_alu instid0(VALU_DEP_2) | instskip(NEXT) | instid1(VALU_DEP_2)
	v_dual_mul_f32 v29, 0x3f317218, v23 :: v_dual_sub_f32 v24, v24, v25
	v_add_f32_e32 v26, v28, v27
	s_delay_alu instid0(VALU_DEP_2) | instskip(NEXT) | instid1(VALU_DEP_2)
	v_ldexp_f32 v24, v24, 1
	v_sub_f32_e32 v25, v26, v28
	s_delay_alu instid0(VALU_DEP_4) | instskip(NEXT) | instid1(VALU_DEP_2)
	v_fma_f32 v28, 0x3f317218, v23, -v29
	v_sub_f32_e32 v25, v27, v25
	s_delay_alu instid0(VALU_DEP_1) | instskip(NEXT) | instid1(VALU_DEP_1)
	v_dual_fmamk_f32 v23, v23, 0xb102e308, v28 :: v_dual_add_f32 v24, v24, v25
	v_add_f32_e32 v25, v29, v23
	s_delay_alu instid0(VALU_DEP_1) | instskip(NEXT) | instid1(VALU_DEP_1)
	v_sub_f32_e32 v29, v25, v29
	v_sub_f32_e32 v23, v23, v29
	s_delay_alu instid0(VALU_DEP_4) | instskip(NEXT) | instid1(VALU_DEP_1)
	v_add_f32_e32 v27, v26, v24
	v_sub_f32_e32 v26, v27, v26
	s_delay_alu instid0(VALU_DEP_1) | instskip(SKIP_1) | instid1(VALU_DEP_1)
	v_sub_f32_e32 v24, v24, v26
	v_add_f32_e32 v28, v25, v27
	v_sub_f32_e32 v30, v28, v25
	s_delay_alu instid0(VALU_DEP_1) | instskip(NEXT) | instid1(VALU_DEP_4)
	v_sub_f32_e32 v26, v27, v30
	v_add_f32_e32 v27, v23, v24
	v_sub_f32_e32 v31, v28, v30
	s_delay_alu instid0(VALU_DEP_1) | instskip(NEXT) | instid1(VALU_DEP_1)
	v_sub_f32_e32 v25, v25, v31
	v_dual_add_f32 v25, v26, v25 :: v_dual_sub_f32 v26, v27, v23
	s_delay_alu instid0(VALU_DEP_1) | instskip(SKIP_1) | instid1(VALU_DEP_2)
	v_dual_add_f32 v25, v27, v25 :: v_dual_sub_f32 v24, v24, v26
	v_sub_f32_e32 v27, v27, v26
	v_add_f32_e32 v29, v28, v25
	s_delay_alu instid0(VALU_DEP_1) | instskip(NEXT) | instid1(VALU_DEP_1)
	v_dual_sub_f32 v23, v23, v27 :: v_dual_sub_f32 v26, v29, v28
	v_dual_add_f32 v23, v24, v23 :: v_dual_sub_f32 v24, v25, v26
	s_delay_alu instid0(VALU_DEP_1) | instskip(NEXT) | instid1(VALU_DEP_1)
	v_add_f32_e32 v23, v23, v24
	v_add_f32_e32 v23, v29, v23
	s_wait_alu 0xf1ff
	s_delay_alu instid0(VALU_DEP_1) | instskip(SKIP_2) | instid1(VALU_DEP_1)
	v_cndmask_b32_e64 v23, 0x7f800000, v23, s15
	v_cmp_gt_f32_e64 s15, 0x33800000, |v18|
	s_wait_alu 0xf1ff
	v_cndmask_b32_e64 v18, v23, v18, s15
	s_delay_alu instid0(VALU_DEP_1) | instskip(NEXT) | instid1(VALU_DEP_1)
	v_add_f32_e32 v18, v22, v18
	v_cvt_f16_f32_e32 v23, v18
	s_delay_alu instid0(VALU_DEP_1)
	v_cvt_f32_f16_e32 v18, v23
.LBB421_237:
	s_or_b32 exec_lo, exec_lo, s17
	ds_load_u16 v22, v14 offset:10
	v_max_num_f32_e32 v24, v18, v18
	v_cmp_u_f16_e64 s15, v23, v23
	s_wait_dscnt 0x0
	v_cvt_f32_f16_e32 v25, v22
	s_delay_alu instid0(VALU_DEP_1) | instskip(SKIP_2) | instid1(VALU_DEP_2)
	v_min_num_f32_e32 v26, v24, v25
	v_max_num_f32_e32 v24, v24, v25
	s_wait_alu 0xf1ff
	v_cndmask_b32_e64 v26, v26, v18, s15
	s_delay_alu instid0(VALU_DEP_2) | instskip(SKIP_2) | instid1(VALU_DEP_1)
	v_cndmask_b32_e64 v27, v24, v18, s15
	v_cmp_u_f16_e64 s15, v22, v22
	s_wait_alu 0xf1ff
	v_cndmask_b32_e64 v24, v26, v25, s15
	s_delay_alu instid0(VALU_DEP_3) | instskip(NEXT) | instid1(VALU_DEP_2)
	v_cndmask_b32_e64 v22, v27, v25, s15
	v_cmp_class_f32_e64 s17, v24, 0x1f8
	s_delay_alu instid0(VALU_DEP_2)
	v_cmp_neq_f32_e64 s15, v24, v22
	s_or_b32 s15, s15, s17
	s_wait_alu 0xfffe
	s_and_saveexec_b32 s17, s15
	s_cbranch_execz .LBB421_239
; %bb.238:
	v_sub_f32_e32 v18, v24, v22
	s_delay_alu instid0(VALU_DEP_1) | instskip(NEXT) | instid1(VALU_DEP_1)
	v_mul_f32_e32 v23, 0x3fb8aa3b, v18
	v_fma_f32 v24, 0x3fb8aa3b, v18, -v23
	v_rndne_f32_e32 v25, v23
	s_delay_alu instid0(VALU_DEP_1) | instskip(SKIP_1) | instid1(VALU_DEP_2)
	v_dual_sub_f32 v23, v23, v25 :: v_dual_fmamk_f32 v24, v18, 0x32a5705f, v24
	v_cmp_ngt_f32_e64 s15, 0xc2ce8ed0, v18
	v_add_f32_e32 v23, v23, v24
	v_cvt_i32_f32_e32 v24, v25
	s_delay_alu instid0(VALU_DEP_2) | instskip(NEXT) | instid1(TRANS32_DEP_1)
	v_exp_f32_e32 v23, v23
	v_ldexp_f32 v23, v23, v24
	s_wait_alu 0xf1ff
	s_delay_alu instid0(VALU_DEP_1) | instskip(SKIP_2) | instid1(VALU_DEP_1)
	v_cndmask_b32_e64 v23, 0, v23, s15
	v_cmp_nlt_f32_e64 s15, 0x42b17218, v18
	s_wait_alu 0xf1ff
	v_cndmask_b32_e64 v18, 0x7f800000, v23, s15
	s_delay_alu instid0(VALU_DEP_1) | instskip(NEXT) | instid1(VALU_DEP_1)
	v_add_f32_e32 v25, 1.0, v18
	v_cvt_f64_f32_e32 v[23:24], v25
	s_delay_alu instid0(VALU_DEP_1) | instskip(SKIP_1) | instid1(VALU_DEP_1)
	v_frexp_exp_i32_f64_e32 v23, v[23:24]
	v_frexp_mant_f32_e32 v24, v25
	v_cmp_gt_f32_e64 s15, 0x3f2aaaab, v24
	v_add_f32_e32 v24, -1.0, v25
	s_delay_alu instid0(VALU_DEP_1) | instskip(SKIP_1) | instid1(VALU_DEP_3)
	v_dual_sub_f32 v27, v24, v25 :: v_dual_sub_f32 v24, v18, v24
	s_wait_alu 0xf1ff
	v_subrev_co_ci_u32_e64 v23, null, 0, v23, s15
	s_mov_b32 s15, 0x3e9b6dac
	v_sub_nc_u32_e32 v26, 0, v23
	v_cvt_f32_i32_e32 v23, v23
	s_delay_alu instid0(VALU_DEP_2) | instskip(NEXT) | instid1(VALU_DEP_1)
	v_ldexp_f32 v25, v25, v26
	v_dual_add_f32 v27, 1.0, v27 :: v_dual_add_f32 v28, 1.0, v25
	s_delay_alu instid0(VALU_DEP_1) | instskip(NEXT) | instid1(VALU_DEP_1)
	v_dual_add_f32 v24, v24, v27 :: v_dual_add_f32 v27, -1.0, v28
	v_ldexp_f32 v24, v24, v26
	s_delay_alu instid0(VALU_DEP_2) | instskip(NEXT) | instid1(VALU_DEP_1)
	v_dual_add_f32 v26, -1.0, v25 :: v_dual_sub_f32 v27, v25, v27
	v_add_f32_e32 v29, 1.0, v26
	s_delay_alu instid0(VALU_DEP_2) | instskip(NEXT) | instid1(VALU_DEP_2)
	v_add_f32_e32 v27, v24, v27
	v_sub_f32_e32 v25, v25, v29
	s_delay_alu instid0(VALU_DEP_1) | instskip(NEXT) | instid1(VALU_DEP_1)
	v_add_f32_e32 v24, v24, v25
	v_dual_add_f32 v30, v26, v24 :: v_dual_add_f32 v29, v28, v27
	s_delay_alu instid0(VALU_DEP_1) | instskip(NEXT) | instid1(VALU_DEP_2)
	v_sub_f32_e32 v26, v26, v30
	v_rcp_f32_e32 v25, v29
	v_sub_f32_e32 v28, v28, v29
	s_delay_alu instid0(VALU_DEP_1) | instskip(NEXT) | instid1(TRANS32_DEP_1)
	v_dual_add_f32 v24, v24, v26 :: v_dual_add_f32 v27, v27, v28
	v_mul_f32_e32 v31, v30, v25
	s_delay_alu instid0(VALU_DEP_1) | instskip(NEXT) | instid1(VALU_DEP_1)
	v_mul_f32_e32 v32, v29, v31
	v_fma_f32 v28, v31, v29, -v32
	s_delay_alu instid0(VALU_DEP_1) | instskip(NEXT) | instid1(VALU_DEP_1)
	v_fmac_f32_e32 v28, v31, v27
	v_add_f32_e32 v33, v32, v28
	s_delay_alu instid0(VALU_DEP_1) | instskip(NEXT) | instid1(VALU_DEP_1)
	v_sub_f32_e32 v34, v30, v33
	v_sub_f32_e32 v30, v30, v34
	;; [unrolled: 1-line block ×3, first 2 shown]
	s_delay_alu instid0(VALU_DEP_2) | instskip(NEXT) | instid1(VALU_DEP_2)
	v_sub_f32_e32 v30, v30, v33
	v_sub_f32_e32 v26, v26, v28
	s_delay_alu instid0(VALU_DEP_2) | instskip(NEXT) | instid1(VALU_DEP_1)
	v_add_f32_e32 v24, v24, v30
	v_add_f32_e32 v24, v26, v24
	s_delay_alu instid0(VALU_DEP_1) | instskip(NEXT) | instid1(VALU_DEP_1)
	v_add_f32_e32 v26, v34, v24
	v_mul_f32_e32 v28, v25, v26
	s_delay_alu instid0(VALU_DEP_1) | instskip(NEXT) | instid1(VALU_DEP_1)
	v_dual_sub_f32 v33, v34, v26 :: v_dual_mul_f32 v30, v29, v28
	v_add_f32_e32 v24, v24, v33
	s_delay_alu instid0(VALU_DEP_2) | instskip(NEXT) | instid1(VALU_DEP_1)
	v_fma_f32 v29, v28, v29, -v30
	v_fmac_f32_e32 v29, v28, v27
	s_delay_alu instid0(VALU_DEP_1) | instskip(NEXT) | instid1(VALU_DEP_1)
	v_add_f32_e32 v27, v30, v29
	v_sub_f32_e32 v32, v26, v27
	v_sub_f32_e32 v30, v27, v30
	s_delay_alu instid0(VALU_DEP_2) | instskip(NEXT) | instid1(VALU_DEP_1)
	v_sub_f32_e32 v26, v26, v32
	v_sub_f32_e32 v26, v26, v27
	s_delay_alu instid0(VALU_DEP_1) | instskip(SKIP_1) | instid1(VALU_DEP_1)
	v_dual_sub_f32 v27, v30, v29 :: v_dual_add_f32 v24, v24, v26
	v_add_f32_e32 v26, v31, v28
	v_dual_add_f32 v24, v27, v24 :: v_dual_sub_f32 v27, v26, v31
	s_delay_alu instid0(VALU_DEP_1) | instskip(NEXT) | instid1(VALU_DEP_1)
	v_add_f32_e32 v24, v32, v24
	v_dual_sub_f32 v27, v28, v27 :: v_dual_mul_f32 v24, v25, v24
	s_delay_alu instid0(VALU_DEP_1) | instskip(NEXT) | instid1(VALU_DEP_1)
	v_add_f32_e32 v24, v27, v24
	v_add_f32_e32 v25, v26, v24
	s_delay_alu instid0(VALU_DEP_1) | instskip(SKIP_1) | instid1(VALU_DEP_1)
	v_mul_f32_e32 v27, v25, v25
	s_wait_alu 0xfffe
	v_fmaak_f32 v28, s15, v27, 0x3ecc95a3
	v_mul_f32_e32 v29, v25, v27
	v_cmp_neq_f32_e64 s15, 0x7f800000, v18
	s_delay_alu instid0(VALU_DEP_3) | instskip(SKIP_2) | instid1(VALU_DEP_3)
	v_fmaak_f32 v27, v27, v28, 0x3f2aaada
	v_ldexp_f32 v28, v25, 1
	v_sub_f32_e32 v25, v25, v26
	v_mul_f32_e32 v27, v29, v27
	s_delay_alu instid0(VALU_DEP_2) | instskip(NEXT) | instid1(VALU_DEP_2)
	v_dual_mul_f32 v29, 0x3f317218, v23 :: v_dual_sub_f32 v24, v24, v25
	v_add_f32_e32 v26, v28, v27
	s_delay_alu instid0(VALU_DEP_2) | instskip(NEXT) | instid1(VALU_DEP_2)
	v_ldexp_f32 v24, v24, 1
	v_sub_f32_e32 v25, v26, v28
	s_delay_alu instid0(VALU_DEP_4) | instskip(NEXT) | instid1(VALU_DEP_2)
	v_fma_f32 v28, 0x3f317218, v23, -v29
	v_sub_f32_e32 v25, v27, v25
	s_delay_alu instid0(VALU_DEP_1) | instskip(NEXT) | instid1(VALU_DEP_1)
	v_dual_fmamk_f32 v23, v23, 0xb102e308, v28 :: v_dual_add_f32 v24, v24, v25
	v_add_f32_e32 v25, v29, v23
	s_delay_alu instid0(VALU_DEP_1) | instskip(NEXT) | instid1(VALU_DEP_1)
	v_sub_f32_e32 v29, v25, v29
	v_sub_f32_e32 v23, v23, v29
	s_delay_alu instid0(VALU_DEP_4) | instskip(NEXT) | instid1(VALU_DEP_1)
	v_add_f32_e32 v27, v26, v24
	v_sub_f32_e32 v26, v27, v26
	s_delay_alu instid0(VALU_DEP_1) | instskip(SKIP_1) | instid1(VALU_DEP_1)
	v_sub_f32_e32 v24, v24, v26
	v_add_f32_e32 v28, v25, v27
	v_sub_f32_e32 v30, v28, v25
	s_delay_alu instid0(VALU_DEP_1) | instskip(NEXT) | instid1(VALU_DEP_4)
	v_sub_f32_e32 v26, v27, v30
	v_add_f32_e32 v27, v23, v24
	v_sub_f32_e32 v31, v28, v30
	s_delay_alu instid0(VALU_DEP_1) | instskip(NEXT) | instid1(VALU_DEP_1)
	v_sub_f32_e32 v25, v25, v31
	v_dual_add_f32 v25, v26, v25 :: v_dual_sub_f32 v26, v27, v23
	s_delay_alu instid0(VALU_DEP_1) | instskip(SKIP_1) | instid1(VALU_DEP_2)
	v_dual_add_f32 v25, v27, v25 :: v_dual_sub_f32 v24, v24, v26
	v_sub_f32_e32 v27, v27, v26
	v_add_f32_e32 v29, v28, v25
	s_delay_alu instid0(VALU_DEP_1) | instskip(NEXT) | instid1(VALU_DEP_1)
	v_dual_sub_f32 v23, v23, v27 :: v_dual_sub_f32 v26, v29, v28
	v_dual_add_f32 v23, v24, v23 :: v_dual_sub_f32 v24, v25, v26
	s_delay_alu instid0(VALU_DEP_1) | instskip(NEXT) | instid1(VALU_DEP_1)
	v_add_f32_e32 v23, v23, v24
	v_add_f32_e32 v23, v29, v23
	s_wait_alu 0xf1ff
	s_delay_alu instid0(VALU_DEP_1) | instskip(SKIP_2) | instid1(VALU_DEP_1)
	v_cndmask_b32_e64 v23, 0x7f800000, v23, s15
	v_cmp_gt_f32_e64 s15, 0x33800000, |v18|
	s_wait_alu 0xf1ff
	v_cndmask_b32_e64 v18, v23, v18, s15
	s_delay_alu instid0(VALU_DEP_1) | instskip(NEXT) | instid1(VALU_DEP_1)
	v_add_f32_e32 v18, v22, v18
	v_cvt_f16_f32_e32 v23, v18
	s_delay_alu instid0(VALU_DEP_1)
	v_cvt_f32_f16_e32 v18, v23
.LBB421_239:
	s_or_b32 exec_lo, exec_lo, s17
	ds_load_u16 v22, v14 offset:12
	v_max_num_f32_e32 v24, v18, v18
	v_cmp_u_f16_e64 s15, v23, v23
	s_wait_dscnt 0x0
	v_cvt_f32_f16_e32 v25, v22
	s_delay_alu instid0(VALU_DEP_1) | instskip(SKIP_2) | instid1(VALU_DEP_2)
	v_min_num_f32_e32 v26, v24, v25
	v_max_num_f32_e32 v24, v24, v25
	s_wait_alu 0xf1ff
	v_cndmask_b32_e64 v26, v26, v18, s15
	s_delay_alu instid0(VALU_DEP_2) | instskip(SKIP_2) | instid1(VALU_DEP_1)
	v_cndmask_b32_e64 v27, v24, v18, s15
	v_cmp_u_f16_e64 s15, v22, v22
	s_wait_alu 0xf1ff
	v_cndmask_b32_e64 v24, v26, v25, s15
	s_delay_alu instid0(VALU_DEP_3) | instskip(NEXT) | instid1(VALU_DEP_2)
	v_cndmask_b32_e64 v22, v27, v25, s15
	v_cmp_class_f32_e64 s17, v24, 0x1f8
	s_delay_alu instid0(VALU_DEP_2)
	v_cmp_neq_f32_e64 s15, v24, v22
	s_or_b32 s15, s15, s17
	s_wait_alu 0xfffe
	s_and_saveexec_b32 s17, s15
	s_cbranch_execz .LBB421_241
; %bb.240:
	v_sub_f32_e32 v18, v24, v22
	s_delay_alu instid0(VALU_DEP_1) | instskip(NEXT) | instid1(VALU_DEP_1)
	v_mul_f32_e32 v23, 0x3fb8aa3b, v18
	v_fma_f32 v24, 0x3fb8aa3b, v18, -v23
	v_rndne_f32_e32 v25, v23
	s_delay_alu instid0(VALU_DEP_1) | instskip(SKIP_1) | instid1(VALU_DEP_2)
	v_dual_sub_f32 v23, v23, v25 :: v_dual_fmamk_f32 v24, v18, 0x32a5705f, v24
	v_cmp_ngt_f32_e64 s15, 0xc2ce8ed0, v18
	v_add_f32_e32 v23, v23, v24
	v_cvt_i32_f32_e32 v24, v25
	s_delay_alu instid0(VALU_DEP_2) | instskip(NEXT) | instid1(TRANS32_DEP_1)
	v_exp_f32_e32 v23, v23
	v_ldexp_f32 v23, v23, v24
	s_wait_alu 0xf1ff
	s_delay_alu instid0(VALU_DEP_1) | instskip(SKIP_2) | instid1(VALU_DEP_1)
	v_cndmask_b32_e64 v23, 0, v23, s15
	v_cmp_nlt_f32_e64 s15, 0x42b17218, v18
	s_wait_alu 0xf1ff
	v_cndmask_b32_e64 v18, 0x7f800000, v23, s15
	s_delay_alu instid0(VALU_DEP_1) | instskip(NEXT) | instid1(VALU_DEP_1)
	v_add_f32_e32 v25, 1.0, v18
	v_cvt_f64_f32_e32 v[23:24], v25
	s_delay_alu instid0(VALU_DEP_1) | instskip(SKIP_1) | instid1(VALU_DEP_1)
	v_frexp_exp_i32_f64_e32 v23, v[23:24]
	v_frexp_mant_f32_e32 v24, v25
	v_cmp_gt_f32_e64 s15, 0x3f2aaaab, v24
	v_add_f32_e32 v24, -1.0, v25
	s_delay_alu instid0(VALU_DEP_1) | instskip(SKIP_1) | instid1(VALU_DEP_3)
	v_dual_sub_f32 v27, v24, v25 :: v_dual_sub_f32 v24, v18, v24
	s_wait_alu 0xf1ff
	v_subrev_co_ci_u32_e64 v23, null, 0, v23, s15
	s_mov_b32 s15, 0x3e9b6dac
	v_sub_nc_u32_e32 v26, 0, v23
	v_cvt_f32_i32_e32 v23, v23
	s_delay_alu instid0(VALU_DEP_2) | instskip(NEXT) | instid1(VALU_DEP_1)
	v_ldexp_f32 v25, v25, v26
	v_dual_add_f32 v27, 1.0, v27 :: v_dual_add_f32 v28, 1.0, v25
	s_delay_alu instid0(VALU_DEP_1) | instskip(NEXT) | instid1(VALU_DEP_1)
	v_dual_add_f32 v24, v24, v27 :: v_dual_add_f32 v27, -1.0, v28
	v_ldexp_f32 v24, v24, v26
	s_delay_alu instid0(VALU_DEP_2) | instskip(NEXT) | instid1(VALU_DEP_1)
	v_dual_add_f32 v26, -1.0, v25 :: v_dual_sub_f32 v27, v25, v27
	v_add_f32_e32 v29, 1.0, v26
	s_delay_alu instid0(VALU_DEP_2) | instskip(NEXT) | instid1(VALU_DEP_2)
	v_add_f32_e32 v27, v24, v27
	v_sub_f32_e32 v25, v25, v29
	s_delay_alu instid0(VALU_DEP_1) | instskip(NEXT) | instid1(VALU_DEP_1)
	v_add_f32_e32 v24, v24, v25
	v_dual_add_f32 v30, v26, v24 :: v_dual_add_f32 v29, v28, v27
	s_delay_alu instid0(VALU_DEP_1) | instskip(NEXT) | instid1(VALU_DEP_2)
	v_sub_f32_e32 v26, v26, v30
	v_rcp_f32_e32 v25, v29
	v_sub_f32_e32 v28, v28, v29
	s_delay_alu instid0(VALU_DEP_1) | instskip(NEXT) | instid1(TRANS32_DEP_1)
	v_dual_add_f32 v24, v24, v26 :: v_dual_add_f32 v27, v27, v28
	v_mul_f32_e32 v31, v30, v25
	s_delay_alu instid0(VALU_DEP_1) | instskip(NEXT) | instid1(VALU_DEP_1)
	v_mul_f32_e32 v32, v29, v31
	v_fma_f32 v28, v31, v29, -v32
	s_delay_alu instid0(VALU_DEP_1) | instskip(NEXT) | instid1(VALU_DEP_1)
	v_fmac_f32_e32 v28, v31, v27
	v_add_f32_e32 v33, v32, v28
	s_delay_alu instid0(VALU_DEP_1) | instskip(NEXT) | instid1(VALU_DEP_1)
	v_sub_f32_e32 v34, v30, v33
	v_sub_f32_e32 v30, v30, v34
	;; [unrolled: 1-line block ×3, first 2 shown]
	s_delay_alu instid0(VALU_DEP_2) | instskip(NEXT) | instid1(VALU_DEP_2)
	v_sub_f32_e32 v30, v30, v33
	v_sub_f32_e32 v26, v26, v28
	s_delay_alu instid0(VALU_DEP_2) | instskip(NEXT) | instid1(VALU_DEP_1)
	v_add_f32_e32 v24, v24, v30
	v_add_f32_e32 v24, v26, v24
	s_delay_alu instid0(VALU_DEP_1) | instskip(NEXT) | instid1(VALU_DEP_1)
	v_add_f32_e32 v26, v34, v24
	v_mul_f32_e32 v28, v25, v26
	s_delay_alu instid0(VALU_DEP_1) | instskip(NEXT) | instid1(VALU_DEP_1)
	v_dual_sub_f32 v33, v34, v26 :: v_dual_mul_f32 v30, v29, v28
	v_add_f32_e32 v24, v24, v33
	s_delay_alu instid0(VALU_DEP_2) | instskip(NEXT) | instid1(VALU_DEP_1)
	v_fma_f32 v29, v28, v29, -v30
	v_fmac_f32_e32 v29, v28, v27
	s_delay_alu instid0(VALU_DEP_1) | instskip(NEXT) | instid1(VALU_DEP_1)
	v_add_f32_e32 v27, v30, v29
	v_sub_f32_e32 v32, v26, v27
	v_sub_f32_e32 v30, v27, v30
	s_delay_alu instid0(VALU_DEP_2) | instskip(NEXT) | instid1(VALU_DEP_1)
	v_sub_f32_e32 v26, v26, v32
	v_sub_f32_e32 v26, v26, v27
	s_delay_alu instid0(VALU_DEP_1) | instskip(SKIP_1) | instid1(VALU_DEP_1)
	v_dual_sub_f32 v27, v30, v29 :: v_dual_add_f32 v24, v24, v26
	v_add_f32_e32 v26, v31, v28
	v_dual_add_f32 v24, v27, v24 :: v_dual_sub_f32 v27, v26, v31
	s_delay_alu instid0(VALU_DEP_1) | instskip(NEXT) | instid1(VALU_DEP_1)
	v_add_f32_e32 v24, v32, v24
	v_dual_sub_f32 v27, v28, v27 :: v_dual_mul_f32 v24, v25, v24
	s_delay_alu instid0(VALU_DEP_1) | instskip(NEXT) | instid1(VALU_DEP_1)
	v_add_f32_e32 v24, v27, v24
	v_add_f32_e32 v25, v26, v24
	s_delay_alu instid0(VALU_DEP_1) | instskip(SKIP_1) | instid1(VALU_DEP_1)
	v_mul_f32_e32 v27, v25, v25
	s_wait_alu 0xfffe
	v_fmaak_f32 v28, s15, v27, 0x3ecc95a3
	v_mul_f32_e32 v29, v25, v27
	v_cmp_neq_f32_e64 s15, 0x7f800000, v18
	s_delay_alu instid0(VALU_DEP_3) | instskip(SKIP_2) | instid1(VALU_DEP_3)
	v_fmaak_f32 v27, v27, v28, 0x3f2aaada
	v_ldexp_f32 v28, v25, 1
	v_sub_f32_e32 v25, v25, v26
	v_mul_f32_e32 v27, v29, v27
	s_delay_alu instid0(VALU_DEP_2) | instskip(NEXT) | instid1(VALU_DEP_2)
	v_dual_mul_f32 v29, 0x3f317218, v23 :: v_dual_sub_f32 v24, v24, v25
	v_add_f32_e32 v26, v28, v27
	s_delay_alu instid0(VALU_DEP_2) | instskip(NEXT) | instid1(VALU_DEP_2)
	v_ldexp_f32 v24, v24, 1
	v_sub_f32_e32 v25, v26, v28
	s_delay_alu instid0(VALU_DEP_4) | instskip(NEXT) | instid1(VALU_DEP_2)
	v_fma_f32 v28, 0x3f317218, v23, -v29
	v_sub_f32_e32 v25, v27, v25
	s_delay_alu instid0(VALU_DEP_1) | instskip(NEXT) | instid1(VALU_DEP_1)
	v_dual_fmamk_f32 v23, v23, 0xb102e308, v28 :: v_dual_add_f32 v24, v24, v25
	v_add_f32_e32 v25, v29, v23
	s_delay_alu instid0(VALU_DEP_1) | instskip(NEXT) | instid1(VALU_DEP_1)
	v_sub_f32_e32 v29, v25, v29
	v_sub_f32_e32 v23, v23, v29
	s_delay_alu instid0(VALU_DEP_4) | instskip(NEXT) | instid1(VALU_DEP_1)
	v_add_f32_e32 v27, v26, v24
	v_sub_f32_e32 v26, v27, v26
	s_delay_alu instid0(VALU_DEP_1) | instskip(SKIP_1) | instid1(VALU_DEP_1)
	v_sub_f32_e32 v24, v24, v26
	v_add_f32_e32 v28, v25, v27
	v_sub_f32_e32 v30, v28, v25
	s_delay_alu instid0(VALU_DEP_1) | instskip(NEXT) | instid1(VALU_DEP_4)
	v_sub_f32_e32 v26, v27, v30
	v_add_f32_e32 v27, v23, v24
	v_sub_f32_e32 v31, v28, v30
	s_delay_alu instid0(VALU_DEP_1) | instskip(NEXT) | instid1(VALU_DEP_1)
	v_sub_f32_e32 v25, v25, v31
	v_dual_add_f32 v25, v26, v25 :: v_dual_sub_f32 v26, v27, v23
	s_delay_alu instid0(VALU_DEP_1) | instskip(SKIP_1) | instid1(VALU_DEP_2)
	v_dual_add_f32 v25, v27, v25 :: v_dual_sub_f32 v24, v24, v26
	v_sub_f32_e32 v27, v27, v26
	v_add_f32_e32 v29, v28, v25
	s_delay_alu instid0(VALU_DEP_1) | instskip(NEXT) | instid1(VALU_DEP_1)
	v_dual_sub_f32 v23, v23, v27 :: v_dual_sub_f32 v26, v29, v28
	v_dual_add_f32 v23, v24, v23 :: v_dual_sub_f32 v24, v25, v26
	s_delay_alu instid0(VALU_DEP_1) | instskip(NEXT) | instid1(VALU_DEP_1)
	v_add_f32_e32 v23, v23, v24
	v_add_f32_e32 v23, v29, v23
	s_wait_alu 0xf1ff
	s_delay_alu instid0(VALU_DEP_1) | instskip(SKIP_2) | instid1(VALU_DEP_1)
	v_cndmask_b32_e64 v23, 0x7f800000, v23, s15
	v_cmp_gt_f32_e64 s15, 0x33800000, |v18|
	s_wait_alu 0xf1ff
	v_cndmask_b32_e64 v18, v23, v18, s15
	s_delay_alu instid0(VALU_DEP_1) | instskip(NEXT) | instid1(VALU_DEP_1)
	v_add_f32_e32 v18, v22, v18
	v_cvt_f16_f32_e32 v23, v18
	s_delay_alu instid0(VALU_DEP_1)
	v_cvt_f32_f16_e32 v18, v23
.LBB421_241:
	s_or_b32 exec_lo, exec_lo, s17
	ds_load_u16 v22, v14 offset:14
	v_max_num_f32_e32 v24, v18, v18
	v_cmp_u_f16_e64 s15, v23, v23
	s_wait_dscnt 0x0
	v_cvt_f32_f16_e32 v25, v22
	s_delay_alu instid0(VALU_DEP_1) | instskip(SKIP_2) | instid1(VALU_DEP_2)
	v_min_num_f32_e32 v26, v24, v25
	v_max_num_f32_e32 v24, v24, v25
	s_wait_alu 0xf1ff
	v_cndmask_b32_e64 v26, v26, v18, s15
	s_delay_alu instid0(VALU_DEP_2) | instskip(SKIP_2) | instid1(VALU_DEP_1)
	v_cndmask_b32_e64 v18, v24, v18, s15
	v_cmp_u_f16_e64 s15, v22, v22
	s_wait_alu 0xf1ff
	v_cndmask_b32_e64 v22, v26, v25, s15
	s_delay_alu instid0(VALU_DEP_3) | instskip(NEXT) | instid1(VALU_DEP_2)
	v_cndmask_b32_e64 v18, v18, v25, s15
	v_cmp_class_f32_e64 s17, v22, 0x1f8
	s_delay_alu instid0(VALU_DEP_2)
	v_cmp_neq_f32_e64 s15, v22, v18
	s_or_b32 s15, s15, s17
	s_wait_alu 0xfffe
	s_and_saveexec_b32 s17, s15
	s_cbranch_execz .LBB421_243
; %bb.242:
	v_sub_f32_e32 v22, v22, v18
	s_delay_alu instid0(VALU_DEP_1) | instskip(NEXT) | instid1(VALU_DEP_1)
	v_mul_f32_e32 v23, 0x3fb8aa3b, v22
	v_fma_f32 v24, 0x3fb8aa3b, v22, -v23
	v_rndne_f32_e32 v25, v23
	s_delay_alu instid0(VALU_DEP_1) | instskip(SKIP_1) | instid1(VALU_DEP_2)
	v_dual_sub_f32 v23, v23, v25 :: v_dual_fmamk_f32 v24, v22, 0x32a5705f, v24
	v_cmp_ngt_f32_e64 s15, 0xc2ce8ed0, v22
	v_add_f32_e32 v23, v23, v24
	v_cvt_i32_f32_e32 v24, v25
	s_delay_alu instid0(VALU_DEP_2) | instskip(NEXT) | instid1(TRANS32_DEP_1)
	v_exp_f32_e32 v23, v23
	v_ldexp_f32 v23, v23, v24
	s_wait_alu 0xf1ff
	s_delay_alu instid0(VALU_DEP_1) | instskip(SKIP_2) | instid1(VALU_DEP_1)
	v_cndmask_b32_e64 v23, 0, v23, s15
	v_cmp_nlt_f32_e64 s15, 0x42b17218, v22
	s_wait_alu 0xf1ff
	v_cndmask_b32_e64 v24, 0x7f800000, v23, s15
	s_delay_alu instid0(VALU_DEP_1) | instskip(NEXT) | instid1(VALU_DEP_1)
	v_add_f32_e32 v25, 1.0, v24
	v_cvt_f64_f32_e32 v[22:23], v25
	s_delay_alu instid0(VALU_DEP_1) | instskip(SKIP_1) | instid1(VALU_DEP_1)
	v_frexp_exp_i32_f64_e32 v22, v[22:23]
	v_frexp_mant_f32_e32 v23, v25
	v_cmp_gt_f32_e64 s15, 0x3f2aaaab, v23
	v_add_f32_e32 v23, -1.0, v25
	s_delay_alu instid0(VALU_DEP_1)
	v_sub_f32_e32 v27, v23, v25
	v_sub_f32_e32 v23, v24, v23
	s_wait_alu 0xf1ff
	v_subrev_co_ci_u32_e64 v22, null, 0, v22, s15
	s_mov_b32 s15, 0x3e9b6dac
	v_sub_nc_u32_e32 v26, 0, v22
	v_cvt_f32_i32_e32 v22, v22
	s_delay_alu instid0(VALU_DEP_2) | instskip(NEXT) | instid1(VALU_DEP_1)
	v_ldexp_f32 v25, v25, v26
	v_dual_add_f32 v28, 1.0, v25 :: v_dual_add_f32 v27, 1.0, v27
	s_delay_alu instid0(VALU_DEP_1) | instskip(NEXT) | instid1(VALU_DEP_2)
	v_add_f32_e32 v23, v23, v27
	v_add_f32_e32 v27, -1.0, v28
	s_delay_alu instid0(VALU_DEP_2) | instskip(NEXT) | instid1(VALU_DEP_2)
	v_ldexp_f32 v23, v23, v26
	v_dual_add_f32 v26, -1.0, v25 :: v_dual_sub_f32 v27, v25, v27
	s_delay_alu instid0(VALU_DEP_1) | instskip(NEXT) | instid1(VALU_DEP_2)
	v_add_f32_e32 v29, 1.0, v26
	v_add_f32_e32 v27, v23, v27
	s_delay_alu instid0(VALU_DEP_2) | instskip(NEXT) | instid1(VALU_DEP_2)
	v_sub_f32_e32 v25, v25, v29
	v_add_f32_e32 v29, v28, v27
	s_delay_alu instid0(VALU_DEP_2) | instskip(NEXT) | instid1(VALU_DEP_2)
	v_add_f32_e32 v23, v23, v25
	v_rcp_f32_e32 v25, v29
	v_sub_f32_e32 v28, v28, v29
	s_delay_alu instid0(VALU_DEP_1) | instskip(NEXT) | instid1(VALU_DEP_1)
	v_dual_add_f32 v30, v26, v23 :: v_dual_add_f32 v27, v27, v28
	v_sub_f32_e32 v26, v26, v30
	s_delay_alu instid0(TRANS32_DEP_1) | instskip(NEXT) | instid1(VALU_DEP_1)
	v_mul_f32_e32 v31, v30, v25
	v_dual_add_f32 v23, v23, v26 :: v_dual_mul_f32 v32, v29, v31
	s_delay_alu instid0(VALU_DEP_1) | instskip(NEXT) | instid1(VALU_DEP_1)
	v_fma_f32 v28, v31, v29, -v32
	v_fmac_f32_e32 v28, v31, v27
	s_delay_alu instid0(VALU_DEP_1) | instskip(NEXT) | instid1(VALU_DEP_1)
	v_add_f32_e32 v33, v32, v28
	v_sub_f32_e32 v34, v30, v33
	v_sub_f32_e32 v26, v33, v32
	s_delay_alu instid0(VALU_DEP_2) | instskip(NEXT) | instid1(VALU_DEP_2)
	v_sub_f32_e32 v30, v30, v34
	v_sub_f32_e32 v26, v26, v28
	s_delay_alu instid0(VALU_DEP_2) | instskip(NEXT) | instid1(VALU_DEP_1)
	v_sub_f32_e32 v30, v30, v33
	v_add_f32_e32 v23, v23, v30
	s_delay_alu instid0(VALU_DEP_1) | instskip(NEXT) | instid1(VALU_DEP_1)
	v_add_f32_e32 v23, v26, v23
	v_add_f32_e32 v26, v34, v23
	s_delay_alu instid0(VALU_DEP_1) | instskip(NEXT) | instid1(VALU_DEP_1)
	v_mul_f32_e32 v28, v25, v26
	v_dual_sub_f32 v33, v34, v26 :: v_dual_mul_f32 v30, v29, v28
	s_delay_alu instid0(VALU_DEP_1) | instskip(NEXT) | instid1(VALU_DEP_2)
	v_add_f32_e32 v23, v23, v33
	v_fma_f32 v29, v28, v29, -v30
	s_delay_alu instid0(VALU_DEP_1) | instskip(NEXT) | instid1(VALU_DEP_1)
	v_fmac_f32_e32 v29, v28, v27
	v_add_f32_e32 v27, v30, v29
	s_delay_alu instid0(VALU_DEP_1) | instskip(SKIP_1) | instid1(VALU_DEP_2)
	v_sub_f32_e32 v32, v26, v27
	v_sub_f32_e32 v30, v27, v30
	;; [unrolled: 1-line block ×3, first 2 shown]
	s_delay_alu instid0(VALU_DEP_1) | instskip(NEXT) | instid1(VALU_DEP_3)
	v_sub_f32_e32 v26, v26, v27
	v_sub_f32_e32 v27, v30, v29
	s_delay_alu instid0(VALU_DEP_2) | instskip(SKIP_1) | instid1(VALU_DEP_2)
	v_add_f32_e32 v23, v23, v26
	v_add_f32_e32 v26, v31, v28
	;; [unrolled: 1-line block ×3, first 2 shown]
	s_delay_alu instid0(VALU_DEP_2) | instskip(NEXT) | instid1(VALU_DEP_2)
	v_sub_f32_e32 v27, v26, v31
	v_add_f32_e32 v23, v32, v23
	s_delay_alu instid0(VALU_DEP_2) | instskip(NEXT) | instid1(VALU_DEP_2)
	v_sub_f32_e32 v27, v28, v27
	v_mul_f32_e32 v23, v25, v23
	s_delay_alu instid0(VALU_DEP_1) | instskip(NEXT) | instid1(VALU_DEP_1)
	v_add_f32_e32 v23, v27, v23
	v_add_f32_e32 v25, v26, v23
	s_delay_alu instid0(VALU_DEP_1) | instskip(SKIP_1) | instid1(VALU_DEP_1)
	v_mul_f32_e32 v27, v25, v25
	s_wait_alu 0xfffe
	v_fmaak_f32 v28, s15, v27, 0x3ecc95a3
	v_mul_f32_e32 v29, v25, v27
	v_cmp_neq_f32_e64 s15, 0x7f800000, v24
	s_delay_alu instid0(VALU_DEP_3) | instskip(SKIP_2) | instid1(VALU_DEP_3)
	v_fmaak_f32 v27, v27, v28, 0x3f2aaada
	v_ldexp_f32 v28, v25, 1
	v_sub_f32_e32 v25, v25, v26
	v_mul_f32_e32 v27, v29, v27
	v_mul_f32_e32 v29, 0x3f317218, v22
	s_delay_alu instid0(VALU_DEP_2) | instskip(NEXT) | instid1(VALU_DEP_1)
	v_dual_sub_f32 v23, v23, v25 :: v_dual_add_f32 v26, v28, v27
	v_ldexp_f32 v23, v23, 1
	s_delay_alu instid0(VALU_DEP_2) | instskip(NEXT) | instid1(VALU_DEP_4)
	v_sub_f32_e32 v25, v26, v28
	v_fma_f32 v28, 0x3f317218, v22, -v29
	s_delay_alu instid0(VALU_DEP_1) | instskip(NEXT) | instid1(VALU_DEP_1)
	v_dual_sub_f32 v25, v27, v25 :: v_dual_fmamk_f32 v22, v22, 0xb102e308, v28
	v_add_f32_e32 v23, v23, v25
	s_delay_alu instid0(VALU_DEP_2) | instskip(NEXT) | instid1(VALU_DEP_2)
	v_add_f32_e32 v25, v29, v22
	v_add_f32_e32 v27, v26, v23
	s_delay_alu instid0(VALU_DEP_2) | instskip(NEXT) | instid1(VALU_DEP_2)
	v_sub_f32_e32 v29, v25, v29
	v_add_f32_e32 v28, v25, v27
	v_sub_f32_e32 v26, v27, v26
	s_delay_alu instid0(VALU_DEP_3) | instskip(NEXT) | instid1(VALU_DEP_2)
	v_sub_f32_e32 v22, v22, v29
	v_dual_sub_f32 v30, v28, v25 :: v_dual_sub_f32 v23, v23, v26
	s_delay_alu instid0(VALU_DEP_1) | instskip(NEXT) | instid1(VALU_DEP_2)
	v_sub_f32_e32 v31, v28, v30
	v_dual_sub_f32 v26, v27, v30 :: v_dual_add_f32 v27, v22, v23
	s_delay_alu instid0(VALU_DEP_2) | instskip(NEXT) | instid1(VALU_DEP_1)
	v_sub_f32_e32 v25, v25, v31
	v_dual_add_f32 v25, v26, v25 :: v_dual_sub_f32 v26, v27, v22
	s_delay_alu instid0(VALU_DEP_1) | instskip(NEXT) | instid1(VALU_DEP_2)
	v_add_f32_e32 v25, v27, v25
	v_sub_f32_e32 v27, v27, v26
	v_sub_f32_e32 v23, v23, v26
	s_delay_alu instid0(VALU_DEP_2) | instskip(NEXT) | instid1(VALU_DEP_1)
	v_dual_add_f32 v29, v28, v25 :: v_dual_sub_f32 v22, v22, v27
	v_sub_f32_e32 v26, v29, v28
	s_delay_alu instid0(VALU_DEP_2) | instskip(NEXT) | instid1(VALU_DEP_2)
	v_add_f32_e32 v22, v23, v22
	v_sub_f32_e32 v23, v25, v26
	s_delay_alu instid0(VALU_DEP_1) | instskip(NEXT) | instid1(VALU_DEP_1)
	v_add_f32_e32 v22, v22, v23
	v_add_f32_e32 v22, v29, v22
	s_wait_alu 0xf1ff
	s_delay_alu instid0(VALU_DEP_1) | instskip(SKIP_2) | instid1(VALU_DEP_1)
	v_cndmask_b32_e64 v22, 0x7f800000, v22, s15
	v_cmp_gt_f32_e64 s15, 0x33800000, |v24|
	s_wait_alu 0xf1ff
	v_cndmask_b32_e64 v22, v22, v24, s15
	s_delay_alu instid0(VALU_DEP_1) | instskip(NEXT) | instid1(VALU_DEP_1)
	v_add_f32_e32 v18, v18, v22
	v_cvt_f16_f32_e32 v23, v18
.LBB421_243:
	s_or_b32 exec_lo, exec_lo, s17
	v_mbcnt_lo_u32_b32 v18, -1, 0
	s_delay_alu instid0(VALU_DEP_2) | instskip(SKIP_1) | instid1(VALU_DEP_2)
	v_and_b32_e32 v24, 0xffff, v23
	s_mov_b32 s17, exec_lo
	v_and_b32_e32 v22, 15, v18
	s_delay_alu instid0(VALU_DEP_2) | instskip(NEXT) | instid1(VALU_DEP_2)
	v_mov_b32_dpp v25, v24 row_shr:1 row_mask:0xf bank_mask:0xf
	v_cmpx_ne_u32_e32 0, v22
	s_xor_b32 s17, exec_lo, s17
	s_cbranch_execz .LBB421_247
; %bb.244:
	s_delay_alu instid0(VALU_DEP_2) | instskip(SKIP_2) | instid1(VALU_DEP_2)
	v_cvt_f32_f16_e32 v24, v25
	v_cvt_f32_f16_e32 v26, v23
	v_cmp_u_f16_e64 s15, v25, v25
	v_min_num_f32_e32 v27, v24, v26
	v_max_num_f32_e32 v28, v24, v26
	s_wait_alu 0xf1ff
	s_delay_alu instid0(VALU_DEP_2) | instskip(NEXT) | instid1(VALU_DEP_2)
	v_cndmask_b32_e64 v27, v27, v24, s15
	v_cndmask_b32_e64 v28, v28, v24, s15
	v_cmp_u_f16_e64 s15, v23, v23
	s_wait_alu 0xf1ff
	s_delay_alu instid0(VALU_DEP_1) | instskip(NEXT) | instid1(VALU_DEP_3)
	v_cndmask_b32_e64 v24, v27, v26, s15
	v_cndmask_b32_e64 v23, v28, v26, s15
	s_delay_alu instid0(VALU_DEP_2) | instskip(NEXT) | instid1(VALU_DEP_2)
	v_cmp_class_f32_e64 s20, v24, 0x1f8
	v_cmp_neq_f32_e64 s15, v24, v23
	s_or_b32 s15, s15, s20
	s_wait_alu 0xfffe
	s_and_saveexec_b32 s20, s15
	s_cbranch_execz .LBB421_246
; %bb.245:
	v_sub_f32_e32 v24, v24, v23
	s_delay_alu instid0(VALU_DEP_1) | instskip(NEXT) | instid1(VALU_DEP_1)
	v_mul_f32_e32 v25, 0x3fb8aa3b, v24
	v_fma_f32 v26, 0x3fb8aa3b, v24, -v25
	v_rndne_f32_e32 v27, v25
	s_delay_alu instid0(VALU_DEP_1) | instskip(NEXT) | instid1(VALU_DEP_1)
	v_dual_fmamk_f32 v26, v24, 0x32a5705f, v26 :: v_dual_sub_f32 v25, v25, v27
	v_add_f32_e32 v25, v25, v26
	v_cvt_i32_f32_e32 v26, v27
	v_cmp_ngt_f32_e64 s15, 0xc2ce8ed0, v24
	s_delay_alu instid0(VALU_DEP_3) | instskip(NEXT) | instid1(TRANS32_DEP_1)
	v_exp_f32_e32 v25, v25
	v_ldexp_f32 v25, v25, v26
	s_wait_alu 0xf1ff
	s_delay_alu instid0(VALU_DEP_1) | instskip(SKIP_2) | instid1(VALU_DEP_1)
	v_cndmask_b32_e64 v25, 0, v25, s15
	v_cmp_nlt_f32_e64 s15, 0x42b17218, v24
	s_wait_alu 0xf1ff
	v_cndmask_b32_e64 v26, 0x7f800000, v25, s15
	s_delay_alu instid0(VALU_DEP_1) | instskip(NEXT) | instid1(VALU_DEP_1)
	v_add_f32_e32 v27, 1.0, v26
	v_cvt_f64_f32_e32 v[24:25], v27
	s_delay_alu instid0(VALU_DEP_1) | instskip(SKIP_1) | instid1(VALU_DEP_1)
	v_frexp_exp_i32_f64_e32 v24, v[24:25]
	v_frexp_mant_f32_e32 v25, v27
	v_cmp_gt_f32_e64 s15, 0x3f2aaaab, v25
	v_add_f32_e32 v25, -1.0, v27
	s_delay_alu instid0(VALU_DEP_1) | instskip(SKIP_1) | instid1(VALU_DEP_3)
	v_sub_f32_e32 v29, v25, v27
	s_wait_alu 0xf1ff
	v_subrev_co_ci_u32_e64 v24, null, 0, v24, s15
	s_mov_b32 s15, 0x3e9b6dac
	v_sub_nc_u32_e32 v28, 0, v24
	v_cvt_f32_i32_e32 v24, v24
	s_delay_alu instid0(VALU_DEP_2) | instskip(NEXT) | instid1(VALU_DEP_1)
	v_ldexp_f32 v27, v27, v28
	v_dual_sub_f32 v25, v26, v25 :: v_dual_add_f32 v30, 1.0, v27
	v_add_f32_e32 v29, 1.0, v29
	s_delay_alu instid0(VALU_DEP_1) | instskip(NEXT) | instid1(VALU_DEP_3)
	v_add_f32_e32 v25, v25, v29
	v_add_f32_e32 v29, -1.0, v30
	s_delay_alu instid0(VALU_DEP_2) | instskip(NEXT) | instid1(VALU_DEP_2)
	v_ldexp_f32 v25, v25, v28
	v_dual_add_f32 v28, -1.0, v27 :: v_dual_sub_f32 v29, v27, v29
	s_delay_alu instid0(VALU_DEP_1) | instskip(NEXT) | instid1(VALU_DEP_2)
	v_add_f32_e32 v31, 1.0, v28
	v_add_f32_e32 v29, v25, v29
	s_delay_alu instid0(VALU_DEP_2) | instskip(NEXT) | instid1(VALU_DEP_2)
	v_sub_f32_e32 v27, v27, v31
	v_add_f32_e32 v31, v30, v29
	s_delay_alu instid0(VALU_DEP_2) | instskip(NEXT) | instid1(VALU_DEP_2)
	v_add_f32_e32 v25, v25, v27
	v_rcp_f32_e32 v27, v31
	v_sub_f32_e32 v30, v30, v31
	s_delay_alu instid0(VALU_DEP_1) | instskip(NEXT) | instid1(VALU_DEP_1)
	v_dual_add_f32 v32, v28, v25 :: v_dual_add_f32 v29, v29, v30
	v_sub_f32_e32 v28, v28, v32
	s_delay_alu instid0(TRANS32_DEP_1) | instskip(NEXT) | instid1(VALU_DEP_1)
	v_mul_f32_e32 v33, v32, v27
	v_dual_add_f32 v25, v25, v28 :: v_dual_mul_f32 v34, v31, v33
	s_delay_alu instid0(VALU_DEP_1) | instskip(NEXT) | instid1(VALU_DEP_1)
	v_fma_f32 v30, v33, v31, -v34
	v_fmac_f32_e32 v30, v33, v29
	s_delay_alu instid0(VALU_DEP_1) | instskip(NEXT) | instid1(VALU_DEP_1)
	v_add_f32_e32 v35, v34, v30
	v_sub_f32_e32 v36, v32, v35
	v_sub_f32_e32 v28, v35, v34
	s_delay_alu instid0(VALU_DEP_2) | instskip(NEXT) | instid1(VALU_DEP_2)
	v_sub_f32_e32 v32, v32, v36
	v_sub_f32_e32 v28, v28, v30
	s_delay_alu instid0(VALU_DEP_2) | instskip(NEXT) | instid1(VALU_DEP_1)
	v_sub_f32_e32 v32, v32, v35
	v_add_f32_e32 v25, v25, v32
	s_delay_alu instid0(VALU_DEP_1) | instskip(NEXT) | instid1(VALU_DEP_1)
	v_add_f32_e32 v25, v28, v25
	v_add_f32_e32 v28, v36, v25
	s_delay_alu instid0(VALU_DEP_1) | instskip(NEXT) | instid1(VALU_DEP_1)
	v_mul_f32_e32 v30, v27, v28
	v_dual_sub_f32 v35, v36, v28 :: v_dual_mul_f32 v32, v31, v30
	s_delay_alu instid0(VALU_DEP_1) | instskip(NEXT) | instid1(VALU_DEP_2)
	v_add_f32_e32 v25, v25, v35
	v_fma_f32 v31, v30, v31, -v32
	s_delay_alu instid0(VALU_DEP_1) | instskip(NEXT) | instid1(VALU_DEP_1)
	v_fmac_f32_e32 v31, v30, v29
	v_add_f32_e32 v29, v32, v31
	s_delay_alu instid0(VALU_DEP_1) | instskip(SKIP_1) | instid1(VALU_DEP_2)
	v_sub_f32_e32 v34, v28, v29
	v_sub_f32_e32 v32, v29, v32
	;; [unrolled: 1-line block ×3, first 2 shown]
	s_delay_alu instid0(VALU_DEP_1) | instskip(NEXT) | instid1(VALU_DEP_3)
	v_sub_f32_e32 v28, v28, v29
	v_sub_f32_e32 v29, v32, v31
	s_delay_alu instid0(VALU_DEP_2) | instskip(SKIP_1) | instid1(VALU_DEP_2)
	v_add_f32_e32 v25, v25, v28
	v_add_f32_e32 v28, v33, v30
	;; [unrolled: 1-line block ×3, first 2 shown]
	s_delay_alu instid0(VALU_DEP_2) | instskip(NEXT) | instid1(VALU_DEP_2)
	v_sub_f32_e32 v29, v28, v33
	v_add_f32_e32 v25, v34, v25
	s_delay_alu instid0(VALU_DEP_2) | instskip(NEXT) | instid1(VALU_DEP_2)
	v_sub_f32_e32 v29, v30, v29
	v_mul_f32_e32 v25, v27, v25
	s_delay_alu instid0(VALU_DEP_1) | instskip(NEXT) | instid1(VALU_DEP_1)
	v_add_f32_e32 v25, v29, v25
	v_add_f32_e32 v27, v28, v25
	s_delay_alu instid0(VALU_DEP_1) | instskip(SKIP_1) | instid1(VALU_DEP_1)
	v_mul_f32_e32 v29, v27, v27
	s_wait_alu 0xfffe
	v_fmaak_f32 v30, s15, v29, 0x3ecc95a3
	v_mul_f32_e32 v31, v27, v29
	v_cmp_neq_f32_e64 s15, 0x7f800000, v26
	s_delay_alu instid0(VALU_DEP_3) | instskip(SKIP_2) | instid1(VALU_DEP_3)
	v_fmaak_f32 v29, v29, v30, 0x3f2aaada
	v_ldexp_f32 v30, v27, 1
	v_sub_f32_e32 v27, v27, v28
	v_mul_f32_e32 v29, v31, v29
	v_mul_f32_e32 v31, 0x3f317218, v24
	s_delay_alu instid0(VALU_DEP_2) | instskip(NEXT) | instid1(VALU_DEP_1)
	v_dual_sub_f32 v25, v25, v27 :: v_dual_add_f32 v28, v30, v29
	v_ldexp_f32 v25, v25, 1
	s_delay_alu instid0(VALU_DEP_2) | instskip(NEXT) | instid1(VALU_DEP_4)
	v_sub_f32_e32 v27, v28, v30
	v_fma_f32 v30, 0x3f317218, v24, -v31
	s_delay_alu instid0(VALU_DEP_1) | instskip(NEXT) | instid1(VALU_DEP_1)
	v_dual_sub_f32 v27, v29, v27 :: v_dual_fmamk_f32 v24, v24, 0xb102e308, v30
	v_add_f32_e32 v25, v25, v27
	s_delay_alu instid0(VALU_DEP_2) | instskip(NEXT) | instid1(VALU_DEP_2)
	v_add_f32_e32 v27, v31, v24
	v_add_f32_e32 v29, v28, v25
	s_delay_alu instid0(VALU_DEP_2) | instskip(NEXT) | instid1(VALU_DEP_2)
	v_sub_f32_e32 v31, v27, v31
	v_add_f32_e32 v30, v27, v29
	v_sub_f32_e32 v28, v29, v28
	s_delay_alu instid0(VALU_DEP_3) | instskip(NEXT) | instid1(VALU_DEP_2)
	v_sub_f32_e32 v24, v24, v31
	v_dual_sub_f32 v32, v30, v27 :: v_dual_sub_f32 v25, v25, v28
	s_delay_alu instid0(VALU_DEP_1) | instskip(NEXT) | instid1(VALU_DEP_2)
	v_sub_f32_e32 v33, v30, v32
	v_dual_sub_f32 v28, v29, v32 :: v_dual_add_f32 v29, v24, v25
	s_delay_alu instid0(VALU_DEP_2) | instskip(NEXT) | instid1(VALU_DEP_1)
	v_sub_f32_e32 v27, v27, v33
	v_dual_add_f32 v27, v28, v27 :: v_dual_sub_f32 v28, v29, v24
	s_delay_alu instid0(VALU_DEP_1) | instskip(NEXT) | instid1(VALU_DEP_2)
	v_add_f32_e32 v27, v29, v27
	v_sub_f32_e32 v29, v29, v28
	v_sub_f32_e32 v25, v25, v28
	s_delay_alu instid0(VALU_DEP_2) | instskip(NEXT) | instid1(VALU_DEP_1)
	v_dual_add_f32 v31, v30, v27 :: v_dual_sub_f32 v24, v24, v29
	v_sub_f32_e32 v28, v31, v30
	s_delay_alu instid0(VALU_DEP_2) | instskip(NEXT) | instid1(VALU_DEP_2)
	v_add_f32_e32 v24, v25, v24
	v_sub_f32_e32 v25, v27, v28
	s_delay_alu instid0(VALU_DEP_1) | instskip(NEXT) | instid1(VALU_DEP_1)
	v_add_f32_e32 v24, v24, v25
	v_add_f32_e32 v24, v31, v24
	s_wait_alu 0xf1ff
	s_delay_alu instid0(VALU_DEP_1) | instskip(SKIP_2) | instid1(VALU_DEP_1)
	v_cndmask_b32_e64 v24, 0x7f800000, v24, s15
	v_cmp_gt_f32_e64 s15, 0x33800000, |v26|
	s_wait_alu 0xf1ff
	v_cndmask_b32_e64 v24, v24, v26, s15
	s_delay_alu instid0(VALU_DEP_1) | instskip(NEXT) | instid1(VALU_DEP_1)
	v_add_f32_e32 v23, v23, v24
	v_cvt_f16_f32_e32 v25, v23
.LBB421_246:
	s_or_b32 exec_lo, exec_lo, s20
	s_delay_alu instid0(VALU_DEP_1)
	v_dual_mov_b32 v23, v25 :: v_dual_and_b32 v24, 0xffff, v25
.LBB421_247:
	s_or_b32 exec_lo, exec_lo, s17
	s_delay_alu instid0(VALU_DEP_1)
	v_mov_b32_dpp v25, v24 row_shr:2 row_mask:0xf bank_mask:0xf
	s_mov_b32 s17, exec_lo
	v_cmpx_lt_u32_e32 1, v22
	s_cbranch_execz .LBB421_251
; %bb.248:
	s_delay_alu instid0(VALU_DEP_2) | instskip(SKIP_2) | instid1(VALU_DEP_2)
	v_cvt_f32_f16_e32 v24, v25
	v_cvt_f32_f16_e32 v26, v23
	v_cmp_u_f16_e64 s15, v25, v25
	v_min_num_f32_e32 v27, v24, v26
	v_max_num_f32_e32 v28, v24, v26
	s_wait_alu 0xf1ff
	s_delay_alu instid0(VALU_DEP_2) | instskip(NEXT) | instid1(VALU_DEP_2)
	v_cndmask_b32_e64 v27, v27, v24, s15
	v_cndmask_b32_e64 v28, v28, v24, s15
	v_cmp_u_f16_e64 s15, v23, v23
	s_wait_alu 0xf1ff
	s_delay_alu instid0(VALU_DEP_1) | instskip(NEXT) | instid1(VALU_DEP_3)
	v_cndmask_b32_e64 v24, v27, v26, s15
	v_cndmask_b32_e64 v23, v28, v26, s15
	s_delay_alu instid0(VALU_DEP_2) | instskip(NEXT) | instid1(VALU_DEP_2)
	v_cmp_class_f32_e64 s20, v24, 0x1f8
	v_cmp_neq_f32_e64 s15, v24, v23
	s_or_b32 s15, s15, s20
	s_wait_alu 0xfffe
	s_and_saveexec_b32 s20, s15
	s_cbranch_execz .LBB421_250
; %bb.249:
	v_sub_f32_e32 v24, v24, v23
	s_delay_alu instid0(VALU_DEP_1) | instskip(NEXT) | instid1(VALU_DEP_1)
	v_mul_f32_e32 v25, 0x3fb8aa3b, v24
	v_fma_f32 v26, 0x3fb8aa3b, v24, -v25
	v_rndne_f32_e32 v27, v25
	s_delay_alu instid0(VALU_DEP_1) | instskip(NEXT) | instid1(VALU_DEP_1)
	v_dual_fmamk_f32 v26, v24, 0x32a5705f, v26 :: v_dual_sub_f32 v25, v25, v27
	v_add_f32_e32 v25, v25, v26
	v_cvt_i32_f32_e32 v26, v27
	v_cmp_ngt_f32_e64 s15, 0xc2ce8ed0, v24
	s_delay_alu instid0(VALU_DEP_3) | instskip(NEXT) | instid1(TRANS32_DEP_1)
	v_exp_f32_e32 v25, v25
	v_ldexp_f32 v25, v25, v26
	s_wait_alu 0xf1ff
	s_delay_alu instid0(VALU_DEP_1) | instskip(SKIP_2) | instid1(VALU_DEP_1)
	v_cndmask_b32_e64 v25, 0, v25, s15
	v_cmp_nlt_f32_e64 s15, 0x42b17218, v24
	s_wait_alu 0xf1ff
	v_cndmask_b32_e64 v26, 0x7f800000, v25, s15
	s_delay_alu instid0(VALU_DEP_1) | instskip(NEXT) | instid1(VALU_DEP_1)
	v_add_f32_e32 v27, 1.0, v26
	v_cvt_f64_f32_e32 v[24:25], v27
	s_delay_alu instid0(VALU_DEP_1) | instskip(SKIP_1) | instid1(VALU_DEP_1)
	v_frexp_exp_i32_f64_e32 v24, v[24:25]
	v_frexp_mant_f32_e32 v25, v27
	v_cmp_gt_f32_e64 s15, 0x3f2aaaab, v25
	v_add_f32_e32 v25, -1.0, v27
	s_delay_alu instid0(VALU_DEP_1) | instskip(SKIP_1) | instid1(VALU_DEP_3)
	v_sub_f32_e32 v29, v25, v27
	s_wait_alu 0xf1ff
	v_subrev_co_ci_u32_e64 v24, null, 0, v24, s15
	s_mov_b32 s15, 0x3e9b6dac
	v_sub_nc_u32_e32 v28, 0, v24
	v_cvt_f32_i32_e32 v24, v24
	s_delay_alu instid0(VALU_DEP_2) | instskip(NEXT) | instid1(VALU_DEP_1)
	v_ldexp_f32 v27, v27, v28
	v_dual_sub_f32 v25, v26, v25 :: v_dual_add_f32 v30, 1.0, v27
	v_add_f32_e32 v29, 1.0, v29
	s_delay_alu instid0(VALU_DEP_1) | instskip(NEXT) | instid1(VALU_DEP_3)
	v_add_f32_e32 v25, v25, v29
	v_add_f32_e32 v29, -1.0, v30
	s_delay_alu instid0(VALU_DEP_2) | instskip(NEXT) | instid1(VALU_DEP_2)
	v_ldexp_f32 v25, v25, v28
	v_dual_add_f32 v28, -1.0, v27 :: v_dual_sub_f32 v29, v27, v29
	s_delay_alu instid0(VALU_DEP_1) | instskip(NEXT) | instid1(VALU_DEP_2)
	v_add_f32_e32 v31, 1.0, v28
	v_add_f32_e32 v29, v25, v29
	s_delay_alu instid0(VALU_DEP_2) | instskip(NEXT) | instid1(VALU_DEP_2)
	v_sub_f32_e32 v27, v27, v31
	v_add_f32_e32 v31, v30, v29
	s_delay_alu instid0(VALU_DEP_2) | instskip(NEXT) | instid1(VALU_DEP_2)
	v_add_f32_e32 v25, v25, v27
	v_rcp_f32_e32 v27, v31
	v_sub_f32_e32 v30, v30, v31
	s_delay_alu instid0(VALU_DEP_1) | instskip(NEXT) | instid1(VALU_DEP_1)
	v_dual_add_f32 v32, v28, v25 :: v_dual_add_f32 v29, v29, v30
	v_sub_f32_e32 v28, v28, v32
	s_delay_alu instid0(TRANS32_DEP_1) | instskip(NEXT) | instid1(VALU_DEP_1)
	v_mul_f32_e32 v33, v32, v27
	v_dual_add_f32 v25, v25, v28 :: v_dual_mul_f32 v34, v31, v33
	s_delay_alu instid0(VALU_DEP_1) | instskip(NEXT) | instid1(VALU_DEP_1)
	v_fma_f32 v30, v33, v31, -v34
	v_fmac_f32_e32 v30, v33, v29
	s_delay_alu instid0(VALU_DEP_1) | instskip(NEXT) | instid1(VALU_DEP_1)
	v_add_f32_e32 v35, v34, v30
	v_sub_f32_e32 v36, v32, v35
	v_sub_f32_e32 v28, v35, v34
	s_delay_alu instid0(VALU_DEP_2) | instskip(NEXT) | instid1(VALU_DEP_2)
	v_sub_f32_e32 v32, v32, v36
	v_sub_f32_e32 v28, v28, v30
	s_delay_alu instid0(VALU_DEP_2) | instskip(NEXT) | instid1(VALU_DEP_1)
	v_sub_f32_e32 v32, v32, v35
	v_add_f32_e32 v25, v25, v32
	s_delay_alu instid0(VALU_DEP_1) | instskip(NEXT) | instid1(VALU_DEP_1)
	v_add_f32_e32 v25, v28, v25
	v_add_f32_e32 v28, v36, v25
	s_delay_alu instid0(VALU_DEP_1) | instskip(NEXT) | instid1(VALU_DEP_1)
	v_mul_f32_e32 v30, v27, v28
	v_dual_sub_f32 v35, v36, v28 :: v_dual_mul_f32 v32, v31, v30
	s_delay_alu instid0(VALU_DEP_1) | instskip(NEXT) | instid1(VALU_DEP_2)
	v_add_f32_e32 v25, v25, v35
	v_fma_f32 v31, v30, v31, -v32
	s_delay_alu instid0(VALU_DEP_1) | instskip(NEXT) | instid1(VALU_DEP_1)
	v_fmac_f32_e32 v31, v30, v29
	v_add_f32_e32 v29, v32, v31
	s_delay_alu instid0(VALU_DEP_1) | instskip(SKIP_1) | instid1(VALU_DEP_2)
	v_sub_f32_e32 v34, v28, v29
	v_sub_f32_e32 v32, v29, v32
	;; [unrolled: 1-line block ×3, first 2 shown]
	s_delay_alu instid0(VALU_DEP_1) | instskip(NEXT) | instid1(VALU_DEP_3)
	v_sub_f32_e32 v28, v28, v29
	v_sub_f32_e32 v29, v32, v31
	s_delay_alu instid0(VALU_DEP_2) | instskip(SKIP_1) | instid1(VALU_DEP_2)
	v_add_f32_e32 v25, v25, v28
	v_add_f32_e32 v28, v33, v30
	;; [unrolled: 1-line block ×3, first 2 shown]
	s_delay_alu instid0(VALU_DEP_2) | instskip(NEXT) | instid1(VALU_DEP_2)
	v_sub_f32_e32 v29, v28, v33
	v_add_f32_e32 v25, v34, v25
	s_delay_alu instid0(VALU_DEP_2) | instskip(NEXT) | instid1(VALU_DEP_2)
	v_sub_f32_e32 v29, v30, v29
	v_mul_f32_e32 v25, v27, v25
	s_delay_alu instid0(VALU_DEP_1) | instskip(NEXT) | instid1(VALU_DEP_1)
	v_add_f32_e32 v25, v29, v25
	v_add_f32_e32 v27, v28, v25
	s_delay_alu instid0(VALU_DEP_1) | instskip(SKIP_1) | instid1(VALU_DEP_1)
	v_mul_f32_e32 v29, v27, v27
	s_wait_alu 0xfffe
	v_fmaak_f32 v30, s15, v29, 0x3ecc95a3
	v_mul_f32_e32 v31, v27, v29
	v_cmp_neq_f32_e64 s15, 0x7f800000, v26
	s_delay_alu instid0(VALU_DEP_3) | instskip(SKIP_2) | instid1(VALU_DEP_3)
	v_fmaak_f32 v29, v29, v30, 0x3f2aaada
	v_ldexp_f32 v30, v27, 1
	v_sub_f32_e32 v27, v27, v28
	v_mul_f32_e32 v29, v31, v29
	v_mul_f32_e32 v31, 0x3f317218, v24
	s_delay_alu instid0(VALU_DEP_2) | instskip(NEXT) | instid1(VALU_DEP_1)
	v_dual_sub_f32 v25, v25, v27 :: v_dual_add_f32 v28, v30, v29
	v_ldexp_f32 v25, v25, 1
	s_delay_alu instid0(VALU_DEP_2) | instskip(NEXT) | instid1(VALU_DEP_4)
	v_sub_f32_e32 v27, v28, v30
	v_fma_f32 v30, 0x3f317218, v24, -v31
	s_delay_alu instid0(VALU_DEP_1) | instskip(NEXT) | instid1(VALU_DEP_1)
	v_dual_sub_f32 v27, v29, v27 :: v_dual_fmamk_f32 v24, v24, 0xb102e308, v30
	v_add_f32_e32 v25, v25, v27
	s_delay_alu instid0(VALU_DEP_2) | instskip(NEXT) | instid1(VALU_DEP_2)
	v_add_f32_e32 v27, v31, v24
	v_add_f32_e32 v29, v28, v25
	s_delay_alu instid0(VALU_DEP_2) | instskip(NEXT) | instid1(VALU_DEP_2)
	v_sub_f32_e32 v31, v27, v31
	v_add_f32_e32 v30, v27, v29
	v_sub_f32_e32 v28, v29, v28
	s_delay_alu instid0(VALU_DEP_3) | instskip(NEXT) | instid1(VALU_DEP_2)
	v_sub_f32_e32 v24, v24, v31
	v_dual_sub_f32 v32, v30, v27 :: v_dual_sub_f32 v25, v25, v28
	s_delay_alu instid0(VALU_DEP_1) | instskip(NEXT) | instid1(VALU_DEP_2)
	v_sub_f32_e32 v33, v30, v32
	v_dual_sub_f32 v28, v29, v32 :: v_dual_add_f32 v29, v24, v25
	s_delay_alu instid0(VALU_DEP_2) | instskip(NEXT) | instid1(VALU_DEP_1)
	v_sub_f32_e32 v27, v27, v33
	v_dual_add_f32 v27, v28, v27 :: v_dual_sub_f32 v28, v29, v24
	s_delay_alu instid0(VALU_DEP_1) | instskip(NEXT) | instid1(VALU_DEP_2)
	v_add_f32_e32 v27, v29, v27
	v_sub_f32_e32 v29, v29, v28
	v_sub_f32_e32 v25, v25, v28
	s_delay_alu instid0(VALU_DEP_2) | instskip(NEXT) | instid1(VALU_DEP_1)
	v_dual_add_f32 v31, v30, v27 :: v_dual_sub_f32 v24, v24, v29
	v_sub_f32_e32 v28, v31, v30
	s_delay_alu instid0(VALU_DEP_2) | instskip(NEXT) | instid1(VALU_DEP_2)
	v_add_f32_e32 v24, v25, v24
	v_sub_f32_e32 v25, v27, v28
	s_delay_alu instid0(VALU_DEP_1) | instskip(NEXT) | instid1(VALU_DEP_1)
	v_add_f32_e32 v24, v24, v25
	v_add_f32_e32 v24, v31, v24
	s_wait_alu 0xf1ff
	s_delay_alu instid0(VALU_DEP_1) | instskip(SKIP_2) | instid1(VALU_DEP_1)
	v_cndmask_b32_e64 v24, 0x7f800000, v24, s15
	v_cmp_gt_f32_e64 s15, 0x33800000, |v26|
	s_wait_alu 0xf1ff
	v_cndmask_b32_e64 v24, v24, v26, s15
	s_delay_alu instid0(VALU_DEP_1) | instskip(NEXT) | instid1(VALU_DEP_1)
	v_add_f32_e32 v23, v23, v24
	v_cvt_f16_f32_e32 v25, v23
.LBB421_250:
	s_or_b32 exec_lo, exec_lo, s20
	s_delay_alu instid0(VALU_DEP_1)
	v_dual_mov_b32 v23, v25 :: v_dual_and_b32 v24, 0xffff, v25
.LBB421_251:
	s_or_b32 exec_lo, exec_lo, s17
	s_delay_alu instid0(VALU_DEP_1)
	v_mov_b32_dpp v25, v24 row_shr:4 row_mask:0xf bank_mask:0xf
	s_mov_b32 s17, exec_lo
	v_cmpx_lt_u32_e32 3, v22
	s_cbranch_execz .LBB421_255
; %bb.252:
	s_delay_alu instid0(VALU_DEP_2) | instskip(SKIP_2) | instid1(VALU_DEP_2)
	v_cvt_f32_f16_e32 v24, v25
	v_cvt_f32_f16_e32 v26, v23
	v_cmp_u_f16_e64 s15, v25, v25
	v_min_num_f32_e32 v27, v24, v26
	v_max_num_f32_e32 v28, v24, v26
	s_wait_alu 0xf1ff
	s_delay_alu instid0(VALU_DEP_2) | instskip(NEXT) | instid1(VALU_DEP_2)
	v_cndmask_b32_e64 v27, v27, v24, s15
	v_cndmask_b32_e64 v28, v28, v24, s15
	v_cmp_u_f16_e64 s15, v23, v23
	s_wait_alu 0xf1ff
	s_delay_alu instid0(VALU_DEP_1) | instskip(NEXT) | instid1(VALU_DEP_3)
	v_cndmask_b32_e64 v24, v27, v26, s15
	v_cndmask_b32_e64 v23, v28, v26, s15
	s_delay_alu instid0(VALU_DEP_2) | instskip(NEXT) | instid1(VALU_DEP_2)
	v_cmp_class_f32_e64 s20, v24, 0x1f8
	v_cmp_neq_f32_e64 s15, v24, v23
	s_or_b32 s15, s15, s20
	s_wait_alu 0xfffe
	s_and_saveexec_b32 s20, s15
	s_cbranch_execz .LBB421_254
; %bb.253:
	v_sub_f32_e32 v24, v24, v23
	s_delay_alu instid0(VALU_DEP_1) | instskip(NEXT) | instid1(VALU_DEP_1)
	v_mul_f32_e32 v25, 0x3fb8aa3b, v24
	v_fma_f32 v26, 0x3fb8aa3b, v24, -v25
	v_rndne_f32_e32 v27, v25
	s_delay_alu instid0(VALU_DEP_1) | instskip(NEXT) | instid1(VALU_DEP_1)
	v_dual_fmamk_f32 v26, v24, 0x32a5705f, v26 :: v_dual_sub_f32 v25, v25, v27
	v_add_f32_e32 v25, v25, v26
	v_cvt_i32_f32_e32 v26, v27
	v_cmp_ngt_f32_e64 s15, 0xc2ce8ed0, v24
	s_delay_alu instid0(VALU_DEP_3) | instskip(NEXT) | instid1(TRANS32_DEP_1)
	v_exp_f32_e32 v25, v25
	v_ldexp_f32 v25, v25, v26
	s_wait_alu 0xf1ff
	s_delay_alu instid0(VALU_DEP_1) | instskip(SKIP_2) | instid1(VALU_DEP_1)
	v_cndmask_b32_e64 v25, 0, v25, s15
	v_cmp_nlt_f32_e64 s15, 0x42b17218, v24
	s_wait_alu 0xf1ff
	v_cndmask_b32_e64 v26, 0x7f800000, v25, s15
	s_delay_alu instid0(VALU_DEP_1) | instskip(NEXT) | instid1(VALU_DEP_1)
	v_add_f32_e32 v27, 1.0, v26
	v_cvt_f64_f32_e32 v[24:25], v27
	s_delay_alu instid0(VALU_DEP_1) | instskip(SKIP_1) | instid1(VALU_DEP_1)
	v_frexp_exp_i32_f64_e32 v24, v[24:25]
	v_frexp_mant_f32_e32 v25, v27
	v_cmp_gt_f32_e64 s15, 0x3f2aaaab, v25
	v_add_f32_e32 v25, -1.0, v27
	s_delay_alu instid0(VALU_DEP_1) | instskip(SKIP_1) | instid1(VALU_DEP_3)
	v_sub_f32_e32 v29, v25, v27
	s_wait_alu 0xf1ff
	v_subrev_co_ci_u32_e64 v24, null, 0, v24, s15
	s_mov_b32 s15, 0x3e9b6dac
	v_sub_nc_u32_e32 v28, 0, v24
	v_cvt_f32_i32_e32 v24, v24
	s_delay_alu instid0(VALU_DEP_2) | instskip(NEXT) | instid1(VALU_DEP_1)
	v_ldexp_f32 v27, v27, v28
	v_dual_sub_f32 v25, v26, v25 :: v_dual_add_f32 v30, 1.0, v27
	v_add_f32_e32 v29, 1.0, v29
	s_delay_alu instid0(VALU_DEP_1) | instskip(NEXT) | instid1(VALU_DEP_3)
	v_add_f32_e32 v25, v25, v29
	v_add_f32_e32 v29, -1.0, v30
	s_delay_alu instid0(VALU_DEP_2) | instskip(NEXT) | instid1(VALU_DEP_2)
	v_ldexp_f32 v25, v25, v28
	v_dual_add_f32 v28, -1.0, v27 :: v_dual_sub_f32 v29, v27, v29
	s_delay_alu instid0(VALU_DEP_1) | instskip(NEXT) | instid1(VALU_DEP_2)
	v_add_f32_e32 v31, 1.0, v28
	v_add_f32_e32 v29, v25, v29
	s_delay_alu instid0(VALU_DEP_2) | instskip(NEXT) | instid1(VALU_DEP_2)
	v_sub_f32_e32 v27, v27, v31
	v_add_f32_e32 v31, v30, v29
	s_delay_alu instid0(VALU_DEP_2) | instskip(NEXT) | instid1(VALU_DEP_2)
	v_add_f32_e32 v25, v25, v27
	v_rcp_f32_e32 v27, v31
	v_sub_f32_e32 v30, v30, v31
	s_delay_alu instid0(VALU_DEP_1) | instskip(NEXT) | instid1(VALU_DEP_1)
	v_dual_add_f32 v32, v28, v25 :: v_dual_add_f32 v29, v29, v30
	v_sub_f32_e32 v28, v28, v32
	s_delay_alu instid0(TRANS32_DEP_1) | instskip(NEXT) | instid1(VALU_DEP_1)
	v_mul_f32_e32 v33, v32, v27
	v_dual_add_f32 v25, v25, v28 :: v_dual_mul_f32 v34, v31, v33
	s_delay_alu instid0(VALU_DEP_1) | instskip(NEXT) | instid1(VALU_DEP_1)
	v_fma_f32 v30, v33, v31, -v34
	v_fmac_f32_e32 v30, v33, v29
	s_delay_alu instid0(VALU_DEP_1) | instskip(NEXT) | instid1(VALU_DEP_1)
	v_add_f32_e32 v35, v34, v30
	v_sub_f32_e32 v36, v32, v35
	v_sub_f32_e32 v28, v35, v34
	s_delay_alu instid0(VALU_DEP_2) | instskip(NEXT) | instid1(VALU_DEP_2)
	v_sub_f32_e32 v32, v32, v36
	v_sub_f32_e32 v28, v28, v30
	s_delay_alu instid0(VALU_DEP_2) | instskip(NEXT) | instid1(VALU_DEP_1)
	v_sub_f32_e32 v32, v32, v35
	v_add_f32_e32 v25, v25, v32
	s_delay_alu instid0(VALU_DEP_1) | instskip(NEXT) | instid1(VALU_DEP_1)
	v_add_f32_e32 v25, v28, v25
	v_add_f32_e32 v28, v36, v25
	s_delay_alu instid0(VALU_DEP_1) | instskip(NEXT) | instid1(VALU_DEP_1)
	v_mul_f32_e32 v30, v27, v28
	v_dual_sub_f32 v35, v36, v28 :: v_dual_mul_f32 v32, v31, v30
	s_delay_alu instid0(VALU_DEP_1) | instskip(NEXT) | instid1(VALU_DEP_2)
	v_add_f32_e32 v25, v25, v35
	v_fma_f32 v31, v30, v31, -v32
	s_delay_alu instid0(VALU_DEP_1) | instskip(NEXT) | instid1(VALU_DEP_1)
	v_fmac_f32_e32 v31, v30, v29
	v_add_f32_e32 v29, v32, v31
	s_delay_alu instid0(VALU_DEP_1) | instskip(SKIP_1) | instid1(VALU_DEP_2)
	v_sub_f32_e32 v34, v28, v29
	v_sub_f32_e32 v32, v29, v32
	;; [unrolled: 1-line block ×3, first 2 shown]
	s_delay_alu instid0(VALU_DEP_1) | instskip(NEXT) | instid1(VALU_DEP_3)
	v_sub_f32_e32 v28, v28, v29
	v_sub_f32_e32 v29, v32, v31
	s_delay_alu instid0(VALU_DEP_2) | instskip(SKIP_1) | instid1(VALU_DEP_2)
	v_add_f32_e32 v25, v25, v28
	v_add_f32_e32 v28, v33, v30
	;; [unrolled: 1-line block ×3, first 2 shown]
	s_delay_alu instid0(VALU_DEP_2) | instskip(NEXT) | instid1(VALU_DEP_2)
	v_sub_f32_e32 v29, v28, v33
	v_add_f32_e32 v25, v34, v25
	s_delay_alu instid0(VALU_DEP_2) | instskip(NEXT) | instid1(VALU_DEP_2)
	v_sub_f32_e32 v29, v30, v29
	v_mul_f32_e32 v25, v27, v25
	s_delay_alu instid0(VALU_DEP_1) | instskip(NEXT) | instid1(VALU_DEP_1)
	v_add_f32_e32 v25, v29, v25
	v_add_f32_e32 v27, v28, v25
	s_delay_alu instid0(VALU_DEP_1) | instskip(SKIP_1) | instid1(VALU_DEP_1)
	v_mul_f32_e32 v29, v27, v27
	s_wait_alu 0xfffe
	v_fmaak_f32 v30, s15, v29, 0x3ecc95a3
	v_mul_f32_e32 v31, v27, v29
	v_cmp_neq_f32_e64 s15, 0x7f800000, v26
	s_delay_alu instid0(VALU_DEP_3) | instskip(SKIP_2) | instid1(VALU_DEP_3)
	v_fmaak_f32 v29, v29, v30, 0x3f2aaada
	v_ldexp_f32 v30, v27, 1
	v_sub_f32_e32 v27, v27, v28
	v_mul_f32_e32 v29, v31, v29
	v_mul_f32_e32 v31, 0x3f317218, v24
	s_delay_alu instid0(VALU_DEP_2) | instskip(NEXT) | instid1(VALU_DEP_1)
	v_dual_sub_f32 v25, v25, v27 :: v_dual_add_f32 v28, v30, v29
	v_ldexp_f32 v25, v25, 1
	s_delay_alu instid0(VALU_DEP_2) | instskip(NEXT) | instid1(VALU_DEP_4)
	v_sub_f32_e32 v27, v28, v30
	v_fma_f32 v30, 0x3f317218, v24, -v31
	s_delay_alu instid0(VALU_DEP_1) | instskip(NEXT) | instid1(VALU_DEP_1)
	v_dual_sub_f32 v27, v29, v27 :: v_dual_fmamk_f32 v24, v24, 0xb102e308, v30
	v_add_f32_e32 v25, v25, v27
	s_delay_alu instid0(VALU_DEP_2) | instskip(NEXT) | instid1(VALU_DEP_2)
	v_add_f32_e32 v27, v31, v24
	v_add_f32_e32 v29, v28, v25
	s_delay_alu instid0(VALU_DEP_2) | instskip(NEXT) | instid1(VALU_DEP_2)
	v_sub_f32_e32 v31, v27, v31
	v_add_f32_e32 v30, v27, v29
	v_sub_f32_e32 v28, v29, v28
	s_delay_alu instid0(VALU_DEP_3) | instskip(NEXT) | instid1(VALU_DEP_2)
	v_sub_f32_e32 v24, v24, v31
	v_dual_sub_f32 v32, v30, v27 :: v_dual_sub_f32 v25, v25, v28
	s_delay_alu instid0(VALU_DEP_1) | instskip(NEXT) | instid1(VALU_DEP_2)
	v_sub_f32_e32 v33, v30, v32
	v_dual_sub_f32 v28, v29, v32 :: v_dual_add_f32 v29, v24, v25
	s_delay_alu instid0(VALU_DEP_2) | instskip(NEXT) | instid1(VALU_DEP_1)
	v_sub_f32_e32 v27, v27, v33
	v_dual_add_f32 v27, v28, v27 :: v_dual_sub_f32 v28, v29, v24
	s_delay_alu instid0(VALU_DEP_1) | instskip(NEXT) | instid1(VALU_DEP_2)
	v_add_f32_e32 v27, v29, v27
	v_sub_f32_e32 v29, v29, v28
	v_sub_f32_e32 v25, v25, v28
	s_delay_alu instid0(VALU_DEP_2) | instskip(NEXT) | instid1(VALU_DEP_1)
	v_dual_add_f32 v31, v30, v27 :: v_dual_sub_f32 v24, v24, v29
	v_sub_f32_e32 v28, v31, v30
	s_delay_alu instid0(VALU_DEP_2) | instskip(NEXT) | instid1(VALU_DEP_2)
	v_add_f32_e32 v24, v25, v24
	v_sub_f32_e32 v25, v27, v28
	s_delay_alu instid0(VALU_DEP_1) | instskip(NEXT) | instid1(VALU_DEP_1)
	v_add_f32_e32 v24, v24, v25
	v_add_f32_e32 v24, v31, v24
	s_wait_alu 0xf1ff
	s_delay_alu instid0(VALU_DEP_1) | instskip(SKIP_2) | instid1(VALU_DEP_1)
	v_cndmask_b32_e64 v24, 0x7f800000, v24, s15
	v_cmp_gt_f32_e64 s15, 0x33800000, |v26|
	s_wait_alu 0xf1ff
	v_cndmask_b32_e64 v24, v24, v26, s15
	s_delay_alu instid0(VALU_DEP_1) | instskip(NEXT) | instid1(VALU_DEP_1)
	v_add_f32_e32 v23, v23, v24
	v_cvt_f16_f32_e32 v25, v23
.LBB421_254:
	s_or_b32 exec_lo, exec_lo, s20
	s_delay_alu instid0(VALU_DEP_1)
	v_dual_mov_b32 v23, v25 :: v_dual_and_b32 v24, 0xffff, v25
.LBB421_255:
	s_or_b32 exec_lo, exec_lo, s17
	s_delay_alu instid0(VALU_DEP_1)
	v_mov_b32_dpp v25, v24 row_shr:8 row_mask:0xf bank_mask:0xf
	s_mov_b32 s17, exec_lo
	v_cmpx_lt_u32_e32 7, v22
	s_cbranch_execz .LBB421_259
; %bb.256:
	s_delay_alu instid0(VALU_DEP_2) | instskip(SKIP_2) | instid1(VALU_DEP_2)
	v_cvt_f32_f16_e32 v22, v25
	v_cvt_f32_f16_e32 v24, v23
	v_cmp_u_f16_e64 s15, v25, v25
	v_min_num_f32_e32 v26, v22, v24
	v_max_num_f32_e32 v27, v22, v24
	s_wait_alu 0xf1ff
	s_delay_alu instid0(VALU_DEP_2) | instskip(NEXT) | instid1(VALU_DEP_2)
	v_cndmask_b32_e64 v26, v26, v22, s15
	v_cndmask_b32_e64 v22, v27, v22, s15
	v_cmp_u_f16_e64 s15, v23, v23
	s_wait_alu 0xf1ff
	s_delay_alu instid0(VALU_DEP_1) | instskip(NEXT) | instid1(VALU_DEP_3)
	v_cndmask_b32_e64 v23, v26, v24, s15
	v_cndmask_b32_e64 v22, v22, v24, s15
	s_delay_alu instid0(VALU_DEP_2) | instskip(NEXT) | instid1(VALU_DEP_2)
	v_cmp_class_f32_e64 s20, v23, 0x1f8
	v_cmp_neq_f32_e64 s15, v23, v22
	s_or_b32 s15, s15, s20
	s_wait_alu 0xfffe
	s_and_saveexec_b32 s20, s15
	s_cbranch_execz .LBB421_258
; %bb.257:
	v_sub_f32_e32 v23, v23, v22
	s_delay_alu instid0(VALU_DEP_1) | instskip(NEXT) | instid1(VALU_DEP_1)
	v_mul_f32_e32 v24, 0x3fb8aa3b, v23
	v_fma_f32 v25, 0x3fb8aa3b, v23, -v24
	v_rndne_f32_e32 v26, v24
	s_delay_alu instid0(VALU_DEP_1) | instskip(NEXT) | instid1(VALU_DEP_1)
	v_dual_fmamk_f32 v25, v23, 0x32a5705f, v25 :: v_dual_sub_f32 v24, v24, v26
	v_add_f32_e32 v24, v24, v25
	v_cvt_i32_f32_e32 v25, v26
	v_cmp_ngt_f32_e64 s15, 0xc2ce8ed0, v23
	s_delay_alu instid0(VALU_DEP_3) | instskip(NEXT) | instid1(TRANS32_DEP_1)
	v_exp_f32_e32 v24, v24
	v_ldexp_f32 v24, v24, v25
	s_wait_alu 0xf1ff
	s_delay_alu instid0(VALU_DEP_1) | instskip(SKIP_2) | instid1(VALU_DEP_1)
	v_cndmask_b32_e64 v24, 0, v24, s15
	v_cmp_nlt_f32_e64 s15, 0x42b17218, v23
	s_wait_alu 0xf1ff
	v_cndmask_b32_e64 v25, 0x7f800000, v24, s15
	s_delay_alu instid0(VALU_DEP_1) | instskip(NEXT) | instid1(VALU_DEP_1)
	v_add_f32_e32 v26, 1.0, v25
	v_cvt_f64_f32_e32 v[23:24], v26
	s_delay_alu instid0(VALU_DEP_1) | instskip(SKIP_1) | instid1(VALU_DEP_1)
	v_frexp_exp_i32_f64_e32 v23, v[23:24]
	v_frexp_mant_f32_e32 v24, v26
	v_cmp_gt_f32_e64 s15, 0x3f2aaaab, v24
	v_add_f32_e32 v24, -1.0, v26
	s_delay_alu instid0(VALU_DEP_1) | instskip(SKIP_1) | instid1(VALU_DEP_3)
	v_sub_f32_e32 v28, v24, v26
	s_wait_alu 0xf1ff
	v_subrev_co_ci_u32_e64 v23, null, 0, v23, s15
	s_mov_b32 s15, 0x3e9b6dac
	v_sub_nc_u32_e32 v27, 0, v23
	v_cvt_f32_i32_e32 v23, v23
	s_delay_alu instid0(VALU_DEP_2) | instskip(NEXT) | instid1(VALU_DEP_1)
	v_ldexp_f32 v26, v26, v27
	v_dual_sub_f32 v24, v25, v24 :: v_dual_add_f32 v29, 1.0, v26
	v_add_f32_e32 v28, 1.0, v28
	s_delay_alu instid0(VALU_DEP_1) | instskip(NEXT) | instid1(VALU_DEP_3)
	v_add_f32_e32 v24, v24, v28
	v_add_f32_e32 v28, -1.0, v29
	s_delay_alu instid0(VALU_DEP_2) | instskip(NEXT) | instid1(VALU_DEP_2)
	v_ldexp_f32 v24, v24, v27
	v_dual_add_f32 v27, -1.0, v26 :: v_dual_sub_f32 v28, v26, v28
	s_delay_alu instid0(VALU_DEP_1) | instskip(NEXT) | instid1(VALU_DEP_2)
	v_add_f32_e32 v30, 1.0, v27
	v_add_f32_e32 v28, v24, v28
	s_delay_alu instid0(VALU_DEP_2) | instskip(NEXT) | instid1(VALU_DEP_2)
	v_sub_f32_e32 v26, v26, v30
	v_add_f32_e32 v30, v29, v28
	s_delay_alu instid0(VALU_DEP_2) | instskip(NEXT) | instid1(VALU_DEP_2)
	v_add_f32_e32 v24, v24, v26
	v_rcp_f32_e32 v26, v30
	v_sub_f32_e32 v29, v29, v30
	s_delay_alu instid0(VALU_DEP_1) | instskip(NEXT) | instid1(VALU_DEP_1)
	v_dual_add_f32 v31, v27, v24 :: v_dual_add_f32 v28, v28, v29
	v_sub_f32_e32 v27, v27, v31
	s_delay_alu instid0(TRANS32_DEP_1) | instskip(NEXT) | instid1(VALU_DEP_1)
	v_mul_f32_e32 v32, v31, v26
	v_dual_add_f32 v24, v24, v27 :: v_dual_mul_f32 v33, v30, v32
	s_delay_alu instid0(VALU_DEP_1) | instskip(NEXT) | instid1(VALU_DEP_1)
	v_fma_f32 v29, v32, v30, -v33
	v_fmac_f32_e32 v29, v32, v28
	s_delay_alu instid0(VALU_DEP_1) | instskip(NEXT) | instid1(VALU_DEP_1)
	v_add_f32_e32 v34, v33, v29
	v_sub_f32_e32 v35, v31, v34
	v_sub_f32_e32 v27, v34, v33
	s_delay_alu instid0(VALU_DEP_2) | instskip(NEXT) | instid1(VALU_DEP_2)
	v_sub_f32_e32 v31, v31, v35
	v_sub_f32_e32 v27, v27, v29
	s_delay_alu instid0(VALU_DEP_2) | instskip(NEXT) | instid1(VALU_DEP_1)
	v_sub_f32_e32 v31, v31, v34
	v_add_f32_e32 v24, v24, v31
	s_delay_alu instid0(VALU_DEP_1) | instskip(NEXT) | instid1(VALU_DEP_1)
	v_add_f32_e32 v24, v27, v24
	v_add_f32_e32 v27, v35, v24
	s_delay_alu instid0(VALU_DEP_1) | instskip(NEXT) | instid1(VALU_DEP_1)
	v_mul_f32_e32 v29, v26, v27
	v_dual_sub_f32 v34, v35, v27 :: v_dual_mul_f32 v31, v30, v29
	s_delay_alu instid0(VALU_DEP_1) | instskip(NEXT) | instid1(VALU_DEP_2)
	v_add_f32_e32 v24, v24, v34
	v_fma_f32 v30, v29, v30, -v31
	s_delay_alu instid0(VALU_DEP_1) | instskip(NEXT) | instid1(VALU_DEP_1)
	v_fmac_f32_e32 v30, v29, v28
	v_add_f32_e32 v28, v31, v30
	s_delay_alu instid0(VALU_DEP_1) | instskip(SKIP_1) | instid1(VALU_DEP_2)
	v_sub_f32_e32 v33, v27, v28
	v_sub_f32_e32 v31, v28, v31
	;; [unrolled: 1-line block ×3, first 2 shown]
	s_delay_alu instid0(VALU_DEP_1) | instskip(NEXT) | instid1(VALU_DEP_3)
	v_sub_f32_e32 v27, v27, v28
	v_sub_f32_e32 v28, v31, v30
	s_delay_alu instid0(VALU_DEP_2) | instskip(SKIP_1) | instid1(VALU_DEP_2)
	v_add_f32_e32 v24, v24, v27
	v_add_f32_e32 v27, v32, v29
	;; [unrolled: 1-line block ×3, first 2 shown]
	s_delay_alu instid0(VALU_DEP_2) | instskip(NEXT) | instid1(VALU_DEP_2)
	v_sub_f32_e32 v28, v27, v32
	v_add_f32_e32 v24, v33, v24
	s_delay_alu instid0(VALU_DEP_2) | instskip(NEXT) | instid1(VALU_DEP_2)
	v_sub_f32_e32 v28, v29, v28
	v_mul_f32_e32 v24, v26, v24
	s_delay_alu instid0(VALU_DEP_1) | instskip(NEXT) | instid1(VALU_DEP_1)
	v_add_f32_e32 v24, v28, v24
	v_add_f32_e32 v26, v27, v24
	s_delay_alu instid0(VALU_DEP_1) | instskip(SKIP_1) | instid1(VALU_DEP_1)
	v_mul_f32_e32 v28, v26, v26
	s_wait_alu 0xfffe
	v_fmaak_f32 v29, s15, v28, 0x3ecc95a3
	v_mul_f32_e32 v30, v26, v28
	v_cmp_neq_f32_e64 s15, 0x7f800000, v25
	s_delay_alu instid0(VALU_DEP_3) | instskip(SKIP_2) | instid1(VALU_DEP_3)
	v_fmaak_f32 v28, v28, v29, 0x3f2aaada
	v_ldexp_f32 v29, v26, 1
	v_sub_f32_e32 v26, v26, v27
	v_mul_f32_e32 v28, v30, v28
	v_mul_f32_e32 v30, 0x3f317218, v23
	s_delay_alu instid0(VALU_DEP_2) | instskip(NEXT) | instid1(VALU_DEP_1)
	v_dual_sub_f32 v24, v24, v26 :: v_dual_add_f32 v27, v29, v28
	v_ldexp_f32 v24, v24, 1
	s_delay_alu instid0(VALU_DEP_2) | instskip(NEXT) | instid1(VALU_DEP_4)
	v_sub_f32_e32 v26, v27, v29
	v_fma_f32 v29, 0x3f317218, v23, -v30
	s_delay_alu instid0(VALU_DEP_1) | instskip(NEXT) | instid1(VALU_DEP_1)
	v_dual_sub_f32 v26, v28, v26 :: v_dual_fmamk_f32 v23, v23, 0xb102e308, v29
	v_add_f32_e32 v24, v24, v26
	s_delay_alu instid0(VALU_DEP_2) | instskip(NEXT) | instid1(VALU_DEP_2)
	v_add_f32_e32 v26, v30, v23
	v_add_f32_e32 v28, v27, v24
	s_delay_alu instid0(VALU_DEP_2) | instskip(NEXT) | instid1(VALU_DEP_2)
	v_sub_f32_e32 v30, v26, v30
	v_add_f32_e32 v29, v26, v28
	v_sub_f32_e32 v27, v28, v27
	s_delay_alu instid0(VALU_DEP_3) | instskip(NEXT) | instid1(VALU_DEP_2)
	v_sub_f32_e32 v23, v23, v30
	v_dual_sub_f32 v31, v29, v26 :: v_dual_sub_f32 v24, v24, v27
	s_delay_alu instid0(VALU_DEP_1) | instskip(NEXT) | instid1(VALU_DEP_2)
	v_sub_f32_e32 v32, v29, v31
	v_dual_sub_f32 v27, v28, v31 :: v_dual_add_f32 v28, v23, v24
	s_delay_alu instid0(VALU_DEP_2) | instskip(NEXT) | instid1(VALU_DEP_1)
	v_sub_f32_e32 v26, v26, v32
	v_dual_add_f32 v26, v27, v26 :: v_dual_sub_f32 v27, v28, v23
	s_delay_alu instid0(VALU_DEP_1) | instskip(NEXT) | instid1(VALU_DEP_2)
	v_add_f32_e32 v26, v28, v26
	v_sub_f32_e32 v28, v28, v27
	v_sub_f32_e32 v24, v24, v27
	s_delay_alu instid0(VALU_DEP_2) | instskip(NEXT) | instid1(VALU_DEP_1)
	v_dual_add_f32 v30, v29, v26 :: v_dual_sub_f32 v23, v23, v28
	v_sub_f32_e32 v27, v30, v29
	s_delay_alu instid0(VALU_DEP_2) | instskip(NEXT) | instid1(VALU_DEP_2)
	v_add_f32_e32 v23, v24, v23
	v_sub_f32_e32 v24, v26, v27
	s_delay_alu instid0(VALU_DEP_1) | instskip(NEXT) | instid1(VALU_DEP_1)
	v_add_f32_e32 v23, v23, v24
	v_add_f32_e32 v23, v30, v23
	s_wait_alu 0xf1ff
	s_delay_alu instid0(VALU_DEP_1) | instskip(SKIP_2) | instid1(VALU_DEP_1)
	v_cndmask_b32_e64 v23, 0x7f800000, v23, s15
	v_cmp_gt_f32_e64 s15, 0x33800000, |v25|
	s_wait_alu 0xf1ff
	v_cndmask_b32_e64 v23, v23, v25, s15
	s_delay_alu instid0(VALU_DEP_1) | instskip(NEXT) | instid1(VALU_DEP_1)
	v_add_f32_e32 v22, v22, v23
	v_cvt_f16_f32_e32 v25, v22
.LBB421_258:
	s_or_b32 exec_lo, exec_lo, s20
	s_delay_alu instid0(VALU_DEP_1)
	v_dual_mov_b32 v23, v25 :: v_dual_and_b32 v24, 0xffff, v25
.LBB421_259:
	s_or_b32 exec_lo, exec_lo, s17
	ds_swizzle_b32 v24, v24 offset:swizzle(BROADCAST,32,15)
	v_and_b32_e32 v22, 16, v18
	s_mov_b32 s17, exec_lo
	s_delay_alu instid0(VALU_DEP_1)
	v_cmpx_ne_u32_e32 0, v22
	s_cbranch_execz .LBB421_263
; %bb.260:
	s_wait_dscnt 0x0
	v_cvt_f32_f16_e32 v22, v24
	v_cvt_f32_f16_e32 v25, v23
	v_cmp_u_f16_e64 s15, v24, v24
	s_delay_alu instid0(VALU_DEP_2) | instskip(SKIP_2) | instid1(VALU_DEP_2)
	v_min_num_f32_e32 v26, v22, v25
	v_max_num_f32_e32 v27, v22, v25
	s_wait_alu 0xf1ff
	v_cndmask_b32_e64 v26, v26, v22, s15
	s_delay_alu instid0(VALU_DEP_2) | instskip(SKIP_2) | instid1(VALU_DEP_1)
	v_cndmask_b32_e64 v22, v27, v22, s15
	v_cmp_u_f16_e64 s15, v23, v23
	s_wait_alu 0xf1ff
	v_cndmask_b32_e64 v23, v26, v25, s15
	s_delay_alu instid0(VALU_DEP_3) | instskip(NEXT) | instid1(VALU_DEP_2)
	v_cndmask_b32_e64 v22, v22, v25, s15
	v_cmp_class_f32_e64 s20, v23, 0x1f8
	s_delay_alu instid0(VALU_DEP_2)
	v_cmp_neq_f32_e64 s15, v23, v22
	s_or_b32 s15, s15, s20
	s_wait_alu 0xfffe
	s_and_saveexec_b32 s20, s15
	s_cbranch_execz .LBB421_262
; %bb.261:
	v_sub_f32_e32 v23, v23, v22
	s_delay_alu instid0(VALU_DEP_1) | instskip(NEXT) | instid1(VALU_DEP_1)
	v_mul_f32_e32 v24, 0x3fb8aa3b, v23
	v_fma_f32 v25, 0x3fb8aa3b, v23, -v24
	v_rndne_f32_e32 v26, v24
	s_delay_alu instid0(VALU_DEP_1) | instskip(NEXT) | instid1(VALU_DEP_1)
	v_dual_fmamk_f32 v25, v23, 0x32a5705f, v25 :: v_dual_sub_f32 v24, v24, v26
	v_add_f32_e32 v24, v24, v25
	v_cvt_i32_f32_e32 v25, v26
	v_cmp_ngt_f32_e64 s15, 0xc2ce8ed0, v23
	s_delay_alu instid0(VALU_DEP_3) | instskip(NEXT) | instid1(TRANS32_DEP_1)
	v_exp_f32_e32 v24, v24
	v_ldexp_f32 v24, v24, v25
	s_wait_alu 0xf1ff
	s_delay_alu instid0(VALU_DEP_1) | instskip(SKIP_2) | instid1(VALU_DEP_1)
	v_cndmask_b32_e64 v24, 0, v24, s15
	v_cmp_nlt_f32_e64 s15, 0x42b17218, v23
	s_wait_alu 0xf1ff
	v_cndmask_b32_e64 v25, 0x7f800000, v24, s15
	s_delay_alu instid0(VALU_DEP_1) | instskip(NEXT) | instid1(VALU_DEP_1)
	v_add_f32_e32 v26, 1.0, v25
	v_cvt_f64_f32_e32 v[23:24], v26
	s_delay_alu instid0(VALU_DEP_1) | instskip(SKIP_1) | instid1(VALU_DEP_1)
	v_frexp_exp_i32_f64_e32 v23, v[23:24]
	v_frexp_mant_f32_e32 v24, v26
	v_cmp_gt_f32_e64 s15, 0x3f2aaaab, v24
	v_add_f32_e32 v24, -1.0, v26
	s_delay_alu instid0(VALU_DEP_1) | instskip(SKIP_1) | instid1(VALU_DEP_3)
	v_sub_f32_e32 v28, v24, v26
	s_wait_alu 0xf1ff
	v_subrev_co_ci_u32_e64 v23, null, 0, v23, s15
	s_mov_b32 s15, 0x3e9b6dac
	v_sub_nc_u32_e32 v27, 0, v23
	v_cvt_f32_i32_e32 v23, v23
	s_delay_alu instid0(VALU_DEP_2) | instskip(NEXT) | instid1(VALU_DEP_1)
	v_ldexp_f32 v26, v26, v27
	v_dual_sub_f32 v24, v25, v24 :: v_dual_add_f32 v29, 1.0, v26
	v_add_f32_e32 v28, 1.0, v28
	s_delay_alu instid0(VALU_DEP_1) | instskip(NEXT) | instid1(VALU_DEP_3)
	v_add_f32_e32 v24, v24, v28
	v_add_f32_e32 v28, -1.0, v29
	s_delay_alu instid0(VALU_DEP_2) | instskip(NEXT) | instid1(VALU_DEP_2)
	v_ldexp_f32 v24, v24, v27
	v_dual_add_f32 v27, -1.0, v26 :: v_dual_sub_f32 v28, v26, v28
	s_delay_alu instid0(VALU_DEP_1) | instskip(NEXT) | instid1(VALU_DEP_2)
	v_add_f32_e32 v30, 1.0, v27
	v_add_f32_e32 v28, v24, v28
	s_delay_alu instid0(VALU_DEP_2) | instskip(NEXT) | instid1(VALU_DEP_2)
	v_sub_f32_e32 v26, v26, v30
	v_add_f32_e32 v30, v29, v28
	s_delay_alu instid0(VALU_DEP_2) | instskip(NEXT) | instid1(VALU_DEP_2)
	v_add_f32_e32 v24, v24, v26
	v_rcp_f32_e32 v26, v30
	v_sub_f32_e32 v29, v29, v30
	s_delay_alu instid0(VALU_DEP_1) | instskip(NEXT) | instid1(VALU_DEP_1)
	v_dual_add_f32 v31, v27, v24 :: v_dual_add_f32 v28, v28, v29
	v_sub_f32_e32 v27, v27, v31
	s_delay_alu instid0(TRANS32_DEP_1) | instskip(NEXT) | instid1(VALU_DEP_1)
	v_mul_f32_e32 v32, v31, v26
	v_dual_add_f32 v24, v24, v27 :: v_dual_mul_f32 v33, v30, v32
	s_delay_alu instid0(VALU_DEP_1) | instskip(NEXT) | instid1(VALU_DEP_1)
	v_fma_f32 v29, v32, v30, -v33
	v_fmac_f32_e32 v29, v32, v28
	s_delay_alu instid0(VALU_DEP_1) | instskip(NEXT) | instid1(VALU_DEP_1)
	v_add_f32_e32 v34, v33, v29
	v_sub_f32_e32 v35, v31, v34
	v_sub_f32_e32 v27, v34, v33
	s_delay_alu instid0(VALU_DEP_2) | instskip(NEXT) | instid1(VALU_DEP_2)
	v_sub_f32_e32 v31, v31, v35
	v_sub_f32_e32 v27, v27, v29
	s_delay_alu instid0(VALU_DEP_2) | instskip(NEXT) | instid1(VALU_DEP_1)
	v_sub_f32_e32 v31, v31, v34
	v_add_f32_e32 v24, v24, v31
	s_delay_alu instid0(VALU_DEP_1) | instskip(NEXT) | instid1(VALU_DEP_1)
	v_add_f32_e32 v24, v27, v24
	v_add_f32_e32 v27, v35, v24
	s_delay_alu instid0(VALU_DEP_1) | instskip(NEXT) | instid1(VALU_DEP_1)
	v_mul_f32_e32 v29, v26, v27
	v_dual_sub_f32 v34, v35, v27 :: v_dual_mul_f32 v31, v30, v29
	s_delay_alu instid0(VALU_DEP_1) | instskip(NEXT) | instid1(VALU_DEP_2)
	v_add_f32_e32 v24, v24, v34
	v_fma_f32 v30, v29, v30, -v31
	s_delay_alu instid0(VALU_DEP_1) | instskip(NEXT) | instid1(VALU_DEP_1)
	v_fmac_f32_e32 v30, v29, v28
	v_add_f32_e32 v28, v31, v30
	s_delay_alu instid0(VALU_DEP_1) | instskip(SKIP_1) | instid1(VALU_DEP_2)
	v_sub_f32_e32 v33, v27, v28
	v_sub_f32_e32 v31, v28, v31
	;; [unrolled: 1-line block ×3, first 2 shown]
	s_delay_alu instid0(VALU_DEP_1) | instskip(NEXT) | instid1(VALU_DEP_3)
	v_sub_f32_e32 v27, v27, v28
	v_sub_f32_e32 v28, v31, v30
	s_delay_alu instid0(VALU_DEP_2) | instskip(SKIP_1) | instid1(VALU_DEP_2)
	v_add_f32_e32 v24, v24, v27
	v_add_f32_e32 v27, v32, v29
	v_add_f32_e32 v24, v28, v24
	s_delay_alu instid0(VALU_DEP_2) | instskip(NEXT) | instid1(VALU_DEP_2)
	v_sub_f32_e32 v28, v27, v32
	v_add_f32_e32 v24, v33, v24
	s_delay_alu instid0(VALU_DEP_2) | instskip(NEXT) | instid1(VALU_DEP_2)
	v_sub_f32_e32 v28, v29, v28
	v_mul_f32_e32 v24, v26, v24
	s_delay_alu instid0(VALU_DEP_1) | instskip(NEXT) | instid1(VALU_DEP_1)
	v_add_f32_e32 v24, v28, v24
	v_add_f32_e32 v26, v27, v24
	s_delay_alu instid0(VALU_DEP_1) | instskip(SKIP_1) | instid1(VALU_DEP_1)
	v_mul_f32_e32 v28, v26, v26
	s_wait_alu 0xfffe
	v_fmaak_f32 v29, s15, v28, 0x3ecc95a3
	v_mul_f32_e32 v30, v26, v28
	v_cmp_neq_f32_e64 s15, 0x7f800000, v25
	s_delay_alu instid0(VALU_DEP_3) | instskip(SKIP_2) | instid1(VALU_DEP_3)
	v_fmaak_f32 v28, v28, v29, 0x3f2aaada
	v_ldexp_f32 v29, v26, 1
	v_sub_f32_e32 v26, v26, v27
	v_mul_f32_e32 v28, v30, v28
	v_mul_f32_e32 v30, 0x3f317218, v23
	s_delay_alu instid0(VALU_DEP_2) | instskip(NEXT) | instid1(VALU_DEP_1)
	v_dual_sub_f32 v24, v24, v26 :: v_dual_add_f32 v27, v29, v28
	v_ldexp_f32 v24, v24, 1
	s_delay_alu instid0(VALU_DEP_2) | instskip(NEXT) | instid1(VALU_DEP_4)
	v_sub_f32_e32 v26, v27, v29
	v_fma_f32 v29, 0x3f317218, v23, -v30
	s_delay_alu instid0(VALU_DEP_1) | instskip(NEXT) | instid1(VALU_DEP_1)
	v_dual_sub_f32 v26, v28, v26 :: v_dual_fmamk_f32 v23, v23, 0xb102e308, v29
	v_add_f32_e32 v24, v24, v26
	s_delay_alu instid0(VALU_DEP_2) | instskip(NEXT) | instid1(VALU_DEP_2)
	v_add_f32_e32 v26, v30, v23
	v_add_f32_e32 v28, v27, v24
	s_delay_alu instid0(VALU_DEP_2) | instskip(NEXT) | instid1(VALU_DEP_2)
	v_sub_f32_e32 v30, v26, v30
	v_add_f32_e32 v29, v26, v28
	v_sub_f32_e32 v27, v28, v27
	s_delay_alu instid0(VALU_DEP_3) | instskip(NEXT) | instid1(VALU_DEP_2)
	v_sub_f32_e32 v23, v23, v30
	v_dual_sub_f32 v31, v29, v26 :: v_dual_sub_f32 v24, v24, v27
	s_delay_alu instid0(VALU_DEP_1) | instskip(NEXT) | instid1(VALU_DEP_2)
	v_sub_f32_e32 v32, v29, v31
	v_dual_sub_f32 v27, v28, v31 :: v_dual_add_f32 v28, v23, v24
	s_delay_alu instid0(VALU_DEP_2) | instskip(NEXT) | instid1(VALU_DEP_1)
	v_sub_f32_e32 v26, v26, v32
	v_dual_add_f32 v26, v27, v26 :: v_dual_sub_f32 v27, v28, v23
	s_delay_alu instid0(VALU_DEP_1) | instskip(NEXT) | instid1(VALU_DEP_2)
	v_add_f32_e32 v26, v28, v26
	v_sub_f32_e32 v28, v28, v27
	v_sub_f32_e32 v24, v24, v27
	s_delay_alu instid0(VALU_DEP_2) | instskip(NEXT) | instid1(VALU_DEP_1)
	v_dual_add_f32 v30, v29, v26 :: v_dual_sub_f32 v23, v23, v28
	v_sub_f32_e32 v27, v30, v29
	s_delay_alu instid0(VALU_DEP_2) | instskip(NEXT) | instid1(VALU_DEP_2)
	v_add_f32_e32 v23, v24, v23
	v_sub_f32_e32 v24, v26, v27
	s_delay_alu instid0(VALU_DEP_1) | instskip(NEXT) | instid1(VALU_DEP_1)
	v_add_f32_e32 v23, v23, v24
	v_add_f32_e32 v23, v30, v23
	s_wait_alu 0xf1ff
	s_delay_alu instid0(VALU_DEP_1) | instskip(SKIP_2) | instid1(VALU_DEP_1)
	v_cndmask_b32_e64 v23, 0x7f800000, v23, s15
	v_cmp_gt_f32_e64 s15, 0x33800000, |v25|
	s_wait_alu 0xf1ff
	v_cndmask_b32_e64 v23, v23, v25, s15
	s_delay_alu instid0(VALU_DEP_1) | instskip(NEXT) | instid1(VALU_DEP_1)
	v_add_f32_e32 v22, v22, v23
	v_cvt_f16_f32_e32 v24, v22
.LBB421_262:
	s_or_b32 exec_lo, exec_lo, s20
	s_delay_alu instid0(VALU_DEP_1)
	v_mov_b32_e32 v23, v24
.LBB421_263:
	s_or_b32 exec_lo, exec_lo, s17
	v_add_nc_u32_e32 v22, -1, v18
	s_delay_alu instid0(VALU_DEP_1) | instskip(SKIP_1) | instid1(VALU_DEP_1)
	v_cmp_gt_i32_e64 s15, 0, v22
	s_wait_alu 0xf1ff
	v_cndmask_b32_e64 v18, v22, v18, s15
	v_and_b32_e32 v22, 0xffff, v23
	s_delay_alu instid0(VALU_DEP_2)
	v_lshlrev_b32_e32 v18, 2, v18
	ds_bpermute_b32 v18, v18, v22
	v_max_num_f32_e32 v22, v17, v17
	s_wait_dscnt 0x0
	v_cvt_f32_f16_e32 v23, v18
	v_cmp_u_f16_e64 s15, v18, v18
	s_delay_alu instid0(VALU_DEP_2) | instskip(SKIP_2) | instid1(VALU_DEP_2)
	v_min_num_f32_e32 v24, v23, v22
	v_max_num_f32_e32 v22, v23, v22
	s_wait_alu 0xf1ff
	v_cndmask_b32_e64 v24, v24, v23, s15
	s_delay_alu instid0(VALU_DEP_2) | instskip(NEXT) | instid1(VALU_DEP_2)
	v_cndmask_b32_e64 v23, v22, v23, s15
	v_cndmask_b32_e64 v22, v24, v17, s14
	s_delay_alu instid0(VALU_DEP_2) | instskip(NEXT) | instid1(VALU_DEP_2)
	v_cndmask_b32_e64 v17, v23, v17, s14
	v_cmp_class_f32_e64 s15, v22, 0x1f8
	s_delay_alu instid0(VALU_DEP_2)
	v_cmp_neq_f32_e64 s14, v22, v17
	s_or_b32 s14, s14, s15
	s_wait_alu 0xfffe
	s_and_saveexec_b32 s15, s14
	s_cbranch_execz .LBB421_265
; %bb.264:
	v_sub_f32_e32 v18, v22, v17
	s_delay_alu instid0(VALU_DEP_1) | instskip(SKIP_1) | instid1(VALU_DEP_2)
	v_mul_f32_e32 v22, 0x3fb8aa3b, v18
	v_cmp_ngt_f32_e64 s14, 0xc2ce8ed0, v18
	v_fma_f32 v23, 0x3fb8aa3b, v18, -v22
	v_rndne_f32_e32 v24, v22
	s_delay_alu instid0(VALU_DEP_2) | instskip(NEXT) | instid1(VALU_DEP_2)
	v_fmamk_f32 v23, v18, 0x32a5705f, v23
	v_sub_f32_e32 v22, v22, v24
	s_delay_alu instid0(VALU_DEP_1) | instskip(SKIP_1) | instid1(VALU_DEP_2)
	v_add_f32_e32 v22, v22, v23
	v_cvt_i32_f32_e32 v23, v24
	v_exp_f32_e32 v22, v22
	s_delay_alu instid0(TRANS32_DEP_1) | instskip(SKIP_1) | instid1(VALU_DEP_1)
	v_ldexp_f32 v22, v22, v23
	s_wait_alu 0xf1ff
	v_cndmask_b32_e64 v22, 0, v22, s14
	v_cmp_nlt_f32_e64 s14, 0x42b17218, v18
	s_wait_alu 0xf1ff
	s_delay_alu instid0(VALU_DEP_1) | instskip(NEXT) | instid1(VALU_DEP_1)
	v_cndmask_b32_e64 v18, 0x7f800000, v22, s14
	v_add_f32_e32 v24, 1.0, v18
	s_delay_alu instid0(VALU_DEP_1) | instskip(NEXT) | instid1(VALU_DEP_1)
	v_cvt_f64_f32_e32 v[22:23], v24
	v_frexp_exp_i32_f64_e32 v22, v[22:23]
	v_frexp_mant_f32_e32 v23, v24
	s_delay_alu instid0(VALU_DEP_1) | instskip(SKIP_1) | instid1(VALU_DEP_1)
	v_cmp_gt_f32_e64 s14, 0x3f2aaaab, v23
	v_add_f32_e32 v23, -1.0, v24
	v_dual_sub_f32 v26, v23, v24 :: v_dual_sub_f32 v23, v18, v23
	s_wait_alu 0xf1ff
	s_delay_alu instid0(VALU_DEP_3) | instskip(SKIP_3) | instid1(VALU_DEP_2)
	v_subrev_co_ci_u32_e64 v22, null, 0, v22, s14
	s_mov_b32 s14, 0x3e9b6dac
	v_sub_nc_u32_e32 v25, 0, v22
	v_cvt_f32_i32_e32 v22, v22
	v_ldexp_f32 v24, v24, v25
	s_delay_alu instid0(VALU_DEP_1) | instskip(NEXT) | instid1(VALU_DEP_1)
	v_dual_add_f32 v26, 1.0, v26 :: v_dual_add_f32 v27, 1.0, v24
	v_add_f32_e32 v23, v23, v26
	s_delay_alu instid0(VALU_DEP_1) | instskip(NEXT) | instid1(VALU_DEP_3)
	v_ldexp_f32 v23, v23, v25
	v_dual_add_f32 v25, -1.0, v24 :: v_dual_add_f32 v26, -1.0, v27
	s_delay_alu instid0(VALU_DEP_1) | instskip(NEXT) | instid1(VALU_DEP_2)
	v_add_f32_e32 v28, 1.0, v25
	v_sub_f32_e32 v26, v24, v26
	s_delay_alu instid0(VALU_DEP_2) | instskip(NEXT) | instid1(VALU_DEP_2)
	v_sub_f32_e32 v24, v24, v28
	v_add_f32_e32 v26, v23, v26
	s_delay_alu instid0(VALU_DEP_2) | instskip(NEXT) | instid1(VALU_DEP_1)
	v_add_f32_e32 v23, v23, v24
	v_dual_add_f32 v29, v25, v23 :: v_dual_add_f32 v28, v27, v26
	s_delay_alu instid0(VALU_DEP_1) | instskip(NEXT) | instid1(VALU_DEP_2)
	v_sub_f32_e32 v25, v25, v29
	v_rcp_f32_e32 v24, v28
	v_sub_f32_e32 v27, v27, v28
	s_delay_alu instid0(VALU_DEP_1) | instskip(NEXT) | instid1(TRANS32_DEP_1)
	v_dual_add_f32 v23, v23, v25 :: v_dual_add_f32 v26, v26, v27
	v_mul_f32_e32 v30, v29, v24
	s_delay_alu instid0(VALU_DEP_1) | instskip(NEXT) | instid1(VALU_DEP_1)
	v_mul_f32_e32 v31, v28, v30
	v_fma_f32 v27, v30, v28, -v31
	s_delay_alu instid0(VALU_DEP_1) | instskip(NEXT) | instid1(VALU_DEP_1)
	v_fmac_f32_e32 v27, v30, v26
	v_add_f32_e32 v32, v31, v27
	s_delay_alu instid0(VALU_DEP_1) | instskip(SKIP_1) | instid1(VALU_DEP_2)
	v_sub_f32_e32 v33, v29, v32
	v_sub_f32_e32 v25, v32, v31
	;; [unrolled: 1-line block ×3, first 2 shown]
	s_delay_alu instid0(VALU_DEP_2) | instskip(NEXT) | instid1(VALU_DEP_2)
	v_sub_f32_e32 v25, v25, v27
	v_sub_f32_e32 v29, v29, v32
	s_delay_alu instid0(VALU_DEP_1) | instskip(NEXT) | instid1(VALU_DEP_1)
	v_add_f32_e32 v23, v23, v29
	v_add_f32_e32 v23, v25, v23
	s_delay_alu instid0(VALU_DEP_1) | instskip(NEXT) | instid1(VALU_DEP_1)
	v_add_f32_e32 v25, v33, v23
	v_mul_f32_e32 v27, v24, v25
	s_delay_alu instid0(VALU_DEP_1) | instskip(NEXT) | instid1(VALU_DEP_1)
	v_dual_sub_f32 v32, v33, v25 :: v_dual_mul_f32 v29, v28, v27
	v_add_f32_e32 v23, v23, v32
	s_delay_alu instid0(VALU_DEP_2) | instskip(NEXT) | instid1(VALU_DEP_1)
	v_fma_f32 v28, v27, v28, -v29
	v_fmac_f32_e32 v28, v27, v26
	s_delay_alu instid0(VALU_DEP_1) | instskip(NEXT) | instid1(VALU_DEP_1)
	v_add_f32_e32 v26, v29, v28
	v_sub_f32_e32 v31, v25, v26
	s_delay_alu instid0(VALU_DEP_1) | instskip(NEXT) | instid1(VALU_DEP_1)
	v_sub_f32_e32 v25, v25, v31
	v_sub_f32_e32 v25, v25, v26
	s_delay_alu instid0(VALU_DEP_1) | instskip(SKIP_2) | instid1(VALU_DEP_1)
	v_add_f32_e32 v23, v23, v25
	v_add_f32_e32 v25, v30, v27
	v_sub_f32_e32 v29, v26, v29
	v_sub_f32_e32 v26, v29, v28
	s_delay_alu instid0(VALU_DEP_1) | instskip(NEXT) | instid1(VALU_DEP_1)
	v_dual_add_f32 v23, v26, v23 :: v_dual_sub_f32 v26, v25, v30
	v_add_f32_e32 v23, v31, v23
	s_delay_alu instid0(VALU_DEP_1) | instskip(NEXT) | instid1(VALU_DEP_1)
	v_dual_sub_f32 v26, v27, v26 :: v_dual_mul_f32 v23, v24, v23
	v_add_f32_e32 v23, v26, v23
	s_delay_alu instid0(VALU_DEP_1) | instskip(NEXT) | instid1(VALU_DEP_1)
	v_add_f32_e32 v24, v25, v23
	v_mul_f32_e32 v26, v24, v24
	s_wait_alu 0xfffe
	s_delay_alu instid0(VALU_DEP_1) | instskip(SKIP_2) | instid1(VALU_DEP_3)
	v_fmaak_f32 v27, s14, v26, 0x3ecc95a3
	v_mul_f32_e32 v28, v24, v26
	v_cmp_neq_f32_e64 s14, 0x7f800000, v18
	v_fmaak_f32 v26, v26, v27, 0x3f2aaada
	v_ldexp_f32 v27, v24, 1
	v_sub_f32_e32 v24, v24, v25
	s_delay_alu instid0(VALU_DEP_3) | instskip(NEXT) | instid1(VALU_DEP_2)
	v_mul_f32_e32 v26, v28, v26
	v_dual_mul_f32 v28, 0x3f317218, v22 :: v_dual_sub_f32 v23, v23, v24
	s_delay_alu instid0(VALU_DEP_2) | instskip(NEXT) | instid1(VALU_DEP_2)
	v_add_f32_e32 v25, v27, v26
	v_ldexp_f32 v23, v23, 1
	s_delay_alu instid0(VALU_DEP_2) | instskip(NEXT) | instid1(VALU_DEP_4)
	v_sub_f32_e32 v24, v25, v27
	v_fma_f32 v27, 0x3f317218, v22, -v28
	s_delay_alu instid0(VALU_DEP_2) | instskip(NEXT) | instid1(VALU_DEP_1)
	v_sub_f32_e32 v24, v26, v24
	v_dual_fmamk_f32 v22, v22, 0xb102e308, v27 :: v_dual_add_f32 v23, v23, v24
	s_delay_alu instid0(VALU_DEP_1) | instskip(NEXT) | instid1(VALU_DEP_1)
	v_add_f32_e32 v24, v28, v22
	v_sub_f32_e32 v28, v24, v28
	s_delay_alu instid0(VALU_DEP_1) | instskip(NEXT) | instid1(VALU_DEP_4)
	v_sub_f32_e32 v22, v22, v28
	v_add_f32_e32 v26, v25, v23
	s_delay_alu instid0(VALU_DEP_1) | instskip(NEXT) | instid1(VALU_DEP_1)
	v_sub_f32_e32 v25, v26, v25
	v_sub_f32_e32 v23, v23, v25
	v_add_f32_e32 v27, v24, v26
	s_delay_alu instid0(VALU_DEP_1) | instskip(NEXT) | instid1(VALU_DEP_1)
	v_sub_f32_e32 v29, v27, v24
	v_sub_f32_e32 v25, v26, v29
	s_delay_alu instid0(VALU_DEP_4) | instskip(SKIP_1) | instid1(VALU_DEP_1)
	v_add_f32_e32 v26, v22, v23
	v_sub_f32_e32 v30, v27, v29
	v_sub_f32_e32 v24, v24, v30
	s_delay_alu instid0(VALU_DEP_1) | instskip(NEXT) | instid1(VALU_DEP_1)
	v_dual_add_f32 v24, v25, v24 :: v_dual_sub_f32 v25, v26, v22
	v_dual_add_f32 v24, v26, v24 :: v_dual_sub_f32 v23, v23, v25
	v_sub_f32_e32 v26, v26, v25
	s_delay_alu instid0(VALU_DEP_2) | instskip(NEXT) | instid1(VALU_DEP_1)
	v_add_f32_e32 v28, v27, v24
	v_dual_sub_f32 v22, v22, v26 :: v_dual_sub_f32 v25, v28, v27
	s_delay_alu instid0(VALU_DEP_1) | instskip(NEXT) | instid1(VALU_DEP_1)
	v_dual_add_f32 v22, v23, v22 :: v_dual_sub_f32 v23, v24, v25
	v_add_f32_e32 v22, v22, v23
	s_delay_alu instid0(VALU_DEP_1) | instskip(SKIP_1) | instid1(VALU_DEP_1)
	v_add_f32_e32 v22, v28, v22
	s_wait_alu 0xf1ff
	v_cndmask_b32_e64 v22, 0x7f800000, v22, s14
	v_cmp_gt_f32_e64 s14, 0x33800000, |v18|
	s_wait_alu 0xf1ff
	s_delay_alu instid0(VALU_DEP_1) | instskip(NEXT) | instid1(VALU_DEP_1)
	v_cndmask_b32_e64 v18, v22, v18, s14
	v_add_f32_e32 v17, v17, v18
	s_delay_alu instid0(VALU_DEP_1)
	v_cvt_f16_f32_e32 v18, v17
.LBB421_265:
	s_wait_alu 0xfffe
	s_or_b32 exec_lo, exec_lo, s15
	s_delay_alu instid0(VALU_DEP_1)
	v_cndmask_b32_e64 v17, v18, v19, s3
	; wave barrier
	ds_store_b16 v14, v17
	; wave barrier
	ds_load_u16 v19, v14 offset:2
	v_cvt_f32_f16_e32 v18, v17
	v_cmp_u_f16_e64 s3, v17, v17
	s_wait_dscnt 0x0
	v_cvt_f32_f16_e32 v23, v19
	s_delay_alu instid0(VALU_DEP_1) | instskip(SKIP_2) | instid1(VALU_DEP_2)
	v_min_num_f32_e32 v22, v18, v23
	v_max_num_f32_e32 v24, v18, v23
	s_wait_alu 0xf1ff
	v_cndmask_b32_e64 v22, v22, v18, s3
	s_delay_alu instid0(VALU_DEP_2) | instskip(SKIP_2) | instid1(VALU_DEP_1)
	v_cndmask_b32_e64 v24, v24, v18, s3
	v_cmp_u_f16_e64 s3, v19, v19
	s_wait_alu 0xf1ff
	v_cndmask_b32_e64 v22, v22, v23, s3
	s_delay_alu instid0(VALU_DEP_3) | instskip(NEXT) | instid1(VALU_DEP_2)
	v_cndmask_b32_e64 v19, v24, v23, s3
	v_cmp_class_f32_e64 s14, v22, 0x1f8
	s_delay_alu instid0(VALU_DEP_2)
	v_cmp_neq_f32_e64 s3, v22, v19
	s_or_b32 s3, s3, s14
	s_wait_alu 0xfffe
	s_and_saveexec_b32 s14, s3
	s_cbranch_execz .LBB421_267
; %bb.266:
	v_sub_f32_e32 v17, v22, v19
	s_delay_alu instid0(VALU_DEP_1) | instskip(SKIP_1) | instid1(VALU_DEP_2)
	v_mul_f32_e32 v18, 0x3fb8aa3b, v17
	v_cmp_ngt_f32_e64 s3, 0xc2ce8ed0, v17
	v_fma_f32 v22, 0x3fb8aa3b, v17, -v18
	v_rndne_f32_e32 v23, v18
	s_delay_alu instid0(VALU_DEP_2) | instskip(NEXT) | instid1(VALU_DEP_2)
	v_fmamk_f32 v22, v17, 0x32a5705f, v22
	v_sub_f32_e32 v18, v18, v23
	s_delay_alu instid0(VALU_DEP_1) | instskip(SKIP_1) | instid1(VALU_DEP_2)
	v_add_f32_e32 v18, v18, v22
	v_cvt_i32_f32_e32 v22, v23
	v_exp_f32_e32 v18, v18
	s_delay_alu instid0(TRANS32_DEP_1) | instskip(SKIP_1) | instid1(VALU_DEP_1)
	v_ldexp_f32 v18, v18, v22
	s_wait_alu 0xf1ff
	v_cndmask_b32_e64 v18, 0, v18, s3
	v_cmp_nlt_f32_e64 s3, 0x42b17218, v17
	s_wait_alu 0xf1ff
	s_delay_alu instid0(VALU_DEP_1) | instskip(NEXT) | instid1(VALU_DEP_1)
	v_cndmask_b32_e64 v22, 0x7f800000, v18, s3
	v_add_f32_e32 v23, 1.0, v22
	s_delay_alu instid0(VALU_DEP_1) | instskip(NEXT) | instid1(VALU_DEP_1)
	v_cvt_f64_f32_e32 v[17:18], v23
	v_frexp_exp_i32_f64_e32 v17, v[17:18]
	v_frexp_mant_f32_e32 v18, v23
	s_delay_alu instid0(VALU_DEP_1) | instskip(SKIP_1) | instid1(VALU_DEP_1)
	v_cmp_gt_f32_e64 s3, 0x3f2aaaab, v18
	v_add_f32_e32 v18, -1.0, v23
	v_sub_f32_e32 v25, v18, v23
	s_delay_alu instid0(VALU_DEP_1)
	v_dual_sub_f32 v18, v22, v18 :: v_dual_add_f32 v25, 1.0, v25
	s_wait_alu 0xf1ff
	v_subrev_co_ci_u32_e64 v17, null, 0, v17, s3
	s_mov_b32 s3, 0x3e9b6dac
	v_sub_nc_u32_e32 v24, 0, v17
	v_cvt_f32_i32_e32 v17, v17
	s_delay_alu instid0(VALU_DEP_2) | instskip(SKIP_1) | instid1(VALU_DEP_1)
	v_ldexp_f32 v23, v23, v24
	v_add_f32_e32 v18, v18, v25
	v_ldexp_f32 v18, v18, v24
	s_delay_alu instid0(VALU_DEP_3) | instskip(NEXT) | instid1(VALU_DEP_1)
	v_add_f32_e32 v26, 1.0, v23
	v_add_f32_e32 v25, -1.0, v26
	s_delay_alu instid0(VALU_DEP_1) | instskip(NEXT) | instid1(VALU_DEP_1)
	v_sub_f32_e32 v25, v23, v25
	v_dual_add_f32 v25, v18, v25 :: v_dual_add_f32 v24, -1.0, v23
	s_delay_alu instid0(VALU_DEP_1) | instskip(NEXT) | instid1(VALU_DEP_1)
	v_add_f32_e32 v27, 1.0, v24
	v_sub_f32_e32 v23, v23, v27
	s_delay_alu instid0(VALU_DEP_3) | instskip(NEXT) | instid1(VALU_DEP_1)
	v_add_f32_e32 v27, v26, v25
	v_sub_f32_e32 v26, v26, v27
	s_delay_alu instid0(VALU_DEP_3) | instskip(SKIP_1) | instid1(VALU_DEP_2)
	v_add_f32_e32 v18, v18, v23
	v_rcp_f32_e32 v23, v27
	v_add_f32_e32 v25, v25, v26
	s_delay_alu instid0(VALU_DEP_2) | instskip(NEXT) | instid1(VALU_DEP_1)
	v_add_f32_e32 v28, v24, v18
	v_sub_f32_e32 v24, v24, v28
	s_delay_alu instid0(TRANS32_DEP_1) | instid1(VALU_DEP_1)
	v_dual_mul_f32 v29, v28, v23 :: v_dual_add_f32 v18, v18, v24
	s_delay_alu instid0(VALU_DEP_1) | instskip(NEXT) | instid1(VALU_DEP_1)
	v_mul_f32_e32 v30, v27, v29
	v_fma_f32 v26, v29, v27, -v30
	s_delay_alu instid0(VALU_DEP_1) | instskip(NEXT) | instid1(VALU_DEP_1)
	v_fmac_f32_e32 v26, v29, v25
	v_add_f32_e32 v31, v30, v26
	s_delay_alu instid0(VALU_DEP_1) | instskip(NEXT) | instid1(VALU_DEP_1)
	v_sub_f32_e32 v32, v28, v31
	v_sub_f32_e32 v28, v28, v32
	;; [unrolled: 1-line block ×3, first 2 shown]
	s_delay_alu instid0(VALU_DEP_2) | instskip(NEXT) | instid1(VALU_DEP_2)
	v_sub_f32_e32 v28, v28, v31
	v_sub_f32_e32 v24, v24, v26
	s_delay_alu instid0(VALU_DEP_2) | instskip(NEXT) | instid1(VALU_DEP_1)
	v_add_f32_e32 v18, v18, v28
	v_add_f32_e32 v18, v24, v18
	s_delay_alu instid0(VALU_DEP_1) | instskip(NEXT) | instid1(VALU_DEP_1)
	v_add_f32_e32 v24, v32, v18
	v_mul_f32_e32 v26, v23, v24
	s_delay_alu instid0(VALU_DEP_1) | instskip(NEXT) | instid1(VALU_DEP_1)
	v_mul_f32_e32 v28, v27, v26
	v_fma_f32 v27, v26, v27, -v28
	s_delay_alu instid0(VALU_DEP_1) | instskip(SKIP_1) | instid1(VALU_DEP_2)
	v_fmac_f32_e32 v27, v26, v25
	v_sub_f32_e32 v31, v32, v24
	v_add_f32_e32 v25, v28, v27
	s_delay_alu instid0(VALU_DEP_2) | instskip(NEXT) | instid1(VALU_DEP_2)
	v_add_f32_e32 v18, v18, v31
	v_sub_f32_e32 v30, v24, v25
	v_sub_f32_e32 v28, v25, v28
	s_delay_alu instid0(VALU_DEP_2) | instskip(NEXT) | instid1(VALU_DEP_1)
	v_sub_f32_e32 v24, v24, v30
	v_sub_f32_e32 v24, v24, v25
	s_delay_alu instid0(VALU_DEP_1) | instskip(SKIP_1) | instid1(VALU_DEP_1)
	v_dual_sub_f32 v25, v28, v27 :: v_dual_add_f32 v18, v18, v24
	v_add_f32_e32 v24, v29, v26
	v_dual_add_f32 v18, v25, v18 :: v_dual_sub_f32 v25, v24, v29
	s_delay_alu instid0(VALU_DEP_1) | instskip(NEXT) | instid1(VALU_DEP_1)
	v_add_f32_e32 v18, v30, v18
	v_dual_sub_f32 v25, v26, v25 :: v_dual_mul_f32 v18, v23, v18
	s_delay_alu instid0(VALU_DEP_1) | instskip(NEXT) | instid1(VALU_DEP_1)
	v_add_f32_e32 v18, v25, v18
	v_add_f32_e32 v23, v24, v18
	s_delay_alu instid0(VALU_DEP_1) | instskip(SKIP_1) | instid1(VALU_DEP_1)
	v_mul_f32_e32 v25, v23, v23
	s_wait_alu 0xfffe
	v_fmaak_f32 v26, s3, v25, 0x3ecc95a3
	v_mul_f32_e32 v27, v23, v25
	v_cmp_neq_f32_e64 s3, 0x7f800000, v22
	s_delay_alu instid0(VALU_DEP_3) | instskip(SKIP_2) | instid1(VALU_DEP_3)
	v_fmaak_f32 v25, v25, v26, 0x3f2aaada
	v_ldexp_f32 v26, v23, 1
	v_sub_f32_e32 v23, v23, v24
	v_mul_f32_e32 v25, v27, v25
	s_delay_alu instid0(VALU_DEP_2) | instskip(NEXT) | instid1(VALU_DEP_2)
	v_dual_mul_f32 v27, 0x3f317218, v17 :: v_dual_sub_f32 v18, v18, v23
	v_add_f32_e32 v24, v26, v25
	s_delay_alu instid0(VALU_DEP_2) | instskip(NEXT) | instid1(VALU_DEP_2)
	v_ldexp_f32 v18, v18, 1
	v_sub_f32_e32 v23, v24, v26
	s_delay_alu instid0(VALU_DEP_4) | instskip(NEXT) | instid1(VALU_DEP_2)
	v_fma_f32 v26, 0x3f317218, v17, -v27
	v_sub_f32_e32 v23, v25, v23
	s_delay_alu instid0(VALU_DEP_1) | instskip(NEXT) | instid1(VALU_DEP_1)
	v_dual_fmamk_f32 v17, v17, 0xb102e308, v26 :: v_dual_add_f32 v18, v18, v23
	v_add_f32_e32 v23, v27, v17
	s_delay_alu instid0(VALU_DEP_2) | instskip(NEXT) | instid1(VALU_DEP_2)
	v_add_f32_e32 v25, v24, v18
	v_sub_f32_e32 v27, v23, v27
	s_delay_alu instid0(VALU_DEP_2) | instskip(SKIP_1) | instid1(VALU_DEP_3)
	v_add_f32_e32 v26, v23, v25
	v_sub_f32_e32 v24, v25, v24
	v_sub_f32_e32 v17, v17, v27
	s_delay_alu instid0(VALU_DEP_3) | instskip(NEXT) | instid1(VALU_DEP_3)
	v_sub_f32_e32 v28, v26, v23
	v_sub_f32_e32 v18, v18, v24
	s_delay_alu instid0(VALU_DEP_2) | instskip(SKIP_1) | instid1(VALU_DEP_3)
	v_sub_f32_e32 v29, v26, v28
	v_sub_f32_e32 v24, v25, v28
	v_add_f32_e32 v25, v17, v18
	s_delay_alu instid0(VALU_DEP_3) | instskip(NEXT) | instid1(VALU_DEP_1)
	v_sub_f32_e32 v23, v23, v29
	v_dual_add_f32 v23, v24, v23 :: v_dual_sub_f32 v24, v25, v17
	s_delay_alu instid0(VALU_DEP_1) | instskip(NEXT) | instid1(VALU_DEP_2)
	v_add_f32_e32 v23, v25, v23
	v_sub_f32_e32 v25, v25, v24
	v_sub_f32_e32 v18, v18, v24
	s_delay_alu instid0(VALU_DEP_3) | instskip(NEXT) | instid1(VALU_DEP_1)
	v_add_f32_e32 v27, v26, v23
	v_dual_sub_f32 v17, v17, v25 :: v_dual_sub_f32 v24, v27, v26
	s_delay_alu instid0(VALU_DEP_1) | instskip(NEXT) | instid1(VALU_DEP_1)
	v_dual_add_f32 v17, v18, v17 :: v_dual_sub_f32 v18, v23, v24
	v_add_f32_e32 v17, v17, v18
	s_delay_alu instid0(VALU_DEP_1) | instskip(SKIP_1) | instid1(VALU_DEP_1)
	v_add_f32_e32 v17, v27, v17
	s_wait_alu 0xf1ff
	v_cndmask_b32_e64 v17, 0x7f800000, v17, s3
	v_cmp_gt_f32_e64 s3, 0x33800000, |v22|
	s_wait_alu 0xf1ff
	s_delay_alu instid0(VALU_DEP_1) | instskip(NEXT) | instid1(VALU_DEP_1)
	v_cndmask_b32_e64 v17, v17, v22, s3
	v_add_f32_e32 v17, v19, v17
	s_delay_alu instid0(VALU_DEP_1) | instskip(NEXT) | instid1(VALU_DEP_1)
	v_cvt_f16_f32_e32 v17, v17
	v_cvt_f32_f16_e32 v18, v17
.LBB421_267:
	s_wait_alu 0xfffe
	s_or_b32 exec_lo, exec_lo, s14
	ds_load_u16 v19, v14 offset:4
	v_max_num_f32_e32 v22, v18, v18
	v_cmp_u_f16_e64 s3, v17, v17
	ds_store_b16 v14, v17 offset:2
	s_wait_dscnt 0x1
	v_cvt_f32_f16_e32 v23, v19
	s_delay_alu instid0(VALU_DEP_1) | instskip(SKIP_2) | instid1(VALU_DEP_2)
	v_min_num_f32_e32 v24, v22, v23
	v_max_num_f32_e32 v22, v22, v23
	s_wait_alu 0xf1ff
	v_cndmask_b32_e64 v24, v24, v18, s3
	s_delay_alu instid0(VALU_DEP_2) | instskip(SKIP_2) | instid1(VALU_DEP_1)
	v_cndmask_b32_e64 v25, v22, v18, s3
	v_cmp_u_f16_e64 s3, v19, v19
	s_wait_alu 0xf1ff
	v_cndmask_b32_e64 v22, v24, v23, s3
	s_delay_alu instid0(VALU_DEP_3) | instskip(NEXT) | instid1(VALU_DEP_2)
	v_cndmask_b32_e64 v19, v25, v23, s3
	v_cmp_class_f32_e64 s14, v22, 0x1f8
	s_delay_alu instid0(VALU_DEP_2)
	v_cmp_neq_f32_e64 s3, v22, v19
	s_or_b32 s3, s3, s14
	s_wait_alu 0xfffe
	s_and_saveexec_b32 s14, s3
	s_cbranch_execz .LBB421_269
; %bb.268:
	v_sub_f32_e32 v17, v22, v19
	s_delay_alu instid0(VALU_DEP_1) | instskip(SKIP_1) | instid1(VALU_DEP_2)
	v_mul_f32_e32 v18, 0x3fb8aa3b, v17
	v_cmp_ngt_f32_e64 s3, 0xc2ce8ed0, v17
	v_fma_f32 v22, 0x3fb8aa3b, v17, -v18
	v_rndne_f32_e32 v23, v18
	s_delay_alu instid0(VALU_DEP_2) | instskip(NEXT) | instid1(VALU_DEP_2)
	v_fmamk_f32 v22, v17, 0x32a5705f, v22
	v_sub_f32_e32 v18, v18, v23
	s_delay_alu instid0(VALU_DEP_1) | instskip(SKIP_1) | instid1(VALU_DEP_2)
	v_add_f32_e32 v18, v18, v22
	v_cvt_i32_f32_e32 v22, v23
	v_exp_f32_e32 v18, v18
	s_delay_alu instid0(TRANS32_DEP_1) | instskip(SKIP_1) | instid1(VALU_DEP_1)
	v_ldexp_f32 v18, v18, v22
	s_wait_alu 0xf1ff
	v_cndmask_b32_e64 v18, 0, v18, s3
	v_cmp_nlt_f32_e64 s3, 0x42b17218, v17
	s_wait_alu 0xf1ff
	s_delay_alu instid0(VALU_DEP_1) | instskip(NEXT) | instid1(VALU_DEP_1)
	v_cndmask_b32_e64 v22, 0x7f800000, v18, s3
	v_add_f32_e32 v23, 1.0, v22
	s_delay_alu instid0(VALU_DEP_1) | instskip(NEXT) | instid1(VALU_DEP_1)
	v_cvt_f64_f32_e32 v[17:18], v23
	v_frexp_exp_i32_f64_e32 v17, v[17:18]
	v_frexp_mant_f32_e32 v18, v23
	s_delay_alu instid0(VALU_DEP_1) | instskip(SKIP_1) | instid1(VALU_DEP_1)
	v_cmp_gt_f32_e64 s3, 0x3f2aaaab, v18
	v_add_f32_e32 v18, -1.0, v23
	v_sub_f32_e32 v25, v18, v23
	s_delay_alu instid0(VALU_DEP_1)
	v_dual_sub_f32 v18, v22, v18 :: v_dual_add_f32 v25, 1.0, v25
	s_wait_alu 0xf1ff
	v_subrev_co_ci_u32_e64 v17, null, 0, v17, s3
	s_mov_b32 s3, 0x3e9b6dac
	v_sub_nc_u32_e32 v24, 0, v17
	v_cvt_f32_i32_e32 v17, v17
	s_delay_alu instid0(VALU_DEP_2) | instskip(SKIP_1) | instid1(VALU_DEP_1)
	v_ldexp_f32 v23, v23, v24
	v_add_f32_e32 v18, v18, v25
	v_ldexp_f32 v18, v18, v24
	s_delay_alu instid0(VALU_DEP_3) | instskip(NEXT) | instid1(VALU_DEP_1)
	v_add_f32_e32 v26, 1.0, v23
	v_add_f32_e32 v25, -1.0, v26
	s_delay_alu instid0(VALU_DEP_1) | instskip(NEXT) | instid1(VALU_DEP_1)
	v_sub_f32_e32 v25, v23, v25
	v_dual_add_f32 v25, v18, v25 :: v_dual_add_f32 v24, -1.0, v23
	s_delay_alu instid0(VALU_DEP_1) | instskip(NEXT) | instid1(VALU_DEP_1)
	v_add_f32_e32 v27, 1.0, v24
	v_sub_f32_e32 v23, v23, v27
	s_delay_alu instid0(VALU_DEP_3) | instskip(NEXT) | instid1(VALU_DEP_1)
	v_add_f32_e32 v27, v26, v25
	v_sub_f32_e32 v26, v26, v27
	s_delay_alu instid0(VALU_DEP_3) | instskip(SKIP_1) | instid1(VALU_DEP_2)
	v_add_f32_e32 v18, v18, v23
	v_rcp_f32_e32 v23, v27
	v_add_f32_e32 v25, v25, v26
	s_delay_alu instid0(VALU_DEP_2) | instskip(NEXT) | instid1(VALU_DEP_1)
	v_add_f32_e32 v28, v24, v18
	v_sub_f32_e32 v24, v24, v28
	s_delay_alu instid0(TRANS32_DEP_1) | instid1(VALU_DEP_1)
	v_dual_mul_f32 v29, v28, v23 :: v_dual_add_f32 v18, v18, v24
	s_delay_alu instid0(VALU_DEP_1) | instskip(NEXT) | instid1(VALU_DEP_1)
	v_mul_f32_e32 v30, v27, v29
	v_fma_f32 v26, v29, v27, -v30
	s_delay_alu instid0(VALU_DEP_1) | instskip(NEXT) | instid1(VALU_DEP_1)
	v_fmac_f32_e32 v26, v29, v25
	v_add_f32_e32 v31, v30, v26
	s_delay_alu instid0(VALU_DEP_1) | instskip(NEXT) | instid1(VALU_DEP_1)
	v_sub_f32_e32 v32, v28, v31
	v_sub_f32_e32 v28, v28, v32
	;; [unrolled: 1-line block ×3, first 2 shown]
	s_delay_alu instid0(VALU_DEP_2) | instskip(NEXT) | instid1(VALU_DEP_2)
	v_sub_f32_e32 v28, v28, v31
	v_sub_f32_e32 v24, v24, v26
	s_delay_alu instid0(VALU_DEP_2) | instskip(NEXT) | instid1(VALU_DEP_1)
	v_add_f32_e32 v18, v18, v28
	v_add_f32_e32 v18, v24, v18
	s_delay_alu instid0(VALU_DEP_1) | instskip(NEXT) | instid1(VALU_DEP_1)
	v_add_f32_e32 v24, v32, v18
	v_mul_f32_e32 v26, v23, v24
	s_delay_alu instid0(VALU_DEP_1) | instskip(NEXT) | instid1(VALU_DEP_1)
	v_mul_f32_e32 v28, v27, v26
	v_fma_f32 v27, v26, v27, -v28
	s_delay_alu instid0(VALU_DEP_1) | instskip(SKIP_1) | instid1(VALU_DEP_2)
	v_fmac_f32_e32 v27, v26, v25
	v_sub_f32_e32 v31, v32, v24
	v_add_f32_e32 v25, v28, v27
	s_delay_alu instid0(VALU_DEP_2) | instskip(NEXT) | instid1(VALU_DEP_2)
	v_add_f32_e32 v18, v18, v31
	v_sub_f32_e32 v30, v24, v25
	v_sub_f32_e32 v28, v25, v28
	s_delay_alu instid0(VALU_DEP_2) | instskip(NEXT) | instid1(VALU_DEP_1)
	v_sub_f32_e32 v24, v24, v30
	v_sub_f32_e32 v24, v24, v25
	s_delay_alu instid0(VALU_DEP_1) | instskip(SKIP_1) | instid1(VALU_DEP_1)
	v_dual_sub_f32 v25, v28, v27 :: v_dual_add_f32 v18, v18, v24
	v_add_f32_e32 v24, v29, v26
	v_dual_add_f32 v18, v25, v18 :: v_dual_sub_f32 v25, v24, v29
	s_delay_alu instid0(VALU_DEP_1) | instskip(NEXT) | instid1(VALU_DEP_1)
	v_add_f32_e32 v18, v30, v18
	v_dual_sub_f32 v25, v26, v25 :: v_dual_mul_f32 v18, v23, v18
	s_delay_alu instid0(VALU_DEP_1) | instskip(NEXT) | instid1(VALU_DEP_1)
	v_add_f32_e32 v18, v25, v18
	v_add_f32_e32 v23, v24, v18
	s_delay_alu instid0(VALU_DEP_1) | instskip(SKIP_1) | instid1(VALU_DEP_1)
	v_mul_f32_e32 v25, v23, v23
	s_wait_alu 0xfffe
	v_fmaak_f32 v26, s3, v25, 0x3ecc95a3
	v_mul_f32_e32 v27, v23, v25
	v_cmp_neq_f32_e64 s3, 0x7f800000, v22
	s_delay_alu instid0(VALU_DEP_3) | instskip(SKIP_2) | instid1(VALU_DEP_3)
	v_fmaak_f32 v25, v25, v26, 0x3f2aaada
	v_ldexp_f32 v26, v23, 1
	v_sub_f32_e32 v23, v23, v24
	v_mul_f32_e32 v25, v27, v25
	s_delay_alu instid0(VALU_DEP_2) | instskip(NEXT) | instid1(VALU_DEP_2)
	v_dual_mul_f32 v27, 0x3f317218, v17 :: v_dual_sub_f32 v18, v18, v23
	v_add_f32_e32 v24, v26, v25
	s_delay_alu instid0(VALU_DEP_2) | instskip(NEXT) | instid1(VALU_DEP_2)
	v_ldexp_f32 v18, v18, 1
	v_sub_f32_e32 v23, v24, v26
	s_delay_alu instid0(VALU_DEP_4) | instskip(NEXT) | instid1(VALU_DEP_2)
	v_fma_f32 v26, 0x3f317218, v17, -v27
	v_sub_f32_e32 v23, v25, v23
	s_delay_alu instid0(VALU_DEP_1) | instskip(NEXT) | instid1(VALU_DEP_1)
	v_dual_fmamk_f32 v17, v17, 0xb102e308, v26 :: v_dual_add_f32 v18, v18, v23
	v_add_f32_e32 v23, v27, v17
	s_delay_alu instid0(VALU_DEP_2) | instskip(NEXT) | instid1(VALU_DEP_2)
	v_add_f32_e32 v25, v24, v18
	v_sub_f32_e32 v27, v23, v27
	s_delay_alu instid0(VALU_DEP_2) | instskip(SKIP_1) | instid1(VALU_DEP_3)
	v_add_f32_e32 v26, v23, v25
	v_sub_f32_e32 v24, v25, v24
	v_sub_f32_e32 v17, v17, v27
	s_delay_alu instid0(VALU_DEP_3) | instskip(NEXT) | instid1(VALU_DEP_3)
	v_sub_f32_e32 v28, v26, v23
	v_sub_f32_e32 v18, v18, v24
	s_delay_alu instid0(VALU_DEP_2) | instskip(SKIP_1) | instid1(VALU_DEP_3)
	v_sub_f32_e32 v29, v26, v28
	v_sub_f32_e32 v24, v25, v28
	v_add_f32_e32 v25, v17, v18
	s_delay_alu instid0(VALU_DEP_3) | instskip(NEXT) | instid1(VALU_DEP_1)
	v_sub_f32_e32 v23, v23, v29
	v_dual_add_f32 v23, v24, v23 :: v_dual_sub_f32 v24, v25, v17
	s_delay_alu instid0(VALU_DEP_1) | instskip(NEXT) | instid1(VALU_DEP_2)
	v_add_f32_e32 v23, v25, v23
	v_sub_f32_e32 v25, v25, v24
	v_sub_f32_e32 v18, v18, v24
	s_delay_alu instid0(VALU_DEP_3) | instskip(NEXT) | instid1(VALU_DEP_1)
	v_add_f32_e32 v27, v26, v23
	v_dual_sub_f32 v17, v17, v25 :: v_dual_sub_f32 v24, v27, v26
	s_delay_alu instid0(VALU_DEP_1) | instskip(NEXT) | instid1(VALU_DEP_1)
	v_dual_add_f32 v17, v18, v17 :: v_dual_sub_f32 v18, v23, v24
	v_add_f32_e32 v17, v17, v18
	s_delay_alu instid0(VALU_DEP_1) | instskip(SKIP_1) | instid1(VALU_DEP_1)
	v_add_f32_e32 v17, v27, v17
	s_wait_alu 0xf1ff
	v_cndmask_b32_e64 v17, 0x7f800000, v17, s3
	v_cmp_gt_f32_e64 s3, 0x33800000, |v22|
	s_wait_alu 0xf1ff
	s_delay_alu instid0(VALU_DEP_1) | instskip(NEXT) | instid1(VALU_DEP_1)
	v_cndmask_b32_e64 v17, v17, v22, s3
	v_add_f32_e32 v17, v19, v17
	s_delay_alu instid0(VALU_DEP_1) | instskip(NEXT) | instid1(VALU_DEP_1)
	v_cvt_f16_f32_e32 v17, v17
	v_cvt_f32_f16_e32 v18, v17
.LBB421_269:
	s_wait_alu 0xfffe
	s_or_b32 exec_lo, exec_lo, s14
	ds_load_u16 v19, v14 offset:6
	v_max_num_f32_e32 v22, v18, v18
	v_cmp_u_f16_e64 s3, v17, v17
	ds_store_b16 v14, v17 offset:4
	s_wait_dscnt 0x1
	v_cvt_f32_f16_e32 v23, v19
	s_delay_alu instid0(VALU_DEP_1) | instskip(SKIP_2) | instid1(VALU_DEP_2)
	v_min_num_f32_e32 v24, v22, v23
	v_max_num_f32_e32 v22, v22, v23
	s_wait_alu 0xf1ff
	v_cndmask_b32_e64 v24, v24, v18, s3
	s_delay_alu instid0(VALU_DEP_2) | instskip(SKIP_2) | instid1(VALU_DEP_1)
	v_cndmask_b32_e64 v25, v22, v18, s3
	v_cmp_u_f16_e64 s3, v19, v19
	s_wait_alu 0xf1ff
	v_cndmask_b32_e64 v22, v24, v23, s3
	s_delay_alu instid0(VALU_DEP_3) | instskip(NEXT) | instid1(VALU_DEP_2)
	v_cndmask_b32_e64 v19, v25, v23, s3
	v_cmp_class_f32_e64 s14, v22, 0x1f8
	s_delay_alu instid0(VALU_DEP_2)
	v_cmp_neq_f32_e64 s3, v22, v19
	s_or_b32 s3, s3, s14
	s_wait_alu 0xfffe
	s_and_saveexec_b32 s14, s3
	s_cbranch_execz .LBB421_271
; %bb.270:
	v_sub_f32_e32 v17, v22, v19
	s_delay_alu instid0(VALU_DEP_1) | instskip(SKIP_1) | instid1(VALU_DEP_2)
	v_mul_f32_e32 v18, 0x3fb8aa3b, v17
	v_cmp_ngt_f32_e64 s3, 0xc2ce8ed0, v17
	v_fma_f32 v22, 0x3fb8aa3b, v17, -v18
	v_rndne_f32_e32 v23, v18
	s_delay_alu instid0(VALU_DEP_2) | instskip(NEXT) | instid1(VALU_DEP_2)
	v_fmamk_f32 v22, v17, 0x32a5705f, v22
	v_sub_f32_e32 v18, v18, v23
	s_delay_alu instid0(VALU_DEP_1) | instskip(SKIP_1) | instid1(VALU_DEP_2)
	v_add_f32_e32 v18, v18, v22
	v_cvt_i32_f32_e32 v22, v23
	v_exp_f32_e32 v18, v18
	s_delay_alu instid0(TRANS32_DEP_1) | instskip(SKIP_1) | instid1(VALU_DEP_1)
	v_ldexp_f32 v18, v18, v22
	s_wait_alu 0xf1ff
	v_cndmask_b32_e64 v18, 0, v18, s3
	v_cmp_nlt_f32_e64 s3, 0x42b17218, v17
	s_wait_alu 0xf1ff
	s_delay_alu instid0(VALU_DEP_1) | instskip(NEXT) | instid1(VALU_DEP_1)
	v_cndmask_b32_e64 v22, 0x7f800000, v18, s3
	v_add_f32_e32 v23, 1.0, v22
	s_delay_alu instid0(VALU_DEP_1) | instskip(NEXT) | instid1(VALU_DEP_1)
	v_cvt_f64_f32_e32 v[17:18], v23
	v_frexp_exp_i32_f64_e32 v17, v[17:18]
	v_frexp_mant_f32_e32 v18, v23
	s_delay_alu instid0(VALU_DEP_1) | instskip(SKIP_1) | instid1(VALU_DEP_1)
	v_cmp_gt_f32_e64 s3, 0x3f2aaaab, v18
	v_add_f32_e32 v18, -1.0, v23
	v_sub_f32_e32 v25, v18, v23
	s_delay_alu instid0(VALU_DEP_1)
	v_dual_sub_f32 v18, v22, v18 :: v_dual_add_f32 v25, 1.0, v25
	s_wait_alu 0xf1ff
	v_subrev_co_ci_u32_e64 v17, null, 0, v17, s3
	s_mov_b32 s3, 0x3e9b6dac
	v_sub_nc_u32_e32 v24, 0, v17
	v_cvt_f32_i32_e32 v17, v17
	s_delay_alu instid0(VALU_DEP_2) | instskip(SKIP_1) | instid1(VALU_DEP_1)
	v_ldexp_f32 v23, v23, v24
	v_add_f32_e32 v18, v18, v25
	v_ldexp_f32 v18, v18, v24
	s_delay_alu instid0(VALU_DEP_3) | instskip(NEXT) | instid1(VALU_DEP_1)
	v_add_f32_e32 v26, 1.0, v23
	v_add_f32_e32 v25, -1.0, v26
	s_delay_alu instid0(VALU_DEP_1) | instskip(NEXT) | instid1(VALU_DEP_1)
	v_sub_f32_e32 v25, v23, v25
	v_dual_add_f32 v25, v18, v25 :: v_dual_add_f32 v24, -1.0, v23
	s_delay_alu instid0(VALU_DEP_1) | instskip(NEXT) | instid1(VALU_DEP_1)
	v_add_f32_e32 v27, 1.0, v24
	v_sub_f32_e32 v23, v23, v27
	s_delay_alu instid0(VALU_DEP_3) | instskip(NEXT) | instid1(VALU_DEP_1)
	v_add_f32_e32 v27, v26, v25
	v_sub_f32_e32 v26, v26, v27
	s_delay_alu instid0(VALU_DEP_3) | instskip(SKIP_1) | instid1(VALU_DEP_2)
	v_add_f32_e32 v18, v18, v23
	v_rcp_f32_e32 v23, v27
	v_add_f32_e32 v25, v25, v26
	s_delay_alu instid0(VALU_DEP_2) | instskip(NEXT) | instid1(VALU_DEP_1)
	v_add_f32_e32 v28, v24, v18
	v_sub_f32_e32 v24, v24, v28
	s_delay_alu instid0(TRANS32_DEP_1) | instid1(VALU_DEP_1)
	v_dual_mul_f32 v29, v28, v23 :: v_dual_add_f32 v18, v18, v24
	s_delay_alu instid0(VALU_DEP_1) | instskip(NEXT) | instid1(VALU_DEP_1)
	v_mul_f32_e32 v30, v27, v29
	v_fma_f32 v26, v29, v27, -v30
	s_delay_alu instid0(VALU_DEP_1) | instskip(NEXT) | instid1(VALU_DEP_1)
	v_fmac_f32_e32 v26, v29, v25
	v_add_f32_e32 v31, v30, v26
	s_delay_alu instid0(VALU_DEP_1) | instskip(NEXT) | instid1(VALU_DEP_1)
	v_sub_f32_e32 v32, v28, v31
	v_sub_f32_e32 v28, v28, v32
	;; [unrolled: 1-line block ×3, first 2 shown]
	s_delay_alu instid0(VALU_DEP_2) | instskip(NEXT) | instid1(VALU_DEP_2)
	v_sub_f32_e32 v28, v28, v31
	v_sub_f32_e32 v24, v24, v26
	s_delay_alu instid0(VALU_DEP_2) | instskip(NEXT) | instid1(VALU_DEP_1)
	v_add_f32_e32 v18, v18, v28
	v_add_f32_e32 v18, v24, v18
	s_delay_alu instid0(VALU_DEP_1) | instskip(NEXT) | instid1(VALU_DEP_1)
	v_add_f32_e32 v24, v32, v18
	v_mul_f32_e32 v26, v23, v24
	s_delay_alu instid0(VALU_DEP_1) | instskip(NEXT) | instid1(VALU_DEP_1)
	v_mul_f32_e32 v28, v27, v26
	v_fma_f32 v27, v26, v27, -v28
	s_delay_alu instid0(VALU_DEP_1) | instskip(SKIP_1) | instid1(VALU_DEP_2)
	v_fmac_f32_e32 v27, v26, v25
	v_sub_f32_e32 v31, v32, v24
	v_add_f32_e32 v25, v28, v27
	s_delay_alu instid0(VALU_DEP_2) | instskip(NEXT) | instid1(VALU_DEP_2)
	v_add_f32_e32 v18, v18, v31
	v_sub_f32_e32 v30, v24, v25
	v_sub_f32_e32 v28, v25, v28
	s_delay_alu instid0(VALU_DEP_2) | instskip(NEXT) | instid1(VALU_DEP_1)
	v_sub_f32_e32 v24, v24, v30
	v_sub_f32_e32 v24, v24, v25
	s_delay_alu instid0(VALU_DEP_1) | instskip(SKIP_1) | instid1(VALU_DEP_1)
	v_dual_sub_f32 v25, v28, v27 :: v_dual_add_f32 v18, v18, v24
	v_add_f32_e32 v24, v29, v26
	v_dual_add_f32 v18, v25, v18 :: v_dual_sub_f32 v25, v24, v29
	s_delay_alu instid0(VALU_DEP_1) | instskip(NEXT) | instid1(VALU_DEP_1)
	v_add_f32_e32 v18, v30, v18
	v_dual_sub_f32 v25, v26, v25 :: v_dual_mul_f32 v18, v23, v18
	s_delay_alu instid0(VALU_DEP_1) | instskip(NEXT) | instid1(VALU_DEP_1)
	v_add_f32_e32 v18, v25, v18
	v_add_f32_e32 v23, v24, v18
	s_delay_alu instid0(VALU_DEP_1) | instskip(SKIP_1) | instid1(VALU_DEP_1)
	v_mul_f32_e32 v25, v23, v23
	s_wait_alu 0xfffe
	v_fmaak_f32 v26, s3, v25, 0x3ecc95a3
	v_mul_f32_e32 v27, v23, v25
	v_cmp_neq_f32_e64 s3, 0x7f800000, v22
	s_delay_alu instid0(VALU_DEP_3) | instskip(SKIP_2) | instid1(VALU_DEP_3)
	v_fmaak_f32 v25, v25, v26, 0x3f2aaada
	v_ldexp_f32 v26, v23, 1
	v_sub_f32_e32 v23, v23, v24
	v_mul_f32_e32 v25, v27, v25
	s_delay_alu instid0(VALU_DEP_2) | instskip(NEXT) | instid1(VALU_DEP_2)
	v_dual_mul_f32 v27, 0x3f317218, v17 :: v_dual_sub_f32 v18, v18, v23
	v_add_f32_e32 v24, v26, v25
	s_delay_alu instid0(VALU_DEP_2) | instskip(NEXT) | instid1(VALU_DEP_2)
	v_ldexp_f32 v18, v18, 1
	v_sub_f32_e32 v23, v24, v26
	s_delay_alu instid0(VALU_DEP_4) | instskip(NEXT) | instid1(VALU_DEP_2)
	v_fma_f32 v26, 0x3f317218, v17, -v27
	v_sub_f32_e32 v23, v25, v23
	s_delay_alu instid0(VALU_DEP_1) | instskip(NEXT) | instid1(VALU_DEP_1)
	v_dual_fmamk_f32 v17, v17, 0xb102e308, v26 :: v_dual_add_f32 v18, v18, v23
	v_add_f32_e32 v23, v27, v17
	s_delay_alu instid0(VALU_DEP_2) | instskip(NEXT) | instid1(VALU_DEP_2)
	v_add_f32_e32 v25, v24, v18
	v_sub_f32_e32 v27, v23, v27
	s_delay_alu instid0(VALU_DEP_2) | instskip(SKIP_1) | instid1(VALU_DEP_3)
	v_add_f32_e32 v26, v23, v25
	v_sub_f32_e32 v24, v25, v24
	v_sub_f32_e32 v17, v17, v27
	s_delay_alu instid0(VALU_DEP_3) | instskip(NEXT) | instid1(VALU_DEP_3)
	v_sub_f32_e32 v28, v26, v23
	v_sub_f32_e32 v18, v18, v24
	s_delay_alu instid0(VALU_DEP_2) | instskip(SKIP_1) | instid1(VALU_DEP_3)
	v_sub_f32_e32 v29, v26, v28
	v_sub_f32_e32 v24, v25, v28
	v_add_f32_e32 v25, v17, v18
	s_delay_alu instid0(VALU_DEP_3) | instskip(NEXT) | instid1(VALU_DEP_1)
	v_sub_f32_e32 v23, v23, v29
	v_dual_add_f32 v23, v24, v23 :: v_dual_sub_f32 v24, v25, v17
	s_delay_alu instid0(VALU_DEP_1) | instskip(NEXT) | instid1(VALU_DEP_2)
	v_add_f32_e32 v23, v25, v23
	v_sub_f32_e32 v25, v25, v24
	v_sub_f32_e32 v18, v18, v24
	s_delay_alu instid0(VALU_DEP_3) | instskip(NEXT) | instid1(VALU_DEP_1)
	v_add_f32_e32 v27, v26, v23
	v_dual_sub_f32 v17, v17, v25 :: v_dual_sub_f32 v24, v27, v26
	s_delay_alu instid0(VALU_DEP_1) | instskip(NEXT) | instid1(VALU_DEP_1)
	v_dual_add_f32 v17, v18, v17 :: v_dual_sub_f32 v18, v23, v24
	v_add_f32_e32 v17, v17, v18
	s_delay_alu instid0(VALU_DEP_1) | instskip(SKIP_1) | instid1(VALU_DEP_1)
	v_add_f32_e32 v17, v27, v17
	s_wait_alu 0xf1ff
	v_cndmask_b32_e64 v17, 0x7f800000, v17, s3
	v_cmp_gt_f32_e64 s3, 0x33800000, |v22|
	s_wait_alu 0xf1ff
	s_delay_alu instid0(VALU_DEP_1) | instskip(NEXT) | instid1(VALU_DEP_1)
	v_cndmask_b32_e64 v17, v17, v22, s3
	v_add_f32_e32 v17, v19, v17
	s_delay_alu instid0(VALU_DEP_1) | instskip(NEXT) | instid1(VALU_DEP_1)
	v_cvt_f16_f32_e32 v17, v17
	v_cvt_f32_f16_e32 v18, v17
.LBB421_271:
	s_wait_alu 0xfffe
	s_or_b32 exec_lo, exec_lo, s14
	ds_load_u16 v19, v14 offset:8
	v_max_num_f32_e32 v22, v18, v18
	v_cmp_u_f16_e64 s3, v17, v17
	ds_store_b16 v14, v17 offset:6
	s_wait_dscnt 0x1
	v_cvt_f32_f16_e32 v23, v19
	s_delay_alu instid0(VALU_DEP_1) | instskip(SKIP_2) | instid1(VALU_DEP_2)
	v_min_num_f32_e32 v24, v22, v23
	v_max_num_f32_e32 v22, v22, v23
	s_wait_alu 0xf1ff
	v_cndmask_b32_e64 v24, v24, v18, s3
	s_delay_alu instid0(VALU_DEP_2) | instskip(SKIP_2) | instid1(VALU_DEP_1)
	v_cndmask_b32_e64 v25, v22, v18, s3
	v_cmp_u_f16_e64 s3, v19, v19
	s_wait_alu 0xf1ff
	v_cndmask_b32_e64 v22, v24, v23, s3
	s_delay_alu instid0(VALU_DEP_3) | instskip(NEXT) | instid1(VALU_DEP_2)
	v_cndmask_b32_e64 v19, v25, v23, s3
	v_cmp_class_f32_e64 s14, v22, 0x1f8
	s_delay_alu instid0(VALU_DEP_2)
	v_cmp_neq_f32_e64 s3, v22, v19
	s_or_b32 s3, s3, s14
	s_wait_alu 0xfffe
	s_and_saveexec_b32 s14, s3
	s_cbranch_execz .LBB421_273
; %bb.272:
	v_sub_f32_e32 v17, v22, v19
	s_delay_alu instid0(VALU_DEP_1) | instskip(SKIP_1) | instid1(VALU_DEP_2)
	v_mul_f32_e32 v18, 0x3fb8aa3b, v17
	v_cmp_ngt_f32_e64 s3, 0xc2ce8ed0, v17
	v_fma_f32 v22, 0x3fb8aa3b, v17, -v18
	v_rndne_f32_e32 v23, v18
	s_delay_alu instid0(VALU_DEP_2) | instskip(NEXT) | instid1(VALU_DEP_2)
	v_fmamk_f32 v22, v17, 0x32a5705f, v22
	v_sub_f32_e32 v18, v18, v23
	s_delay_alu instid0(VALU_DEP_1) | instskip(SKIP_1) | instid1(VALU_DEP_2)
	v_add_f32_e32 v18, v18, v22
	v_cvt_i32_f32_e32 v22, v23
	v_exp_f32_e32 v18, v18
	s_delay_alu instid0(TRANS32_DEP_1) | instskip(SKIP_1) | instid1(VALU_DEP_1)
	v_ldexp_f32 v18, v18, v22
	s_wait_alu 0xf1ff
	v_cndmask_b32_e64 v18, 0, v18, s3
	v_cmp_nlt_f32_e64 s3, 0x42b17218, v17
	s_wait_alu 0xf1ff
	s_delay_alu instid0(VALU_DEP_1) | instskip(NEXT) | instid1(VALU_DEP_1)
	v_cndmask_b32_e64 v22, 0x7f800000, v18, s3
	v_add_f32_e32 v23, 1.0, v22
	s_delay_alu instid0(VALU_DEP_1) | instskip(NEXT) | instid1(VALU_DEP_1)
	v_cvt_f64_f32_e32 v[17:18], v23
	v_frexp_exp_i32_f64_e32 v17, v[17:18]
	v_frexp_mant_f32_e32 v18, v23
	s_delay_alu instid0(VALU_DEP_1) | instskip(SKIP_1) | instid1(VALU_DEP_1)
	v_cmp_gt_f32_e64 s3, 0x3f2aaaab, v18
	v_add_f32_e32 v18, -1.0, v23
	v_sub_f32_e32 v25, v18, v23
	s_delay_alu instid0(VALU_DEP_1)
	v_dual_sub_f32 v18, v22, v18 :: v_dual_add_f32 v25, 1.0, v25
	s_wait_alu 0xf1ff
	v_subrev_co_ci_u32_e64 v17, null, 0, v17, s3
	s_mov_b32 s3, 0x3e9b6dac
	v_sub_nc_u32_e32 v24, 0, v17
	v_cvt_f32_i32_e32 v17, v17
	s_delay_alu instid0(VALU_DEP_2) | instskip(SKIP_1) | instid1(VALU_DEP_1)
	v_ldexp_f32 v23, v23, v24
	v_add_f32_e32 v18, v18, v25
	v_ldexp_f32 v18, v18, v24
	s_delay_alu instid0(VALU_DEP_3) | instskip(NEXT) | instid1(VALU_DEP_1)
	v_add_f32_e32 v26, 1.0, v23
	v_add_f32_e32 v25, -1.0, v26
	s_delay_alu instid0(VALU_DEP_1) | instskip(NEXT) | instid1(VALU_DEP_1)
	v_sub_f32_e32 v25, v23, v25
	v_dual_add_f32 v25, v18, v25 :: v_dual_add_f32 v24, -1.0, v23
	s_delay_alu instid0(VALU_DEP_1) | instskip(NEXT) | instid1(VALU_DEP_1)
	v_add_f32_e32 v27, 1.0, v24
	v_sub_f32_e32 v23, v23, v27
	s_delay_alu instid0(VALU_DEP_3) | instskip(NEXT) | instid1(VALU_DEP_1)
	v_add_f32_e32 v27, v26, v25
	v_sub_f32_e32 v26, v26, v27
	s_delay_alu instid0(VALU_DEP_3) | instskip(SKIP_1) | instid1(VALU_DEP_2)
	v_add_f32_e32 v18, v18, v23
	v_rcp_f32_e32 v23, v27
	v_add_f32_e32 v25, v25, v26
	s_delay_alu instid0(VALU_DEP_2) | instskip(NEXT) | instid1(VALU_DEP_1)
	v_add_f32_e32 v28, v24, v18
	v_sub_f32_e32 v24, v24, v28
	s_delay_alu instid0(TRANS32_DEP_1) | instid1(VALU_DEP_1)
	v_dual_mul_f32 v29, v28, v23 :: v_dual_add_f32 v18, v18, v24
	s_delay_alu instid0(VALU_DEP_1) | instskip(NEXT) | instid1(VALU_DEP_1)
	v_mul_f32_e32 v30, v27, v29
	v_fma_f32 v26, v29, v27, -v30
	s_delay_alu instid0(VALU_DEP_1) | instskip(NEXT) | instid1(VALU_DEP_1)
	v_fmac_f32_e32 v26, v29, v25
	v_add_f32_e32 v31, v30, v26
	s_delay_alu instid0(VALU_DEP_1) | instskip(NEXT) | instid1(VALU_DEP_1)
	v_sub_f32_e32 v32, v28, v31
	v_sub_f32_e32 v28, v28, v32
	;; [unrolled: 1-line block ×3, first 2 shown]
	s_delay_alu instid0(VALU_DEP_2) | instskip(NEXT) | instid1(VALU_DEP_2)
	v_sub_f32_e32 v28, v28, v31
	v_sub_f32_e32 v24, v24, v26
	s_delay_alu instid0(VALU_DEP_2) | instskip(NEXT) | instid1(VALU_DEP_1)
	v_add_f32_e32 v18, v18, v28
	v_add_f32_e32 v18, v24, v18
	s_delay_alu instid0(VALU_DEP_1) | instskip(NEXT) | instid1(VALU_DEP_1)
	v_add_f32_e32 v24, v32, v18
	v_mul_f32_e32 v26, v23, v24
	s_delay_alu instid0(VALU_DEP_1) | instskip(NEXT) | instid1(VALU_DEP_1)
	v_mul_f32_e32 v28, v27, v26
	v_fma_f32 v27, v26, v27, -v28
	s_delay_alu instid0(VALU_DEP_1) | instskip(SKIP_1) | instid1(VALU_DEP_2)
	v_fmac_f32_e32 v27, v26, v25
	v_sub_f32_e32 v31, v32, v24
	v_add_f32_e32 v25, v28, v27
	s_delay_alu instid0(VALU_DEP_2) | instskip(NEXT) | instid1(VALU_DEP_2)
	v_add_f32_e32 v18, v18, v31
	v_sub_f32_e32 v30, v24, v25
	v_sub_f32_e32 v28, v25, v28
	s_delay_alu instid0(VALU_DEP_2) | instskip(NEXT) | instid1(VALU_DEP_1)
	v_sub_f32_e32 v24, v24, v30
	v_sub_f32_e32 v24, v24, v25
	s_delay_alu instid0(VALU_DEP_1) | instskip(SKIP_1) | instid1(VALU_DEP_1)
	v_dual_sub_f32 v25, v28, v27 :: v_dual_add_f32 v18, v18, v24
	v_add_f32_e32 v24, v29, v26
	v_dual_add_f32 v18, v25, v18 :: v_dual_sub_f32 v25, v24, v29
	s_delay_alu instid0(VALU_DEP_1) | instskip(NEXT) | instid1(VALU_DEP_1)
	v_add_f32_e32 v18, v30, v18
	v_dual_sub_f32 v25, v26, v25 :: v_dual_mul_f32 v18, v23, v18
	s_delay_alu instid0(VALU_DEP_1) | instskip(NEXT) | instid1(VALU_DEP_1)
	v_add_f32_e32 v18, v25, v18
	v_add_f32_e32 v23, v24, v18
	s_delay_alu instid0(VALU_DEP_1) | instskip(SKIP_1) | instid1(VALU_DEP_1)
	v_mul_f32_e32 v25, v23, v23
	s_wait_alu 0xfffe
	v_fmaak_f32 v26, s3, v25, 0x3ecc95a3
	v_mul_f32_e32 v27, v23, v25
	v_cmp_neq_f32_e64 s3, 0x7f800000, v22
	s_delay_alu instid0(VALU_DEP_3) | instskip(SKIP_2) | instid1(VALU_DEP_3)
	v_fmaak_f32 v25, v25, v26, 0x3f2aaada
	v_ldexp_f32 v26, v23, 1
	v_sub_f32_e32 v23, v23, v24
	v_mul_f32_e32 v25, v27, v25
	s_delay_alu instid0(VALU_DEP_2) | instskip(NEXT) | instid1(VALU_DEP_2)
	v_dual_mul_f32 v27, 0x3f317218, v17 :: v_dual_sub_f32 v18, v18, v23
	v_add_f32_e32 v24, v26, v25
	s_delay_alu instid0(VALU_DEP_2) | instskip(NEXT) | instid1(VALU_DEP_2)
	v_ldexp_f32 v18, v18, 1
	v_sub_f32_e32 v23, v24, v26
	s_delay_alu instid0(VALU_DEP_4) | instskip(NEXT) | instid1(VALU_DEP_2)
	v_fma_f32 v26, 0x3f317218, v17, -v27
	v_sub_f32_e32 v23, v25, v23
	s_delay_alu instid0(VALU_DEP_1) | instskip(NEXT) | instid1(VALU_DEP_1)
	v_dual_fmamk_f32 v17, v17, 0xb102e308, v26 :: v_dual_add_f32 v18, v18, v23
	v_add_f32_e32 v23, v27, v17
	s_delay_alu instid0(VALU_DEP_2) | instskip(NEXT) | instid1(VALU_DEP_2)
	v_add_f32_e32 v25, v24, v18
	v_sub_f32_e32 v27, v23, v27
	s_delay_alu instid0(VALU_DEP_2) | instskip(SKIP_1) | instid1(VALU_DEP_3)
	v_add_f32_e32 v26, v23, v25
	v_sub_f32_e32 v24, v25, v24
	v_sub_f32_e32 v17, v17, v27
	s_delay_alu instid0(VALU_DEP_3) | instskip(NEXT) | instid1(VALU_DEP_3)
	v_sub_f32_e32 v28, v26, v23
	v_sub_f32_e32 v18, v18, v24
	s_delay_alu instid0(VALU_DEP_2) | instskip(SKIP_1) | instid1(VALU_DEP_3)
	v_sub_f32_e32 v29, v26, v28
	v_sub_f32_e32 v24, v25, v28
	v_add_f32_e32 v25, v17, v18
	s_delay_alu instid0(VALU_DEP_3) | instskip(NEXT) | instid1(VALU_DEP_1)
	v_sub_f32_e32 v23, v23, v29
	v_dual_add_f32 v23, v24, v23 :: v_dual_sub_f32 v24, v25, v17
	s_delay_alu instid0(VALU_DEP_1) | instskip(NEXT) | instid1(VALU_DEP_2)
	v_add_f32_e32 v23, v25, v23
	v_sub_f32_e32 v25, v25, v24
	v_sub_f32_e32 v18, v18, v24
	s_delay_alu instid0(VALU_DEP_3) | instskip(NEXT) | instid1(VALU_DEP_1)
	v_add_f32_e32 v27, v26, v23
	v_dual_sub_f32 v17, v17, v25 :: v_dual_sub_f32 v24, v27, v26
	s_delay_alu instid0(VALU_DEP_1) | instskip(NEXT) | instid1(VALU_DEP_1)
	v_dual_add_f32 v17, v18, v17 :: v_dual_sub_f32 v18, v23, v24
	v_add_f32_e32 v17, v17, v18
	s_delay_alu instid0(VALU_DEP_1) | instskip(SKIP_1) | instid1(VALU_DEP_1)
	v_add_f32_e32 v17, v27, v17
	s_wait_alu 0xf1ff
	v_cndmask_b32_e64 v17, 0x7f800000, v17, s3
	v_cmp_gt_f32_e64 s3, 0x33800000, |v22|
	s_wait_alu 0xf1ff
	s_delay_alu instid0(VALU_DEP_1) | instskip(NEXT) | instid1(VALU_DEP_1)
	v_cndmask_b32_e64 v17, v17, v22, s3
	v_add_f32_e32 v17, v19, v17
	s_delay_alu instid0(VALU_DEP_1) | instskip(NEXT) | instid1(VALU_DEP_1)
	v_cvt_f16_f32_e32 v17, v17
	v_cvt_f32_f16_e32 v18, v17
.LBB421_273:
	s_wait_alu 0xfffe
	s_or_b32 exec_lo, exec_lo, s14
	ds_load_u16 v19, v14 offset:10
	v_max_num_f32_e32 v22, v18, v18
	v_cmp_u_f16_e64 s3, v17, v17
	ds_store_b16 v14, v17 offset:8
	s_wait_dscnt 0x1
	v_cvt_f32_f16_e32 v23, v19
	s_delay_alu instid0(VALU_DEP_1) | instskip(SKIP_2) | instid1(VALU_DEP_2)
	v_min_num_f32_e32 v24, v22, v23
	v_max_num_f32_e32 v22, v22, v23
	s_wait_alu 0xf1ff
	v_cndmask_b32_e64 v24, v24, v18, s3
	s_delay_alu instid0(VALU_DEP_2) | instskip(SKIP_2) | instid1(VALU_DEP_1)
	v_cndmask_b32_e64 v25, v22, v18, s3
	v_cmp_u_f16_e64 s3, v19, v19
	s_wait_alu 0xf1ff
	v_cndmask_b32_e64 v22, v24, v23, s3
	s_delay_alu instid0(VALU_DEP_3) | instskip(NEXT) | instid1(VALU_DEP_2)
	v_cndmask_b32_e64 v19, v25, v23, s3
	v_cmp_class_f32_e64 s14, v22, 0x1f8
	s_delay_alu instid0(VALU_DEP_2)
	v_cmp_neq_f32_e64 s3, v22, v19
	s_or_b32 s3, s3, s14
	s_wait_alu 0xfffe
	s_and_saveexec_b32 s14, s3
	s_cbranch_execz .LBB421_275
; %bb.274:
	v_sub_f32_e32 v17, v22, v19
	s_delay_alu instid0(VALU_DEP_1) | instskip(SKIP_1) | instid1(VALU_DEP_2)
	v_mul_f32_e32 v18, 0x3fb8aa3b, v17
	v_cmp_ngt_f32_e64 s3, 0xc2ce8ed0, v17
	v_fma_f32 v22, 0x3fb8aa3b, v17, -v18
	v_rndne_f32_e32 v23, v18
	s_delay_alu instid0(VALU_DEP_2) | instskip(NEXT) | instid1(VALU_DEP_2)
	v_fmamk_f32 v22, v17, 0x32a5705f, v22
	v_sub_f32_e32 v18, v18, v23
	s_delay_alu instid0(VALU_DEP_1) | instskip(SKIP_1) | instid1(VALU_DEP_2)
	v_add_f32_e32 v18, v18, v22
	v_cvt_i32_f32_e32 v22, v23
	v_exp_f32_e32 v18, v18
	s_delay_alu instid0(TRANS32_DEP_1) | instskip(SKIP_1) | instid1(VALU_DEP_1)
	v_ldexp_f32 v18, v18, v22
	s_wait_alu 0xf1ff
	v_cndmask_b32_e64 v18, 0, v18, s3
	v_cmp_nlt_f32_e64 s3, 0x42b17218, v17
	s_wait_alu 0xf1ff
	s_delay_alu instid0(VALU_DEP_1) | instskip(NEXT) | instid1(VALU_DEP_1)
	v_cndmask_b32_e64 v22, 0x7f800000, v18, s3
	v_add_f32_e32 v23, 1.0, v22
	s_delay_alu instid0(VALU_DEP_1) | instskip(NEXT) | instid1(VALU_DEP_1)
	v_cvt_f64_f32_e32 v[17:18], v23
	v_frexp_exp_i32_f64_e32 v17, v[17:18]
	v_frexp_mant_f32_e32 v18, v23
	s_delay_alu instid0(VALU_DEP_1) | instskip(SKIP_1) | instid1(VALU_DEP_1)
	v_cmp_gt_f32_e64 s3, 0x3f2aaaab, v18
	v_add_f32_e32 v18, -1.0, v23
	v_sub_f32_e32 v25, v18, v23
	s_delay_alu instid0(VALU_DEP_1)
	v_dual_sub_f32 v18, v22, v18 :: v_dual_add_f32 v25, 1.0, v25
	s_wait_alu 0xf1ff
	v_subrev_co_ci_u32_e64 v17, null, 0, v17, s3
	s_mov_b32 s3, 0x3e9b6dac
	v_sub_nc_u32_e32 v24, 0, v17
	v_cvt_f32_i32_e32 v17, v17
	s_delay_alu instid0(VALU_DEP_2) | instskip(SKIP_1) | instid1(VALU_DEP_1)
	v_ldexp_f32 v23, v23, v24
	v_add_f32_e32 v18, v18, v25
	v_ldexp_f32 v18, v18, v24
	s_delay_alu instid0(VALU_DEP_3) | instskip(NEXT) | instid1(VALU_DEP_1)
	v_add_f32_e32 v26, 1.0, v23
	v_add_f32_e32 v25, -1.0, v26
	s_delay_alu instid0(VALU_DEP_1) | instskip(NEXT) | instid1(VALU_DEP_1)
	v_sub_f32_e32 v25, v23, v25
	v_dual_add_f32 v25, v18, v25 :: v_dual_add_f32 v24, -1.0, v23
	s_delay_alu instid0(VALU_DEP_1) | instskip(NEXT) | instid1(VALU_DEP_1)
	v_add_f32_e32 v27, 1.0, v24
	v_sub_f32_e32 v23, v23, v27
	s_delay_alu instid0(VALU_DEP_3) | instskip(NEXT) | instid1(VALU_DEP_1)
	v_add_f32_e32 v27, v26, v25
	v_sub_f32_e32 v26, v26, v27
	s_delay_alu instid0(VALU_DEP_3) | instskip(SKIP_1) | instid1(VALU_DEP_2)
	v_add_f32_e32 v18, v18, v23
	v_rcp_f32_e32 v23, v27
	v_add_f32_e32 v25, v25, v26
	s_delay_alu instid0(VALU_DEP_2) | instskip(NEXT) | instid1(VALU_DEP_1)
	v_add_f32_e32 v28, v24, v18
	v_sub_f32_e32 v24, v24, v28
	s_delay_alu instid0(TRANS32_DEP_1) | instid1(VALU_DEP_1)
	v_dual_mul_f32 v29, v28, v23 :: v_dual_add_f32 v18, v18, v24
	s_delay_alu instid0(VALU_DEP_1) | instskip(NEXT) | instid1(VALU_DEP_1)
	v_mul_f32_e32 v30, v27, v29
	v_fma_f32 v26, v29, v27, -v30
	s_delay_alu instid0(VALU_DEP_1) | instskip(NEXT) | instid1(VALU_DEP_1)
	v_fmac_f32_e32 v26, v29, v25
	v_add_f32_e32 v31, v30, v26
	s_delay_alu instid0(VALU_DEP_1) | instskip(NEXT) | instid1(VALU_DEP_1)
	v_sub_f32_e32 v32, v28, v31
	v_sub_f32_e32 v28, v28, v32
	;; [unrolled: 1-line block ×3, first 2 shown]
	s_delay_alu instid0(VALU_DEP_2) | instskip(NEXT) | instid1(VALU_DEP_2)
	v_sub_f32_e32 v28, v28, v31
	v_sub_f32_e32 v24, v24, v26
	s_delay_alu instid0(VALU_DEP_2) | instskip(NEXT) | instid1(VALU_DEP_1)
	v_add_f32_e32 v18, v18, v28
	v_add_f32_e32 v18, v24, v18
	s_delay_alu instid0(VALU_DEP_1) | instskip(NEXT) | instid1(VALU_DEP_1)
	v_add_f32_e32 v24, v32, v18
	v_mul_f32_e32 v26, v23, v24
	s_delay_alu instid0(VALU_DEP_1) | instskip(NEXT) | instid1(VALU_DEP_1)
	v_mul_f32_e32 v28, v27, v26
	v_fma_f32 v27, v26, v27, -v28
	s_delay_alu instid0(VALU_DEP_1) | instskip(SKIP_1) | instid1(VALU_DEP_2)
	v_fmac_f32_e32 v27, v26, v25
	v_sub_f32_e32 v31, v32, v24
	v_add_f32_e32 v25, v28, v27
	s_delay_alu instid0(VALU_DEP_2) | instskip(NEXT) | instid1(VALU_DEP_2)
	v_add_f32_e32 v18, v18, v31
	v_sub_f32_e32 v30, v24, v25
	v_sub_f32_e32 v28, v25, v28
	s_delay_alu instid0(VALU_DEP_2) | instskip(NEXT) | instid1(VALU_DEP_1)
	v_sub_f32_e32 v24, v24, v30
	v_sub_f32_e32 v24, v24, v25
	s_delay_alu instid0(VALU_DEP_1) | instskip(SKIP_1) | instid1(VALU_DEP_1)
	v_dual_sub_f32 v25, v28, v27 :: v_dual_add_f32 v18, v18, v24
	v_add_f32_e32 v24, v29, v26
	v_dual_add_f32 v18, v25, v18 :: v_dual_sub_f32 v25, v24, v29
	s_delay_alu instid0(VALU_DEP_1) | instskip(NEXT) | instid1(VALU_DEP_1)
	v_add_f32_e32 v18, v30, v18
	v_dual_sub_f32 v25, v26, v25 :: v_dual_mul_f32 v18, v23, v18
	s_delay_alu instid0(VALU_DEP_1) | instskip(NEXT) | instid1(VALU_DEP_1)
	v_add_f32_e32 v18, v25, v18
	v_add_f32_e32 v23, v24, v18
	s_delay_alu instid0(VALU_DEP_1) | instskip(SKIP_1) | instid1(VALU_DEP_1)
	v_mul_f32_e32 v25, v23, v23
	s_wait_alu 0xfffe
	v_fmaak_f32 v26, s3, v25, 0x3ecc95a3
	v_mul_f32_e32 v27, v23, v25
	v_cmp_neq_f32_e64 s3, 0x7f800000, v22
	s_delay_alu instid0(VALU_DEP_3) | instskip(SKIP_2) | instid1(VALU_DEP_3)
	v_fmaak_f32 v25, v25, v26, 0x3f2aaada
	v_ldexp_f32 v26, v23, 1
	v_sub_f32_e32 v23, v23, v24
	v_mul_f32_e32 v25, v27, v25
	s_delay_alu instid0(VALU_DEP_2) | instskip(NEXT) | instid1(VALU_DEP_2)
	v_dual_mul_f32 v27, 0x3f317218, v17 :: v_dual_sub_f32 v18, v18, v23
	v_add_f32_e32 v24, v26, v25
	s_delay_alu instid0(VALU_DEP_2) | instskip(NEXT) | instid1(VALU_DEP_2)
	v_ldexp_f32 v18, v18, 1
	v_sub_f32_e32 v23, v24, v26
	s_delay_alu instid0(VALU_DEP_4) | instskip(NEXT) | instid1(VALU_DEP_2)
	v_fma_f32 v26, 0x3f317218, v17, -v27
	v_sub_f32_e32 v23, v25, v23
	s_delay_alu instid0(VALU_DEP_1) | instskip(NEXT) | instid1(VALU_DEP_1)
	v_dual_fmamk_f32 v17, v17, 0xb102e308, v26 :: v_dual_add_f32 v18, v18, v23
	v_add_f32_e32 v23, v27, v17
	s_delay_alu instid0(VALU_DEP_2) | instskip(NEXT) | instid1(VALU_DEP_2)
	v_add_f32_e32 v25, v24, v18
	v_sub_f32_e32 v27, v23, v27
	s_delay_alu instid0(VALU_DEP_2) | instskip(SKIP_1) | instid1(VALU_DEP_3)
	v_add_f32_e32 v26, v23, v25
	v_sub_f32_e32 v24, v25, v24
	v_sub_f32_e32 v17, v17, v27
	s_delay_alu instid0(VALU_DEP_3) | instskip(NEXT) | instid1(VALU_DEP_3)
	v_sub_f32_e32 v28, v26, v23
	v_sub_f32_e32 v18, v18, v24
	s_delay_alu instid0(VALU_DEP_2) | instskip(SKIP_1) | instid1(VALU_DEP_3)
	v_sub_f32_e32 v29, v26, v28
	v_sub_f32_e32 v24, v25, v28
	v_add_f32_e32 v25, v17, v18
	s_delay_alu instid0(VALU_DEP_3) | instskip(NEXT) | instid1(VALU_DEP_1)
	v_sub_f32_e32 v23, v23, v29
	v_dual_add_f32 v23, v24, v23 :: v_dual_sub_f32 v24, v25, v17
	s_delay_alu instid0(VALU_DEP_1) | instskip(NEXT) | instid1(VALU_DEP_2)
	v_add_f32_e32 v23, v25, v23
	v_sub_f32_e32 v25, v25, v24
	v_sub_f32_e32 v18, v18, v24
	s_delay_alu instid0(VALU_DEP_3) | instskip(NEXT) | instid1(VALU_DEP_1)
	v_add_f32_e32 v27, v26, v23
	v_dual_sub_f32 v17, v17, v25 :: v_dual_sub_f32 v24, v27, v26
	s_delay_alu instid0(VALU_DEP_1) | instskip(NEXT) | instid1(VALU_DEP_1)
	v_dual_add_f32 v17, v18, v17 :: v_dual_sub_f32 v18, v23, v24
	v_add_f32_e32 v17, v17, v18
	s_delay_alu instid0(VALU_DEP_1) | instskip(SKIP_1) | instid1(VALU_DEP_1)
	v_add_f32_e32 v17, v27, v17
	s_wait_alu 0xf1ff
	v_cndmask_b32_e64 v17, 0x7f800000, v17, s3
	v_cmp_gt_f32_e64 s3, 0x33800000, |v22|
	s_wait_alu 0xf1ff
	s_delay_alu instid0(VALU_DEP_1) | instskip(NEXT) | instid1(VALU_DEP_1)
	v_cndmask_b32_e64 v17, v17, v22, s3
	v_add_f32_e32 v17, v19, v17
	s_delay_alu instid0(VALU_DEP_1) | instskip(NEXT) | instid1(VALU_DEP_1)
	v_cvt_f16_f32_e32 v17, v17
	v_cvt_f32_f16_e32 v18, v17
.LBB421_275:
	s_wait_alu 0xfffe
	s_or_b32 exec_lo, exec_lo, s14
	ds_load_u16 v19, v14 offset:12
	v_max_num_f32_e32 v22, v18, v18
	v_cmp_u_f16_e64 s3, v17, v17
	ds_store_b16 v14, v17 offset:10
	s_wait_dscnt 0x1
	v_cvt_f32_f16_e32 v23, v19
	s_delay_alu instid0(VALU_DEP_1) | instskip(SKIP_2) | instid1(VALU_DEP_2)
	v_min_num_f32_e32 v24, v22, v23
	v_max_num_f32_e32 v22, v22, v23
	s_wait_alu 0xf1ff
	v_cndmask_b32_e64 v24, v24, v18, s3
	s_delay_alu instid0(VALU_DEP_2) | instskip(SKIP_2) | instid1(VALU_DEP_1)
	v_cndmask_b32_e64 v25, v22, v18, s3
	v_cmp_u_f16_e64 s3, v19, v19
	s_wait_alu 0xf1ff
	v_cndmask_b32_e64 v22, v24, v23, s3
	s_delay_alu instid0(VALU_DEP_3) | instskip(NEXT) | instid1(VALU_DEP_2)
	v_cndmask_b32_e64 v19, v25, v23, s3
	v_cmp_class_f32_e64 s14, v22, 0x1f8
	s_delay_alu instid0(VALU_DEP_2)
	v_cmp_neq_f32_e64 s3, v22, v19
	s_or_b32 s3, s3, s14
	s_wait_alu 0xfffe
	s_and_saveexec_b32 s14, s3
	s_cbranch_execz .LBB421_277
; %bb.276:
	v_sub_f32_e32 v17, v22, v19
	s_delay_alu instid0(VALU_DEP_1) | instskip(SKIP_1) | instid1(VALU_DEP_2)
	v_mul_f32_e32 v18, 0x3fb8aa3b, v17
	v_cmp_ngt_f32_e64 s3, 0xc2ce8ed0, v17
	v_fma_f32 v22, 0x3fb8aa3b, v17, -v18
	v_rndne_f32_e32 v23, v18
	s_delay_alu instid0(VALU_DEP_2) | instskip(NEXT) | instid1(VALU_DEP_2)
	v_fmamk_f32 v22, v17, 0x32a5705f, v22
	v_sub_f32_e32 v18, v18, v23
	s_delay_alu instid0(VALU_DEP_1) | instskip(SKIP_1) | instid1(VALU_DEP_2)
	v_add_f32_e32 v18, v18, v22
	v_cvt_i32_f32_e32 v22, v23
	v_exp_f32_e32 v18, v18
	s_delay_alu instid0(TRANS32_DEP_1) | instskip(SKIP_1) | instid1(VALU_DEP_1)
	v_ldexp_f32 v18, v18, v22
	s_wait_alu 0xf1ff
	v_cndmask_b32_e64 v18, 0, v18, s3
	v_cmp_nlt_f32_e64 s3, 0x42b17218, v17
	s_wait_alu 0xf1ff
	s_delay_alu instid0(VALU_DEP_1) | instskip(NEXT) | instid1(VALU_DEP_1)
	v_cndmask_b32_e64 v22, 0x7f800000, v18, s3
	v_add_f32_e32 v23, 1.0, v22
	s_delay_alu instid0(VALU_DEP_1) | instskip(NEXT) | instid1(VALU_DEP_1)
	v_cvt_f64_f32_e32 v[17:18], v23
	v_frexp_exp_i32_f64_e32 v17, v[17:18]
	v_frexp_mant_f32_e32 v18, v23
	s_delay_alu instid0(VALU_DEP_1) | instskip(SKIP_1) | instid1(VALU_DEP_1)
	v_cmp_gt_f32_e64 s3, 0x3f2aaaab, v18
	v_add_f32_e32 v18, -1.0, v23
	v_sub_f32_e32 v25, v18, v23
	s_delay_alu instid0(VALU_DEP_1)
	v_dual_sub_f32 v18, v22, v18 :: v_dual_add_f32 v25, 1.0, v25
	s_wait_alu 0xf1ff
	v_subrev_co_ci_u32_e64 v17, null, 0, v17, s3
	s_mov_b32 s3, 0x3e9b6dac
	v_sub_nc_u32_e32 v24, 0, v17
	v_cvt_f32_i32_e32 v17, v17
	s_delay_alu instid0(VALU_DEP_2) | instskip(SKIP_1) | instid1(VALU_DEP_1)
	v_ldexp_f32 v23, v23, v24
	v_add_f32_e32 v18, v18, v25
	v_ldexp_f32 v18, v18, v24
	s_delay_alu instid0(VALU_DEP_3) | instskip(NEXT) | instid1(VALU_DEP_1)
	v_add_f32_e32 v26, 1.0, v23
	v_add_f32_e32 v25, -1.0, v26
	s_delay_alu instid0(VALU_DEP_1) | instskip(NEXT) | instid1(VALU_DEP_1)
	v_sub_f32_e32 v25, v23, v25
	v_dual_add_f32 v25, v18, v25 :: v_dual_add_f32 v24, -1.0, v23
	s_delay_alu instid0(VALU_DEP_1) | instskip(NEXT) | instid1(VALU_DEP_1)
	v_add_f32_e32 v27, 1.0, v24
	v_sub_f32_e32 v23, v23, v27
	s_delay_alu instid0(VALU_DEP_3) | instskip(NEXT) | instid1(VALU_DEP_1)
	v_add_f32_e32 v27, v26, v25
	v_sub_f32_e32 v26, v26, v27
	s_delay_alu instid0(VALU_DEP_3) | instskip(SKIP_1) | instid1(VALU_DEP_2)
	v_add_f32_e32 v18, v18, v23
	v_rcp_f32_e32 v23, v27
	v_add_f32_e32 v25, v25, v26
	s_delay_alu instid0(VALU_DEP_2) | instskip(NEXT) | instid1(VALU_DEP_1)
	v_add_f32_e32 v28, v24, v18
	v_sub_f32_e32 v24, v24, v28
	s_delay_alu instid0(TRANS32_DEP_1) | instid1(VALU_DEP_1)
	v_dual_mul_f32 v29, v28, v23 :: v_dual_add_f32 v18, v18, v24
	s_delay_alu instid0(VALU_DEP_1) | instskip(NEXT) | instid1(VALU_DEP_1)
	v_mul_f32_e32 v30, v27, v29
	v_fma_f32 v26, v29, v27, -v30
	s_delay_alu instid0(VALU_DEP_1) | instskip(NEXT) | instid1(VALU_DEP_1)
	v_fmac_f32_e32 v26, v29, v25
	v_add_f32_e32 v31, v30, v26
	s_delay_alu instid0(VALU_DEP_1) | instskip(NEXT) | instid1(VALU_DEP_1)
	v_sub_f32_e32 v32, v28, v31
	v_sub_f32_e32 v28, v28, v32
	;; [unrolled: 1-line block ×3, first 2 shown]
	s_delay_alu instid0(VALU_DEP_2) | instskip(NEXT) | instid1(VALU_DEP_2)
	v_sub_f32_e32 v28, v28, v31
	v_sub_f32_e32 v24, v24, v26
	s_delay_alu instid0(VALU_DEP_2) | instskip(NEXT) | instid1(VALU_DEP_1)
	v_add_f32_e32 v18, v18, v28
	v_add_f32_e32 v18, v24, v18
	s_delay_alu instid0(VALU_DEP_1) | instskip(NEXT) | instid1(VALU_DEP_1)
	v_add_f32_e32 v24, v32, v18
	v_mul_f32_e32 v26, v23, v24
	s_delay_alu instid0(VALU_DEP_1) | instskip(NEXT) | instid1(VALU_DEP_1)
	v_mul_f32_e32 v28, v27, v26
	v_fma_f32 v27, v26, v27, -v28
	s_delay_alu instid0(VALU_DEP_1) | instskip(SKIP_1) | instid1(VALU_DEP_2)
	v_fmac_f32_e32 v27, v26, v25
	v_sub_f32_e32 v31, v32, v24
	v_add_f32_e32 v25, v28, v27
	s_delay_alu instid0(VALU_DEP_2) | instskip(NEXT) | instid1(VALU_DEP_2)
	v_add_f32_e32 v18, v18, v31
	v_sub_f32_e32 v30, v24, v25
	v_sub_f32_e32 v28, v25, v28
	s_delay_alu instid0(VALU_DEP_2) | instskip(NEXT) | instid1(VALU_DEP_1)
	v_sub_f32_e32 v24, v24, v30
	v_sub_f32_e32 v24, v24, v25
	s_delay_alu instid0(VALU_DEP_1) | instskip(SKIP_1) | instid1(VALU_DEP_1)
	v_dual_sub_f32 v25, v28, v27 :: v_dual_add_f32 v18, v18, v24
	v_add_f32_e32 v24, v29, v26
	v_dual_add_f32 v18, v25, v18 :: v_dual_sub_f32 v25, v24, v29
	s_delay_alu instid0(VALU_DEP_1) | instskip(NEXT) | instid1(VALU_DEP_1)
	v_add_f32_e32 v18, v30, v18
	v_dual_sub_f32 v25, v26, v25 :: v_dual_mul_f32 v18, v23, v18
	s_delay_alu instid0(VALU_DEP_1) | instskip(NEXT) | instid1(VALU_DEP_1)
	v_add_f32_e32 v18, v25, v18
	v_add_f32_e32 v23, v24, v18
	s_delay_alu instid0(VALU_DEP_1) | instskip(SKIP_1) | instid1(VALU_DEP_1)
	v_mul_f32_e32 v25, v23, v23
	s_wait_alu 0xfffe
	v_fmaak_f32 v26, s3, v25, 0x3ecc95a3
	v_mul_f32_e32 v27, v23, v25
	v_cmp_neq_f32_e64 s3, 0x7f800000, v22
	s_delay_alu instid0(VALU_DEP_3) | instskip(SKIP_2) | instid1(VALU_DEP_3)
	v_fmaak_f32 v25, v25, v26, 0x3f2aaada
	v_ldexp_f32 v26, v23, 1
	v_sub_f32_e32 v23, v23, v24
	v_mul_f32_e32 v25, v27, v25
	s_delay_alu instid0(VALU_DEP_2) | instskip(NEXT) | instid1(VALU_DEP_2)
	v_dual_mul_f32 v27, 0x3f317218, v17 :: v_dual_sub_f32 v18, v18, v23
	v_add_f32_e32 v24, v26, v25
	s_delay_alu instid0(VALU_DEP_2) | instskip(NEXT) | instid1(VALU_DEP_2)
	v_ldexp_f32 v18, v18, 1
	v_sub_f32_e32 v23, v24, v26
	s_delay_alu instid0(VALU_DEP_4) | instskip(NEXT) | instid1(VALU_DEP_2)
	v_fma_f32 v26, 0x3f317218, v17, -v27
	v_sub_f32_e32 v23, v25, v23
	s_delay_alu instid0(VALU_DEP_1) | instskip(NEXT) | instid1(VALU_DEP_1)
	v_dual_fmamk_f32 v17, v17, 0xb102e308, v26 :: v_dual_add_f32 v18, v18, v23
	v_add_f32_e32 v23, v27, v17
	s_delay_alu instid0(VALU_DEP_2) | instskip(NEXT) | instid1(VALU_DEP_2)
	v_add_f32_e32 v25, v24, v18
	v_sub_f32_e32 v27, v23, v27
	s_delay_alu instid0(VALU_DEP_2) | instskip(SKIP_1) | instid1(VALU_DEP_3)
	v_add_f32_e32 v26, v23, v25
	v_sub_f32_e32 v24, v25, v24
	v_sub_f32_e32 v17, v17, v27
	s_delay_alu instid0(VALU_DEP_3) | instskip(NEXT) | instid1(VALU_DEP_3)
	v_sub_f32_e32 v28, v26, v23
	v_sub_f32_e32 v18, v18, v24
	s_delay_alu instid0(VALU_DEP_2) | instskip(SKIP_1) | instid1(VALU_DEP_3)
	v_sub_f32_e32 v29, v26, v28
	v_sub_f32_e32 v24, v25, v28
	v_add_f32_e32 v25, v17, v18
	s_delay_alu instid0(VALU_DEP_3) | instskip(NEXT) | instid1(VALU_DEP_1)
	v_sub_f32_e32 v23, v23, v29
	v_dual_add_f32 v23, v24, v23 :: v_dual_sub_f32 v24, v25, v17
	s_delay_alu instid0(VALU_DEP_1) | instskip(NEXT) | instid1(VALU_DEP_2)
	v_add_f32_e32 v23, v25, v23
	v_sub_f32_e32 v25, v25, v24
	v_sub_f32_e32 v18, v18, v24
	s_delay_alu instid0(VALU_DEP_3) | instskip(NEXT) | instid1(VALU_DEP_1)
	v_add_f32_e32 v27, v26, v23
	v_dual_sub_f32 v17, v17, v25 :: v_dual_sub_f32 v24, v27, v26
	s_delay_alu instid0(VALU_DEP_1) | instskip(NEXT) | instid1(VALU_DEP_1)
	v_dual_add_f32 v17, v18, v17 :: v_dual_sub_f32 v18, v23, v24
	v_add_f32_e32 v17, v17, v18
	s_delay_alu instid0(VALU_DEP_1) | instskip(SKIP_1) | instid1(VALU_DEP_1)
	v_add_f32_e32 v17, v27, v17
	s_wait_alu 0xf1ff
	v_cndmask_b32_e64 v17, 0x7f800000, v17, s3
	v_cmp_gt_f32_e64 s3, 0x33800000, |v22|
	s_wait_alu 0xf1ff
	s_delay_alu instid0(VALU_DEP_1) | instskip(NEXT) | instid1(VALU_DEP_1)
	v_cndmask_b32_e64 v17, v17, v22, s3
	v_add_f32_e32 v17, v19, v17
	s_delay_alu instid0(VALU_DEP_1) | instskip(NEXT) | instid1(VALU_DEP_1)
	v_cvt_f16_f32_e32 v17, v17
	v_cvt_f32_f16_e32 v18, v17
.LBB421_277:
	s_wait_alu 0xfffe
	s_or_b32 exec_lo, exec_lo, s14
	ds_load_u16 v19, v14 offset:14
	v_max_num_f32_e32 v22, v18, v18
	v_cmp_u_f16_e64 s3, v17, v17
	ds_store_b16 v14, v17 offset:12
	s_wait_dscnt 0x1
	v_cvt_f32_f16_e32 v23, v19
	s_delay_alu instid0(VALU_DEP_1) | instskip(SKIP_2) | instid1(VALU_DEP_2)
	v_min_num_f32_e32 v24, v22, v23
	v_max_num_f32_e32 v22, v22, v23
	s_wait_alu 0xf1ff
	v_cndmask_b32_e64 v24, v24, v18, s3
	s_delay_alu instid0(VALU_DEP_2) | instskip(SKIP_2) | instid1(VALU_DEP_1)
	v_cndmask_b32_e64 v18, v22, v18, s3
	v_cmp_u_f16_e64 s3, v19, v19
	s_wait_alu 0xf1ff
	v_cndmask_b32_e64 v19, v24, v23, s3
	s_delay_alu instid0(VALU_DEP_3) | instskip(NEXT) | instid1(VALU_DEP_2)
	v_cndmask_b32_e64 v18, v18, v23, s3
	v_cmp_class_f32_e64 s14, v19, 0x1f8
	s_delay_alu instid0(VALU_DEP_2)
	v_cmp_neq_f32_e64 s3, v19, v18
	s_or_b32 s3, s3, s14
	s_wait_alu 0xfffe
	s_and_saveexec_b32 s14, s3
	s_cbranch_execz .LBB421_279
; %bb.278:
	v_sub_f32_e32 v17, v19, v18
	s_delay_alu instid0(VALU_DEP_1) | instskip(SKIP_1) | instid1(VALU_DEP_2)
	v_mul_f32_e32 v19, 0x3fb8aa3b, v17
	v_cmp_ngt_f32_e64 s3, 0xc2ce8ed0, v17
	v_fma_f32 v22, 0x3fb8aa3b, v17, -v19
	v_rndne_f32_e32 v23, v19
	s_delay_alu instid0(VALU_DEP_1) | instskip(NEXT) | instid1(VALU_DEP_1)
	v_dual_fmamk_f32 v22, v17, 0x32a5705f, v22 :: v_dual_sub_f32 v19, v19, v23
	v_add_f32_e32 v19, v19, v22
	v_cvt_i32_f32_e32 v22, v23
	s_delay_alu instid0(VALU_DEP_2) | instskip(NEXT) | instid1(TRANS32_DEP_1)
	v_exp_f32_e32 v19, v19
	v_ldexp_f32 v19, v19, v22
	s_wait_alu 0xf1ff
	s_delay_alu instid0(VALU_DEP_1) | instskip(SKIP_2) | instid1(VALU_DEP_1)
	v_cndmask_b32_e64 v19, 0, v19, s3
	v_cmp_nlt_f32_e64 s3, 0x42b17218, v17
	s_wait_alu 0xf1ff
	v_cndmask_b32_e64 v17, 0x7f800000, v19, s3
	s_delay_alu instid0(VALU_DEP_1) | instskip(NEXT) | instid1(VALU_DEP_1)
	v_add_f32_e32 v19, 1.0, v17
	v_cvt_f64_f32_e32 v[22:23], v19
	s_delay_alu instid0(VALU_DEP_1) | instskip(SKIP_1) | instid1(VALU_DEP_1)
	v_frexp_exp_i32_f64_e32 v22, v[22:23]
	v_frexp_mant_f32_e32 v23, v19
	v_cmp_gt_f32_e64 s3, 0x3f2aaaab, v23
	v_add_f32_e32 v23, -1.0, v19
	s_delay_alu instid0(VALU_DEP_1)
	v_sub_f32_e32 v25, v23, v19
	v_sub_f32_e32 v23, v17, v23
	s_wait_alu 0xf1ff
	v_subrev_co_ci_u32_e64 v22, null, 0, v22, s3
	s_mov_b32 s3, 0x3e9b6dac
	v_sub_nc_u32_e32 v24, 0, v22
	v_cvt_f32_i32_e32 v22, v22
	s_delay_alu instid0(VALU_DEP_2) | instskip(NEXT) | instid1(VALU_DEP_1)
	v_ldexp_f32 v19, v19, v24
	v_dual_add_f32 v25, 1.0, v25 :: v_dual_add_f32 v26, 1.0, v19
	s_delay_alu instid0(VALU_DEP_1) | instskip(NEXT) | instid1(VALU_DEP_2)
	v_add_f32_e32 v23, v23, v25
	v_add_f32_e32 v25, -1.0, v26
	s_delay_alu instid0(VALU_DEP_2) | instskip(NEXT) | instid1(VALU_DEP_2)
	v_ldexp_f32 v23, v23, v24
	v_dual_add_f32 v24, -1.0, v19 :: v_dual_sub_f32 v25, v19, v25
	s_delay_alu instid0(VALU_DEP_1) | instskip(NEXT) | instid1(VALU_DEP_2)
	v_add_f32_e32 v27, 1.0, v24
	v_add_f32_e32 v25, v23, v25
	s_delay_alu instid0(VALU_DEP_2) | instskip(NEXT) | instid1(VALU_DEP_2)
	v_sub_f32_e32 v19, v19, v27
	v_add_f32_e32 v27, v26, v25
	s_delay_alu instid0(VALU_DEP_2) | instskip(NEXT) | instid1(VALU_DEP_2)
	v_add_f32_e32 v19, v23, v19
	v_rcp_f32_e32 v23, v27
	v_sub_f32_e32 v26, v26, v27
	s_delay_alu instid0(VALU_DEP_1) | instskip(NEXT) | instid1(VALU_DEP_1)
	v_dual_add_f32 v28, v24, v19 :: v_dual_add_f32 v25, v25, v26
	v_sub_f32_e32 v24, v24, v28
	s_delay_alu instid0(TRANS32_DEP_1) | instskip(NEXT) | instid1(VALU_DEP_2)
	v_mul_f32_e32 v29, v28, v23
	v_add_f32_e32 v19, v19, v24
	s_delay_alu instid0(VALU_DEP_2) | instskip(NEXT) | instid1(VALU_DEP_1)
	v_mul_f32_e32 v30, v27, v29
	v_fma_f32 v26, v29, v27, -v30
	s_delay_alu instid0(VALU_DEP_1) | instskip(NEXT) | instid1(VALU_DEP_1)
	v_fmac_f32_e32 v26, v29, v25
	v_add_f32_e32 v31, v30, v26
	s_delay_alu instid0(VALU_DEP_1) | instskip(SKIP_1) | instid1(VALU_DEP_2)
	v_sub_f32_e32 v32, v28, v31
	v_sub_f32_e32 v24, v31, v30
	;; [unrolled: 1-line block ×3, first 2 shown]
	s_delay_alu instid0(VALU_DEP_2) | instskip(NEXT) | instid1(VALU_DEP_2)
	v_sub_f32_e32 v24, v24, v26
	v_sub_f32_e32 v28, v28, v31
	s_delay_alu instid0(VALU_DEP_1) | instskip(NEXT) | instid1(VALU_DEP_1)
	v_add_f32_e32 v19, v19, v28
	v_add_f32_e32 v19, v24, v19
	s_delay_alu instid0(VALU_DEP_1) | instskip(NEXT) | instid1(VALU_DEP_1)
	v_add_f32_e32 v24, v32, v19
	v_mul_f32_e32 v26, v23, v24
	s_delay_alu instid0(VALU_DEP_1) | instskip(NEXT) | instid1(VALU_DEP_1)
	v_dual_sub_f32 v31, v32, v24 :: v_dual_mul_f32 v28, v27, v26
	v_add_f32_e32 v19, v19, v31
	s_delay_alu instid0(VALU_DEP_2) | instskip(NEXT) | instid1(VALU_DEP_1)
	v_fma_f32 v27, v26, v27, -v28
	v_fmac_f32_e32 v27, v26, v25
	s_delay_alu instid0(VALU_DEP_1) | instskip(NEXT) | instid1(VALU_DEP_1)
	v_add_f32_e32 v25, v28, v27
	v_sub_f32_e32 v30, v24, v25
	v_sub_f32_e32 v28, v25, v28
	s_delay_alu instid0(VALU_DEP_2) | instskip(NEXT) | instid1(VALU_DEP_1)
	v_sub_f32_e32 v24, v24, v30
	v_sub_f32_e32 v24, v24, v25
	s_delay_alu instid0(VALU_DEP_3) | instskip(NEXT) | instid1(VALU_DEP_2)
	v_sub_f32_e32 v25, v28, v27
	v_dual_add_f32 v19, v19, v24 :: v_dual_add_f32 v24, v29, v26
	s_delay_alu instid0(VALU_DEP_1) | instskip(NEXT) | instid1(VALU_DEP_2)
	v_add_f32_e32 v19, v25, v19
	v_sub_f32_e32 v25, v24, v29
	s_delay_alu instid0(VALU_DEP_2) | instskip(NEXT) | instid1(VALU_DEP_2)
	v_add_f32_e32 v19, v30, v19
	v_sub_f32_e32 v25, v26, v25
	s_delay_alu instid0(VALU_DEP_2) | instskip(NEXT) | instid1(VALU_DEP_1)
	v_mul_f32_e32 v19, v23, v19
	v_add_f32_e32 v19, v25, v19
	s_delay_alu instid0(VALU_DEP_1) | instskip(NEXT) | instid1(VALU_DEP_1)
	v_add_f32_e32 v23, v24, v19
	v_mul_f32_e32 v25, v23, v23
	s_wait_alu 0xfffe
	s_delay_alu instid0(VALU_DEP_1) | instskip(SKIP_2) | instid1(VALU_DEP_3)
	v_fmaak_f32 v26, s3, v25, 0x3ecc95a3
	v_mul_f32_e32 v27, v23, v25
	v_cmp_neq_f32_e64 s3, 0x7f800000, v17
	v_fmaak_f32 v25, v25, v26, 0x3f2aaada
	v_ldexp_f32 v26, v23, 1
	v_sub_f32_e32 v23, v23, v24
	s_delay_alu instid0(VALU_DEP_3) | instskip(SKIP_1) | instid1(VALU_DEP_2)
	v_mul_f32_e32 v25, v27, v25
	v_mul_f32_e32 v27, 0x3f317218, v22
	v_dual_sub_f32 v19, v19, v23 :: v_dual_add_f32 v24, v26, v25
	s_delay_alu instid0(VALU_DEP_1) | instskip(NEXT) | instid1(VALU_DEP_2)
	v_ldexp_f32 v19, v19, 1
	v_sub_f32_e32 v23, v24, v26
	s_delay_alu instid0(VALU_DEP_4) | instskip(NEXT) | instid1(VALU_DEP_1)
	v_fma_f32 v26, 0x3f317218, v22, -v27
	v_dual_sub_f32 v23, v25, v23 :: v_dual_fmamk_f32 v22, v22, 0xb102e308, v26
	s_delay_alu instid0(VALU_DEP_1) | instskip(NEXT) | instid1(VALU_DEP_2)
	v_add_f32_e32 v19, v19, v23
	v_add_f32_e32 v23, v27, v22
	s_delay_alu instid0(VALU_DEP_2) | instskip(NEXT) | instid1(VALU_DEP_2)
	v_add_f32_e32 v25, v24, v19
	v_sub_f32_e32 v27, v23, v27
	s_delay_alu instid0(VALU_DEP_2) | instskip(SKIP_1) | instid1(VALU_DEP_3)
	v_add_f32_e32 v26, v23, v25
	v_sub_f32_e32 v24, v25, v24
	v_sub_f32_e32 v22, v22, v27
	s_delay_alu instid0(VALU_DEP_2) | instskip(NEXT) | instid1(VALU_DEP_1)
	v_dual_sub_f32 v28, v26, v23 :: v_dual_sub_f32 v19, v19, v24
	v_sub_f32_e32 v29, v26, v28
	s_delay_alu instid0(VALU_DEP_2) | instskip(NEXT) | instid1(VALU_DEP_2)
	v_dual_sub_f32 v24, v25, v28 :: v_dual_add_f32 v25, v22, v19
	v_sub_f32_e32 v23, v23, v29
	s_delay_alu instid0(VALU_DEP_1) | instskip(NEXT) | instid1(VALU_DEP_1)
	v_dual_add_f32 v23, v24, v23 :: v_dual_sub_f32 v24, v25, v22
	v_add_f32_e32 v23, v25, v23
	s_delay_alu instid0(VALU_DEP_2) | instskip(SKIP_1) | instid1(VALU_DEP_3)
	v_sub_f32_e32 v25, v25, v24
	v_sub_f32_e32 v19, v19, v24
	v_add_f32_e32 v27, v26, v23
	s_delay_alu instid0(VALU_DEP_3) | instskip(NEXT) | instid1(VALU_DEP_2)
	v_sub_f32_e32 v22, v22, v25
	v_sub_f32_e32 v24, v27, v26
	s_delay_alu instid0(VALU_DEP_2) | instskip(NEXT) | instid1(VALU_DEP_2)
	v_add_f32_e32 v19, v19, v22
	v_sub_f32_e32 v22, v23, v24
	s_delay_alu instid0(VALU_DEP_1) | instskip(NEXT) | instid1(VALU_DEP_1)
	v_add_f32_e32 v19, v19, v22
	v_add_f32_e32 v19, v27, v19
	s_wait_alu 0xf1ff
	s_delay_alu instid0(VALU_DEP_1) | instskip(SKIP_2) | instid1(VALU_DEP_1)
	v_cndmask_b32_e64 v19, 0x7f800000, v19, s3
	v_cmp_gt_f32_e64 s3, 0x33800000, |v17|
	s_wait_alu 0xf1ff
	v_cndmask_b32_e64 v17, v19, v17, s3
	s_delay_alu instid0(VALU_DEP_1) | instskip(NEXT) | instid1(VALU_DEP_1)
	v_add_f32_e32 v17, v18, v17
	v_cvt_f16_f32_e32 v17, v17
.LBB421_279:
	s_wait_alu 0xfffe
	s_or_b32 exec_lo, exec_lo, s14
	ds_store_b16 v14, v17 offset:14
.LBB421_280:
	s_or_b32 exec_lo, exec_lo, s16
	v_mov_b32_e32 v14, v1
	s_wait_loadcnt_dscnt 0x0
	s_barrier_signal -1
	s_barrier_wait -1
	global_inv scope:SCOPE_SE
	s_and_saveexec_b32 s3, s2
	s_cbranch_execz .LBB421_284
; %bb.281:
	v_add_nc_u32_e32 v1, -1, v0
	s_delay_alu instid0(VALU_DEP_1) | instskip(NEXT) | instid1(VALU_DEP_1)
	v_lshrrev_b32_e32 v14, 4, v1
	v_and_b32_e32 v14, 0xffffffe, v14
	s_delay_alu instid0(VALU_DEP_1)
	v_lshl_add_u32 v1, v1, 1, v14
	v_max_num_f32_e32 v14, v7, v7
	ds_load_u16 v1, v1
	s_wait_dscnt 0x0
	v_cvt_f32_f16_e32 v17, v1
	v_cmp_u_f16_e64 s2, v1, v1
	s_delay_alu instid0(VALU_DEP_2) | instskip(SKIP_2) | instid1(VALU_DEP_2)
	v_min_num_f32_e32 v18, v17, v14
	v_max_num_f32_e32 v14, v17, v14
	s_wait_alu 0xf1ff
	v_cndmask_b32_e64 v18, v18, v17, s2
	s_delay_alu instid0(VALU_DEP_2) | instskip(NEXT) | instid1(VALU_DEP_2)
	v_cndmask_b32_e64 v19, v14, v17, s2
	v_cndmask_b32_e64 v14, v18, v7, s13
	s_delay_alu instid0(VALU_DEP_2) | instskip(NEXT) | instid1(VALU_DEP_2)
	v_cndmask_b32_e64 v7, v19, v7, s13
	v_cmp_class_f32_e64 s13, v14, 0x1f8
	s_delay_alu instid0(VALU_DEP_2)
	v_cmp_neq_f32_e64 s2, v14, v7
	s_or_b32 s2, s2, s13
	s_wait_alu 0xfffe
	s_and_saveexec_b32 s13, s2
	s_cbranch_execz .LBB421_283
; %bb.282:
	v_sub_f32_e32 v1, v14, v7
	s_delay_alu instid0(VALU_DEP_1) | instskip(SKIP_1) | instid1(VALU_DEP_2)
	v_mul_f32_e32 v14, 0x3fb8aa3b, v1
	v_cmp_ngt_f32_e64 s2, 0xc2ce8ed0, v1
	v_fma_f32 v17, 0x3fb8aa3b, v1, -v14
	v_rndne_f32_e32 v18, v14
	s_delay_alu instid0(VALU_DEP_1) | instskip(NEXT) | instid1(VALU_DEP_1)
	v_dual_fmamk_f32 v17, v1, 0x32a5705f, v17 :: v_dual_sub_f32 v14, v14, v18
	v_add_f32_e32 v14, v14, v17
	v_cvt_i32_f32_e32 v17, v18
	s_delay_alu instid0(VALU_DEP_2) | instskip(NEXT) | instid1(TRANS32_DEP_1)
	v_exp_f32_e32 v14, v14
	v_ldexp_f32 v14, v14, v17
	s_wait_alu 0xf1ff
	s_delay_alu instid0(VALU_DEP_1) | instskip(SKIP_2) | instid1(VALU_DEP_1)
	v_cndmask_b32_e64 v14, 0, v14, s2
	v_cmp_nlt_f32_e64 s2, 0x42b17218, v1
	s_wait_alu 0xf1ff
	v_cndmask_b32_e64 v1, 0x7f800000, v14, s2
	s_delay_alu instid0(VALU_DEP_1) | instskip(NEXT) | instid1(VALU_DEP_1)
	v_add_f32_e32 v14, 1.0, v1
	v_cvt_f64_f32_e32 v[17:18], v14
	s_delay_alu instid0(VALU_DEP_1) | instskip(SKIP_1) | instid1(VALU_DEP_1)
	v_frexp_exp_i32_f64_e32 v17, v[17:18]
	v_frexp_mant_f32_e32 v18, v14
	v_cmp_gt_f32_e64 s2, 0x3f2aaaab, v18
	v_add_f32_e32 v18, -1.0, v14
	s_delay_alu instid0(VALU_DEP_1)
	v_sub_f32_e32 v20, v18, v14
	v_sub_f32_e32 v18, v1, v18
	s_wait_alu 0xf1ff
	v_subrev_co_ci_u32_e64 v17, null, 0, v17, s2
	s_mov_b32 s2, 0x3e9b6dac
	v_sub_nc_u32_e32 v19, 0, v17
	v_cvt_f32_i32_e32 v17, v17
	s_delay_alu instid0(VALU_DEP_2) | instskip(NEXT) | instid1(VALU_DEP_1)
	v_ldexp_f32 v14, v14, v19
	v_dual_add_f32 v20, 1.0, v20 :: v_dual_add_f32 v21, 1.0, v14
	s_delay_alu instid0(VALU_DEP_1) | instskip(NEXT) | instid1(VALU_DEP_1)
	v_add_f32_e32 v18, v18, v20
	v_ldexp_f32 v18, v18, v19
	s_delay_alu instid0(VALU_DEP_3) | instskip(NEXT) | instid1(VALU_DEP_1)
	v_dual_add_f32 v19, -1.0, v14 :: v_dual_add_f32 v20, -1.0, v21
	v_add_f32_e32 v22, 1.0, v19
	s_delay_alu instid0(VALU_DEP_2) | instskip(NEXT) | instid1(VALU_DEP_2)
	v_sub_f32_e32 v20, v14, v20
	v_sub_f32_e32 v14, v14, v22
	s_delay_alu instid0(VALU_DEP_2) | instskip(NEXT) | instid1(VALU_DEP_2)
	v_add_f32_e32 v20, v18, v20
	v_add_f32_e32 v14, v18, v14
	s_delay_alu instid0(VALU_DEP_1) | instskip(NEXT) | instid1(VALU_DEP_1)
	v_dual_add_f32 v22, v21, v20 :: v_dual_add_f32 v23, v19, v14
	v_rcp_f32_e32 v18, v22
	v_sub_f32_e32 v21, v21, v22
	s_delay_alu instid0(VALU_DEP_1) | instskip(NEXT) | instid1(VALU_DEP_1)
	v_dual_sub_f32 v19, v19, v23 :: v_dual_add_f32 v20, v20, v21
	v_add_f32_e32 v14, v14, v19
	s_delay_alu instid0(TRANS32_DEP_1) | instskip(NEXT) | instid1(VALU_DEP_1)
	v_mul_f32_e32 v24, v23, v18
	v_mul_f32_e32 v25, v22, v24
	s_delay_alu instid0(VALU_DEP_1) | instskip(NEXT) | instid1(VALU_DEP_1)
	v_fma_f32 v21, v24, v22, -v25
	v_fmac_f32_e32 v21, v24, v20
	s_delay_alu instid0(VALU_DEP_1) | instskip(NEXT) | instid1(VALU_DEP_1)
	v_add_f32_e32 v26, v25, v21
	v_sub_f32_e32 v27, v23, v26
	v_sub_f32_e32 v19, v26, v25
	s_delay_alu instid0(VALU_DEP_2) | instskip(NEXT) | instid1(VALU_DEP_2)
	v_sub_f32_e32 v23, v23, v27
	v_sub_f32_e32 v19, v19, v21
	s_delay_alu instid0(VALU_DEP_2) | instskip(NEXT) | instid1(VALU_DEP_1)
	v_sub_f32_e32 v23, v23, v26
	v_add_f32_e32 v14, v14, v23
	s_delay_alu instid0(VALU_DEP_1) | instskip(NEXT) | instid1(VALU_DEP_1)
	v_add_f32_e32 v14, v19, v14
	v_add_f32_e32 v19, v27, v14
	s_delay_alu instid0(VALU_DEP_1) | instskip(NEXT) | instid1(VALU_DEP_1)
	v_mul_f32_e32 v21, v18, v19
	v_dual_sub_f32 v26, v27, v19 :: v_dual_mul_f32 v23, v22, v21
	s_delay_alu instid0(VALU_DEP_1) | instskip(NEXT) | instid1(VALU_DEP_2)
	v_add_f32_e32 v14, v14, v26
	v_fma_f32 v22, v21, v22, -v23
	s_delay_alu instid0(VALU_DEP_1) | instskip(NEXT) | instid1(VALU_DEP_1)
	v_fmac_f32_e32 v22, v21, v20
	v_add_f32_e32 v20, v23, v22
	s_delay_alu instid0(VALU_DEP_1) | instskip(SKIP_1) | instid1(VALU_DEP_2)
	v_sub_f32_e32 v25, v19, v20
	v_sub_f32_e32 v23, v20, v23
	;; [unrolled: 1-line block ×3, first 2 shown]
	s_delay_alu instid0(VALU_DEP_1) | instskip(NEXT) | instid1(VALU_DEP_1)
	v_sub_f32_e32 v19, v19, v20
	v_dual_add_f32 v14, v14, v19 :: v_dual_add_f32 v19, v24, v21
	s_delay_alu instid0(VALU_DEP_4) | instskip(NEXT) | instid1(VALU_DEP_1)
	v_sub_f32_e32 v20, v23, v22
	v_add_f32_e32 v14, v20, v14
	s_delay_alu instid0(VALU_DEP_3) | instskip(NEXT) | instid1(VALU_DEP_2)
	v_sub_f32_e32 v20, v19, v24
	v_add_f32_e32 v14, v25, v14
	s_delay_alu instid0(VALU_DEP_2) | instskip(NEXT) | instid1(VALU_DEP_2)
	v_sub_f32_e32 v20, v21, v20
	v_mul_f32_e32 v14, v18, v14
	s_delay_alu instid0(VALU_DEP_1) | instskip(NEXT) | instid1(VALU_DEP_1)
	v_add_f32_e32 v14, v20, v14
	v_add_f32_e32 v18, v19, v14
	s_delay_alu instid0(VALU_DEP_1) | instskip(SKIP_1) | instid1(VALU_DEP_1)
	v_mul_f32_e32 v20, v18, v18
	s_wait_alu 0xfffe
	v_fmaak_f32 v21, s2, v20, 0x3ecc95a3
	v_mul_f32_e32 v22, v18, v20
	v_cmp_neq_f32_e64 s2, 0x7f800000, v1
	s_delay_alu instid0(VALU_DEP_3) | instskip(SKIP_2) | instid1(VALU_DEP_3)
	v_fmaak_f32 v20, v20, v21, 0x3f2aaada
	v_ldexp_f32 v21, v18, 1
	v_sub_f32_e32 v18, v18, v19
	v_mul_f32_e32 v20, v22, v20
	v_mul_f32_e32 v22, 0x3f317218, v17
	s_delay_alu instid0(VALU_DEP_2) | instskip(NEXT) | instid1(VALU_DEP_1)
	v_dual_sub_f32 v14, v14, v18 :: v_dual_add_f32 v19, v21, v20
	v_ldexp_f32 v14, v14, 1
	s_delay_alu instid0(VALU_DEP_2) | instskip(NEXT) | instid1(VALU_DEP_4)
	v_sub_f32_e32 v18, v19, v21
	v_fma_f32 v21, 0x3f317218, v17, -v22
	s_delay_alu instid0(VALU_DEP_1) | instskip(NEXT) | instid1(VALU_DEP_1)
	v_dual_sub_f32 v18, v20, v18 :: v_dual_fmamk_f32 v17, v17, 0xb102e308, v21
	v_add_f32_e32 v14, v14, v18
	s_delay_alu instid0(VALU_DEP_2) | instskip(NEXT) | instid1(VALU_DEP_2)
	v_add_f32_e32 v18, v22, v17
	v_add_f32_e32 v20, v19, v14
	s_delay_alu instid0(VALU_DEP_2) | instskip(NEXT) | instid1(VALU_DEP_2)
	v_sub_f32_e32 v22, v18, v22
	v_add_f32_e32 v21, v18, v20
	v_sub_f32_e32 v19, v20, v19
	s_delay_alu instid0(VALU_DEP_3) | instskip(NEXT) | instid1(VALU_DEP_2)
	v_sub_f32_e32 v17, v17, v22
	v_dual_sub_f32 v23, v21, v18 :: v_dual_sub_f32 v14, v14, v19
	s_delay_alu instid0(VALU_DEP_1) | instskip(NEXT) | instid1(VALU_DEP_2)
	v_sub_f32_e32 v24, v21, v23
	v_dual_sub_f32 v19, v20, v23 :: v_dual_add_f32 v20, v17, v14
	s_delay_alu instid0(VALU_DEP_2) | instskip(NEXT) | instid1(VALU_DEP_1)
	v_sub_f32_e32 v18, v18, v24
	v_dual_add_f32 v18, v19, v18 :: v_dual_sub_f32 v19, v20, v17
	s_delay_alu instid0(VALU_DEP_1) | instskip(NEXT) | instid1(VALU_DEP_2)
	v_add_f32_e32 v18, v20, v18
	v_sub_f32_e32 v20, v20, v19
	v_sub_f32_e32 v14, v14, v19
	s_delay_alu instid0(VALU_DEP_3) | instskip(NEXT) | instid1(VALU_DEP_3)
	v_add_f32_e32 v22, v21, v18
	v_sub_f32_e32 v17, v17, v20
	s_delay_alu instid0(VALU_DEP_2) | instskip(NEXT) | instid1(VALU_DEP_2)
	v_sub_f32_e32 v19, v22, v21
	v_add_f32_e32 v14, v14, v17
	s_delay_alu instid0(VALU_DEP_2) | instskip(NEXT) | instid1(VALU_DEP_1)
	v_sub_f32_e32 v17, v18, v19
	v_add_f32_e32 v14, v14, v17
	s_delay_alu instid0(VALU_DEP_1) | instskip(SKIP_1) | instid1(VALU_DEP_1)
	v_add_f32_e32 v14, v22, v14
	s_wait_alu 0xf1ff
	v_cndmask_b32_e64 v14, 0x7f800000, v14, s2
	v_cmp_gt_f32_e64 s2, 0x33800000, |v1|
	s_wait_alu 0xf1ff
	s_delay_alu instid0(VALU_DEP_1) | instskip(NEXT) | instid1(VALU_DEP_1)
	v_cndmask_b32_e64 v1, v14, v1, s2
	v_add_f32_e32 v1, v7, v1
	s_delay_alu instid0(VALU_DEP_1) | instskip(NEXT) | instid1(VALU_DEP_1)
	v_cvt_f16_f32_e32 v1, v1
	v_cvt_f32_f16_e32 v17, v1
.LBB421_283:
	s_wait_alu 0xfffe
	s_or_b32 exec_lo, exec_lo, s13
	v_max_num_f32_e32 v7, v13, v13
	s_delay_alu instid0(VALU_DEP_2) | instskip(SKIP_2) | instid1(VALU_DEP_2)
	v_max_num_f32_e32 v18, v17, v17
	v_mov_b32_e32 v14, v1
	;;#ASMSTART
	;;#ASMEND
	v_min_num_f32_e32 v20, v18, v7
	v_max_num_f32_e32 v21, v18, v7
	v_mov_b32_e32 v7, v17
.LBB421_284:
	s_wait_alu 0xfffe
	s_or_b32 exec_lo, exec_lo, s3
	v_cmp_u_f16_e64 s2, v14, v14
	v_mov_b32_e32 v30, v1
	s_wait_alu 0xf1ff
	s_delay_alu instid0(VALU_DEP_2) | instskip(SKIP_1) | instid1(VALU_DEP_2)
	v_cndmask_b32_e64 v17, v20, v7, s2
	v_cndmask_b32_e64 v18, v21, v7, s2
	v_cndmask_b32_e32 v17, v17, v13, vcc_lo
	s_delay_alu instid0(VALU_DEP_2) | instskip(NEXT) | instid1(VALU_DEP_2)
	v_cndmask_b32_e32 v13, v18, v13, vcc_lo
	v_cmp_class_f32_e64 s2, v17, 0x1f8
	s_delay_alu instid0(VALU_DEP_2)
	v_cmp_neq_f32_e32 vcc_lo, v17, v13
	s_or_b32 s3, vcc_lo, s2
	s_wait_alu 0xfffe
	s_and_saveexec_b32 s2, s3
	s_cbranch_execz .LBB421_286
; %bb.285:
	v_sub_f32_e32 v7, v17, v13
	s_mov_b32 s3, 0x3e9b6dac
	s_delay_alu instid0(VALU_DEP_1) | instskip(NEXT) | instid1(VALU_DEP_1)
	v_mul_f32_e32 v14, 0x3fb8aa3b, v7
	v_fma_f32 v17, 0x3fb8aa3b, v7, -v14
	v_rndne_f32_e32 v18, v14
	s_delay_alu instid0(VALU_DEP_1) | instskip(SKIP_1) | instid1(VALU_DEP_4)
	v_sub_f32_e32 v14, v14, v18
	v_cmp_ngt_f32_e32 vcc_lo, 0xc2ce8ed0, v7
	v_fmamk_f32 v17, v7, 0x32a5705f, v17
	s_delay_alu instid0(VALU_DEP_1) | instskip(SKIP_1) | instid1(VALU_DEP_2)
	v_add_f32_e32 v14, v14, v17
	v_cvt_i32_f32_e32 v17, v18
	v_exp_f32_e32 v14, v14
	s_delay_alu instid0(TRANS32_DEP_1) | instskip(SKIP_1) | instid1(VALU_DEP_1)
	v_ldexp_f32 v14, v14, v17
	s_wait_alu 0xfffd
	v_cndmask_b32_e32 v14, 0, v14, vcc_lo
	v_cmp_nlt_f32_e32 vcc_lo, 0x42b17218, v7
	s_wait_alu 0xfffd
	s_delay_alu instid0(VALU_DEP_2) | instskip(NEXT) | instid1(VALU_DEP_1)
	v_cndmask_b32_e32 v7, 0x7f800000, v14, vcc_lo
	v_add_f32_e32 v14, 1.0, v7
	s_delay_alu instid0(VALU_DEP_1) | instskip(NEXT) | instid1(VALU_DEP_1)
	v_cvt_f64_f32_e32 v[17:18], v14
	v_frexp_exp_i32_f64_e32 v17, v[17:18]
	v_frexp_mant_f32_e32 v18, v14
	s_delay_alu instid0(VALU_DEP_1) | instskip(SKIP_1) | instid1(VALU_DEP_1)
	v_cmp_gt_f32_e32 vcc_lo, 0x3f2aaaab, v18
	v_add_f32_e32 v18, -1.0, v14
	v_sub_f32_e32 v20, v18, v14
	s_delay_alu instid0(VALU_DEP_1) | instskip(SKIP_1) | instid1(VALU_DEP_1)
	v_add_f32_e32 v20, 1.0, v20
	v_sub_f32_e32 v18, v7, v18
	v_add_f32_e32 v18, v18, v20
	s_wait_alu 0xfffd
	v_subrev_co_ci_u32_e64 v17, null, 0, v17, vcc_lo
	v_cmp_neq_f32_e32 vcc_lo, 0x7f800000, v7
	s_delay_alu instid0(VALU_DEP_2) | instskip(SKIP_1) | instid1(VALU_DEP_2)
	v_sub_nc_u32_e32 v19, 0, v17
	v_cvt_f32_i32_e32 v17, v17
	v_ldexp_f32 v14, v14, v19
	v_ldexp_f32 v18, v18, v19
	s_delay_alu instid0(VALU_DEP_2) | instskip(NEXT) | instid1(VALU_DEP_1)
	v_add_f32_e32 v21, 1.0, v14
	v_dual_add_f32 v19, -1.0, v14 :: v_dual_add_f32 v20, -1.0, v21
	s_delay_alu instid0(VALU_DEP_1) | instskip(NEXT) | instid1(VALU_DEP_2)
	v_add_f32_e32 v22, 1.0, v19
	v_sub_f32_e32 v20, v14, v20
	s_delay_alu instid0(VALU_DEP_2) | instskip(NEXT) | instid1(VALU_DEP_1)
	v_sub_f32_e32 v14, v14, v22
	v_add_f32_e32 v14, v18, v14
	s_delay_alu instid0(VALU_DEP_1) | instskip(NEXT) | instid1(VALU_DEP_1)
	v_dual_add_f32 v23, v19, v14 :: v_dual_add_f32 v20, v18, v20
	v_dual_sub_f32 v19, v19, v23 :: v_dual_add_f32 v22, v21, v20
	s_delay_alu instid0(VALU_DEP_1) | instskip(NEXT) | instid1(VALU_DEP_2)
	v_add_f32_e32 v14, v14, v19
	v_rcp_f32_e32 v18, v22
	v_sub_f32_e32 v21, v21, v22
	s_delay_alu instid0(VALU_DEP_1) | instskip(NEXT) | instid1(TRANS32_DEP_1)
	v_add_f32_e32 v20, v20, v21
	v_mul_f32_e32 v24, v23, v18
	s_delay_alu instid0(VALU_DEP_1) | instskip(NEXT) | instid1(VALU_DEP_1)
	v_mul_f32_e32 v25, v22, v24
	v_fma_f32 v21, v24, v22, -v25
	s_delay_alu instid0(VALU_DEP_1) | instskip(NEXT) | instid1(VALU_DEP_1)
	v_fmac_f32_e32 v21, v24, v20
	v_add_f32_e32 v26, v25, v21
	s_delay_alu instid0(VALU_DEP_1) | instskip(SKIP_1) | instid1(VALU_DEP_2)
	v_sub_f32_e32 v27, v23, v26
	v_sub_f32_e32 v19, v26, v25
	;; [unrolled: 1-line block ×3, first 2 shown]
	s_delay_alu instid0(VALU_DEP_2) | instskip(NEXT) | instid1(VALU_DEP_2)
	v_sub_f32_e32 v19, v19, v21
	v_sub_f32_e32 v23, v23, v26
	s_delay_alu instid0(VALU_DEP_1) | instskip(NEXT) | instid1(VALU_DEP_1)
	v_add_f32_e32 v14, v14, v23
	v_add_f32_e32 v14, v19, v14
	s_delay_alu instid0(VALU_DEP_1) | instskip(NEXT) | instid1(VALU_DEP_1)
	v_add_f32_e32 v19, v27, v14
	v_mul_f32_e32 v21, v18, v19
	s_delay_alu instid0(VALU_DEP_1) | instskip(NEXT) | instid1(VALU_DEP_1)
	v_dual_sub_f32 v26, v27, v19 :: v_dual_mul_f32 v23, v22, v21
	v_add_f32_e32 v14, v14, v26
	s_delay_alu instid0(VALU_DEP_2) | instskip(NEXT) | instid1(VALU_DEP_1)
	v_fma_f32 v22, v21, v22, -v23
	v_fmac_f32_e32 v22, v21, v20
	s_delay_alu instid0(VALU_DEP_1) | instskip(NEXT) | instid1(VALU_DEP_1)
	v_add_f32_e32 v20, v23, v22
	v_sub_f32_e32 v25, v19, v20
	v_sub_f32_e32 v23, v20, v23
	s_delay_alu instid0(VALU_DEP_2) | instskip(NEXT) | instid1(VALU_DEP_1)
	v_sub_f32_e32 v19, v19, v25
	v_sub_f32_e32 v19, v19, v20
	s_delay_alu instid0(VALU_DEP_1) | instskip(NEXT) | instid1(VALU_DEP_4)
	v_dual_add_f32 v14, v14, v19 :: v_dual_add_f32 v19, v24, v21
	v_sub_f32_e32 v20, v23, v22
	s_delay_alu instid0(VALU_DEP_1) | instskip(NEXT) | instid1(VALU_DEP_3)
	v_add_f32_e32 v14, v20, v14
	v_sub_f32_e32 v20, v19, v24
	s_delay_alu instid0(VALU_DEP_2) | instskip(NEXT) | instid1(VALU_DEP_2)
	v_add_f32_e32 v14, v25, v14
	v_sub_f32_e32 v20, v21, v20
	s_delay_alu instid0(VALU_DEP_2) | instskip(NEXT) | instid1(VALU_DEP_1)
	v_mul_f32_e32 v14, v18, v14
	v_add_f32_e32 v14, v20, v14
	s_delay_alu instid0(VALU_DEP_1) | instskip(NEXT) | instid1(VALU_DEP_1)
	v_add_f32_e32 v18, v19, v14
	v_mul_f32_e32 v20, v18, v18
	s_wait_alu 0xfffe
	s_delay_alu instid0(VALU_DEP_1) | instskip(SKIP_1) | instid1(VALU_DEP_2)
	v_fmaak_f32 v21, s3, v20, 0x3ecc95a3
	v_mul_f32_e32 v22, v18, v20
	v_fmaak_f32 v20, v20, v21, 0x3f2aaada
	v_ldexp_f32 v21, v18, 1
	v_sub_f32_e32 v18, v18, v19
	s_delay_alu instid0(VALU_DEP_3) | instskip(SKIP_1) | instid1(VALU_DEP_2)
	v_mul_f32_e32 v20, v22, v20
	v_mul_f32_e32 v22, 0x3f317218, v17
	v_dual_sub_f32 v14, v14, v18 :: v_dual_add_f32 v19, v21, v20
	s_delay_alu instid0(VALU_DEP_1) | instskip(NEXT) | instid1(VALU_DEP_2)
	v_ldexp_f32 v14, v14, 1
	v_sub_f32_e32 v18, v19, v21
	s_delay_alu instid0(VALU_DEP_4) | instskip(NEXT) | instid1(VALU_DEP_1)
	v_fma_f32 v21, 0x3f317218, v17, -v22
	v_dual_sub_f32 v18, v20, v18 :: v_dual_fmamk_f32 v17, v17, 0xb102e308, v21
	s_delay_alu instid0(VALU_DEP_1) | instskip(NEXT) | instid1(VALU_DEP_2)
	v_add_f32_e32 v14, v14, v18
	v_add_f32_e32 v18, v22, v17
	s_delay_alu instid0(VALU_DEP_2) | instskip(NEXT) | instid1(VALU_DEP_2)
	v_add_f32_e32 v20, v19, v14
	v_sub_f32_e32 v22, v18, v22
	s_delay_alu instid0(VALU_DEP_2) | instskip(SKIP_1) | instid1(VALU_DEP_3)
	v_add_f32_e32 v21, v18, v20
	v_sub_f32_e32 v19, v20, v19
	v_sub_f32_e32 v17, v17, v22
	s_delay_alu instid0(VALU_DEP_2) | instskip(NEXT) | instid1(VALU_DEP_1)
	v_dual_sub_f32 v23, v21, v18 :: v_dual_sub_f32 v14, v14, v19
	v_sub_f32_e32 v24, v21, v23
	s_delay_alu instid0(VALU_DEP_2) | instskip(NEXT) | instid1(VALU_DEP_2)
	v_dual_sub_f32 v19, v20, v23 :: v_dual_add_f32 v20, v17, v14
	v_sub_f32_e32 v18, v18, v24
	s_delay_alu instid0(VALU_DEP_1) | instskip(NEXT) | instid1(VALU_DEP_1)
	v_dual_add_f32 v18, v19, v18 :: v_dual_sub_f32 v19, v20, v17
	v_add_f32_e32 v18, v20, v18
	s_delay_alu instid0(VALU_DEP_2) | instskip(SKIP_1) | instid1(VALU_DEP_3)
	v_sub_f32_e32 v20, v20, v19
	v_sub_f32_e32 v14, v14, v19
	v_add_f32_e32 v22, v21, v18
	s_delay_alu instid0(VALU_DEP_3) | instskip(NEXT) | instid1(VALU_DEP_2)
	v_sub_f32_e32 v17, v17, v20
	v_sub_f32_e32 v19, v22, v21
	s_delay_alu instid0(VALU_DEP_2) | instskip(NEXT) | instid1(VALU_DEP_2)
	v_add_f32_e32 v14, v14, v17
	v_sub_f32_e32 v17, v18, v19
	s_delay_alu instid0(VALU_DEP_1) | instskip(NEXT) | instid1(VALU_DEP_1)
	v_add_f32_e32 v14, v14, v17
	v_add_f32_e32 v14, v22, v14
	s_wait_alu 0xfffd
	s_delay_alu instid0(VALU_DEP_1) | instskip(SKIP_2) | instid1(VALU_DEP_2)
	v_cndmask_b32_e32 v14, 0x7f800000, v14, vcc_lo
	v_cmp_gt_f32_e64 vcc_lo, 0x33800000, |v7|
	s_wait_alu 0xfffd
	v_cndmask_b32_e32 v7, v14, v7, vcc_lo
	s_delay_alu instid0(VALU_DEP_1) | instskip(NEXT) | instid1(VALU_DEP_1)
	v_add_f32_e32 v7, v13, v7
	v_cvt_f16_f32_e32 v14, v7
	s_delay_alu instid0(VALU_DEP_1)
	v_cvt_f32_f16_e32 v7, v14
	v_mov_b32_e32 v30, v14
.LBB421_286:
	s_wait_alu 0xfffe
	s_or_b32 exec_lo, exec_lo, s2
	v_max_num_f32_e32 v13, v8, v8
	v_max_num_f32_e32 v17, v7, v7
	v_cmp_u_f16_e32 vcc_lo, v14, v14
	s_delay_alu instid0(VALU_DEP_2) | instskip(SKIP_2) | instid1(VALU_DEP_2)
	v_min_num_f32_e32 v18, v17, v13
	v_max_num_f32_e32 v13, v17, v13
	s_wait_alu 0xfffd
	v_cndmask_b32_e32 v17, v18, v7, vcc_lo
	s_delay_alu instid0(VALU_DEP_2) | instskip(NEXT) | instid1(VALU_DEP_2)
	v_cndmask_b32_e32 v13, v13, v7, vcc_lo
	v_cndmask_b32_e64 v17, v17, v8, s1
	s_delay_alu instid0(VALU_DEP_2) | instskip(SKIP_1) | instid1(VALU_DEP_3)
	v_cndmask_b32_e64 v13, v13, v8, s1
	v_mov_b32_e32 v8, v30
	v_cmp_class_f32_e64 s1, v17, 0x1f8
	s_delay_alu instid0(VALU_DEP_3)
	v_cmp_neq_f32_e32 vcc_lo, v17, v13
	s_or_b32 s2, vcc_lo, s1
	s_wait_alu 0xfffe
	s_and_saveexec_b32 s1, s2
	s_cbranch_execz .LBB421_288
; %bb.287:
	v_sub_f32_e32 v7, v17, v13
	s_mov_b32 s2, 0x3e9b6dac
	s_delay_alu instid0(VALU_DEP_1) | instskip(NEXT) | instid1(VALU_DEP_1)
	v_mul_f32_e32 v8, 0x3fb8aa3b, v7
	v_fma_f32 v14, 0x3fb8aa3b, v7, -v8
	v_rndne_f32_e32 v17, v8
	s_delay_alu instid0(VALU_DEP_2) | instskip(NEXT) | instid1(VALU_DEP_2)
	v_fmamk_f32 v14, v7, 0x32a5705f, v14
	v_sub_f32_e32 v8, v8, v17
	s_delay_alu instid0(VALU_DEP_1) | instskip(SKIP_2) | instid1(VALU_DEP_3)
	v_add_f32_e32 v8, v8, v14
	v_cvt_i32_f32_e32 v14, v17
	v_cmp_ngt_f32_e32 vcc_lo, 0xc2ce8ed0, v7
	v_exp_f32_e32 v8, v8
	s_delay_alu instid0(TRANS32_DEP_1) | instskip(SKIP_1) | instid1(VALU_DEP_1)
	v_ldexp_f32 v8, v8, v14
	s_wait_alu 0xfffd
	v_cndmask_b32_e32 v8, 0, v8, vcc_lo
	v_cmp_nlt_f32_e32 vcc_lo, 0x42b17218, v7
	s_wait_alu 0xfffd
	s_delay_alu instid0(VALU_DEP_2) | instskip(NEXT) | instid1(VALU_DEP_1)
	v_cndmask_b32_e32 v14, 0x7f800000, v8, vcc_lo
	v_add_f32_e32 v17, 1.0, v14
	s_delay_alu instid0(VALU_DEP_1) | instskip(NEXT) | instid1(VALU_DEP_1)
	v_cvt_f64_f32_e32 v[7:8], v17
	v_frexp_exp_i32_f64_e32 v7, v[7:8]
	v_frexp_mant_f32_e32 v8, v17
	s_delay_alu instid0(VALU_DEP_1) | instskip(SKIP_1) | instid1(VALU_DEP_1)
	v_cmp_gt_f32_e32 vcc_lo, 0x3f2aaaab, v8
	v_add_f32_e32 v8, -1.0, v17
	v_sub_f32_e32 v19, v8, v17
	s_delay_alu instid0(VALU_DEP_1) | instskip(SKIP_2) | instid1(VALU_DEP_1)
	v_add_f32_e32 v19, 1.0, v19
	s_wait_alu 0xfffd
	v_subrev_co_ci_u32_e64 v7, null, 0, v7, vcc_lo
	v_sub_nc_u32_e32 v18, 0, v7
	v_cvt_f32_i32_e32 v7, v7
	s_delay_alu instid0(VALU_DEP_2) | instskip(SKIP_1) | instid1(VALU_DEP_1)
	v_ldexp_f32 v17, v17, v18
	v_sub_f32_e32 v8, v14, v8
	v_add_f32_e32 v8, v8, v19
	s_delay_alu instid0(VALU_DEP_1) | instskip(NEXT) | instid1(VALU_DEP_4)
	v_ldexp_f32 v8, v8, v18
	v_add_f32_e32 v20, 1.0, v17
	s_delay_alu instid0(VALU_DEP_1) | instskip(NEXT) | instid1(VALU_DEP_1)
	v_add_f32_e32 v19, -1.0, v20
	v_sub_f32_e32 v19, v17, v19
	s_delay_alu instid0(VALU_DEP_1) | instskip(NEXT) | instid1(VALU_DEP_1)
	v_dual_add_f32 v19, v8, v19 :: v_dual_add_f32 v18, -1.0, v17
	v_add_f32_e32 v21, 1.0, v18
	v_cmp_neq_f32_e32 vcc_lo, 0x7f800000, v14
	s_delay_alu instid0(VALU_DEP_2) | instskip(NEXT) | instid1(VALU_DEP_4)
	v_sub_f32_e32 v17, v17, v21
	v_add_f32_e32 v21, v20, v19
	s_delay_alu instid0(VALU_DEP_1) | instskip(NEXT) | instid1(VALU_DEP_3)
	v_sub_f32_e32 v20, v20, v21
	v_add_f32_e32 v8, v8, v17
	v_rcp_f32_e32 v17, v21
	s_delay_alu instid0(VALU_DEP_2) | instskip(NEXT) | instid1(VALU_DEP_2)
	v_add_f32_e32 v19, v19, v20
	v_add_f32_e32 v22, v18, v8
	s_delay_alu instid0(VALU_DEP_1)
	v_sub_f32_e32 v18, v18, v22
	s_delay_alu instid0(TRANS32_DEP_1) | instid1(VALU_DEP_1)
	v_dual_mul_f32 v23, v22, v17 :: v_dual_add_f32 v8, v8, v18
	s_delay_alu instid0(VALU_DEP_1) | instskip(NEXT) | instid1(VALU_DEP_1)
	v_mul_f32_e32 v24, v21, v23
	v_fma_f32 v20, v23, v21, -v24
	s_delay_alu instid0(VALU_DEP_1) | instskip(NEXT) | instid1(VALU_DEP_1)
	v_fmac_f32_e32 v20, v23, v19
	v_add_f32_e32 v25, v24, v20
	s_delay_alu instid0(VALU_DEP_1) | instskip(SKIP_1) | instid1(VALU_DEP_2)
	v_sub_f32_e32 v26, v22, v25
	v_sub_f32_e32 v18, v25, v24
	;; [unrolled: 1-line block ×3, first 2 shown]
	s_delay_alu instid0(VALU_DEP_2) | instskip(NEXT) | instid1(VALU_DEP_2)
	v_sub_f32_e32 v18, v18, v20
	v_sub_f32_e32 v22, v22, v25
	s_delay_alu instid0(VALU_DEP_1) | instskip(NEXT) | instid1(VALU_DEP_1)
	v_add_f32_e32 v8, v8, v22
	v_add_f32_e32 v8, v18, v8
	s_delay_alu instid0(VALU_DEP_1) | instskip(NEXT) | instid1(VALU_DEP_1)
	v_add_f32_e32 v18, v26, v8
	v_mul_f32_e32 v20, v17, v18
	s_delay_alu instid0(VALU_DEP_1) | instskip(NEXT) | instid1(VALU_DEP_1)
	v_dual_sub_f32 v25, v26, v18 :: v_dual_mul_f32 v22, v21, v20
	v_add_f32_e32 v8, v8, v25
	s_delay_alu instid0(VALU_DEP_2) | instskip(NEXT) | instid1(VALU_DEP_1)
	v_fma_f32 v21, v20, v21, -v22
	v_fmac_f32_e32 v21, v20, v19
	s_delay_alu instid0(VALU_DEP_1) | instskip(NEXT) | instid1(VALU_DEP_1)
	v_add_f32_e32 v19, v22, v21
	v_sub_f32_e32 v24, v18, v19
	v_sub_f32_e32 v22, v19, v22
	s_delay_alu instid0(VALU_DEP_2) | instskip(NEXT) | instid1(VALU_DEP_1)
	v_sub_f32_e32 v18, v18, v24
	v_sub_f32_e32 v18, v18, v19
	s_delay_alu instid0(VALU_DEP_1) | instskip(SKIP_1) | instid1(VALU_DEP_1)
	v_dual_sub_f32 v19, v22, v21 :: v_dual_add_f32 v8, v8, v18
	v_add_f32_e32 v18, v23, v20
	v_dual_add_f32 v8, v19, v8 :: v_dual_sub_f32 v19, v18, v23
	s_delay_alu instid0(VALU_DEP_1) | instskip(NEXT) | instid1(VALU_DEP_1)
	v_add_f32_e32 v8, v24, v8
	v_dual_sub_f32 v19, v20, v19 :: v_dual_mul_f32 v8, v17, v8
	s_delay_alu instid0(VALU_DEP_1) | instskip(NEXT) | instid1(VALU_DEP_1)
	v_add_f32_e32 v8, v19, v8
	v_add_f32_e32 v17, v18, v8
	s_delay_alu instid0(VALU_DEP_1) | instskip(SKIP_1) | instid1(VALU_DEP_1)
	v_mul_f32_e32 v19, v17, v17
	s_wait_alu 0xfffe
	v_fmaak_f32 v20, s2, v19, 0x3ecc95a3
	v_mul_f32_e32 v21, v17, v19
	s_delay_alu instid0(VALU_DEP_2) | instskip(SKIP_2) | instid1(VALU_DEP_3)
	v_fmaak_f32 v19, v19, v20, 0x3f2aaada
	v_ldexp_f32 v20, v17, 1
	v_sub_f32_e32 v17, v17, v18
	v_mul_f32_e32 v19, v21, v19
	s_delay_alu instid0(VALU_DEP_2) | instskip(NEXT) | instid1(VALU_DEP_2)
	v_dual_mul_f32 v21, 0x3f317218, v7 :: v_dual_sub_f32 v8, v8, v17
	v_add_f32_e32 v18, v20, v19
	s_delay_alu instid0(VALU_DEP_2) | instskip(NEXT) | instid1(VALU_DEP_2)
	v_ldexp_f32 v8, v8, 1
	v_sub_f32_e32 v17, v18, v20
	s_delay_alu instid0(VALU_DEP_4) | instskip(NEXT) | instid1(VALU_DEP_2)
	v_fma_f32 v20, 0x3f317218, v7, -v21
	v_sub_f32_e32 v17, v19, v17
	s_delay_alu instid0(VALU_DEP_1) | instskip(NEXT) | instid1(VALU_DEP_1)
	v_dual_fmamk_f32 v7, v7, 0xb102e308, v20 :: v_dual_add_f32 v8, v8, v17
	v_add_f32_e32 v17, v21, v7
	s_delay_alu instid0(VALU_DEP_2) | instskip(NEXT) | instid1(VALU_DEP_2)
	v_add_f32_e32 v19, v18, v8
	v_sub_f32_e32 v21, v17, v21
	s_delay_alu instid0(VALU_DEP_2) | instskip(SKIP_1) | instid1(VALU_DEP_3)
	v_add_f32_e32 v20, v17, v19
	v_sub_f32_e32 v18, v19, v18
	v_sub_f32_e32 v7, v7, v21
	s_delay_alu instid0(VALU_DEP_3) | instskip(NEXT) | instid1(VALU_DEP_3)
	v_sub_f32_e32 v22, v20, v17
	v_sub_f32_e32 v8, v8, v18
	s_delay_alu instid0(VALU_DEP_2) | instskip(SKIP_1) | instid1(VALU_DEP_3)
	v_sub_f32_e32 v23, v20, v22
	v_sub_f32_e32 v18, v19, v22
	v_add_f32_e32 v19, v7, v8
	s_delay_alu instid0(VALU_DEP_3) | instskip(NEXT) | instid1(VALU_DEP_1)
	v_sub_f32_e32 v17, v17, v23
	v_dual_add_f32 v17, v18, v17 :: v_dual_sub_f32 v18, v19, v7
	s_delay_alu instid0(VALU_DEP_1) | instskip(NEXT) | instid1(VALU_DEP_2)
	v_add_f32_e32 v17, v19, v17
	v_sub_f32_e32 v19, v19, v18
	v_sub_f32_e32 v8, v8, v18
	s_delay_alu instid0(VALU_DEP_3) | instskip(NEXT) | instid1(VALU_DEP_1)
	v_add_f32_e32 v21, v20, v17
	v_dual_sub_f32 v7, v7, v19 :: v_dual_sub_f32 v18, v21, v20
	s_delay_alu instid0(VALU_DEP_1) | instskip(NEXT) | instid1(VALU_DEP_1)
	v_dual_add_f32 v7, v8, v7 :: v_dual_sub_f32 v8, v17, v18
	v_add_f32_e32 v7, v7, v8
	s_delay_alu instid0(VALU_DEP_1) | instskip(SKIP_1) | instid1(VALU_DEP_1)
	v_add_f32_e32 v7, v21, v7
	s_wait_alu 0xfffd
	v_cndmask_b32_e32 v7, 0x7f800000, v7, vcc_lo
	v_cmp_gt_f32_e64 vcc_lo, 0x33800000, |v14|
	s_wait_alu 0xfffd
	s_delay_alu instid0(VALU_DEP_2) | instskip(NEXT) | instid1(VALU_DEP_1)
	v_cndmask_b32_e32 v7, v7, v14, vcc_lo
	v_add_f32_e32 v7, v13, v7
	s_delay_alu instid0(VALU_DEP_1) | instskip(NEXT) | instid1(VALU_DEP_1)
	v_cvt_f16_f32_e32 v14, v7
	v_cvt_f32_f16_e32 v7, v14
	v_mov_b32_e32 v8, v14
.LBB421_288:
	s_wait_alu 0xfffe
	s_or_b32 exec_lo, exec_lo, s1
	s_delay_alu instid0(VALU_DEP_1) | instskip(SKIP_2) | instid1(VALU_DEP_2)
	v_dual_max_num_f32 v13, v2, v2 :: v_dual_mov_b32 v20, v8
	v_max_num_f32_e32 v17, v7, v7
	v_cmp_u_f16_e32 vcc_lo, v14, v14
	v_min_num_f32_e32 v18, v17, v13
	v_max_num_f32_e32 v13, v17, v13
	s_wait_alu 0xfffd
	s_delay_alu instid0(VALU_DEP_2) | instskip(NEXT) | instid1(VALU_DEP_2)
	v_cndmask_b32_e32 v17, v18, v7, vcc_lo
	v_cndmask_b32_e32 v18, v13, v7, vcc_lo
	s_delay_alu instid0(VALU_DEP_2) | instskip(NEXT) | instid1(VALU_DEP_2)
	v_cndmask_b32_e64 v13, v17, v2, s4
	v_cndmask_b32_e64 v2, v18, v2, s4
	s_delay_alu instid0(VALU_DEP_2) | instskip(NEXT) | instid1(VALU_DEP_2)
	v_cmp_class_f32_e64 s1, v13, 0x1f8
	v_cmp_neq_f32_e32 vcc_lo, v13, v2
	s_or_b32 s2, vcc_lo, s1
	s_wait_alu 0xfffe
	s_and_saveexec_b32 s1, s2
	s_cbranch_execz .LBB421_290
; %bb.289:
	v_sub_f32_e32 v7, v13, v2
	s_mov_b32 s2, 0x3e9b6dac
	s_delay_alu instid0(VALU_DEP_1) | instskip(SKIP_1) | instid1(VALU_DEP_2)
	v_mul_f32_e32 v13, 0x3fb8aa3b, v7
	v_cmp_ngt_f32_e32 vcc_lo, 0xc2ce8ed0, v7
	v_fma_f32 v14, 0x3fb8aa3b, v7, -v13
	v_rndne_f32_e32 v17, v13
	s_delay_alu instid0(VALU_DEP_1) | instskip(NEXT) | instid1(VALU_DEP_1)
	v_dual_fmamk_f32 v14, v7, 0x32a5705f, v14 :: v_dual_sub_f32 v13, v13, v17
	v_add_f32_e32 v13, v13, v14
	v_cvt_i32_f32_e32 v14, v17
	s_delay_alu instid0(VALU_DEP_2) | instskip(NEXT) | instid1(TRANS32_DEP_1)
	v_exp_f32_e32 v13, v13
	v_ldexp_f32 v13, v13, v14
	s_wait_alu 0xfffd
	s_delay_alu instid0(VALU_DEP_1) | instskip(SKIP_2) | instid1(VALU_DEP_2)
	v_cndmask_b32_e32 v13, 0, v13, vcc_lo
	v_cmp_nlt_f32_e32 vcc_lo, 0x42b17218, v7
	s_wait_alu 0xfffd
	v_cndmask_b32_e32 v7, 0x7f800000, v13, vcc_lo
	s_delay_alu instid0(VALU_DEP_1) | instskip(NEXT) | instid1(VALU_DEP_1)
	v_add_f32_e32 v17, 1.0, v7
	v_cvt_f64_f32_e32 v[13:14], v17
	s_delay_alu instid0(VALU_DEP_1) | instskip(SKIP_1) | instid1(VALU_DEP_1)
	v_frexp_exp_i32_f64_e32 v13, v[13:14]
	v_frexp_mant_f32_e32 v14, v17
	v_cmp_gt_f32_e32 vcc_lo, 0x3f2aaaab, v14
	v_add_f32_e32 v14, -1.0, v17
	s_delay_alu instid0(VALU_DEP_1) | instskip(SKIP_2) | instid1(VALU_DEP_1)
	v_dual_sub_f32 v19, v14, v17 :: v_dual_sub_f32 v14, v7, v14
	s_wait_alu 0xfffd
	v_subrev_co_ci_u32_e64 v13, null, 0, v13, vcc_lo
	v_sub_nc_u32_e32 v18, 0, v13
	v_cvt_f32_i32_e32 v13, v13
	s_delay_alu instid0(VALU_DEP_2) | instskip(NEXT) | instid1(VALU_DEP_1)
	v_ldexp_f32 v17, v17, v18
	v_dual_add_f32 v19, 1.0, v19 :: v_dual_add_f32 v20, 1.0, v17
	s_delay_alu instid0(VALU_DEP_1) | instskip(NEXT) | instid1(VALU_DEP_1)
	v_add_f32_e32 v14, v14, v19
	v_ldexp_f32 v14, v14, v18
	s_delay_alu instid0(VALU_DEP_3) | instskip(NEXT) | instid1(VALU_DEP_1)
	v_dual_add_f32 v18, -1.0, v17 :: v_dual_add_f32 v19, -1.0, v20
	v_add_f32_e32 v21, 1.0, v18
	s_delay_alu instid0(VALU_DEP_2) | instskip(NEXT) | instid1(VALU_DEP_2)
	v_sub_f32_e32 v19, v17, v19
	v_sub_f32_e32 v17, v17, v21
	s_delay_alu instid0(VALU_DEP_2) | instskip(NEXT) | instid1(VALU_DEP_2)
	v_add_f32_e32 v19, v14, v19
	v_add_f32_e32 v14, v14, v17
	s_delay_alu instid0(VALU_DEP_1) | instskip(SKIP_1) | instid1(VALU_DEP_2)
	v_dual_add_f32 v22, v18, v14 :: v_dual_add_f32 v21, v20, v19
	v_cmp_neq_f32_e32 vcc_lo, 0x7f800000, v7
	v_sub_f32_e32 v18, v18, v22
	s_delay_alu instid0(VALU_DEP_3) | instskip(SKIP_1) | instid1(VALU_DEP_1)
	v_rcp_f32_e32 v17, v21
	v_sub_f32_e32 v20, v20, v21
	v_dual_add_f32 v14, v14, v18 :: v_dual_add_f32 v19, v19, v20
	s_delay_alu instid0(TRANS32_DEP_1) | instskip(NEXT) | instid1(VALU_DEP_1)
	v_mul_f32_e32 v23, v22, v17
	v_mul_f32_e32 v24, v21, v23
	s_delay_alu instid0(VALU_DEP_1) | instskip(NEXT) | instid1(VALU_DEP_1)
	v_fma_f32 v20, v23, v21, -v24
	v_fmac_f32_e32 v20, v23, v19
	s_delay_alu instid0(VALU_DEP_1) | instskip(NEXT) | instid1(VALU_DEP_1)
	v_add_f32_e32 v25, v24, v20
	v_sub_f32_e32 v26, v22, v25
	s_delay_alu instid0(VALU_DEP_1) | instskip(NEXT) | instid1(VALU_DEP_1)
	v_sub_f32_e32 v22, v22, v26
	v_sub_f32_e32 v22, v22, v25
	s_delay_alu instid0(VALU_DEP_1) | instskip(SKIP_1) | instid1(VALU_DEP_1)
	v_add_f32_e32 v14, v14, v22
	v_sub_f32_e32 v18, v25, v24
	v_sub_f32_e32 v18, v18, v20
	s_delay_alu instid0(VALU_DEP_1) | instskip(NEXT) | instid1(VALU_DEP_1)
	v_add_f32_e32 v14, v18, v14
	v_add_f32_e32 v18, v26, v14
	s_delay_alu instid0(VALU_DEP_1) | instskip(NEXT) | instid1(VALU_DEP_1)
	v_mul_f32_e32 v20, v17, v18
	v_dual_sub_f32 v25, v26, v18 :: v_dual_mul_f32 v22, v21, v20
	s_delay_alu instid0(VALU_DEP_1) | instskip(NEXT) | instid1(VALU_DEP_2)
	v_add_f32_e32 v14, v14, v25
	v_fma_f32 v21, v20, v21, -v22
	s_delay_alu instid0(VALU_DEP_1) | instskip(NEXT) | instid1(VALU_DEP_1)
	v_fmac_f32_e32 v21, v20, v19
	v_add_f32_e32 v19, v22, v21
	s_delay_alu instid0(VALU_DEP_1) | instskip(NEXT) | instid1(VALU_DEP_1)
	v_sub_f32_e32 v24, v18, v19
	v_sub_f32_e32 v18, v18, v24
	s_delay_alu instid0(VALU_DEP_1) | instskip(NEXT) | instid1(VALU_DEP_1)
	v_sub_f32_e32 v18, v18, v19
	v_add_f32_e32 v14, v14, v18
	v_add_f32_e32 v18, v23, v20
	v_sub_f32_e32 v22, v19, v22
	s_delay_alu instid0(VALU_DEP_1) | instskip(NEXT) | instid1(VALU_DEP_1)
	v_sub_f32_e32 v19, v22, v21
	v_dual_add_f32 v14, v19, v14 :: v_dual_sub_f32 v19, v18, v23
	s_delay_alu instid0(VALU_DEP_1) | instskip(NEXT) | instid1(VALU_DEP_1)
	v_add_f32_e32 v14, v24, v14
	v_dual_sub_f32 v19, v20, v19 :: v_dual_mul_f32 v14, v17, v14
	s_delay_alu instid0(VALU_DEP_1) | instskip(NEXT) | instid1(VALU_DEP_1)
	v_add_f32_e32 v14, v19, v14
	v_add_f32_e32 v17, v18, v14
	s_delay_alu instid0(VALU_DEP_1) | instskip(SKIP_1) | instid1(VALU_DEP_1)
	v_mul_f32_e32 v19, v17, v17
	s_wait_alu 0xfffe
	v_fmaak_f32 v20, s2, v19, 0x3ecc95a3
	v_mul_f32_e32 v21, v17, v19
	s_delay_alu instid0(VALU_DEP_2) | instskip(SKIP_2) | instid1(VALU_DEP_3)
	v_fmaak_f32 v19, v19, v20, 0x3f2aaada
	v_ldexp_f32 v20, v17, 1
	v_sub_f32_e32 v17, v17, v18
	v_mul_f32_e32 v19, v21, v19
	v_mul_f32_e32 v21, 0x3f317218, v13
	s_delay_alu instid0(VALU_DEP_3) | instskip(NEXT) | instid1(VALU_DEP_3)
	v_sub_f32_e32 v14, v14, v17
	v_add_f32_e32 v18, v20, v19
	s_delay_alu instid0(VALU_DEP_2) | instskip(NEXT) | instid1(VALU_DEP_2)
	v_ldexp_f32 v14, v14, 1
	v_sub_f32_e32 v17, v18, v20
	v_fma_f32 v20, 0x3f317218, v13, -v21
	s_delay_alu instid0(VALU_DEP_2) | instskip(NEXT) | instid1(VALU_DEP_1)
	v_sub_f32_e32 v17, v19, v17
	v_dual_fmamk_f32 v13, v13, 0xb102e308, v20 :: v_dual_add_f32 v14, v14, v17
	s_delay_alu instid0(VALU_DEP_1) | instskip(NEXT) | instid1(VALU_DEP_2)
	v_add_f32_e32 v17, v21, v13
	v_add_f32_e32 v19, v18, v14
	s_delay_alu instid0(VALU_DEP_1) | instskip(NEXT) | instid1(VALU_DEP_1)
	v_add_f32_e32 v20, v17, v19
	v_sub_f32_e32 v22, v20, v17
	v_dual_sub_f32 v21, v17, v21 :: v_dual_sub_f32 v18, v19, v18
	s_delay_alu instid0(VALU_DEP_2) | instskip(NEXT) | instid1(VALU_DEP_1)
	v_sub_f32_e32 v23, v20, v22
	v_sub_f32_e32 v17, v17, v23
	s_delay_alu instid0(VALU_DEP_3) | instskip(SKIP_1) | instid1(VALU_DEP_2)
	v_dual_sub_f32 v13, v13, v21 :: v_dual_sub_f32 v14, v14, v18
	v_sub_f32_e32 v18, v19, v22
	v_add_f32_e32 v19, v13, v14
	s_delay_alu instid0(VALU_DEP_2) | instskip(NEXT) | instid1(VALU_DEP_2)
	v_add_f32_e32 v17, v18, v17
	v_sub_f32_e32 v18, v19, v13
	s_delay_alu instid0(VALU_DEP_2) | instskip(NEXT) | instid1(VALU_DEP_1)
	v_add_f32_e32 v17, v19, v17
	v_add_f32_e32 v21, v20, v17
	s_delay_alu instid0(VALU_DEP_3) | instskip(NEXT) | instid1(VALU_DEP_1)
	v_sub_f32_e32 v19, v19, v18
	v_dual_sub_f32 v13, v13, v19 :: v_dual_sub_f32 v14, v14, v18
	s_delay_alu instid0(VALU_DEP_1) | instskip(NEXT) | instid1(VALU_DEP_1)
	v_dual_sub_f32 v18, v21, v20 :: v_dual_add_f32 v13, v14, v13
	v_sub_f32_e32 v14, v17, v18
	s_delay_alu instid0(VALU_DEP_1) | instskip(NEXT) | instid1(VALU_DEP_1)
	v_add_f32_e32 v13, v13, v14
	v_add_f32_e32 v13, v21, v13
	s_wait_alu 0xfffd
	s_delay_alu instid0(VALU_DEP_1) | instskip(SKIP_2) | instid1(VALU_DEP_2)
	v_cndmask_b32_e32 v13, 0x7f800000, v13, vcc_lo
	v_cmp_gt_f32_e64 vcc_lo, 0x33800000, |v7|
	s_wait_alu 0xfffd
	v_cndmask_b32_e32 v7, v13, v7, vcc_lo
	s_delay_alu instid0(VALU_DEP_1) | instskip(NEXT) | instid1(VALU_DEP_1)
	v_add_f32_e32 v2, v2, v7
	v_cvt_f16_f32_e32 v14, v2
	s_delay_alu instid0(VALU_DEP_1)
	v_cvt_f32_f16_e32 v7, v14
	v_mov_b32_e32 v20, v14
.LBB421_290:
	s_wait_alu 0xfffe
	s_or_b32 exec_lo, exec_lo, s1
	s_delay_alu instid0(VALU_DEP_2) | instskip(SKIP_1) | instid1(VALU_DEP_2)
	v_dual_max_num_f32 v2, v9, v9 :: v_dual_max_num_f32 v13, v7, v7
	v_cmp_u_f16_e32 vcc_lo, v14, v14
	v_min_num_f32_e32 v17, v13, v2
	v_max_num_f32_e32 v2, v13, v2
	s_wait_alu 0xfffd
	s_delay_alu instid0(VALU_DEP_1) | instskip(NEXT) | instid1(VALU_DEP_3)
	v_cndmask_b32_e32 v2, v2, v7, vcc_lo
	v_cndmask_b32_e32 v13, v17, v7, vcc_lo
	s_delay_alu instid0(VALU_DEP_2) | instskip(NEXT) | instid1(VALU_DEP_2)
	v_cndmask_b32_e64 v2, v2, v9, s5
	v_cndmask_b32_e64 v13, v13, v9, s5
	v_mov_b32_e32 v9, v20
	s_delay_alu instid0(VALU_DEP_2)
	v_cmp_neq_f32_e32 vcc_lo, v13, v2
	v_cmp_class_f32_e64 s1, v13, 0x1f8
	s_or_b32 s2, vcc_lo, s1
	s_wait_alu 0xfffe
	s_and_saveexec_b32 s1, s2
	s_cbranch_execz .LBB421_292
; %bb.291:
	v_sub_f32_e32 v7, v13, v2
	s_mov_b32 s2, 0x3e9b6dac
	s_delay_alu instid0(VALU_DEP_1) | instskip(SKIP_1) | instid1(VALU_DEP_2)
	v_mul_f32_e32 v9, 0x3fb8aa3b, v7
	v_cmp_ngt_f32_e32 vcc_lo, 0xc2ce8ed0, v7
	v_fma_f32 v13, 0x3fb8aa3b, v7, -v9
	v_rndne_f32_e32 v14, v9
	s_delay_alu instid0(VALU_DEP_2) | instskip(NEXT) | instid1(VALU_DEP_2)
	v_fmamk_f32 v13, v7, 0x32a5705f, v13
	v_sub_f32_e32 v9, v9, v14
	s_delay_alu instid0(VALU_DEP_1) | instskip(SKIP_1) | instid1(VALU_DEP_2)
	v_add_f32_e32 v9, v9, v13
	v_cvt_i32_f32_e32 v13, v14
	v_exp_f32_e32 v9, v9
	s_delay_alu instid0(TRANS32_DEP_1) | instskip(SKIP_1) | instid1(VALU_DEP_1)
	v_ldexp_f32 v9, v9, v13
	s_wait_alu 0xfffd
	v_cndmask_b32_e32 v9, 0, v9, vcc_lo
	v_cmp_nlt_f32_e32 vcc_lo, 0x42b17218, v7
	s_wait_alu 0xfffd
	s_delay_alu instid0(VALU_DEP_2) | instskip(NEXT) | instid1(VALU_DEP_1)
	v_cndmask_b32_e32 v7, 0x7f800000, v9, vcc_lo
	v_add_f32_e32 v9, 1.0, v7
	s_delay_alu instid0(VALU_DEP_1) | instskip(NEXT) | instid1(VALU_DEP_1)
	v_cvt_f64_f32_e32 v[13:14], v9
	v_frexp_exp_i32_f64_e32 v13, v[13:14]
	v_frexp_mant_f32_e32 v14, v9
	s_delay_alu instid0(VALU_DEP_1) | instskip(SKIP_1) | instid1(VALU_DEP_1)
	v_cmp_gt_f32_e32 vcc_lo, 0x3f2aaaab, v14
	v_add_f32_e32 v14, -1.0, v9
	v_sub_f32_e32 v18, v14, v9
	v_sub_f32_e32 v14, v7, v14
	s_delay_alu instid0(VALU_DEP_2) | instskip(NEXT) | instid1(VALU_DEP_1)
	v_add_f32_e32 v18, 1.0, v18
	v_add_f32_e32 v14, v14, v18
	s_wait_alu 0xfffd
	v_subrev_co_ci_u32_e64 v13, null, 0, v13, vcc_lo
	s_delay_alu instid0(VALU_DEP_1) | instskip(SKIP_1) | instid1(VALU_DEP_2)
	v_sub_nc_u32_e32 v17, 0, v13
	v_cvt_f32_i32_e32 v13, v13
	v_ldexp_f32 v9, v9, v17
	v_ldexp_f32 v14, v14, v17
	s_delay_alu instid0(VALU_DEP_2) | instskip(NEXT) | instid1(VALU_DEP_1)
	v_add_f32_e32 v19, 1.0, v9
	v_add_f32_e32 v18, -1.0, v19
	s_delay_alu instid0(VALU_DEP_1) | instskip(SKIP_1) | instid1(VALU_DEP_2)
	v_sub_f32_e32 v18, v9, v18
	v_cmp_neq_f32_e32 vcc_lo, 0x7f800000, v7
	v_dual_add_f32 v18, v14, v18 :: v_dual_add_f32 v17, -1.0, v9
	s_delay_alu instid0(VALU_DEP_1) | instskip(NEXT) | instid1(VALU_DEP_1)
	v_add_f32_e32 v21, 1.0, v17
	v_sub_f32_e32 v9, v9, v21
	s_delay_alu instid0(VALU_DEP_1) | instskip(NEXT) | instid1(VALU_DEP_1)
	v_add_f32_e32 v9, v14, v9
	v_dual_add_f32 v21, v19, v18 :: v_dual_add_f32 v22, v17, v9
	s_delay_alu instid0(VALU_DEP_1) | instskip(NEXT) | instid1(TRANS32_DEP_1)
	v_rcp_f32_e32 v14, v21
	v_mul_f32_e32 v23, v22, v14
	s_delay_alu instid0(VALU_DEP_1) | instskip(NEXT) | instid1(VALU_DEP_1)
	v_dual_mul_f32 v24, v21, v23 :: v_dual_sub_f32 v19, v19, v21
	v_add_f32_e32 v18, v18, v19
	s_delay_alu instid0(VALU_DEP_2) | instskip(NEXT) | instid1(VALU_DEP_1)
	v_fma_f32 v19, v23, v21, -v24
	v_fmac_f32_e32 v19, v23, v18
	s_delay_alu instid0(VALU_DEP_1) | instskip(NEXT) | instid1(VALU_DEP_1)
	v_add_f32_e32 v25, v24, v19
	v_dual_sub_f32 v17, v17, v22 :: v_dual_sub_f32 v26, v22, v25
	s_delay_alu instid0(VALU_DEP_1) | instskip(NEXT) | instid1(VALU_DEP_1)
	v_sub_f32_e32 v22, v22, v26
	v_sub_f32_e32 v22, v22, v25
	s_delay_alu instid0(VALU_DEP_3) | instskip(SKIP_1) | instid1(VALU_DEP_2)
	v_add_f32_e32 v9, v9, v17
	v_sub_f32_e32 v17, v25, v24
	v_add_f32_e32 v9, v9, v22
	s_delay_alu instid0(VALU_DEP_2) | instskip(NEXT) | instid1(VALU_DEP_1)
	v_sub_f32_e32 v17, v17, v19
	v_add_f32_e32 v9, v17, v9
	s_delay_alu instid0(VALU_DEP_1) | instskip(NEXT) | instid1(VALU_DEP_1)
	v_add_f32_e32 v17, v26, v9
	v_mul_f32_e32 v19, v14, v17
	s_delay_alu instid0(VALU_DEP_1) | instskip(NEXT) | instid1(VALU_DEP_1)
	v_dual_sub_f32 v25, v26, v17 :: v_dual_mul_f32 v22, v21, v19
	v_add_f32_e32 v9, v9, v25
	s_delay_alu instid0(VALU_DEP_2) | instskip(NEXT) | instid1(VALU_DEP_1)
	v_fma_f32 v21, v19, v21, -v22
	v_fmac_f32_e32 v21, v19, v18
	s_delay_alu instid0(VALU_DEP_1) | instskip(NEXT) | instid1(VALU_DEP_1)
	v_add_f32_e32 v18, v22, v21
	v_sub_f32_e32 v24, v17, v18
	s_delay_alu instid0(VALU_DEP_1) | instskip(NEXT) | instid1(VALU_DEP_1)
	v_dual_sub_f32 v22, v18, v22 :: v_dual_sub_f32 v17, v17, v24
	v_dual_sub_f32 v17, v17, v18 :: v_dual_sub_f32 v18, v22, v21
	s_delay_alu instid0(VALU_DEP_1) | instskip(SKIP_1) | instid1(VALU_DEP_1)
	v_add_f32_e32 v9, v9, v17
	v_add_f32_e32 v17, v23, v19
	v_dual_add_f32 v9, v18, v9 :: v_dual_sub_f32 v18, v17, v23
	s_delay_alu instid0(VALU_DEP_1) | instskip(NEXT) | instid1(VALU_DEP_1)
	v_dual_add_f32 v9, v24, v9 :: v_dual_sub_f32 v18, v19, v18
	v_mul_f32_e32 v9, v14, v9
	s_delay_alu instid0(VALU_DEP_1) | instskip(NEXT) | instid1(VALU_DEP_1)
	v_add_f32_e32 v9, v18, v9
	v_add_f32_e32 v14, v17, v9
	s_delay_alu instid0(VALU_DEP_1) | instskip(SKIP_1) | instid1(VALU_DEP_1)
	v_mul_f32_e32 v18, v14, v14
	s_wait_alu 0xfffe
	v_fmaak_f32 v19, s2, v18, 0x3ecc95a3
	v_mul_f32_e32 v21, v14, v18
	s_delay_alu instid0(VALU_DEP_2) | instskip(SKIP_2) | instid1(VALU_DEP_3)
	v_fmaak_f32 v18, v18, v19, 0x3f2aaada
	v_ldexp_f32 v19, v14, 1
	v_sub_f32_e32 v14, v14, v17
	v_dual_mul_f32 v18, v21, v18 :: v_dual_mul_f32 v21, 0x3f317218, v13
	s_delay_alu instid0(VALU_DEP_2) | instskip(NEXT) | instid1(VALU_DEP_2)
	v_sub_f32_e32 v9, v9, v14
	v_add_f32_e32 v17, v19, v18
	s_delay_alu instid0(VALU_DEP_2) | instskip(NEXT) | instid1(VALU_DEP_2)
	v_ldexp_f32 v9, v9, 1
	v_sub_f32_e32 v14, v17, v19
	v_fma_f32 v19, 0x3f317218, v13, -v21
	s_delay_alu instid0(VALU_DEP_1) | instskip(NEXT) | instid1(VALU_DEP_1)
	v_dual_sub_f32 v14, v18, v14 :: v_dual_fmamk_f32 v13, v13, 0xb102e308, v19
	v_add_f32_e32 v9, v9, v14
	s_delay_alu instid0(VALU_DEP_2) | instskip(NEXT) | instid1(VALU_DEP_2)
	v_add_f32_e32 v14, v21, v13
	v_add_f32_e32 v18, v17, v9
	s_delay_alu instid0(VALU_DEP_2) | instskip(NEXT) | instid1(VALU_DEP_2)
	v_sub_f32_e32 v21, v14, v21
	v_add_f32_e32 v19, v14, v18
	v_sub_f32_e32 v17, v18, v17
	s_delay_alu instid0(VALU_DEP_2) | instskip(NEXT) | instid1(VALU_DEP_2)
	v_dual_sub_f32 v13, v13, v21 :: v_dual_sub_f32 v22, v19, v14
	v_sub_f32_e32 v9, v9, v17
	s_delay_alu instid0(VALU_DEP_2) | instskip(NEXT) | instid1(VALU_DEP_2)
	v_sub_f32_e32 v23, v19, v22
	v_dual_sub_f32 v17, v18, v22 :: v_dual_add_f32 v18, v13, v9
	s_delay_alu instid0(VALU_DEP_2) | instskip(NEXT) | instid1(VALU_DEP_1)
	v_sub_f32_e32 v14, v14, v23
	v_dual_add_f32 v14, v17, v14 :: v_dual_sub_f32 v17, v18, v13
	s_delay_alu instid0(VALU_DEP_1) | instskip(NEXT) | instid1(VALU_DEP_2)
	v_add_f32_e32 v14, v18, v14
	v_sub_f32_e32 v18, v18, v17
	v_sub_f32_e32 v9, v9, v17
	s_delay_alu instid0(VALU_DEP_3) | instskip(NEXT) | instid1(VALU_DEP_3)
	v_add_f32_e32 v21, v19, v14
	v_sub_f32_e32 v13, v13, v18
	s_delay_alu instid0(VALU_DEP_2) | instskip(NEXT) | instid1(VALU_DEP_2)
	v_sub_f32_e32 v17, v21, v19
	v_add_f32_e32 v9, v9, v13
	s_delay_alu instid0(VALU_DEP_2) | instskip(NEXT) | instid1(VALU_DEP_1)
	v_sub_f32_e32 v13, v14, v17
	v_add_f32_e32 v9, v9, v13
	s_delay_alu instid0(VALU_DEP_1) | instskip(SKIP_1) | instid1(VALU_DEP_1)
	v_add_f32_e32 v9, v21, v9
	s_wait_alu 0xfffd
	v_cndmask_b32_e32 v9, 0x7f800000, v9, vcc_lo
	v_cmp_gt_f32_e64 vcc_lo, 0x33800000, |v7|
	s_wait_alu 0xfffd
	s_delay_alu instid0(VALU_DEP_2) | instskip(NEXT) | instid1(VALU_DEP_1)
	v_cndmask_b32_e32 v7, v9, v7, vcc_lo
	v_add_f32_e32 v2, v2, v7
	s_delay_alu instid0(VALU_DEP_1) | instskip(NEXT) | instid1(VALU_DEP_1)
	v_cvt_f16_f32_e32 v14, v2
	v_cvt_f32_f16_e32 v7, v14
	v_mov_b32_e32 v9, v14
.LBB421_292:
	s_wait_alu 0xfffe
	s_or_b32 exec_lo, exec_lo, s1
	s_delay_alu instid0(VALU_DEP_1) | instskip(SKIP_2) | instid1(VALU_DEP_2)
	v_dual_max_num_f32 v2, v3, v3 :: v_dual_mov_b32 v21, v9
	v_max_num_f32_e32 v13, v7, v7
	v_cmp_u_f16_e32 vcc_lo, v14, v14
	v_min_num_f32_e32 v17, v13, v2
	v_max_num_f32_e32 v2, v13, v2
	s_wait_alu 0xfffd
	s_delay_alu instid0(VALU_DEP_1) | instskip(NEXT) | instid1(VALU_DEP_3)
	v_cndmask_b32_e32 v2, v2, v7, vcc_lo
	v_cndmask_b32_e32 v13, v17, v7, vcc_lo
	s_delay_alu instid0(VALU_DEP_2) | instskip(NEXT) | instid1(VALU_DEP_2)
	v_cndmask_b32_e64 v2, v2, v3, s6
	v_cndmask_b32_e64 v13, v13, v3, s6
	s_delay_alu instid0(VALU_DEP_1)
	v_cmp_neq_f32_e32 vcc_lo, v13, v2
	v_cmp_class_f32_e64 s1, v13, 0x1f8
	s_or_b32 s2, vcc_lo, s1
	s_wait_alu 0xfffe
	s_and_saveexec_b32 s1, s2
	s_cbranch_execz .LBB421_294
; %bb.293:
	v_sub_f32_e32 v3, v13, v2
	s_mov_b32 s2, 0x3e9b6dac
	s_delay_alu instid0(VALU_DEP_1) | instskip(SKIP_1) | instid1(VALU_DEP_2)
	v_mul_f32_e32 v7, 0x3fb8aa3b, v3
	v_cmp_ngt_f32_e32 vcc_lo, 0xc2ce8ed0, v3
	v_fma_f32 v13, 0x3fb8aa3b, v3, -v7
	v_rndne_f32_e32 v14, v7
	s_delay_alu instid0(VALU_DEP_2) | instskip(NEXT) | instid1(VALU_DEP_2)
	v_fmamk_f32 v13, v3, 0x32a5705f, v13
	v_sub_f32_e32 v7, v7, v14
	s_delay_alu instid0(VALU_DEP_1) | instskip(SKIP_1) | instid1(VALU_DEP_2)
	v_add_f32_e32 v7, v7, v13
	v_cvt_i32_f32_e32 v13, v14
	v_exp_f32_e32 v7, v7
	s_delay_alu instid0(TRANS32_DEP_1) | instskip(SKIP_1) | instid1(VALU_DEP_1)
	v_ldexp_f32 v7, v7, v13
	s_wait_alu 0xfffd
	v_cndmask_b32_e32 v7, 0, v7, vcc_lo
	v_cmp_nlt_f32_e32 vcc_lo, 0x42b17218, v3
	s_wait_alu 0xfffd
	s_delay_alu instid0(VALU_DEP_2) | instskip(NEXT) | instid1(VALU_DEP_1)
	v_cndmask_b32_e32 v3, 0x7f800000, v7, vcc_lo
	v_add_f32_e32 v7, 1.0, v3
	s_delay_alu instid0(VALU_DEP_1) | instskip(NEXT) | instid1(VALU_DEP_1)
	v_cvt_f64_f32_e32 v[13:14], v7
	v_frexp_exp_i32_f64_e32 v13, v[13:14]
	v_frexp_mant_f32_e32 v14, v7
	s_delay_alu instid0(VALU_DEP_1) | instskip(SKIP_1) | instid1(VALU_DEP_1)
	v_cmp_gt_f32_e32 vcc_lo, 0x3f2aaaab, v14
	v_add_f32_e32 v14, -1.0, v7
	v_sub_f32_e32 v18, v14, v7
	v_sub_f32_e32 v14, v3, v14
	s_delay_alu instid0(VALU_DEP_2) | instskip(NEXT) | instid1(VALU_DEP_1)
	v_add_f32_e32 v18, 1.0, v18
	v_add_f32_e32 v14, v14, v18
	s_wait_alu 0xfffd
	v_subrev_co_ci_u32_e64 v13, null, 0, v13, vcc_lo
	s_delay_alu instid0(VALU_DEP_1) | instskip(SKIP_1) | instid1(VALU_DEP_2)
	v_sub_nc_u32_e32 v17, 0, v13
	v_cvt_f32_i32_e32 v13, v13
	v_ldexp_f32 v7, v7, v17
	v_ldexp_f32 v14, v14, v17
	s_delay_alu instid0(VALU_DEP_2) | instskip(SKIP_1) | instid1(VALU_DEP_1)
	v_add_f32_e32 v19, 1.0, v7
	v_add_f32_e32 v17, -1.0, v7
	v_dual_add_f32 v18, -1.0, v19 :: v_dual_add_f32 v21, 1.0, v17
	s_delay_alu instid0(VALU_DEP_1) | instskip(NEXT) | instid1(VALU_DEP_2)
	v_sub_f32_e32 v18, v7, v18
	v_sub_f32_e32 v7, v7, v21
	v_cmp_neq_f32_e32 vcc_lo, 0x7f800000, v3
	s_delay_alu instid0(VALU_DEP_3) | instskip(NEXT) | instid1(VALU_DEP_3)
	v_add_f32_e32 v18, v14, v18
	v_add_f32_e32 v7, v14, v7
	s_delay_alu instid0(VALU_DEP_1) | instskip(NEXT) | instid1(VALU_DEP_1)
	v_dual_add_f32 v21, v19, v18 :: v_dual_add_f32 v22, v17, v7
	v_sub_f32_e32 v19, v19, v21
	s_delay_alu instid0(VALU_DEP_1) | instskip(SKIP_1) | instid1(TRANS32_DEP_1)
	v_dual_sub_f32 v17, v17, v22 :: v_dual_add_f32 v18, v18, v19
	v_rcp_f32_e32 v14, v21
	v_mul_f32_e32 v23, v22, v14
	s_delay_alu instid0(VALU_DEP_1) | instskip(NEXT) | instid1(VALU_DEP_1)
	v_dual_add_f32 v7, v7, v17 :: v_dual_mul_f32 v24, v21, v23
	v_fma_f32 v19, v23, v21, -v24
	s_delay_alu instid0(VALU_DEP_1) | instskip(NEXT) | instid1(VALU_DEP_1)
	v_fmac_f32_e32 v19, v23, v18
	v_add_f32_e32 v25, v24, v19
	s_delay_alu instid0(VALU_DEP_1) | instskip(NEXT) | instid1(VALU_DEP_1)
	v_dual_sub_f32 v26, v22, v25 :: v_dual_sub_f32 v17, v25, v24
	v_sub_f32_e32 v22, v22, v26
	s_delay_alu instid0(VALU_DEP_1) | instskip(NEXT) | instid1(VALU_DEP_1)
	v_dual_sub_f32 v22, v22, v25 :: v_dual_sub_f32 v17, v17, v19
	v_add_f32_e32 v7, v7, v22
	s_delay_alu instid0(VALU_DEP_1) | instskip(NEXT) | instid1(VALU_DEP_1)
	v_add_f32_e32 v7, v17, v7
	v_add_f32_e32 v17, v26, v7
	s_delay_alu instid0(VALU_DEP_1) | instskip(NEXT) | instid1(VALU_DEP_1)
	v_mul_f32_e32 v19, v14, v17
	v_dual_sub_f32 v25, v26, v17 :: v_dual_mul_f32 v22, v21, v19
	s_delay_alu instid0(VALU_DEP_1) | instskip(NEXT) | instid1(VALU_DEP_2)
	v_add_f32_e32 v7, v7, v25
	v_fma_f32 v21, v19, v21, -v22
	s_delay_alu instid0(VALU_DEP_1) | instskip(NEXT) | instid1(VALU_DEP_1)
	v_fmac_f32_e32 v21, v19, v18
	v_add_f32_e32 v18, v22, v21
	s_delay_alu instid0(VALU_DEP_1) | instskip(NEXT) | instid1(VALU_DEP_1)
	v_sub_f32_e32 v24, v17, v18
	v_dual_sub_f32 v22, v18, v22 :: v_dual_sub_f32 v17, v17, v24
	s_delay_alu instid0(VALU_DEP_1) | instskip(NEXT) | instid1(VALU_DEP_1)
	v_dual_sub_f32 v17, v17, v18 :: v_dual_sub_f32 v18, v22, v21
	v_add_f32_e32 v7, v7, v17
	v_add_f32_e32 v17, v23, v19
	s_delay_alu instid0(VALU_DEP_2) | instskip(NEXT) | instid1(VALU_DEP_2)
	v_add_f32_e32 v7, v18, v7
	v_sub_f32_e32 v18, v17, v23
	s_delay_alu instid0(VALU_DEP_1) | instskip(NEXT) | instid1(VALU_DEP_1)
	v_dual_add_f32 v7, v24, v7 :: v_dual_sub_f32 v18, v19, v18
	v_mul_f32_e32 v7, v14, v7
	s_delay_alu instid0(VALU_DEP_1) | instskip(NEXT) | instid1(VALU_DEP_1)
	v_add_f32_e32 v7, v18, v7
	v_add_f32_e32 v14, v17, v7
	s_delay_alu instid0(VALU_DEP_1) | instskip(SKIP_1) | instid1(VALU_DEP_1)
	v_mul_f32_e32 v18, v14, v14
	s_wait_alu 0xfffe
	v_fmaak_f32 v19, s2, v18, 0x3ecc95a3
	v_mul_f32_e32 v21, v14, v18
	s_delay_alu instid0(VALU_DEP_2) | instskip(SKIP_2) | instid1(VALU_DEP_3)
	v_fmaak_f32 v18, v18, v19, 0x3f2aaada
	v_ldexp_f32 v19, v14, 1
	v_sub_f32_e32 v14, v14, v17
	v_dual_mul_f32 v18, v21, v18 :: v_dual_mul_f32 v21, 0x3f317218, v13
	s_delay_alu instid0(VALU_DEP_2) | instskip(NEXT) | instid1(VALU_DEP_2)
	v_sub_f32_e32 v7, v7, v14
	v_add_f32_e32 v17, v19, v18
	s_delay_alu instid0(VALU_DEP_2) | instskip(NEXT) | instid1(VALU_DEP_2)
	v_ldexp_f32 v7, v7, 1
	v_sub_f32_e32 v14, v17, v19
	v_fma_f32 v19, 0x3f317218, v13, -v21
	s_delay_alu instid0(VALU_DEP_1) | instskip(NEXT) | instid1(VALU_DEP_1)
	v_dual_sub_f32 v14, v18, v14 :: v_dual_fmamk_f32 v13, v13, 0xb102e308, v19
	v_dual_add_f32 v7, v7, v14 :: v_dual_add_f32 v14, v21, v13
	s_delay_alu instid0(VALU_DEP_1) | instskip(NEXT) | instid1(VALU_DEP_1)
	v_dual_add_f32 v18, v17, v7 :: v_dual_sub_f32 v21, v14, v21
	v_add_f32_e32 v19, v14, v18
	v_sub_f32_e32 v17, v18, v17
	s_delay_alu instid0(VALU_DEP_2) | instskip(NEXT) | instid1(VALU_DEP_2)
	v_dual_sub_f32 v13, v13, v21 :: v_dual_sub_f32 v22, v19, v14
	v_sub_f32_e32 v7, v7, v17
	s_delay_alu instid0(VALU_DEP_2) | instskip(NEXT) | instid1(VALU_DEP_2)
	v_sub_f32_e32 v23, v19, v22
	v_dual_sub_f32 v17, v18, v22 :: v_dual_add_f32 v18, v13, v7
	s_delay_alu instid0(VALU_DEP_2) | instskip(NEXT) | instid1(VALU_DEP_1)
	v_sub_f32_e32 v14, v14, v23
	v_dual_add_f32 v14, v17, v14 :: v_dual_sub_f32 v17, v18, v13
	s_delay_alu instid0(VALU_DEP_1) | instskip(NEXT) | instid1(VALU_DEP_2)
	v_add_f32_e32 v14, v18, v14
	v_sub_f32_e32 v18, v18, v17
	v_sub_f32_e32 v7, v7, v17
	s_delay_alu instid0(VALU_DEP_3) | instskip(NEXT) | instid1(VALU_DEP_3)
	v_add_f32_e32 v21, v19, v14
	v_sub_f32_e32 v13, v13, v18
	s_delay_alu instid0(VALU_DEP_2) | instskip(NEXT) | instid1(VALU_DEP_2)
	v_sub_f32_e32 v17, v21, v19
	v_add_f32_e32 v7, v7, v13
	s_delay_alu instid0(VALU_DEP_2) | instskip(NEXT) | instid1(VALU_DEP_1)
	v_sub_f32_e32 v13, v14, v17
	v_add_f32_e32 v7, v7, v13
	s_delay_alu instid0(VALU_DEP_1) | instskip(SKIP_1) | instid1(VALU_DEP_1)
	v_add_f32_e32 v7, v21, v7
	s_wait_alu 0xfffd
	v_cndmask_b32_e32 v7, 0x7f800000, v7, vcc_lo
	v_cmp_gt_f32_e64 vcc_lo, 0x33800000, |v3|
	s_wait_alu 0xfffd
	s_delay_alu instid0(VALU_DEP_2) | instskip(NEXT) | instid1(VALU_DEP_1)
	v_cndmask_b32_e32 v3, v7, v3, vcc_lo
	v_add_f32_e32 v2, v2, v3
	s_delay_alu instid0(VALU_DEP_1) | instskip(NEXT) | instid1(VALU_DEP_1)
	v_cvt_f16_f32_e32 v14, v2
	v_cvt_f32_f16_e32 v7, v14
	v_mov_b32_e32 v21, v14
.LBB421_294:
	s_wait_alu 0xfffe
	s_or_b32 exec_lo, exec_lo, s1
	s_delay_alu instid0(VALU_DEP_2) | instskip(SKIP_1) | instid1(VALU_DEP_2)
	v_dual_max_num_f32 v2, v10, v10 :: v_dual_max_num_f32 v3, v7, v7
	v_cmp_u_f16_e32 vcc_lo, v14, v14
	v_min_num_f32_e32 v13, v3, v2
	v_max_num_f32_e32 v2, v3, v2
	s_wait_alu 0xfffd
	s_delay_alu instid0(VALU_DEP_1) | instskip(NEXT) | instid1(VALU_DEP_3)
	v_cndmask_b32_e32 v2, v2, v7, vcc_lo
	v_cndmask_b32_e32 v3, v13, v7, vcc_lo
	s_delay_alu instid0(VALU_DEP_2) | instskip(NEXT) | instid1(VALU_DEP_2)
	v_cndmask_b32_e64 v2, v2, v10, s7
	v_cndmask_b32_e64 v3, v3, v10, s7
	v_mov_b32_e32 v10, v21
	s_delay_alu instid0(VALU_DEP_2)
	v_cmp_neq_f32_e32 vcc_lo, v3, v2
	v_cmp_class_f32_e64 s1, v3, 0x1f8
	s_or_b32 s2, vcc_lo, s1
	s_wait_alu 0xfffe
	s_and_saveexec_b32 s1, s2
	s_cbranch_execz .LBB421_296
; %bb.295:
	v_sub_f32_e32 v3, v3, v2
	s_mov_b32 s2, 0x3e9b6dac
	s_delay_alu instid0(VALU_DEP_1) | instskip(SKIP_1) | instid1(VALU_DEP_2)
	v_mul_f32_e32 v7, 0x3fb8aa3b, v3
	v_cmp_ngt_f32_e32 vcc_lo, 0xc2ce8ed0, v3
	v_fma_f32 v10, 0x3fb8aa3b, v3, -v7
	v_rndne_f32_e32 v13, v7
	s_delay_alu instid0(VALU_DEP_2) | instskip(NEXT) | instid1(VALU_DEP_2)
	v_fmamk_f32 v10, v3, 0x32a5705f, v10
	v_sub_f32_e32 v7, v7, v13
	s_delay_alu instid0(VALU_DEP_1) | instskip(SKIP_1) | instid1(VALU_DEP_2)
	v_add_f32_e32 v7, v7, v10
	v_cvt_i32_f32_e32 v10, v13
	v_exp_f32_e32 v7, v7
	s_delay_alu instid0(TRANS32_DEP_1) | instskip(SKIP_1) | instid1(VALU_DEP_1)
	v_ldexp_f32 v7, v7, v10
	s_wait_alu 0xfffd
	v_cndmask_b32_e32 v7, 0, v7, vcc_lo
	v_cmp_nlt_f32_e32 vcc_lo, 0x42b17218, v3
	s_wait_alu 0xfffd
	s_delay_alu instid0(VALU_DEP_2) | instskip(NEXT) | instid1(VALU_DEP_1)
	v_cndmask_b32_e32 v3, 0x7f800000, v7, vcc_lo
	v_add_f32_e32 v7, 1.0, v3
	s_delay_alu instid0(VALU_DEP_1) | instskip(NEXT) | instid1(VALU_DEP_1)
	v_cvt_f64_f32_e32 v[13:14], v7
	v_frexp_exp_i32_f64_e32 v10, v[13:14]
	v_frexp_mant_f32_e32 v13, v7
	s_delay_alu instid0(VALU_DEP_1) | instskip(SKIP_1) | instid1(VALU_DEP_1)
	v_cmp_gt_f32_e32 vcc_lo, 0x3f2aaaab, v13
	v_add_f32_e32 v13, -1.0, v7
	v_sub_f32_e32 v17, v13, v7
	s_delay_alu instid0(VALU_DEP_1) | instskip(SKIP_2) | instid1(VALU_DEP_1)
	v_add_f32_e32 v17, 1.0, v17
	s_wait_alu 0xfffd
	v_subrev_co_ci_u32_e64 v10, null, 0, v10, vcc_lo
	v_sub_nc_u32_e32 v14, 0, v10
	v_cvt_f32_i32_e32 v10, v10
	s_delay_alu instid0(VALU_DEP_2) | instskip(NEXT) | instid1(VALU_DEP_1)
	v_ldexp_f32 v7, v7, v14
	v_dual_sub_f32 v13, v3, v13 :: v_dual_add_f32 v18, 1.0, v7
	s_delay_alu instid0(VALU_DEP_1) | instskip(NEXT) | instid1(VALU_DEP_2)
	v_add_f32_e32 v13, v13, v17
	v_add_f32_e32 v17, -1.0, v18
	s_delay_alu instid0(VALU_DEP_2) | instskip(NEXT) | instid1(VALU_DEP_2)
	v_ldexp_f32 v13, v13, v14
	v_dual_add_f32 v14, -1.0, v7 :: v_dual_sub_f32 v17, v7, v17
	s_delay_alu instid0(VALU_DEP_1) | instskip(NEXT) | instid1(VALU_DEP_2)
	v_add_f32_e32 v19, 1.0, v14
	v_add_f32_e32 v17, v13, v17
	s_delay_alu instid0(VALU_DEP_2) | instskip(NEXT) | instid1(VALU_DEP_2)
	v_sub_f32_e32 v7, v7, v19
	v_add_f32_e32 v19, v18, v17
	s_delay_alu instid0(VALU_DEP_2) | instskip(NEXT) | instid1(VALU_DEP_2)
	v_add_f32_e32 v7, v13, v7
	v_rcp_f32_e32 v13, v19
	v_sub_f32_e32 v18, v18, v19
	s_delay_alu instid0(VALU_DEP_1) | instskip(NEXT) | instid1(VALU_DEP_1)
	v_dual_add_f32 v22, v14, v7 :: v_dual_add_f32 v17, v17, v18
	v_sub_f32_e32 v14, v14, v22
	v_cmp_neq_f32_e32 vcc_lo, 0x7f800000, v3
	s_delay_alu instid0(TRANS32_DEP_1) | instskip(NEXT) | instid1(VALU_DEP_3)
	v_mul_f32_e32 v23, v22, v13
	v_add_f32_e32 v7, v7, v14
	s_delay_alu instid0(VALU_DEP_2) | instskip(NEXT) | instid1(VALU_DEP_1)
	v_mul_f32_e32 v24, v19, v23
	v_fma_f32 v18, v23, v19, -v24
	s_delay_alu instid0(VALU_DEP_1) | instskip(NEXT) | instid1(VALU_DEP_1)
	v_fmac_f32_e32 v18, v23, v17
	v_add_f32_e32 v25, v24, v18
	s_delay_alu instid0(VALU_DEP_1) | instskip(SKIP_1) | instid1(VALU_DEP_2)
	v_sub_f32_e32 v26, v22, v25
	v_sub_f32_e32 v14, v25, v24
	;; [unrolled: 1-line block ×3, first 2 shown]
	s_delay_alu instid0(VALU_DEP_2) | instskip(NEXT) | instid1(VALU_DEP_2)
	v_sub_f32_e32 v14, v14, v18
	v_sub_f32_e32 v22, v22, v25
	s_delay_alu instid0(VALU_DEP_1) | instskip(NEXT) | instid1(VALU_DEP_1)
	v_add_f32_e32 v7, v7, v22
	v_add_f32_e32 v7, v14, v7
	s_delay_alu instid0(VALU_DEP_1) | instskip(NEXT) | instid1(VALU_DEP_1)
	v_add_f32_e32 v14, v26, v7
	v_mul_f32_e32 v18, v13, v14
	v_sub_f32_e32 v25, v26, v14
	s_delay_alu instid0(VALU_DEP_2) | instskip(NEXT) | instid1(VALU_DEP_2)
	v_mul_f32_e32 v22, v19, v18
	v_add_f32_e32 v7, v7, v25
	s_delay_alu instid0(VALU_DEP_2) | instskip(NEXT) | instid1(VALU_DEP_1)
	v_fma_f32 v19, v18, v19, -v22
	v_fmac_f32_e32 v19, v18, v17
	s_delay_alu instid0(VALU_DEP_1) | instskip(NEXT) | instid1(VALU_DEP_1)
	v_add_f32_e32 v17, v22, v19
	v_sub_f32_e32 v24, v14, v17
	v_sub_f32_e32 v22, v17, v22
	s_delay_alu instid0(VALU_DEP_2) | instskip(NEXT) | instid1(VALU_DEP_1)
	v_sub_f32_e32 v14, v14, v24
	v_sub_f32_e32 v14, v14, v17
	s_delay_alu instid0(VALU_DEP_3) | instskip(NEXT) | instid1(VALU_DEP_2)
	v_sub_f32_e32 v17, v22, v19
	v_add_f32_e32 v7, v7, v14
	s_delay_alu instid0(VALU_DEP_1) | instskip(NEXT) | instid1(VALU_DEP_1)
	v_dual_add_f32 v14, v23, v18 :: v_dual_add_f32 v7, v17, v7
	v_sub_f32_e32 v17, v14, v23
	s_delay_alu instid0(VALU_DEP_2) | instskip(NEXT) | instid1(VALU_DEP_2)
	v_add_f32_e32 v7, v24, v7
	v_sub_f32_e32 v17, v18, v17
	s_delay_alu instid0(VALU_DEP_2) | instskip(NEXT) | instid1(VALU_DEP_1)
	v_mul_f32_e32 v7, v13, v7
	v_add_f32_e32 v7, v17, v7
	s_delay_alu instid0(VALU_DEP_1) | instskip(NEXT) | instid1(VALU_DEP_1)
	v_add_f32_e32 v13, v14, v7
	v_mul_f32_e32 v17, v13, v13
	s_wait_alu 0xfffe
	s_delay_alu instid0(VALU_DEP_1) | instskip(SKIP_1) | instid1(VALU_DEP_2)
	v_fmaak_f32 v18, s2, v17, 0x3ecc95a3
	v_mul_f32_e32 v19, v13, v17
	v_fmaak_f32 v17, v17, v18, 0x3f2aaada
	v_ldexp_f32 v18, v13, 1
	v_sub_f32_e32 v13, v13, v14
	s_delay_alu instid0(VALU_DEP_3) | instskip(SKIP_1) | instid1(VALU_DEP_3)
	v_mul_f32_e32 v17, v19, v17
	v_mul_f32_e32 v19, 0x3f317218, v10
	v_sub_f32_e32 v7, v7, v13
	s_delay_alu instid0(VALU_DEP_3) | instskip(NEXT) | instid1(VALU_DEP_2)
	v_add_f32_e32 v14, v18, v17
	v_ldexp_f32 v7, v7, 1
	s_delay_alu instid0(VALU_DEP_2) | instskip(SKIP_1) | instid1(VALU_DEP_1)
	v_sub_f32_e32 v13, v14, v18
	v_fma_f32 v18, 0x3f317218, v10, -v19
	v_dual_sub_f32 v13, v17, v13 :: v_dual_fmamk_f32 v10, v10, 0xb102e308, v18
	s_delay_alu instid0(VALU_DEP_1) | instskip(NEXT) | instid1(VALU_DEP_2)
	v_add_f32_e32 v7, v7, v13
	v_add_f32_e32 v13, v19, v10
	s_delay_alu instid0(VALU_DEP_2) | instskip(NEXT) | instid1(VALU_DEP_2)
	v_add_f32_e32 v17, v14, v7
	v_sub_f32_e32 v19, v13, v19
	s_delay_alu instid0(VALU_DEP_2) | instskip(SKIP_1) | instid1(VALU_DEP_3)
	v_add_f32_e32 v18, v13, v17
	v_sub_f32_e32 v14, v17, v14
	v_sub_f32_e32 v10, v10, v19
	s_delay_alu instid0(VALU_DEP_2) | instskip(NEXT) | instid1(VALU_DEP_1)
	v_dual_sub_f32 v22, v18, v13 :: v_dual_sub_f32 v7, v7, v14
	v_sub_f32_e32 v23, v18, v22
	s_delay_alu instid0(VALU_DEP_2) | instskip(NEXT) | instid1(VALU_DEP_2)
	v_dual_sub_f32 v14, v17, v22 :: v_dual_add_f32 v17, v10, v7
	v_sub_f32_e32 v13, v13, v23
	s_delay_alu instid0(VALU_DEP_1) | instskip(NEXT) | instid1(VALU_DEP_1)
	v_dual_add_f32 v13, v14, v13 :: v_dual_sub_f32 v14, v17, v10
	v_add_f32_e32 v13, v17, v13
	s_delay_alu instid0(VALU_DEP_2) | instskip(SKIP_1) | instid1(VALU_DEP_3)
	v_sub_f32_e32 v17, v17, v14
	v_sub_f32_e32 v7, v7, v14
	v_add_f32_e32 v19, v18, v13
	s_delay_alu instid0(VALU_DEP_3) | instskip(NEXT) | instid1(VALU_DEP_2)
	v_sub_f32_e32 v10, v10, v17
	v_sub_f32_e32 v14, v19, v18
	s_delay_alu instid0(VALU_DEP_2) | instskip(NEXT) | instid1(VALU_DEP_2)
	v_add_f32_e32 v7, v7, v10
	v_sub_f32_e32 v10, v13, v14
	s_delay_alu instid0(VALU_DEP_1) | instskip(NEXT) | instid1(VALU_DEP_1)
	v_add_f32_e32 v7, v7, v10
	v_add_f32_e32 v7, v19, v7
	s_wait_alu 0xfffd
	s_delay_alu instid0(VALU_DEP_1) | instskip(SKIP_2) | instid1(VALU_DEP_2)
	v_cndmask_b32_e32 v7, 0x7f800000, v7, vcc_lo
	v_cmp_gt_f32_e64 vcc_lo, 0x33800000, |v3|
	s_wait_alu 0xfffd
	v_cndmask_b32_e32 v3, v7, v3, vcc_lo
	s_delay_alu instid0(VALU_DEP_1) | instskip(NEXT) | instid1(VALU_DEP_1)
	v_add_f32_e32 v2, v2, v3
	v_cvt_f16_f32_e32 v14, v2
	s_delay_alu instid0(VALU_DEP_1)
	v_cvt_f32_f16_e32 v7, v14
	v_mov_b32_e32 v10, v14
.LBB421_296:
	s_wait_alu 0xfffe
	s_or_b32 exec_lo, exec_lo, s1
	s_delay_alu instid0(VALU_DEP_2) | instskip(SKIP_1) | instid1(VALU_DEP_2)
	v_dual_max_num_f32 v2, v4, v4 :: v_dual_max_num_f32 v3, v7, v7
	v_cmp_u_f16_e32 vcc_lo, v14, v14
	v_dual_mov_b32 v22, v10 :: v_dual_min_num_f32 v13, v3, v2
	v_max_num_f32_e32 v2, v3, v2
	s_wait_alu 0xfffd
	s_delay_alu instid0(VALU_DEP_1) | instskip(NEXT) | instid1(VALU_DEP_3)
	v_cndmask_b32_e32 v2, v2, v7, vcc_lo
	v_cndmask_b32_e32 v3, v13, v7, vcc_lo
	s_delay_alu instid0(VALU_DEP_2) | instskip(NEXT) | instid1(VALU_DEP_2)
	v_cndmask_b32_e64 v2, v2, v4, s8
	v_cndmask_b32_e64 v3, v3, v4, s8
	s_delay_alu instid0(VALU_DEP_1)
	v_cmp_neq_f32_e32 vcc_lo, v3, v2
	v_cmp_class_f32_e64 s1, v3, 0x1f8
	s_or_b32 s2, vcc_lo, s1
	s_wait_alu 0xfffe
	s_and_saveexec_b32 s1, s2
	s_cbranch_execz .LBB421_298
; %bb.297:
	v_sub_f32_e32 v3, v3, v2
	s_mov_b32 s2, 0x3e9b6dac
	s_delay_alu instid0(VALU_DEP_1) | instskip(NEXT) | instid1(VALU_DEP_1)
	v_mul_f32_e32 v4, 0x3fb8aa3b, v3
	v_fma_f32 v7, 0x3fb8aa3b, v3, -v4
	v_rndne_f32_e32 v13, v4
	s_delay_alu instid0(VALU_DEP_1) | instskip(SKIP_1) | instid1(VALU_DEP_4)
	v_sub_f32_e32 v4, v4, v13
	v_cmp_ngt_f32_e32 vcc_lo, 0xc2ce8ed0, v3
	v_fmamk_f32 v7, v3, 0x32a5705f, v7
	s_delay_alu instid0(VALU_DEP_1) | instskip(SKIP_1) | instid1(VALU_DEP_2)
	v_add_f32_e32 v4, v4, v7
	v_cvt_i32_f32_e32 v7, v13
	v_exp_f32_e32 v4, v4
	s_delay_alu instid0(TRANS32_DEP_1) | instskip(SKIP_1) | instid1(VALU_DEP_1)
	v_ldexp_f32 v4, v4, v7
	s_wait_alu 0xfffd
	v_cndmask_b32_e32 v4, 0, v4, vcc_lo
	v_cmp_nlt_f32_e32 vcc_lo, 0x42b17218, v3
	s_wait_alu 0xfffd
	s_delay_alu instid0(VALU_DEP_2) | instskip(NEXT) | instid1(VALU_DEP_1)
	v_cndmask_b32_e32 v7, 0x7f800000, v4, vcc_lo
	v_add_f32_e32 v13, 1.0, v7
	s_delay_alu instid0(VALU_DEP_1) | instskip(NEXT) | instid1(VALU_DEP_1)
	v_cvt_f64_f32_e32 v[3:4], v13
	v_frexp_exp_i32_f64_e32 v3, v[3:4]
	v_frexp_mant_f32_e32 v4, v13
	s_delay_alu instid0(VALU_DEP_1) | instskip(SKIP_1) | instid1(VALU_DEP_1)
	v_cmp_gt_f32_e32 vcc_lo, 0x3f2aaaab, v4
	v_add_f32_e32 v4, -1.0, v13
	v_dual_sub_f32 v17, v4, v13 :: v_dual_sub_f32 v4, v7, v4
	s_delay_alu instid0(VALU_DEP_1) | instskip(SKIP_3) | instid1(VALU_DEP_2)
	v_add_f32_e32 v17, 1.0, v17
	s_wait_alu 0xfffd
	v_subrev_co_ci_u32_e64 v3, null, 0, v3, vcc_lo
	v_cmp_neq_f32_e32 vcc_lo, 0x7f800000, v7
	v_sub_nc_u32_e32 v14, 0, v3
	v_cvt_f32_i32_e32 v3, v3
	s_delay_alu instid0(VALU_DEP_2) | instskip(SKIP_1) | instid1(VALU_DEP_1)
	v_ldexp_f32 v13, v13, v14
	v_add_f32_e32 v4, v4, v17
	v_ldexp_f32 v4, v4, v14
	s_delay_alu instid0(VALU_DEP_3) | instskip(NEXT) | instid1(VALU_DEP_1)
	v_add_f32_e32 v14, -1.0, v13
	v_dual_add_f32 v18, 1.0, v13 :: v_dual_add_f32 v19, 1.0, v14
	s_delay_alu instid0(VALU_DEP_1) | instskip(NEXT) | instid1(VALU_DEP_1)
	v_add_f32_e32 v17, -1.0, v18
	v_sub_f32_e32 v17, v13, v17
	s_delay_alu instid0(VALU_DEP_3) | instskip(NEXT) | instid1(VALU_DEP_2)
	v_sub_f32_e32 v13, v13, v19
	v_add_f32_e32 v17, v4, v17
	s_delay_alu instid0(VALU_DEP_2) | instskip(NEXT) | instid1(VALU_DEP_2)
	v_add_f32_e32 v4, v4, v13
	v_add_f32_e32 v19, v18, v17
	s_delay_alu instid0(VALU_DEP_1) | instskip(NEXT) | instid1(VALU_DEP_1)
	v_sub_f32_e32 v18, v18, v19
	v_dual_add_f32 v17, v17, v18 :: v_dual_add_f32 v22, v14, v4
	s_delay_alu instid0(VALU_DEP_1) | instskip(NEXT) | instid1(VALU_DEP_1)
	v_sub_f32_e32 v14, v14, v22
	v_add_f32_e32 v4, v4, v14
	v_rcp_f32_e32 v13, v19
	s_delay_alu instid0(TRANS32_DEP_1) | instskip(NEXT) | instid1(VALU_DEP_1)
	v_mul_f32_e32 v23, v22, v13
	v_mul_f32_e32 v24, v19, v23
	s_delay_alu instid0(VALU_DEP_1) | instskip(NEXT) | instid1(VALU_DEP_1)
	v_fma_f32 v18, v23, v19, -v24
	v_fmac_f32_e32 v18, v23, v17
	s_delay_alu instid0(VALU_DEP_1) | instskip(NEXT) | instid1(VALU_DEP_1)
	v_add_f32_e32 v25, v24, v18
	v_sub_f32_e32 v26, v22, v25
	v_sub_f32_e32 v14, v25, v24
	s_delay_alu instid0(VALU_DEP_2) | instskip(NEXT) | instid1(VALU_DEP_2)
	v_sub_f32_e32 v22, v22, v26
	v_sub_f32_e32 v14, v14, v18
	s_delay_alu instid0(VALU_DEP_2) | instskip(NEXT) | instid1(VALU_DEP_1)
	v_sub_f32_e32 v22, v22, v25
	v_add_f32_e32 v4, v4, v22
	s_delay_alu instid0(VALU_DEP_1) | instskip(NEXT) | instid1(VALU_DEP_1)
	v_add_f32_e32 v4, v14, v4
	v_add_f32_e32 v14, v26, v4
	s_delay_alu instid0(VALU_DEP_1) | instskip(SKIP_1) | instid1(VALU_DEP_2)
	v_mul_f32_e32 v18, v13, v14
	v_sub_f32_e32 v25, v26, v14
	v_mul_f32_e32 v22, v19, v18
	s_delay_alu instid0(VALU_DEP_2) | instskip(NEXT) | instid1(VALU_DEP_2)
	v_add_f32_e32 v4, v4, v25
	v_fma_f32 v19, v18, v19, -v22
	s_delay_alu instid0(VALU_DEP_1) | instskip(NEXT) | instid1(VALU_DEP_1)
	v_fmac_f32_e32 v19, v18, v17
	v_add_f32_e32 v17, v22, v19
	s_delay_alu instid0(VALU_DEP_1) | instskip(SKIP_1) | instid1(VALU_DEP_2)
	v_sub_f32_e32 v24, v14, v17
	v_sub_f32_e32 v22, v17, v22
	v_sub_f32_e32 v14, v14, v24
	s_delay_alu instid0(VALU_DEP_1) | instskip(NEXT) | instid1(VALU_DEP_1)
	v_sub_f32_e32 v14, v14, v17
	v_dual_sub_f32 v17, v22, v19 :: v_dual_add_f32 v4, v4, v14
	v_add_f32_e32 v14, v23, v18
	s_delay_alu instid0(VALU_DEP_1) | instskip(NEXT) | instid1(VALU_DEP_1)
	v_dual_add_f32 v4, v17, v4 :: v_dual_sub_f32 v17, v14, v23
	v_dual_add_f32 v4, v24, v4 :: v_dual_sub_f32 v17, v18, v17
	s_delay_alu instid0(VALU_DEP_1) | instskip(NEXT) | instid1(VALU_DEP_1)
	v_mul_f32_e32 v4, v13, v4
	v_add_f32_e32 v4, v17, v4
	s_delay_alu instid0(VALU_DEP_1) | instskip(NEXT) | instid1(VALU_DEP_1)
	v_add_f32_e32 v13, v14, v4
	v_mul_f32_e32 v17, v13, v13
	s_wait_alu 0xfffe
	s_delay_alu instid0(VALU_DEP_1) | instskip(SKIP_1) | instid1(VALU_DEP_2)
	v_fmaak_f32 v18, s2, v17, 0x3ecc95a3
	v_mul_f32_e32 v19, v13, v17
	v_fmaak_f32 v17, v17, v18, 0x3f2aaada
	v_ldexp_f32 v18, v13, 1
	v_sub_f32_e32 v13, v13, v14
	s_delay_alu instid0(VALU_DEP_3) | instskip(NEXT) | instid1(VALU_DEP_2)
	v_mul_f32_e32 v17, v19, v17
	v_dual_mul_f32 v19, 0x3f317218, v3 :: v_dual_sub_f32 v4, v4, v13
	s_delay_alu instid0(VALU_DEP_2) | instskip(NEXT) | instid1(VALU_DEP_2)
	v_add_f32_e32 v14, v18, v17
	v_ldexp_f32 v4, v4, 1
	s_delay_alu instid0(VALU_DEP_2) | instskip(NEXT) | instid1(VALU_DEP_4)
	v_sub_f32_e32 v13, v14, v18
	v_fma_f32 v18, 0x3f317218, v3, -v19
	s_delay_alu instid0(VALU_DEP_2) | instskip(NEXT) | instid1(VALU_DEP_1)
	v_sub_f32_e32 v13, v17, v13
	v_dual_fmamk_f32 v3, v3, 0xb102e308, v18 :: v_dual_add_f32 v4, v4, v13
	s_delay_alu instid0(VALU_DEP_1) | instskip(NEXT) | instid1(VALU_DEP_2)
	v_add_f32_e32 v13, v19, v3
	v_add_f32_e32 v17, v14, v4
	s_delay_alu instid0(VALU_DEP_2) | instskip(NEXT) | instid1(VALU_DEP_1)
	v_sub_f32_e32 v19, v13, v19
	v_dual_sub_f32 v3, v3, v19 :: v_dual_sub_f32 v14, v17, v14
	s_delay_alu instid0(VALU_DEP_1) | instskip(SKIP_1) | instid1(VALU_DEP_1)
	v_sub_f32_e32 v4, v4, v14
	v_add_f32_e32 v18, v13, v17
	v_sub_f32_e32 v22, v18, v13
	s_delay_alu instid0(VALU_DEP_1) | instskip(NEXT) | instid1(VALU_DEP_4)
	v_sub_f32_e32 v23, v18, v22
	v_dual_sub_f32 v14, v17, v22 :: v_dual_add_f32 v17, v3, v4
	s_delay_alu instid0(VALU_DEP_2) | instskip(NEXT) | instid1(VALU_DEP_1)
	v_sub_f32_e32 v13, v13, v23
	v_dual_add_f32 v13, v14, v13 :: v_dual_sub_f32 v14, v17, v3
	s_delay_alu instid0(VALU_DEP_1) | instskip(SKIP_1) | instid1(VALU_DEP_1)
	v_dual_add_f32 v13, v17, v13 :: v_dual_sub_f32 v4, v4, v14
	v_sub_f32_e32 v17, v17, v14
	v_sub_f32_e32 v3, v3, v17
	s_delay_alu instid0(VALU_DEP_1) | instskip(NEXT) | instid1(VALU_DEP_4)
	v_add_f32_e32 v3, v4, v3
	v_add_f32_e32 v19, v18, v13
	s_delay_alu instid0(VALU_DEP_1) | instskip(NEXT) | instid1(VALU_DEP_1)
	v_sub_f32_e32 v14, v19, v18
	v_sub_f32_e32 v4, v13, v14
	s_delay_alu instid0(VALU_DEP_1) | instskip(NEXT) | instid1(VALU_DEP_1)
	v_add_f32_e32 v3, v3, v4
	v_add_f32_e32 v3, v19, v3
	s_wait_alu 0xfffd
	s_delay_alu instid0(VALU_DEP_1) | instskip(SKIP_2) | instid1(VALU_DEP_2)
	v_cndmask_b32_e32 v3, 0x7f800000, v3, vcc_lo
	v_cmp_gt_f32_e64 vcc_lo, 0x33800000, |v7|
	s_wait_alu 0xfffd
	v_cndmask_b32_e32 v3, v3, v7, vcc_lo
	s_delay_alu instid0(VALU_DEP_1) | instskip(NEXT) | instid1(VALU_DEP_1)
	v_add_f32_e32 v2, v2, v3
	v_cvt_f16_f32_e32 v14, v2
	s_delay_alu instid0(VALU_DEP_1)
	v_cvt_f32_f16_e32 v7, v14
	v_mov_b32_e32 v22, v14
.LBB421_298:
	s_wait_alu 0xfffe
	s_or_b32 exec_lo, exec_lo, s1
	s_delay_alu instid0(VALU_DEP_2) | instskip(SKIP_1) | instid1(VALU_DEP_2)
	v_dual_max_num_f32 v2, v16, v16 :: v_dual_max_num_f32 v3, v7, v7
	v_cmp_u_f16_e32 vcc_lo, v14, v14
	v_dual_mov_b32 v23, v22 :: v_dual_min_num_f32 v4, v3, v2
	s_wait_alu 0xfffd
	s_delay_alu instid0(VALU_DEP_1) | instskip(NEXT) | instid1(VALU_DEP_1)
	v_dual_max_num_f32 v2, v3, v2 :: v_dual_cndmask_b32 v3, v4, v7
	v_cndmask_b32_e32 v2, v2, v7, vcc_lo
	s_delay_alu instid0(VALU_DEP_2) | instskip(NEXT) | instid1(VALU_DEP_2)
	v_cndmask_b32_e64 v3, v3, v16, s9
	v_cndmask_b32_e64 v2, v2, v16, s9
	s_delay_alu instid0(VALU_DEP_2) | instskip(NEXT) | instid1(VALU_DEP_2)
	v_cmp_class_f32_e64 s1, v3, 0x1f8
	v_cmp_neq_f32_e32 vcc_lo, v3, v2
	s_or_b32 s2, vcc_lo, s1
	s_wait_alu 0xfffe
	s_and_saveexec_b32 s1, s2
	s_cbranch_execz .LBB421_300
; %bb.299:
	v_sub_f32_e32 v3, v3, v2
	s_mov_b32 s2, 0x3e9b6dac
	s_delay_alu instid0(VALU_DEP_1) | instskip(NEXT) | instid1(VALU_DEP_1)
	v_mul_f32_e32 v4, 0x3fb8aa3b, v3
	v_fma_f32 v7, 0x3fb8aa3b, v3, -v4
	v_rndne_f32_e32 v13, v4
	s_delay_alu instid0(VALU_DEP_1) | instskip(SKIP_1) | instid1(VALU_DEP_4)
	v_sub_f32_e32 v4, v4, v13
	v_cmp_ngt_f32_e32 vcc_lo, 0xc2ce8ed0, v3
	v_fmamk_f32 v7, v3, 0x32a5705f, v7
	s_delay_alu instid0(VALU_DEP_1) | instskip(SKIP_1) | instid1(VALU_DEP_2)
	v_add_f32_e32 v4, v4, v7
	v_cvt_i32_f32_e32 v7, v13
	v_exp_f32_e32 v4, v4
	s_delay_alu instid0(TRANS32_DEP_1) | instskip(SKIP_1) | instid1(VALU_DEP_1)
	v_ldexp_f32 v4, v4, v7
	s_wait_alu 0xfffd
	v_cndmask_b32_e32 v4, 0, v4, vcc_lo
	v_cmp_nlt_f32_e32 vcc_lo, 0x42b17218, v3
	s_wait_alu 0xfffd
	s_delay_alu instid0(VALU_DEP_2) | instskip(NEXT) | instid1(VALU_DEP_1)
	v_cndmask_b32_e32 v7, 0x7f800000, v4, vcc_lo
	v_add_f32_e32 v13, 1.0, v7
	s_delay_alu instid0(VALU_DEP_1) | instskip(NEXT) | instid1(VALU_DEP_1)
	v_cvt_f64_f32_e32 v[3:4], v13
	v_frexp_exp_i32_f64_e32 v3, v[3:4]
	v_frexp_mant_f32_e32 v4, v13
	s_delay_alu instid0(VALU_DEP_1) | instskip(SKIP_1) | instid1(VALU_DEP_1)
	v_cmp_gt_f32_e32 vcc_lo, 0x3f2aaaab, v4
	v_add_f32_e32 v4, -1.0, v13
	v_sub_f32_e32 v16, v4, v13
	v_sub_f32_e32 v4, v7, v4
	s_delay_alu instid0(VALU_DEP_2) | instskip(SKIP_3) | instid1(VALU_DEP_2)
	v_add_f32_e32 v16, 1.0, v16
	s_wait_alu 0xfffd
	v_subrev_co_ci_u32_e64 v3, null, 0, v3, vcc_lo
	v_cmp_neq_f32_e32 vcc_lo, 0x7f800000, v7
	v_sub_nc_u32_e32 v14, 0, v3
	v_cvt_f32_i32_e32 v3, v3
	s_delay_alu instid0(VALU_DEP_2) | instskip(NEXT) | instid1(VALU_DEP_1)
	v_ldexp_f32 v13, v13, v14
	v_dual_add_f32 v17, 1.0, v13 :: v_dual_add_f32 v4, v4, v16
	s_delay_alu instid0(VALU_DEP_1) | instskip(NEXT) | instid1(VALU_DEP_2)
	v_add_f32_e32 v16, -1.0, v17
	v_ldexp_f32 v4, v4, v14
	v_add_f32_e32 v14, -1.0, v13
	s_delay_alu instid0(VALU_DEP_3) | instskip(NEXT) | instid1(VALU_DEP_2)
	v_sub_f32_e32 v16, v13, v16
	v_add_f32_e32 v18, 1.0, v14
	s_delay_alu instid0(VALU_DEP_1) | instskip(NEXT) | instid1(VALU_DEP_1)
	v_dual_add_f32 v16, v4, v16 :: v_dual_sub_f32 v13, v13, v18
	v_add_f32_e32 v18, v17, v16
	s_delay_alu instid0(VALU_DEP_2) | instskip(NEXT) | instid1(VALU_DEP_2)
	v_add_f32_e32 v4, v4, v13
	v_rcp_f32_e32 v13, v18
	v_sub_f32_e32 v17, v17, v18
	s_delay_alu instid0(VALU_DEP_1)
	v_dual_add_f32 v19, v14, v4 :: v_dual_add_f32 v16, v16, v17
	s_delay_alu instid0(TRANS32_DEP_1) | instid1(VALU_DEP_1)
	v_mul_f32_e32 v23, v19, v13
	s_delay_alu instid0(VALU_DEP_1) | instskip(NEXT) | instid1(VALU_DEP_1)
	v_mul_f32_e32 v24, v18, v23
	v_fma_f32 v17, v23, v18, -v24
	s_delay_alu instid0(VALU_DEP_1) | instskip(NEXT) | instid1(VALU_DEP_1)
	v_dual_fmac_f32 v17, v23, v16 :: v_dual_sub_f32 v14, v14, v19
	v_add_f32_e32 v25, v24, v17
	s_delay_alu instid0(VALU_DEP_2) | instskip(NEXT) | instid1(VALU_DEP_2)
	v_add_f32_e32 v4, v4, v14
	v_sub_f32_e32 v26, v19, v25
	s_delay_alu instid0(VALU_DEP_1) | instskip(NEXT) | instid1(VALU_DEP_1)
	v_dual_sub_f32 v14, v25, v24 :: v_dual_sub_f32 v19, v19, v26
	v_sub_f32_e32 v14, v14, v17
	s_delay_alu instid0(VALU_DEP_2) | instskip(NEXT) | instid1(VALU_DEP_1)
	v_sub_f32_e32 v19, v19, v25
	v_add_f32_e32 v4, v4, v19
	s_delay_alu instid0(VALU_DEP_1) | instskip(NEXT) | instid1(VALU_DEP_1)
	v_add_f32_e32 v4, v14, v4
	v_add_f32_e32 v14, v26, v4
	s_delay_alu instid0(VALU_DEP_1) | instskip(SKIP_1) | instid1(VALU_DEP_2)
	v_mul_f32_e32 v17, v13, v14
	v_sub_f32_e32 v25, v26, v14
	v_mul_f32_e32 v19, v18, v17
	s_delay_alu instid0(VALU_DEP_2) | instskip(NEXT) | instid1(VALU_DEP_2)
	v_add_f32_e32 v4, v4, v25
	v_fma_f32 v18, v17, v18, -v19
	s_delay_alu instid0(VALU_DEP_1) | instskip(NEXT) | instid1(VALU_DEP_1)
	v_fmac_f32_e32 v18, v17, v16
	v_add_f32_e32 v16, v19, v18
	s_delay_alu instid0(VALU_DEP_1) | instskip(NEXT) | instid1(VALU_DEP_1)
	v_dual_sub_f32 v24, v14, v16 :: v_dual_sub_f32 v19, v16, v19
	v_sub_f32_e32 v14, v14, v24
	s_delay_alu instid0(VALU_DEP_1) | instskip(NEXT) | instid1(VALU_DEP_3)
	v_sub_f32_e32 v14, v14, v16
	v_sub_f32_e32 v16, v19, v18
	s_delay_alu instid0(VALU_DEP_2) | instskip(SKIP_1) | instid1(VALU_DEP_2)
	v_add_f32_e32 v4, v4, v14
	v_add_f32_e32 v14, v23, v17
	;; [unrolled: 1-line block ×3, first 2 shown]
	s_delay_alu instid0(VALU_DEP_2) | instskip(NEXT) | instid1(VALU_DEP_2)
	v_sub_f32_e32 v16, v14, v23
	v_add_f32_e32 v4, v24, v4
	s_delay_alu instid0(VALU_DEP_2) | instskip(NEXT) | instid1(VALU_DEP_2)
	v_sub_f32_e32 v16, v17, v16
	v_mul_f32_e32 v4, v13, v4
	s_delay_alu instid0(VALU_DEP_1) | instskip(NEXT) | instid1(VALU_DEP_1)
	v_add_f32_e32 v4, v16, v4
	v_add_f32_e32 v13, v14, v4
	s_delay_alu instid0(VALU_DEP_1) | instskip(SKIP_1) | instid1(VALU_DEP_1)
	v_mul_f32_e32 v16, v13, v13
	s_wait_alu 0xfffe
	v_fmaak_f32 v17, s2, v16, 0x3ecc95a3
	v_mul_f32_e32 v18, v13, v16
	s_delay_alu instid0(VALU_DEP_2) | instskip(SKIP_1) | instid1(VALU_DEP_2)
	v_fmaak_f32 v16, v16, v17, 0x3f2aaada
	v_ldexp_f32 v17, v13, 1
	v_dual_sub_f32 v13, v13, v14 :: v_dual_mul_f32 v16, v18, v16
	v_mul_f32_e32 v18, 0x3f317218, v3
	s_delay_alu instid0(VALU_DEP_2) | instskip(NEXT) | instid1(VALU_DEP_3)
	v_sub_f32_e32 v4, v4, v13
	v_add_f32_e32 v14, v17, v16
	s_delay_alu instid0(VALU_DEP_2) | instskip(NEXT) | instid1(VALU_DEP_2)
	v_ldexp_f32 v4, v4, 1
	v_sub_f32_e32 v13, v14, v17
	v_fma_f32 v17, 0x3f317218, v3, -v18
	s_delay_alu instid0(VALU_DEP_2) | instskip(NEXT) | instid1(VALU_DEP_1)
	v_sub_f32_e32 v13, v16, v13
	v_dual_fmamk_f32 v3, v3, 0xb102e308, v17 :: v_dual_add_f32 v4, v4, v13
	s_delay_alu instid0(VALU_DEP_1) | instskip(NEXT) | instid1(VALU_DEP_2)
	v_add_f32_e32 v13, v18, v3
	v_add_f32_e32 v16, v14, v4
	s_delay_alu instid0(VALU_DEP_2) | instskip(NEXT) | instid1(VALU_DEP_2)
	v_sub_f32_e32 v18, v13, v18
	v_dual_add_f32 v17, v13, v16 :: v_dual_sub_f32 v14, v16, v14
	s_delay_alu instid0(VALU_DEP_2) | instskip(NEXT) | instid1(VALU_DEP_2)
	v_sub_f32_e32 v3, v3, v18
	v_dual_sub_f32 v19, v17, v13 :: v_dual_sub_f32 v4, v4, v14
	s_delay_alu instid0(VALU_DEP_1) | instskip(SKIP_1) | instid1(VALU_DEP_2)
	v_sub_f32_e32 v23, v17, v19
	v_sub_f32_e32 v14, v16, v19
	v_dual_add_f32 v16, v3, v4 :: v_dual_sub_f32 v13, v13, v23
	s_delay_alu instid0(VALU_DEP_1) | instskip(NEXT) | instid1(VALU_DEP_1)
	v_dual_add_f32 v13, v14, v13 :: v_dual_sub_f32 v14, v16, v3
	v_add_f32_e32 v13, v16, v13
	s_delay_alu instid0(VALU_DEP_2) | instskip(SKIP_1) | instid1(VALU_DEP_2)
	v_sub_f32_e32 v16, v16, v14
	v_sub_f32_e32 v4, v4, v14
	v_dual_add_f32 v18, v17, v13 :: v_dual_sub_f32 v3, v3, v16
	s_delay_alu instid0(VALU_DEP_1) | instskip(NEXT) | instid1(VALU_DEP_1)
	v_dual_sub_f32 v14, v18, v17 :: v_dual_add_f32 v3, v4, v3
	v_sub_f32_e32 v4, v13, v14
	s_delay_alu instid0(VALU_DEP_1) | instskip(NEXT) | instid1(VALU_DEP_1)
	v_add_f32_e32 v3, v3, v4
	v_add_f32_e32 v3, v18, v3
	s_wait_alu 0xfffd
	s_delay_alu instid0(VALU_DEP_1) | instskip(SKIP_2) | instid1(VALU_DEP_2)
	v_cndmask_b32_e32 v3, 0x7f800000, v3, vcc_lo
	v_cmp_gt_f32_e64 vcc_lo, 0x33800000, |v7|
	s_wait_alu 0xfffd
	v_cndmask_b32_e32 v3, v3, v7, vcc_lo
	s_delay_alu instid0(VALU_DEP_1) | instskip(NEXT) | instid1(VALU_DEP_1)
	v_add_f32_e32 v2, v2, v3
	v_cvt_f16_f32_e32 v14, v2
	s_delay_alu instid0(VALU_DEP_1)
	v_cvt_f32_f16_e32 v7, v14
	v_mov_b32_e32 v23, v14
.LBB421_300:
	s_wait_alu 0xfffe
	s_or_b32 exec_lo, exec_lo, s1
	s_delay_alu instid0(VALU_DEP_2) | instskip(SKIP_2) | instid1(VALU_DEP_3)
	v_dual_max_num_f32 v2, v5, v5 :: v_dual_max_num_f32 v3, v7, v7
	v_cmp_u_f16_e32 vcc_lo, v14, v14
	v_mov_b32_e32 v24, v23
	v_min_num_f32_e32 v4, v3, v2
	s_wait_alu 0xfffd
	s_delay_alu instid0(VALU_DEP_1) | instskip(NEXT) | instid1(VALU_DEP_1)
	v_dual_max_num_f32 v2, v3, v2 :: v_dual_cndmask_b32 v3, v4, v7
	v_cndmask_b32_e32 v2, v2, v7, vcc_lo
	s_delay_alu instid0(VALU_DEP_2) | instskip(NEXT) | instid1(VALU_DEP_2)
	v_cndmask_b32_e64 v3, v3, v5, s10
	v_cndmask_b32_e64 v2, v2, v5, s10
	s_delay_alu instid0(VALU_DEP_2) | instskip(NEXT) | instid1(VALU_DEP_2)
	v_cmp_class_f32_e64 s1, v3, 0x1f8
	v_cmp_neq_f32_e32 vcc_lo, v3, v2
	s_or_b32 s2, vcc_lo, s1
	s_wait_alu 0xfffe
	s_and_saveexec_b32 s1, s2
	s_cbranch_execz .LBB421_302
; %bb.301:
	v_sub_f32_e32 v3, v3, v2
	s_mov_b32 s2, 0x3e9b6dac
	s_delay_alu instid0(VALU_DEP_1) | instskip(NEXT) | instid1(VALU_DEP_1)
	v_mul_f32_e32 v4, 0x3fb8aa3b, v3
	v_fma_f32 v5, 0x3fb8aa3b, v3, -v4
	v_rndne_f32_e32 v7, v4
	s_delay_alu instid0(VALU_DEP_1) | instskip(SKIP_1) | instid1(VALU_DEP_4)
	v_sub_f32_e32 v4, v4, v7
	v_cmp_ngt_f32_e32 vcc_lo, 0xc2ce8ed0, v3
	v_fmamk_f32 v5, v3, 0x32a5705f, v5
	s_delay_alu instid0(VALU_DEP_1) | instskip(SKIP_1) | instid1(VALU_DEP_2)
	v_add_f32_e32 v4, v4, v5
	v_cvt_i32_f32_e32 v5, v7
	v_exp_f32_e32 v4, v4
	s_delay_alu instid0(TRANS32_DEP_1) | instskip(SKIP_1) | instid1(VALU_DEP_1)
	v_ldexp_f32 v4, v4, v5
	s_wait_alu 0xfffd
	v_cndmask_b32_e32 v4, 0, v4, vcc_lo
	v_cmp_nlt_f32_e32 vcc_lo, 0x42b17218, v3
	s_wait_alu 0xfffd
	s_delay_alu instid0(VALU_DEP_2) | instskip(NEXT) | instid1(VALU_DEP_1)
	v_cndmask_b32_e32 v5, 0x7f800000, v4, vcc_lo
	v_add_f32_e32 v7, 1.0, v5
	s_delay_alu instid0(VALU_DEP_1) | instskip(NEXT) | instid1(VALU_DEP_1)
	v_cvt_f64_f32_e32 v[3:4], v7
	v_frexp_exp_i32_f64_e32 v3, v[3:4]
	v_frexp_mant_f32_e32 v4, v7
	s_delay_alu instid0(VALU_DEP_1) | instskip(SKIP_1) | instid1(VALU_DEP_1)
	v_cmp_gt_f32_e32 vcc_lo, 0x3f2aaaab, v4
	v_add_f32_e32 v4, -1.0, v7
	v_sub_f32_e32 v14, v4, v7
	s_delay_alu instid0(VALU_DEP_1) | instskip(SKIP_3) | instid1(VALU_DEP_2)
	v_add_f32_e32 v14, 1.0, v14
	s_wait_alu 0xfffd
	v_subrev_co_ci_u32_e64 v3, null, 0, v3, vcc_lo
	v_cmp_neq_f32_e32 vcc_lo, 0x7f800000, v5
	v_sub_nc_u32_e32 v13, 0, v3
	v_cvt_f32_i32_e32 v3, v3
	s_delay_alu instid0(VALU_DEP_2) | instskip(SKIP_1) | instid1(VALU_DEP_1)
	v_ldexp_f32 v7, v7, v13
	v_sub_f32_e32 v4, v5, v4
	v_add_f32_e32 v4, v4, v14
	s_delay_alu instid0(VALU_DEP_1) | instskip(NEXT) | instid1(VALU_DEP_4)
	v_ldexp_f32 v4, v4, v13
	v_add_f32_e32 v13, -1.0, v7
	s_delay_alu instid0(VALU_DEP_1) | instskip(NEXT) | instid1(VALU_DEP_1)
	v_dual_add_f32 v16, 1.0, v7 :: v_dual_add_f32 v17, 1.0, v13
	v_add_f32_e32 v14, -1.0, v16
	s_delay_alu instid0(VALU_DEP_1) | instskip(NEXT) | instid1(VALU_DEP_1)
	v_sub_f32_e32 v14, v7, v14
	v_dual_sub_f32 v7, v7, v17 :: v_dual_add_f32 v14, v4, v14
	s_delay_alu instid0(VALU_DEP_1) | instskip(NEXT) | instid1(VALU_DEP_1)
	v_add_f32_e32 v4, v4, v7
	v_add_f32_e32 v18, v13, v4
	s_delay_alu instid0(VALU_DEP_1) | instskip(NEXT) | instid1(VALU_DEP_4)
	v_sub_f32_e32 v13, v13, v18
	v_add_f32_e32 v17, v16, v14
	s_delay_alu instid0(VALU_DEP_2) | instskip(NEXT) | instid1(VALU_DEP_2)
	v_add_f32_e32 v4, v4, v13
	v_sub_f32_e32 v16, v16, v17
	s_delay_alu instid0(VALU_DEP_1) | instskip(SKIP_1) | instid1(TRANS32_DEP_1)
	v_add_f32_e32 v14, v14, v16
	v_rcp_f32_e32 v7, v17
	v_mul_f32_e32 v19, v18, v7
	s_delay_alu instid0(VALU_DEP_1) | instskip(NEXT) | instid1(VALU_DEP_1)
	v_mul_f32_e32 v24, v17, v19
	v_fma_f32 v16, v19, v17, -v24
	s_delay_alu instid0(VALU_DEP_1) | instskip(NEXT) | instid1(VALU_DEP_1)
	v_fmac_f32_e32 v16, v19, v14
	v_add_f32_e32 v25, v24, v16
	s_delay_alu instid0(VALU_DEP_1) | instskip(NEXT) | instid1(VALU_DEP_1)
	v_dual_sub_f32 v26, v18, v25 :: v_dual_sub_f32 v13, v25, v24
	v_dual_sub_f32 v18, v18, v26 :: v_dual_sub_f32 v13, v13, v16
	s_delay_alu instid0(VALU_DEP_1) | instskip(NEXT) | instid1(VALU_DEP_1)
	v_sub_f32_e32 v18, v18, v25
	v_add_f32_e32 v4, v4, v18
	s_delay_alu instid0(VALU_DEP_1) | instskip(NEXT) | instid1(VALU_DEP_1)
	v_add_f32_e32 v4, v13, v4
	v_add_f32_e32 v13, v26, v4
	s_delay_alu instid0(VALU_DEP_1) | instskip(NEXT) | instid1(VALU_DEP_1)
	v_mul_f32_e32 v16, v7, v13
	v_dual_sub_f32 v25, v26, v13 :: v_dual_mul_f32 v18, v17, v16
	s_delay_alu instid0(VALU_DEP_1) | instskip(NEXT) | instid1(VALU_DEP_2)
	v_add_f32_e32 v4, v4, v25
	v_fma_f32 v17, v16, v17, -v18
	s_delay_alu instid0(VALU_DEP_1) | instskip(NEXT) | instid1(VALU_DEP_1)
	v_fmac_f32_e32 v17, v16, v14
	v_add_f32_e32 v14, v18, v17
	s_delay_alu instid0(VALU_DEP_1) | instskip(NEXT) | instid1(VALU_DEP_1)
	v_sub_f32_e32 v24, v13, v14
	v_dual_sub_f32 v18, v14, v18 :: v_dual_sub_f32 v13, v13, v24
	s_delay_alu instid0(VALU_DEP_1) | instskip(NEXT) | instid1(VALU_DEP_1)
	v_dual_sub_f32 v13, v13, v14 :: v_dual_sub_f32 v14, v18, v17
	v_dual_add_f32 v4, v4, v13 :: v_dual_add_f32 v13, v19, v16
	s_delay_alu instid0(VALU_DEP_1) | instskip(NEXT) | instid1(VALU_DEP_2)
	v_add_f32_e32 v4, v14, v4
	v_sub_f32_e32 v14, v13, v19
	s_delay_alu instid0(VALU_DEP_2) | instskip(NEXT) | instid1(VALU_DEP_2)
	v_add_f32_e32 v4, v24, v4
	v_sub_f32_e32 v14, v16, v14
	s_delay_alu instid0(VALU_DEP_2) | instskip(NEXT) | instid1(VALU_DEP_1)
	v_mul_f32_e32 v4, v7, v4
	v_add_f32_e32 v4, v14, v4
	s_delay_alu instid0(VALU_DEP_1) | instskip(NEXT) | instid1(VALU_DEP_1)
	v_add_f32_e32 v7, v13, v4
	v_mul_f32_e32 v14, v7, v7
	s_wait_alu 0xfffe
	s_delay_alu instid0(VALU_DEP_1) | instskip(NEXT) | instid1(VALU_DEP_1)
	v_fmaak_f32 v16, s2, v14, 0x3ecc95a3
	v_dual_mul_f32 v17, v7, v14 :: v_dual_fmaak_f32 v14, v14, v16, 0x3f2aaada
	v_ldexp_f32 v16, v7, 1
	s_delay_alu instid0(VALU_DEP_2) | instskip(SKIP_1) | instid1(VALU_DEP_2)
	v_dual_sub_f32 v7, v7, v13 :: v_dual_mul_f32 v14, v17, v14
	v_mul_f32_e32 v17, 0x3f317218, v3
	v_sub_f32_e32 v4, v4, v7
	s_delay_alu instid0(VALU_DEP_3) | instskip(NEXT) | instid1(VALU_DEP_2)
	v_add_f32_e32 v13, v16, v14
	v_ldexp_f32 v4, v4, 1
	s_delay_alu instid0(VALU_DEP_2) | instskip(SKIP_1) | instid1(VALU_DEP_2)
	v_sub_f32_e32 v7, v13, v16
	v_fma_f32 v16, 0x3f317218, v3, -v17
	v_sub_f32_e32 v7, v14, v7
	s_delay_alu instid0(VALU_DEP_1) | instskip(NEXT) | instid1(VALU_DEP_1)
	v_dual_fmamk_f32 v3, v3, 0xb102e308, v16 :: v_dual_add_f32 v4, v4, v7
	v_add_f32_e32 v7, v17, v3
	s_delay_alu instid0(VALU_DEP_1) | instskip(NEXT) | instid1(VALU_DEP_1)
	v_dual_add_f32 v14, v13, v4 :: v_dual_sub_f32 v17, v7, v17
	v_dual_add_f32 v16, v7, v14 :: v_dual_sub_f32 v13, v14, v13
	s_delay_alu instid0(VALU_DEP_1) | instskip(NEXT) | instid1(VALU_DEP_2)
	v_dual_sub_f32 v3, v3, v17 :: v_dual_sub_f32 v18, v16, v7
	v_sub_f32_e32 v4, v4, v13
	s_delay_alu instid0(VALU_DEP_2) | instskip(NEXT) | instid1(VALU_DEP_2)
	v_sub_f32_e32 v19, v16, v18
	v_dual_sub_f32 v13, v14, v18 :: v_dual_add_f32 v14, v3, v4
	s_delay_alu instid0(VALU_DEP_2) | instskip(NEXT) | instid1(VALU_DEP_1)
	v_sub_f32_e32 v7, v7, v19
	v_add_f32_e32 v7, v13, v7
	s_delay_alu instid0(VALU_DEP_3) | instskip(NEXT) | instid1(VALU_DEP_2)
	v_sub_f32_e32 v13, v14, v3
	v_add_f32_e32 v7, v14, v7
	s_delay_alu instid0(VALU_DEP_2) | instskip(SKIP_1) | instid1(VALU_DEP_3)
	v_sub_f32_e32 v14, v14, v13
	v_sub_f32_e32 v4, v4, v13
	v_add_f32_e32 v17, v16, v7
	s_delay_alu instid0(VALU_DEP_3) | instskip(NEXT) | instid1(VALU_DEP_2)
	v_sub_f32_e32 v3, v3, v14
	v_sub_f32_e32 v13, v17, v16
	s_delay_alu instid0(VALU_DEP_1) | instskip(NEXT) | instid1(VALU_DEP_1)
	v_dual_add_f32 v3, v4, v3 :: v_dual_sub_f32 v4, v7, v13
	v_add_f32_e32 v3, v3, v4
	s_delay_alu instid0(VALU_DEP_1) | instskip(SKIP_1) | instid1(VALU_DEP_1)
	v_add_f32_e32 v3, v17, v3
	s_wait_alu 0xfffd
	v_cndmask_b32_e32 v3, 0x7f800000, v3, vcc_lo
	v_cmp_gt_f32_e64 vcc_lo, 0x33800000, |v5|
	s_wait_alu 0xfffd
	s_delay_alu instid0(VALU_DEP_2) | instskip(NEXT) | instid1(VALU_DEP_1)
	v_cndmask_b32_e32 v3, v3, v5, vcc_lo
	v_add_f32_e32 v2, v2, v3
	s_delay_alu instid0(VALU_DEP_1) | instskip(NEXT) | instid1(VALU_DEP_1)
	v_cvt_f16_f32_e32 v14, v2
	v_cvt_f32_f16_e32 v7, v14
	v_mov_b32_e32 v24, v14
.LBB421_302:
	s_wait_alu 0xfffe
	s_or_b32 exec_lo, exec_lo, s1
	s_delay_alu instid0(VALU_DEP_1) | instskip(SKIP_2) | instid1(VALU_DEP_2)
	v_dual_max_num_f32 v2, v15, v15 :: v_dual_mov_b32 v25, v24
	v_max_num_f32_e32 v3, v7, v7
	v_cmp_u_f16_e32 vcc_lo, v14, v14
	v_min_num_f32_e32 v4, v3, v2
	s_wait_alu 0xfffd
	s_delay_alu instid0(VALU_DEP_1) | instskip(NEXT) | instid1(VALU_DEP_1)
	v_dual_max_num_f32 v2, v3, v2 :: v_dual_cndmask_b32 v3, v4, v7
	v_cndmask_b32_e32 v2, v2, v7, vcc_lo
	s_delay_alu instid0(VALU_DEP_2) | instskip(NEXT) | instid1(VALU_DEP_2)
	v_cndmask_b32_e64 v3, v3, v15, s11
	v_cndmask_b32_e64 v2, v2, v15, s11
	s_delay_alu instid0(VALU_DEP_2) | instskip(NEXT) | instid1(VALU_DEP_2)
	v_cmp_class_f32_e64 s1, v3, 0x1f8
	v_cmp_neq_f32_e32 vcc_lo, v3, v2
	s_or_b32 s2, vcc_lo, s1
	s_wait_alu 0xfffe
	s_and_saveexec_b32 s1, s2
	s_cbranch_execz .LBB421_304
; %bb.303:
	v_sub_f32_e32 v3, v3, v2
	s_mov_b32 s2, 0x3e9b6dac
	s_delay_alu instid0(VALU_DEP_1) | instskip(NEXT) | instid1(VALU_DEP_1)
	v_mul_f32_e32 v4, 0x3fb8aa3b, v3
	v_fma_f32 v5, 0x3fb8aa3b, v3, -v4
	v_rndne_f32_e32 v7, v4
	s_delay_alu instid0(VALU_DEP_1) | instskip(SKIP_1) | instid1(VALU_DEP_4)
	v_sub_f32_e32 v4, v4, v7
	v_cmp_ngt_f32_e32 vcc_lo, 0xc2ce8ed0, v3
	v_fmamk_f32 v5, v3, 0x32a5705f, v5
	s_delay_alu instid0(VALU_DEP_1) | instskip(SKIP_1) | instid1(VALU_DEP_2)
	v_add_f32_e32 v4, v4, v5
	v_cvt_i32_f32_e32 v5, v7
	v_exp_f32_e32 v4, v4
	s_delay_alu instid0(TRANS32_DEP_1) | instskip(SKIP_1) | instid1(VALU_DEP_1)
	v_ldexp_f32 v4, v4, v5
	s_wait_alu 0xfffd
	v_cndmask_b32_e32 v4, 0, v4, vcc_lo
	v_cmp_nlt_f32_e32 vcc_lo, 0x42b17218, v3
	s_wait_alu 0xfffd
	s_delay_alu instid0(VALU_DEP_2) | instskip(NEXT) | instid1(VALU_DEP_1)
	v_cndmask_b32_e32 v5, 0x7f800000, v4, vcc_lo
	v_add_f32_e32 v7, 1.0, v5
	s_delay_alu instid0(VALU_DEP_1) | instskip(NEXT) | instid1(VALU_DEP_1)
	v_cvt_f64_f32_e32 v[3:4], v7
	v_frexp_exp_i32_f64_e32 v3, v[3:4]
	v_frexp_mant_f32_e32 v4, v7
	s_delay_alu instid0(VALU_DEP_1) | instskip(SKIP_1) | instid1(VALU_DEP_1)
	v_cmp_gt_f32_e32 vcc_lo, 0x3f2aaaab, v4
	v_add_f32_e32 v4, -1.0, v7
	v_sub_f32_e32 v14, v4, v7
	s_delay_alu instid0(VALU_DEP_1) | instskip(SKIP_3) | instid1(VALU_DEP_2)
	v_add_f32_e32 v14, 1.0, v14
	s_wait_alu 0xfffd
	v_subrev_co_ci_u32_e64 v3, null, 0, v3, vcc_lo
	v_cmp_neq_f32_e32 vcc_lo, 0x7f800000, v5
	v_sub_nc_u32_e32 v13, 0, v3
	v_cvt_f32_i32_e32 v3, v3
	s_delay_alu instid0(VALU_DEP_2) | instskip(NEXT) | instid1(VALU_DEP_1)
	v_ldexp_f32 v7, v7, v13
	v_dual_sub_f32 v4, v5, v4 :: v_dual_add_f32 v15, 1.0, v7
	s_delay_alu instid0(VALU_DEP_1) | instskip(NEXT) | instid1(VALU_DEP_2)
	v_add_f32_e32 v4, v4, v14
	v_add_f32_e32 v14, -1.0, v15
	s_delay_alu instid0(VALU_DEP_2) | instskip(NEXT) | instid1(VALU_DEP_2)
	v_ldexp_f32 v4, v4, v13
	v_dual_add_f32 v13, -1.0, v7 :: v_dual_sub_f32 v14, v7, v14
	s_delay_alu instid0(VALU_DEP_1) | instskip(NEXT) | instid1(VALU_DEP_1)
	v_add_f32_e32 v16, 1.0, v13
	v_dual_add_f32 v14, v4, v14 :: v_dual_sub_f32 v7, v7, v16
	s_delay_alu instid0(VALU_DEP_1) | instskip(NEXT) | instid1(VALU_DEP_2)
	v_add_f32_e32 v16, v15, v14
	v_add_f32_e32 v4, v4, v7
	s_delay_alu instid0(VALU_DEP_2) | instskip(SKIP_1) | instid1(VALU_DEP_1)
	v_rcp_f32_e32 v7, v16
	v_sub_f32_e32 v15, v15, v16
	v_dual_add_f32 v17, v13, v4 :: v_dual_add_f32 v14, v14, v15
	s_delay_alu instid0(VALU_DEP_1) | instskip(NEXT) | instid1(TRANS32_DEP_1)
	v_sub_f32_e32 v13, v13, v17
	v_mul_f32_e32 v18, v17, v7
	s_delay_alu instid0(VALU_DEP_1) | instskip(NEXT) | instid1(VALU_DEP_1)
	v_mul_f32_e32 v19, v16, v18
	v_fma_f32 v15, v18, v16, -v19
	s_delay_alu instid0(VALU_DEP_1) | instskip(NEXT) | instid1(VALU_DEP_1)
	v_fmac_f32_e32 v15, v18, v14
	v_add_f32_e32 v25, v19, v15
	s_delay_alu instid0(VALU_DEP_1) | instskip(NEXT) | instid1(VALU_DEP_1)
	v_sub_f32_e32 v26, v17, v25
	v_dual_sub_f32 v17, v17, v26 :: v_dual_add_f32 v4, v4, v13
	v_sub_f32_e32 v13, v25, v19
	s_delay_alu instid0(VALU_DEP_2) | instskip(NEXT) | instid1(VALU_DEP_1)
	v_sub_f32_e32 v17, v17, v25
	v_dual_sub_f32 v13, v13, v15 :: v_dual_add_f32 v4, v4, v17
	s_delay_alu instid0(VALU_DEP_1) | instskip(NEXT) | instid1(VALU_DEP_1)
	v_add_f32_e32 v4, v13, v4
	v_add_f32_e32 v13, v26, v4
	s_delay_alu instid0(VALU_DEP_1) | instskip(NEXT) | instid1(VALU_DEP_1)
	v_mul_f32_e32 v15, v7, v13
	v_mul_f32_e32 v17, v16, v15
	v_sub_f32_e32 v25, v26, v13
	s_delay_alu instid0(VALU_DEP_2) | instskip(NEXT) | instid1(VALU_DEP_2)
	v_fma_f32 v16, v15, v16, -v17
	v_add_f32_e32 v4, v4, v25
	s_delay_alu instid0(VALU_DEP_2) | instskip(NEXT) | instid1(VALU_DEP_1)
	v_fmac_f32_e32 v16, v15, v14
	v_add_f32_e32 v14, v17, v16
	s_delay_alu instid0(VALU_DEP_1) | instskip(NEXT) | instid1(VALU_DEP_1)
	v_sub_f32_e32 v19, v13, v14
	v_sub_f32_e32 v13, v13, v19
	s_delay_alu instid0(VALU_DEP_1) | instskip(NEXT) | instid1(VALU_DEP_1)
	v_sub_f32_e32 v13, v13, v14
	v_dual_add_f32 v4, v4, v13 :: v_dual_add_f32 v13, v18, v15
	v_sub_f32_e32 v17, v14, v17
	s_delay_alu instid0(VALU_DEP_1) | instskip(NEXT) | instid1(VALU_DEP_1)
	v_sub_f32_e32 v14, v17, v16
	v_add_f32_e32 v4, v14, v4
	s_delay_alu instid0(VALU_DEP_4) | instskip(NEXT) | instid1(VALU_DEP_2)
	v_sub_f32_e32 v14, v13, v18
	v_add_f32_e32 v4, v19, v4
	s_delay_alu instid0(VALU_DEP_2) | instskip(NEXT) | instid1(VALU_DEP_2)
	v_sub_f32_e32 v14, v15, v14
	v_mul_f32_e32 v4, v7, v4
	s_delay_alu instid0(VALU_DEP_1) | instskip(NEXT) | instid1(VALU_DEP_1)
	v_add_f32_e32 v4, v14, v4
	v_add_f32_e32 v7, v13, v4
	s_delay_alu instid0(VALU_DEP_1) | instskip(SKIP_1) | instid1(VALU_DEP_1)
	v_mul_f32_e32 v14, v7, v7
	s_wait_alu 0xfffe
	v_fmaak_f32 v15, s2, v14, 0x3ecc95a3
	v_mul_f32_e32 v16, v7, v14
	s_delay_alu instid0(VALU_DEP_2) | instskip(SKIP_1) | instid1(VALU_DEP_2)
	v_fmaak_f32 v14, v14, v15, 0x3f2aaada
	v_ldexp_f32 v15, v7, 1
	v_dual_sub_f32 v7, v7, v13 :: v_dual_mul_f32 v14, v16, v14
	s_delay_alu instid0(VALU_DEP_1) | instskip(NEXT) | instid1(VALU_DEP_2)
	v_dual_mul_f32 v16, 0x3f317218, v3 :: v_dual_add_f32 v13, v15, v14
	v_sub_f32_e32 v4, v4, v7
	s_delay_alu instid0(VALU_DEP_2) | instskip(NEXT) | instid1(VALU_DEP_3)
	v_sub_f32_e32 v7, v13, v15
	v_fma_f32 v15, 0x3f317218, v3, -v16
	s_delay_alu instid0(VALU_DEP_3) | instskip(NEXT) | instid1(VALU_DEP_2)
	v_ldexp_f32 v4, v4, 1
	v_fmamk_f32 v3, v3, 0xb102e308, v15
	s_delay_alu instid0(VALU_DEP_4) | instskip(NEXT) | instid1(VALU_DEP_1)
	v_sub_f32_e32 v7, v14, v7
	v_add_f32_e32 v4, v4, v7
	s_delay_alu instid0(VALU_DEP_1) | instskip(NEXT) | instid1(VALU_DEP_1)
	v_dual_add_f32 v7, v16, v3 :: v_dual_add_f32 v14, v13, v4
	v_add_f32_e32 v15, v7, v14
	v_dual_sub_f32 v13, v14, v13 :: v_dual_sub_f32 v16, v7, v16
	s_delay_alu instid0(VALU_DEP_2) | instskip(NEXT) | instid1(VALU_DEP_1)
	v_sub_f32_e32 v17, v15, v7
	v_sub_f32_e32 v18, v15, v17
	s_delay_alu instid0(VALU_DEP_1) | instskip(SKIP_1) | instid1(VALU_DEP_1)
	v_dual_sub_f32 v7, v7, v18 :: v_dual_sub_f32 v4, v4, v13
	v_sub_f32_e32 v13, v14, v17
	v_add_f32_e32 v7, v13, v7
	v_sub_f32_e32 v3, v3, v16
	s_delay_alu instid0(VALU_DEP_1) | instskip(NEXT) | instid1(VALU_DEP_1)
	v_add_f32_e32 v14, v3, v4
	v_sub_f32_e32 v13, v14, v3
	s_delay_alu instid0(VALU_DEP_1) | instskip(SKIP_1) | instid1(VALU_DEP_2)
	v_dual_add_f32 v7, v14, v7 :: v_dual_sub_f32 v4, v4, v13
	v_sub_f32_e32 v14, v14, v13
	v_add_f32_e32 v16, v15, v7
	s_delay_alu instid0(VALU_DEP_2) | instskip(NEXT) | instid1(VALU_DEP_2)
	v_sub_f32_e32 v3, v3, v14
	v_sub_f32_e32 v13, v16, v15
	s_delay_alu instid0(VALU_DEP_1) | instskip(NEXT) | instid1(VALU_DEP_1)
	v_dual_add_f32 v3, v4, v3 :: v_dual_sub_f32 v4, v7, v13
	v_add_f32_e32 v3, v3, v4
	s_delay_alu instid0(VALU_DEP_1) | instskip(SKIP_1) | instid1(VALU_DEP_1)
	v_add_f32_e32 v3, v16, v3
	s_wait_alu 0xfffd
	v_cndmask_b32_e32 v3, 0x7f800000, v3, vcc_lo
	v_cmp_gt_f32_e64 vcc_lo, 0x33800000, |v5|
	s_wait_alu 0xfffd
	s_delay_alu instid0(VALU_DEP_2) | instskip(NEXT) | instid1(VALU_DEP_1)
	v_cndmask_b32_e32 v3, v3, v5, vcc_lo
	v_add_f32_e32 v2, v2, v3
	s_delay_alu instid0(VALU_DEP_1) | instskip(NEXT) | instid1(VALU_DEP_1)
	v_cvt_f16_f32_e32 v14, v2
	v_cvt_f32_f16_e32 v7, v14
	v_mov_b32_e32 v25, v14
.LBB421_304:
	s_wait_alu 0xfffe
	s_or_b32 exec_lo, exec_lo, s1
	s_delay_alu instid0(VALU_DEP_2) | instskip(SKIP_1) | instid1(VALU_DEP_2)
	v_dual_max_num_f32 v2, v6, v6 :: v_dual_max_num_f32 v3, v7, v7
	v_cmp_u_f16_e32 vcc_lo, v14, v14
	v_dual_mov_b32 v27, v25 :: v_dual_min_num_f32 v4, v3, v2
	s_wait_alu 0xfffd
	s_delay_alu instid0(VALU_DEP_1) | instskip(NEXT) | instid1(VALU_DEP_1)
	v_dual_max_num_f32 v2, v3, v2 :: v_dual_cndmask_b32 v3, v4, v7
	v_cndmask_b32_e32 v2, v2, v7, vcc_lo
	s_delay_alu instid0(VALU_DEP_2) | instskip(NEXT) | instid1(VALU_DEP_2)
	v_cndmask_b32_e64 v3, v3, v6, s12
	v_cndmask_b32_e64 v2, v2, v6, s12
	s_delay_alu instid0(VALU_DEP_2) | instskip(NEXT) | instid1(VALU_DEP_2)
	v_cmp_class_f32_e64 s1, v3, 0x1f8
	v_cmp_neq_f32_e32 vcc_lo, v3, v2
	s_or_b32 s2, vcc_lo, s1
	s_wait_alu 0xfffe
	s_and_saveexec_b32 s1, s2
	s_cbranch_execz .LBB421_306
; %bb.305:
	v_sub_f32_e32 v3, v3, v2
	s_mov_b32 s2, 0x3e9b6dac
	s_delay_alu instid0(VALU_DEP_1) | instskip(NEXT) | instid1(VALU_DEP_1)
	v_mul_f32_e32 v4, 0x3fb8aa3b, v3
	v_fma_f32 v5, 0x3fb8aa3b, v3, -v4
	v_rndne_f32_e32 v6, v4
	s_delay_alu instid0(VALU_DEP_1) | instskip(NEXT) | instid1(VALU_DEP_1)
	v_dual_fmamk_f32 v5, v3, 0x32a5705f, v5 :: v_dual_sub_f32 v4, v4, v6
	v_add_f32_e32 v4, v4, v5
	v_cvt_i32_f32_e32 v5, v6
	v_cmp_ngt_f32_e32 vcc_lo, 0xc2ce8ed0, v3
	s_delay_alu instid0(VALU_DEP_3) | instskip(NEXT) | instid1(TRANS32_DEP_1)
	v_exp_f32_e32 v4, v4
	v_ldexp_f32 v4, v4, v5
	s_wait_alu 0xfffd
	s_delay_alu instid0(VALU_DEP_1) | instskip(SKIP_2) | instid1(VALU_DEP_2)
	v_cndmask_b32_e32 v4, 0, v4, vcc_lo
	v_cmp_nlt_f32_e32 vcc_lo, 0x42b17218, v3
	s_wait_alu 0xfffd
	v_cndmask_b32_e32 v5, 0x7f800000, v4, vcc_lo
	s_delay_alu instid0(VALU_DEP_1) | instskip(NEXT) | instid1(VALU_DEP_1)
	v_add_f32_e32 v6, 1.0, v5
	v_cvt_f64_f32_e32 v[3:4], v6
	s_delay_alu instid0(VALU_DEP_1) | instskip(SKIP_1) | instid1(VALU_DEP_1)
	v_frexp_exp_i32_f64_e32 v3, v[3:4]
	v_frexp_mant_f32_e32 v4, v6
	v_cmp_gt_f32_e32 vcc_lo, 0x3f2aaaab, v4
	v_add_f32_e32 v4, -1.0, v6
	s_delay_alu instid0(VALU_DEP_1) | instskip(NEXT) | instid1(VALU_DEP_1)
	v_dual_sub_f32 v13, v4, v6 :: v_dual_sub_f32 v4, v5, v4
	v_add_f32_e32 v13, 1.0, v13
	s_wait_alu 0xfffd
	v_subrev_co_ci_u32_e64 v3, null, 0, v3, vcc_lo
	v_cmp_neq_f32_e32 vcc_lo, 0x7f800000, v5
	s_delay_alu instid0(VALU_DEP_2) | instskip(SKIP_1) | instid1(VALU_DEP_2)
	v_sub_nc_u32_e32 v7, 0, v3
	v_cvt_f32_i32_e32 v3, v3
	v_ldexp_f32 v6, v6, v7
	v_add_f32_e32 v4, v4, v13
	s_delay_alu instid0(VALU_DEP_2) | instskip(NEXT) | instid1(VALU_DEP_2)
	v_add_f32_e32 v14, 1.0, v6
	v_ldexp_f32 v4, v4, v7
	v_add_f32_e32 v7, -1.0, v6
	s_delay_alu instid0(VALU_DEP_3) | instskip(NEXT) | instid1(VALU_DEP_2)
	v_add_f32_e32 v13, -1.0, v14
	v_add_f32_e32 v15, 1.0, v7
	s_delay_alu instid0(VALU_DEP_2) | instskip(NEXT) | instid1(VALU_DEP_1)
	v_sub_f32_e32 v13, v6, v13
	v_dual_sub_f32 v6, v6, v15 :: v_dual_add_f32 v13, v4, v13
	s_delay_alu instid0(VALU_DEP_1) | instskip(NEXT) | instid1(VALU_DEP_1)
	v_dual_add_f32 v4, v4, v6 :: v_dual_add_f32 v15, v14, v13
	v_rcp_f32_e32 v6, v15
	v_sub_f32_e32 v14, v14, v15
	s_delay_alu instid0(VALU_DEP_1) | instskip(NEXT) | instid1(VALU_DEP_1)
	v_dual_add_f32 v16, v7, v4 :: v_dual_add_f32 v13, v13, v14
	v_sub_f32_e32 v7, v7, v16
	s_delay_alu instid0(TRANS32_DEP_1) | instskip(NEXT) | instid1(VALU_DEP_2)
	v_mul_f32_e32 v17, v16, v6
	v_add_f32_e32 v4, v4, v7
	s_delay_alu instid0(VALU_DEP_2) | instskip(NEXT) | instid1(VALU_DEP_1)
	v_mul_f32_e32 v18, v15, v17
	v_fma_f32 v14, v17, v15, -v18
	s_delay_alu instid0(VALU_DEP_1) | instskip(NEXT) | instid1(VALU_DEP_1)
	v_fmac_f32_e32 v14, v17, v13
	v_add_f32_e32 v19, v18, v14
	s_delay_alu instid0(VALU_DEP_1) | instskip(NEXT) | instid1(VALU_DEP_1)
	v_dual_sub_f32 v7, v19, v18 :: v_dual_sub_f32 v26, v16, v19
	v_sub_f32_e32 v7, v7, v14
	s_delay_alu instid0(VALU_DEP_2) | instskip(NEXT) | instid1(VALU_DEP_1)
	v_sub_f32_e32 v16, v16, v26
	v_sub_f32_e32 v16, v16, v19
	s_delay_alu instid0(VALU_DEP_1) | instskip(NEXT) | instid1(VALU_DEP_1)
	v_add_f32_e32 v4, v4, v16
	v_add_f32_e32 v4, v7, v4
	s_delay_alu instid0(VALU_DEP_1) | instskip(NEXT) | instid1(VALU_DEP_1)
	v_add_f32_e32 v7, v26, v4
	v_mul_f32_e32 v14, v6, v7
	s_delay_alu instid0(VALU_DEP_1) | instskip(NEXT) | instid1(VALU_DEP_1)
	v_dual_sub_f32 v19, v26, v7 :: v_dual_mul_f32 v16, v15, v14
	v_add_f32_e32 v4, v4, v19
	s_delay_alu instid0(VALU_DEP_2) | instskip(NEXT) | instid1(VALU_DEP_1)
	v_fma_f32 v15, v14, v15, -v16
	v_fmac_f32_e32 v15, v14, v13
	s_delay_alu instid0(VALU_DEP_1) | instskip(NEXT) | instid1(VALU_DEP_1)
	v_add_f32_e32 v13, v16, v15
	v_sub_f32_e32 v16, v13, v16
	v_sub_f32_e32 v18, v7, v13
	s_delay_alu instid0(VALU_DEP_1) | instskip(NEXT) | instid1(VALU_DEP_1)
	v_sub_f32_e32 v7, v7, v18
	v_sub_f32_e32 v7, v7, v13
	s_delay_alu instid0(VALU_DEP_4) | instskip(NEXT) | instid1(VALU_DEP_2)
	v_sub_f32_e32 v13, v16, v15
	v_dual_add_f32 v4, v4, v7 :: v_dual_add_f32 v7, v17, v14
	s_delay_alu instid0(VALU_DEP_1) | instskip(NEXT) | instid1(VALU_DEP_1)
	v_dual_add_f32 v4, v13, v4 :: v_dual_sub_f32 v13, v7, v17
	v_add_f32_e32 v4, v18, v4
	s_delay_alu instid0(VALU_DEP_2) | instskip(NEXT) | instid1(VALU_DEP_2)
	v_sub_f32_e32 v13, v14, v13
	v_mul_f32_e32 v4, v6, v4
	s_delay_alu instid0(VALU_DEP_1) | instskip(NEXT) | instid1(VALU_DEP_1)
	v_add_f32_e32 v4, v13, v4
	v_add_f32_e32 v6, v7, v4
	s_delay_alu instid0(VALU_DEP_1) | instskip(SKIP_1) | instid1(VALU_DEP_1)
	v_mul_f32_e32 v13, v6, v6
	s_wait_alu 0xfffe
	v_fmaak_f32 v14, s2, v13, 0x3ecc95a3
	v_mul_f32_e32 v15, v6, v13
	s_delay_alu instid0(VALU_DEP_2) | instskip(SKIP_1) | instid1(VALU_DEP_2)
	v_fmaak_f32 v13, v13, v14, 0x3f2aaada
	v_ldexp_f32 v14, v6, 1
	v_dual_sub_f32 v6, v6, v7 :: v_dual_mul_f32 v13, v15, v13
	s_delay_alu instid0(VALU_DEP_1) | instskip(NEXT) | instid1(VALU_DEP_2)
	v_dual_mul_f32 v15, 0x3f317218, v3 :: v_dual_sub_f32 v4, v4, v6
	v_add_f32_e32 v7, v14, v13
	s_delay_alu instid0(VALU_DEP_2) | instskip(NEXT) | instid1(VALU_DEP_2)
	v_ldexp_f32 v4, v4, 1
	v_sub_f32_e32 v6, v7, v14
	s_delay_alu instid0(VALU_DEP_4) | instskip(NEXT) | instid1(VALU_DEP_1)
	v_fma_f32 v14, 0x3f317218, v3, -v15
	v_dual_sub_f32 v6, v13, v6 :: v_dual_fmamk_f32 v3, v3, 0xb102e308, v14
	s_delay_alu instid0(VALU_DEP_1) | instskip(NEXT) | instid1(VALU_DEP_2)
	v_add_f32_e32 v4, v4, v6
	v_add_f32_e32 v6, v15, v3
	s_delay_alu instid0(VALU_DEP_1) | instskip(NEXT) | instid1(VALU_DEP_3)
	v_sub_f32_e32 v15, v6, v15
	v_add_f32_e32 v13, v7, v4
	s_delay_alu instid0(VALU_DEP_1) | instskip(SKIP_1) | instid1(VALU_DEP_1)
	v_dual_sub_f32 v3, v3, v15 :: v_dual_add_f32 v14, v6, v13
	v_sub_f32_e32 v7, v13, v7
	v_sub_f32_e32 v4, v4, v7
	s_delay_alu instid0(VALU_DEP_3) | instskip(NEXT) | instid1(VALU_DEP_1)
	v_sub_f32_e32 v16, v14, v6
	v_sub_f32_e32 v7, v13, v16
	s_delay_alu instid0(VALU_DEP_3) | instskip(SKIP_1) | instid1(VALU_DEP_1)
	v_add_f32_e32 v13, v3, v4
	v_sub_f32_e32 v17, v14, v16
	v_sub_f32_e32 v6, v6, v17
	s_delay_alu instid0(VALU_DEP_1) | instskip(NEXT) | instid1(VALU_DEP_1)
	v_dual_add_f32 v6, v7, v6 :: v_dual_sub_f32 v7, v13, v3
	v_add_f32_e32 v6, v13, v6
	s_delay_alu instid0(VALU_DEP_2) | instskip(NEXT) | instid1(VALU_DEP_1)
	v_sub_f32_e32 v13, v13, v7
	v_sub_f32_e32 v3, v3, v13
	s_delay_alu instid0(VALU_DEP_3) | instskip(NEXT) | instid1(VALU_DEP_1)
	v_dual_add_f32 v15, v14, v6 :: v_dual_sub_f32 v4, v4, v7
	v_sub_f32_e32 v7, v15, v14
	s_delay_alu instid0(VALU_DEP_2) | instskip(NEXT) | instid1(VALU_DEP_2)
	v_add_f32_e32 v3, v4, v3
	v_sub_f32_e32 v4, v6, v7
	s_delay_alu instid0(VALU_DEP_1) | instskip(NEXT) | instid1(VALU_DEP_1)
	v_add_f32_e32 v3, v3, v4
	v_add_f32_e32 v3, v15, v3
	s_wait_alu 0xfffd
	s_delay_alu instid0(VALU_DEP_1) | instskip(SKIP_2) | instid1(VALU_DEP_2)
	v_cndmask_b32_e32 v3, 0x7f800000, v3, vcc_lo
	v_cmp_gt_f32_e64 vcc_lo, 0x33800000, |v5|
	s_wait_alu 0xfffd
	v_cndmask_b32_e32 v3, v3, v5, vcc_lo
	s_delay_alu instid0(VALU_DEP_1) | instskip(NEXT) | instid1(VALU_DEP_1)
	v_add_f32_e32 v2, v2, v3
	v_cvt_f16_f32_e32 v27, v2
.LBB421_306:
	s_wait_alu 0xfffe
	s_or_b32 exec_lo, exec_lo, s1
	s_delay_alu instid0(SALU_CYCLE_1)
	s_mov_b32 s1, exec_lo
	v_cmpx_eq_u32_e32 0xff, v0
	s_cbranch_execz .LBB421_308
; %bb.307:
	v_dual_mov_b32 v3, 0 :: v_dual_and_b32 v2, 0xffff, v27
	s_delay_alu instid0(VALU_DEP_1)
	v_or_b32_e32 v2, 0x20000, v2
	global_store_b32 v3, v2, s[28:29] offset:128 scope:SCOPE_DEV
.LBB421_308:
	s_wait_alu 0xfffe
	s_or_b32 exec_lo, exec_lo, s1
	v_mov_b32_e32 v7, v1
.LBB421_309:
	v_perm_b32 v2, v22, v10, 0x5040100
	v_perm_b32 v1, v21, v9, 0x5040100
	;; [unrolled: 1-line block ×3, first 2 shown]
	s_delay_alu instid0(VALU_DEP_4)
	v_perm_b32 v5, v30, v7, 0x5040100
	v_perm_b32 v4, v27, v25, 0x5040100
	;; [unrolled: 1-line block ×3, first 2 shown]
	s_add_nc_u64 s[2:3], s[40:41], s[30:31]
	s_and_b32 vcc_lo, exec_lo, s0
	s_wait_alu 0xfffe
	s_add_nc_u64 s[2:3], s[2:3], s[34:35]
	s_mov_b32 s0, -1
	s_wait_loadcnt 0x0
	s_wait_storecnt 0x0
	s_barrier_signal -1
	s_barrier_wait -1
	global_inv scope:SCOPE_SE
	s_cbranch_vccz .LBB421_311
; %bb.310:
	ds_store_2addr_b64 v12, v[5:6], v[1:2] offset1:1
	ds_store_b64 v12, v[3:4] offset:16
	s_wait_loadcnt_dscnt 0x0
	s_barrier_signal -1
	s_barrier_wait -1
	global_inv scope:SCOPE_SE
	ds_load_u16 v7, v11
	ds_load_u16 v8, v11 offset:512
	ds_load_u16 v9, v11 offset:1024
	;; [unrolled: 1-line block ×11, first 2 shown]
	s_mov_b32 s0, 0
	s_wait_dscnt 0xb
	global_store_b16 v11, v7, s[2:3]
	s_wait_dscnt 0xa
	global_store_b16 v11, v8, s[2:3] offset:512
	s_wait_dscnt 0x9
	global_store_b16 v11, v9, s[2:3] offset:1024
	;; [unrolled: 2-line block ×11, first 2 shown]
.LBB421_311:
	s_wait_alu 0xfffe
	s_and_not1_b32 vcc_lo, exec_lo, s0
	s_wait_alu 0xfffe
	s_cbranch_vccnz .LBB421_379
; %bb.312:
	ds_store_2addr_b64 v12, v[5:6], v[1:2] offset1:1
	ds_store_b64 v12, v[3:4] offset:16
	s_wait_storecnt 0x0
	s_wait_loadcnt_dscnt 0x0
	s_barrier_signal -1
	s_barrier_wait -1
	global_inv scope:SCOPE_SE
	ds_load_u16 v5, v11
	ds_load_u16 v4, v11 offset:512
	ds_load_u16 v6, v11 offset:1024
	;; [unrolled: 1-line block ×11, first 2 shown]
	v_add_co_u32 v2, s0, s2, v11
	v_mov_b32_e32 v1, 0
	s_wait_alu 0xf1ff
	v_add_co_ci_u32_e64 v3, null, s3, 0, s0
	s_mov_b32 s0, exec_lo
	v_cmpx_gt_u32_e64 s18, v0
	s_cbranch_execz .LBB421_314
; %bb.313:
	s_wait_dscnt 0xb
	global_store_b16 v[2:3], v5, off
.LBB421_314:
	s_wait_alu 0xfffe
	s_or_b32 exec_lo, exec_lo, s0
	v_or_b32_e32 v11, 0x100, v0
	s_mov_b32 s0, exec_lo
	s_delay_alu instid0(VALU_DEP_1)
	v_cmpx_gt_u32_e64 s18, v11
	s_cbranch_execz .LBB421_316
; %bb.315:
	s_wait_dscnt 0xa
	global_store_b16 v[2:3], v4, off offset:512
.LBB421_316:
	s_wait_alu 0xfffe
	s_or_b32 exec_lo, exec_lo, s0
	v_or_b32_e32 v11, 0x200, v0
	s_mov_b32 s0, exec_lo
	s_delay_alu instid0(VALU_DEP_1)
	v_cmpx_gt_u32_e64 s18, v11
	s_cbranch_execz .LBB421_318
; %bb.317:
	s_wait_dscnt 0x9
	global_store_b16 v[2:3], v6, off offset:1024
.LBB421_318:
	;; [unrolled: 11-line block ×11, first 2 shown]
	s_wait_alu 0xfffe
	s_or_b32 exec_lo, exec_lo, s0
	v_cmp_lt_u64_e64 s0, s[26:27], 2
	s_and_b32 vcc_lo, exec_lo, s0
	s_wait_alu 0xfffe
	s_cbranch_vccnz .LBB421_379
; %bb.337:
	s_add_nc_u64 s[0:1], s[18:19], -1
	s_mov_b32 s3, 0
	s_mov_b64 s[4:5], 0xaaaaaaab
	s_wait_alu 0xfffe
	s_mov_b32 s6, s0
	s_mov_b32 s7, s3
	;; [unrolled: 1-line block ×3, first 2 shown]
	s_wait_alu 0xfffe
	s_mul_u64 s[8:9], s[6:7], s[4:5]
	s_mul_u64 s[4:5], s[2:3], s[4:5]
	s_wait_alu 0xfffe
	s_mov_b32 s8, s9
	s_mov_b32 s9, s3
	s_mov_b64 s[10:11], 0xaaaaaaaa
	s_wait_alu 0xfffe
	s_add_nc_u64 s[4:5], s[4:5], s[8:9]
	s_mul_u64 s[6:7], s[6:7], s[10:11]
	s_wait_alu 0xfffe
	s_mov_b32 s8, s5
	s_mov_b32 s5, s3
	s_wait_alu 0xfffe
	s_add_nc_u64 s[4:5], s[6:7], s[4:5]
	s_mul_u64 s[6:7], s[2:3], s[10:11]
	s_wait_alu 0xfffe
	s_mov_b32 s4, s5
	s_mov_b32 s5, s3
	s_wait_alu 0xfffe
	s_add_nc_u64 s[2:3], s[8:9], s[4:5]
	s_wait_alu 0xfffe
	s_add_nc_u64 s[2:3], s[6:7], s[2:3]
	s_wait_alu 0xfffe
	s_lshr_b64 s[2:3], s[2:3], 3
	s_wait_alu 0xfffe
	v_cmp_eq_u64_e32 vcc_lo, s[2:3], v[0:1]
	s_and_saveexec_b32 s2, vcc_lo
	s_cbranch_execz .LBB421_379
; %bb.338:
	v_mul_u32_u24_e32 v1, 12, v0
	v_mul_hi_u32_u24_e32 v2, 12, v0
	s_delay_alu instid0(VALU_DEP_2) | instskip(SKIP_1) | instid1(VALU_DEP_2)
	v_sub_co_u32 v0, vcc_lo, s0, v1
	s_wait_alu 0xfffd
	v_sub_co_ci_u32_e64 v1, null, s1, v2, vcc_lo
	s_mov_b32 s0, exec_lo
	v_cmpx_lt_i64_e32 5, v[0:1]
	s_wait_alu 0xfffe
	s_xor_b32 s0, exec_lo, s0
	s_cbranch_execz .LBB421_360
; %bb.339:
	s_mov_b32 s1, exec_lo
	v_cmpx_lt_i64_e32 8, v[0:1]
	s_wait_alu 0xfffe
	s_xor_b32 s1, exec_lo, s1
	s_cbranch_execz .LBB421_349
; %bb.340:
	;; [unrolled: 6-line block ×4, first 2 shown]
	v_mov_b32_e32 v0, 0
                                        ; implicit-def: $vgpr14
	s_wait_dscnt 0x0
	global_store_b16 v0, v16, s[22:23]
.LBB421_343:
	s_wait_alu 0xfffe
	s_and_not1_saveexec_b32 s3, s3
	s_cbranch_execz .LBB421_345
; %bb.344:
	v_mov_b32_e32 v0, 0
	s_wait_dscnt 0x1
	global_store_b16 v0, v14, s[22:23]
.LBB421_345:
	s_wait_alu 0xfffe
	s_or_b32 exec_lo, exec_lo, s3
                                        ; implicit-def: $vgpr15
.LBB421_346:
	s_wait_alu 0xfffe
	s_and_not1_saveexec_b32 s2, s2
	s_cbranch_execz .LBB421_348
; %bb.347:
	v_mov_b32_e32 v0, 0
	s_wait_dscnt 0x2
	global_store_b16 v0, v15, s[22:23]
.LBB421_348:
	s_wait_alu 0xfffe
	s_or_b32 exec_lo, exec_lo, s2
                                        ; implicit-def: $vgpr12
                                        ; implicit-def: $vgpr0_vgpr1
                                        ; implicit-def: $vgpr9
                                        ; implicit-def: $vgpr13
.LBB421_349:
	s_wait_alu 0xfffe
	s_and_not1_saveexec_b32 s1, s1
	s_cbranch_execz .LBB421_359
; %bb.350:
	s_mov_b32 s2, exec_lo
	v_cmpx_lt_i64_e32 6, v[0:1]
	s_wait_alu 0xfffe
	s_xor_b32 s2, exec_lo, s2
	s_cbranch_execz .LBB421_356
; %bb.351:
	s_mov_b32 s3, exec_lo
	v_cmpx_lt_i64_e32 7, v[0:1]
	s_wait_alu 0xfffe
	s_xor_b32 s3, exec_lo, s3
	s_cbranch_execz .LBB421_353
; %bb.352:
	v_mov_b32_e32 v0, 0
                                        ; implicit-def: $vgpr9
	s_wait_dscnt 0x3
	global_store_b16 v0, v13, s[22:23]
.LBB421_353:
	s_wait_alu 0xfffe
	s_and_not1_saveexec_b32 s3, s3
	s_cbranch_execz .LBB421_355
; %bb.354:
	v_mov_b32_e32 v0, 0
	s_wait_dscnt 0x4
	global_store_b16 v0, v9, s[22:23]
.LBB421_355:
	s_wait_alu 0xfffe
	s_or_b32 exec_lo, exec_lo, s3
                                        ; implicit-def: $vgpr12
.LBB421_356:
	s_wait_alu 0xfffe
	s_and_not1_saveexec_b32 s2, s2
	s_cbranch_execz .LBB421_358
; %bb.357:
	v_mov_b32_e32 v0, 0
	s_wait_dscnt 0x5
	global_store_b16 v0, v12, s[22:23]
.LBB421_358:
	s_wait_alu 0xfffe
	s_or_b32 exec_lo, exec_lo, s2
.LBB421_359:
	s_wait_alu 0xfffe
	s_or_b32 exec_lo, exec_lo, s1
                                        ; implicit-def: $vgpr0_vgpr1
                                        ; implicit-def: $vgpr8
                                        ; implicit-def: $vgpr6
                                        ; implicit-def: $vgpr4
                                        ; implicit-def: $vgpr5
                                        ; implicit-def: $vgpr7
                                        ; implicit-def: $vgpr10
.LBB421_360:
	s_wait_alu 0xfffe
	s_and_not1_saveexec_b32 s0, s0
	s_cbranch_execz .LBB421_379
; %bb.361:
	s_mov_b32 s0, exec_lo
	v_cmpx_lt_i64_e32 2, v[0:1]
	s_wait_alu 0xfffe
	s_xor_b32 s0, exec_lo, s0
	s_cbranch_execz .LBB421_371
; %bb.362:
	s_mov_b32 s1, exec_lo
	v_cmpx_lt_i64_e32 3, v[0:1]
	s_wait_alu 0xfffe
	s_xor_b32 s1, exec_lo, s1
	;; [unrolled: 6-line block ×3, first 2 shown]
	s_cbranch_execz .LBB421_365
; %bb.364:
	v_mov_b32_e32 v0, 0
                                        ; implicit-def: $vgpr7
	s_wait_dscnt 0x6
	global_store_b16 v0, v10, s[22:23]
.LBB421_365:
	s_wait_alu 0xfffe
	s_and_not1_saveexec_b32 s2, s2
	s_cbranch_execz .LBB421_367
; %bb.366:
	v_mov_b32_e32 v0, 0
	s_wait_dscnt 0x7
	global_store_b16 v0, v7, s[22:23]
.LBB421_367:
	s_wait_alu 0xfffe
	s_or_b32 exec_lo, exec_lo, s2
                                        ; implicit-def: $vgpr8
.LBB421_368:
	s_wait_alu 0xfffe
	s_and_not1_saveexec_b32 s1, s1
	s_cbranch_execz .LBB421_370
; %bb.369:
	v_mov_b32_e32 v0, 0
	s_wait_dscnt 0x8
	global_store_b16 v0, v8, s[22:23]
.LBB421_370:
	s_wait_alu 0xfffe
	s_or_b32 exec_lo, exec_lo, s1
                                        ; implicit-def: $vgpr0_vgpr1
                                        ; implicit-def: $vgpr6
                                        ; implicit-def: $vgpr4
                                        ; implicit-def: $vgpr5
.LBB421_371:
	s_wait_alu 0xfffe
	s_and_not1_saveexec_b32 s0, s0
	s_cbranch_execz .LBB421_379
; %bb.372:
	s_mov_b32 s0, exec_lo
	v_cmpx_lt_i64_e32 1, v[0:1]
	s_wait_alu 0xfffe
	s_xor_b32 s0, exec_lo, s0
	s_cbranch_execz .LBB421_374
; %bb.373:
	v_mov_b32_e32 v0, 0
                                        ; implicit-def: $vgpr4
                                        ; implicit-def: $vgpr5
	s_wait_dscnt 0x9
	global_store_b16 v0, v6, s[22:23]
                                        ; implicit-def: $vgpr0_vgpr1
.LBB421_374:
	s_wait_alu 0xfffe
	s_and_not1_saveexec_b32 s0, s0
	s_cbranch_execz .LBB421_379
; %bb.375:
	s_mov_b32 s0, exec_lo
	v_cmpx_ne_u64_e32 1, v[0:1]
	s_wait_alu 0xfffe
	s_xor_b32 s0, exec_lo, s0
	s_cbranch_execz .LBB421_377
; %bb.376:
	v_mov_b32_e32 v0, 0
                                        ; implicit-def: $vgpr4
	s_wait_dscnt 0xb
	global_store_b16 v0, v5, s[22:23]
.LBB421_377:
	s_wait_alu 0xfffe
	s_and_not1_saveexec_b32 s0, s0
	s_cbranch_execz .LBB421_379
; %bb.378:
	v_mov_b32_e32 v0, 0
	s_wait_dscnt 0xa
	global_store_b16 v0, v4, s[22:23]
.LBB421_379:
	s_endpgm
	.section	.rodata,"a",@progbits
	.p2align	6, 0x0
	.amdhsa_kernel _ZN7rocprim17ROCPRIM_400000_NS6detail17trampoline_kernelINS0_14default_configENS1_20scan_config_selectorIN3c104HalfEEEZZNS1_9scan_implILNS1_25lookback_scan_determinismE0ELb0ELb0ES3_PKS6_PS6_S6_ZZZN2at6native31launch_logcumsumexp_cuda_kernelERKNSD_10TensorBaseESH_lENKUlvE_clEvENKUlvE3_clEvEUlS6_S6_E_S6_EEDaPvRmT3_T4_T5_mT6_P12ihipStream_tbENKUlT_T0_E_clISt17integral_constantIbLb0EESX_IbLb1EEEEDaST_SU_EUlST_E_NS1_11comp_targetILNS1_3genE10ELNS1_11target_archE1201ELNS1_3gpuE5ELNS1_3repE0EEENS1_30default_config_static_selectorELNS0_4arch9wavefront6targetE0EEEvT1_
		.amdhsa_group_segment_fixed_size 6144
		.amdhsa_private_segment_fixed_size 0
		.amdhsa_kernarg_size 96
		.amdhsa_user_sgpr_count 2
		.amdhsa_user_sgpr_dispatch_ptr 0
		.amdhsa_user_sgpr_queue_ptr 0
		.amdhsa_user_sgpr_kernarg_segment_ptr 1
		.amdhsa_user_sgpr_dispatch_id 0
		.amdhsa_user_sgpr_private_segment_size 0
		.amdhsa_wavefront_size32 1
		.amdhsa_uses_dynamic_stack 0
		.amdhsa_enable_private_segment 0
		.amdhsa_system_sgpr_workgroup_id_x 1
		.amdhsa_system_sgpr_workgroup_id_y 0
		.amdhsa_system_sgpr_workgroup_id_z 0
		.amdhsa_system_sgpr_workgroup_info 0
		.amdhsa_system_vgpr_workitem_id 0
		.amdhsa_next_free_vgpr 59
		.amdhsa_next_free_sgpr 44
		.amdhsa_reserve_vcc 1
		.amdhsa_float_round_mode_32 0
		.amdhsa_float_round_mode_16_64 0
		.amdhsa_float_denorm_mode_32 3
		.amdhsa_float_denorm_mode_16_64 3
		.amdhsa_fp16_overflow 0
		.amdhsa_workgroup_processor_mode 1
		.amdhsa_memory_ordered 1
		.amdhsa_forward_progress 1
		.amdhsa_inst_pref_size 255
		.amdhsa_round_robin_scheduling 0
		.amdhsa_exception_fp_ieee_invalid_op 0
		.amdhsa_exception_fp_denorm_src 0
		.amdhsa_exception_fp_ieee_div_zero 0
		.amdhsa_exception_fp_ieee_overflow 0
		.amdhsa_exception_fp_ieee_underflow 0
		.amdhsa_exception_fp_ieee_inexact 0
		.amdhsa_exception_int_div_zero 0
	.end_amdhsa_kernel
	.section	.text._ZN7rocprim17ROCPRIM_400000_NS6detail17trampoline_kernelINS0_14default_configENS1_20scan_config_selectorIN3c104HalfEEEZZNS1_9scan_implILNS1_25lookback_scan_determinismE0ELb0ELb0ES3_PKS6_PS6_S6_ZZZN2at6native31launch_logcumsumexp_cuda_kernelERKNSD_10TensorBaseESH_lENKUlvE_clEvENKUlvE3_clEvEUlS6_S6_E_S6_EEDaPvRmT3_T4_T5_mT6_P12ihipStream_tbENKUlT_T0_E_clISt17integral_constantIbLb0EESX_IbLb1EEEEDaST_SU_EUlST_E_NS1_11comp_targetILNS1_3genE10ELNS1_11target_archE1201ELNS1_3gpuE5ELNS1_3repE0EEENS1_30default_config_static_selectorELNS0_4arch9wavefront6targetE0EEEvT1_,"axG",@progbits,_ZN7rocprim17ROCPRIM_400000_NS6detail17trampoline_kernelINS0_14default_configENS1_20scan_config_selectorIN3c104HalfEEEZZNS1_9scan_implILNS1_25lookback_scan_determinismE0ELb0ELb0ES3_PKS6_PS6_S6_ZZZN2at6native31launch_logcumsumexp_cuda_kernelERKNSD_10TensorBaseESH_lENKUlvE_clEvENKUlvE3_clEvEUlS6_S6_E_S6_EEDaPvRmT3_T4_T5_mT6_P12ihipStream_tbENKUlT_T0_E_clISt17integral_constantIbLb0EESX_IbLb1EEEEDaST_SU_EUlST_E_NS1_11comp_targetILNS1_3genE10ELNS1_11target_archE1201ELNS1_3gpuE5ELNS1_3repE0EEENS1_30default_config_static_selectorELNS0_4arch9wavefront6targetE0EEEvT1_,comdat
.Lfunc_end421:
	.size	_ZN7rocprim17ROCPRIM_400000_NS6detail17trampoline_kernelINS0_14default_configENS1_20scan_config_selectorIN3c104HalfEEEZZNS1_9scan_implILNS1_25lookback_scan_determinismE0ELb0ELb0ES3_PKS6_PS6_S6_ZZZN2at6native31launch_logcumsumexp_cuda_kernelERKNSD_10TensorBaseESH_lENKUlvE_clEvENKUlvE3_clEvEUlS6_S6_E_S6_EEDaPvRmT3_T4_T5_mT6_P12ihipStream_tbENKUlT_T0_E_clISt17integral_constantIbLb0EESX_IbLb1EEEEDaST_SU_EUlST_E_NS1_11comp_targetILNS1_3genE10ELNS1_11target_archE1201ELNS1_3gpuE5ELNS1_3repE0EEENS1_30default_config_static_selectorELNS0_4arch9wavefront6targetE0EEEvT1_, .Lfunc_end421-_ZN7rocprim17ROCPRIM_400000_NS6detail17trampoline_kernelINS0_14default_configENS1_20scan_config_selectorIN3c104HalfEEEZZNS1_9scan_implILNS1_25lookback_scan_determinismE0ELb0ELb0ES3_PKS6_PS6_S6_ZZZN2at6native31launch_logcumsumexp_cuda_kernelERKNSD_10TensorBaseESH_lENKUlvE_clEvENKUlvE3_clEvEUlS6_S6_E_S6_EEDaPvRmT3_T4_T5_mT6_P12ihipStream_tbENKUlT_T0_E_clISt17integral_constantIbLb0EESX_IbLb1EEEEDaST_SU_EUlST_E_NS1_11comp_targetILNS1_3genE10ELNS1_11target_archE1201ELNS1_3gpuE5ELNS1_3repE0EEENS1_30default_config_static_selectorELNS0_4arch9wavefront6targetE0EEEvT1_
                                        ; -- End function
	.set _ZN7rocprim17ROCPRIM_400000_NS6detail17trampoline_kernelINS0_14default_configENS1_20scan_config_selectorIN3c104HalfEEEZZNS1_9scan_implILNS1_25lookback_scan_determinismE0ELb0ELb0ES3_PKS6_PS6_S6_ZZZN2at6native31launch_logcumsumexp_cuda_kernelERKNSD_10TensorBaseESH_lENKUlvE_clEvENKUlvE3_clEvEUlS6_S6_E_S6_EEDaPvRmT3_T4_T5_mT6_P12ihipStream_tbENKUlT_T0_E_clISt17integral_constantIbLb0EESX_IbLb1EEEEDaST_SU_EUlST_E_NS1_11comp_targetILNS1_3genE10ELNS1_11target_archE1201ELNS1_3gpuE5ELNS1_3repE0EEENS1_30default_config_static_selectorELNS0_4arch9wavefront6targetE0EEEvT1_.num_vgpr, 59
	.set _ZN7rocprim17ROCPRIM_400000_NS6detail17trampoline_kernelINS0_14default_configENS1_20scan_config_selectorIN3c104HalfEEEZZNS1_9scan_implILNS1_25lookback_scan_determinismE0ELb0ELb0ES3_PKS6_PS6_S6_ZZZN2at6native31launch_logcumsumexp_cuda_kernelERKNSD_10TensorBaseESH_lENKUlvE_clEvENKUlvE3_clEvEUlS6_S6_E_S6_EEDaPvRmT3_T4_T5_mT6_P12ihipStream_tbENKUlT_T0_E_clISt17integral_constantIbLb0EESX_IbLb1EEEEDaST_SU_EUlST_E_NS1_11comp_targetILNS1_3genE10ELNS1_11target_archE1201ELNS1_3gpuE5ELNS1_3repE0EEENS1_30default_config_static_selectorELNS0_4arch9wavefront6targetE0EEEvT1_.num_agpr, 0
	.set _ZN7rocprim17ROCPRIM_400000_NS6detail17trampoline_kernelINS0_14default_configENS1_20scan_config_selectorIN3c104HalfEEEZZNS1_9scan_implILNS1_25lookback_scan_determinismE0ELb0ELb0ES3_PKS6_PS6_S6_ZZZN2at6native31launch_logcumsumexp_cuda_kernelERKNSD_10TensorBaseESH_lENKUlvE_clEvENKUlvE3_clEvEUlS6_S6_E_S6_EEDaPvRmT3_T4_T5_mT6_P12ihipStream_tbENKUlT_T0_E_clISt17integral_constantIbLb0EESX_IbLb1EEEEDaST_SU_EUlST_E_NS1_11comp_targetILNS1_3genE10ELNS1_11target_archE1201ELNS1_3gpuE5ELNS1_3repE0EEENS1_30default_config_static_selectorELNS0_4arch9wavefront6targetE0EEEvT1_.numbered_sgpr, 44
	.set _ZN7rocprim17ROCPRIM_400000_NS6detail17trampoline_kernelINS0_14default_configENS1_20scan_config_selectorIN3c104HalfEEEZZNS1_9scan_implILNS1_25lookback_scan_determinismE0ELb0ELb0ES3_PKS6_PS6_S6_ZZZN2at6native31launch_logcumsumexp_cuda_kernelERKNSD_10TensorBaseESH_lENKUlvE_clEvENKUlvE3_clEvEUlS6_S6_E_S6_EEDaPvRmT3_T4_T5_mT6_P12ihipStream_tbENKUlT_T0_E_clISt17integral_constantIbLb0EESX_IbLb1EEEEDaST_SU_EUlST_E_NS1_11comp_targetILNS1_3genE10ELNS1_11target_archE1201ELNS1_3gpuE5ELNS1_3repE0EEENS1_30default_config_static_selectorELNS0_4arch9wavefront6targetE0EEEvT1_.num_named_barrier, 0
	.set _ZN7rocprim17ROCPRIM_400000_NS6detail17trampoline_kernelINS0_14default_configENS1_20scan_config_selectorIN3c104HalfEEEZZNS1_9scan_implILNS1_25lookback_scan_determinismE0ELb0ELb0ES3_PKS6_PS6_S6_ZZZN2at6native31launch_logcumsumexp_cuda_kernelERKNSD_10TensorBaseESH_lENKUlvE_clEvENKUlvE3_clEvEUlS6_S6_E_S6_EEDaPvRmT3_T4_T5_mT6_P12ihipStream_tbENKUlT_T0_E_clISt17integral_constantIbLb0EESX_IbLb1EEEEDaST_SU_EUlST_E_NS1_11comp_targetILNS1_3genE10ELNS1_11target_archE1201ELNS1_3gpuE5ELNS1_3repE0EEENS1_30default_config_static_selectorELNS0_4arch9wavefront6targetE0EEEvT1_.private_seg_size, 0
	.set _ZN7rocprim17ROCPRIM_400000_NS6detail17trampoline_kernelINS0_14default_configENS1_20scan_config_selectorIN3c104HalfEEEZZNS1_9scan_implILNS1_25lookback_scan_determinismE0ELb0ELb0ES3_PKS6_PS6_S6_ZZZN2at6native31launch_logcumsumexp_cuda_kernelERKNSD_10TensorBaseESH_lENKUlvE_clEvENKUlvE3_clEvEUlS6_S6_E_S6_EEDaPvRmT3_T4_T5_mT6_P12ihipStream_tbENKUlT_T0_E_clISt17integral_constantIbLb0EESX_IbLb1EEEEDaST_SU_EUlST_E_NS1_11comp_targetILNS1_3genE10ELNS1_11target_archE1201ELNS1_3gpuE5ELNS1_3repE0EEENS1_30default_config_static_selectorELNS0_4arch9wavefront6targetE0EEEvT1_.uses_vcc, 1
	.set _ZN7rocprim17ROCPRIM_400000_NS6detail17trampoline_kernelINS0_14default_configENS1_20scan_config_selectorIN3c104HalfEEEZZNS1_9scan_implILNS1_25lookback_scan_determinismE0ELb0ELb0ES3_PKS6_PS6_S6_ZZZN2at6native31launch_logcumsumexp_cuda_kernelERKNSD_10TensorBaseESH_lENKUlvE_clEvENKUlvE3_clEvEUlS6_S6_E_S6_EEDaPvRmT3_T4_T5_mT6_P12ihipStream_tbENKUlT_T0_E_clISt17integral_constantIbLb0EESX_IbLb1EEEEDaST_SU_EUlST_E_NS1_11comp_targetILNS1_3genE10ELNS1_11target_archE1201ELNS1_3gpuE5ELNS1_3repE0EEENS1_30default_config_static_selectorELNS0_4arch9wavefront6targetE0EEEvT1_.uses_flat_scratch, 0
	.set _ZN7rocprim17ROCPRIM_400000_NS6detail17trampoline_kernelINS0_14default_configENS1_20scan_config_selectorIN3c104HalfEEEZZNS1_9scan_implILNS1_25lookback_scan_determinismE0ELb0ELb0ES3_PKS6_PS6_S6_ZZZN2at6native31launch_logcumsumexp_cuda_kernelERKNSD_10TensorBaseESH_lENKUlvE_clEvENKUlvE3_clEvEUlS6_S6_E_S6_EEDaPvRmT3_T4_T5_mT6_P12ihipStream_tbENKUlT_T0_E_clISt17integral_constantIbLb0EESX_IbLb1EEEEDaST_SU_EUlST_E_NS1_11comp_targetILNS1_3genE10ELNS1_11target_archE1201ELNS1_3gpuE5ELNS1_3repE0EEENS1_30default_config_static_selectorELNS0_4arch9wavefront6targetE0EEEvT1_.has_dyn_sized_stack, 0
	.set _ZN7rocprim17ROCPRIM_400000_NS6detail17trampoline_kernelINS0_14default_configENS1_20scan_config_selectorIN3c104HalfEEEZZNS1_9scan_implILNS1_25lookback_scan_determinismE0ELb0ELb0ES3_PKS6_PS6_S6_ZZZN2at6native31launch_logcumsumexp_cuda_kernelERKNSD_10TensorBaseESH_lENKUlvE_clEvENKUlvE3_clEvEUlS6_S6_E_S6_EEDaPvRmT3_T4_T5_mT6_P12ihipStream_tbENKUlT_T0_E_clISt17integral_constantIbLb0EESX_IbLb1EEEEDaST_SU_EUlST_E_NS1_11comp_targetILNS1_3genE10ELNS1_11target_archE1201ELNS1_3gpuE5ELNS1_3repE0EEENS1_30default_config_static_selectorELNS0_4arch9wavefront6targetE0EEEvT1_.has_recursion, 0
	.set _ZN7rocprim17ROCPRIM_400000_NS6detail17trampoline_kernelINS0_14default_configENS1_20scan_config_selectorIN3c104HalfEEEZZNS1_9scan_implILNS1_25lookback_scan_determinismE0ELb0ELb0ES3_PKS6_PS6_S6_ZZZN2at6native31launch_logcumsumexp_cuda_kernelERKNSD_10TensorBaseESH_lENKUlvE_clEvENKUlvE3_clEvEUlS6_S6_E_S6_EEDaPvRmT3_T4_T5_mT6_P12ihipStream_tbENKUlT_T0_E_clISt17integral_constantIbLb0EESX_IbLb1EEEEDaST_SU_EUlST_E_NS1_11comp_targetILNS1_3genE10ELNS1_11target_archE1201ELNS1_3gpuE5ELNS1_3repE0EEENS1_30default_config_static_selectorELNS0_4arch9wavefront6targetE0EEEvT1_.has_indirect_call, 0
	.section	.AMDGPU.csdata,"",@progbits
; Kernel info:
; codeLenInByte = 101848
; TotalNumSgprs: 46
; NumVgprs: 59
; ScratchSize: 0
; MemoryBound: 0
; FloatMode: 240
; IeeeMode: 1
; LDSByteSize: 6144 bytes/workgroup (compile time only)
; SGPRBlocks: 0
; VGPRBlocks: 7
; NumSGPRsForWavesPerEU: 46
; NumVGPRsForWavesPerEU: 59
; Occupancy: 16
; WaveLimiterHint : 1
; COMPUTE_PGM_RSRC2:SCRATCH_EN: 0
; COMPUTE_PGM_RSRC2:USER_SGPR: 2
; COMPUTE_PGM_RSRC2:TRAP_HANDLER: 0
; COMPUTE_PGM_RSRC2:TGID_X_EN: 1
; COMPUTE_PGM_RSRC2:TGID_Y_EN: 0
; COMPUTE_PGM_RSRC2:TGID_Z_EN: 0
; COMPUTE_PGM_RSRC2:TIDIG_COMP_CNT: 0
	.section	.text._ZN7rocprim17ROCPRIM_400000_NS6detail17trampoline_kernelINS0_14default_configENS1_20scan_config_selectorIN3c104HalfEEEZZNS1_9scan_implILNS1_25lookback_scan_determinismE0ELb0ELb0ES3_PKS6_PS6_S6_ZZZN2at6native31launch_logcumsumexp_cuda_kernelERKNSD_10TensorBaseESH_lENKUlvE_clEvENKUlvE3_clEvEUlS6_S6_E_S6_EEDaPvRmT3_T4_T5_mT6_P12ihipStream_tbENKUlT_T0_E_clISt17integral_constantIbLb0EESX_IbLb1EEEEDaST_SU_EUlST_E_NS1_11comp_targetILNS1_3genE10ELNS1_11target_archE1200ELNS1_3gpuE4ELNS1_3repE0EEENS1_30default_config_static_selectorELNS0_4arch9wavefront6targetE0EEEvT1_,"axG",@progbits,_ZN7rocprim17ROCPRIM_400000_NS6detail17trampoline_kernelINS0_14default_configENS1_20scan_config_selectorIN3c104HalfEEEZZNS1_9scan_implILNS1_25lookback_scan_determinismE0ELb0ELb0ES3_PKS6_PS6_S6_ZZZN2at6native31launch_logcumsumexp_cuda_kernelERKNSD_10TensorBaseESH_lENKUlvE_clEvENKUlvE3_clEvEUlS6_S6_E_S6_EEDaPvRmT3_T4_T5_mT6_P12ihipStream_tbENKUlT_T0_E_clISt17integral_constantIbLb0EESX_IbLb1EEEEDaST_SU_EUlST_E_NS1_11comp_targetILNS1_3genE10ELNS1_11target_archE1200ELNS1_3gpuE4ELNS1_3repE0EEENS1_30default_config_static_selectorELNS0_4arch9wavefront6targetE0EEEvT1_,comdat
	.globl	_ZN7rocprim17ROCPRIM_400000_NS6detail17trampoline_kernelINS0_14default_configENS1_20scan_config_selectorIN3c104HalfEEEZZNS1_9scan_implILNS1_25lookback_scan_determinismE0ELb0ELb0ES3_PKS6_PS6_S6_ZZZN2at6native31launch_logcumsumexp_cuda_kernelERKNSD_10TensorBaseESH_lENKUlvE_clEvENKUlvE3_clEvEUlS6_S6_E_S6_EEDaPvRmT3_T4_T5_mT6_P12ihipStream_tbENKUlT_T0_E_clISt17integral_constantIbLb0EESX_IbLb1EEEEDaST_SU_EUlST_E_NS1_11comp_targetILNS1_3genE10ELNS1_11target_archE1200ELNS1_3gpuE4ELNS1_3repE0EEENS1_30default_config_static_selectorELNS0_4arch9wavefront6targetE0EEEvT1_ ; -- Begin function _ZN7rocprim17ROCPRIM_400000_NS6detail17trampoline_kernelINS0_14default_configENS1_20scan_config_selectorIN3c104HalfEEEZZNS1_9scan_implILNS1_25lookback_scan_determinismE0ELb0ELb0ES3_PKS6_PS6_S6_ZZZN2at6native31launch_logcumsumexp_cuda_kernelERKNSD_10TensorBaseESH_lENKUlvE_clEvENKUlvE3_clEvEUlS6_S6_E_S6_EEDaPvRmT3_T4_T5_mT6_P12ihipStream_tbENKUlT_T0_E_clISt17integral_constantIbLb0EESX_IbLb1EEEEDaST_SU_EUlST_E_NS1_11comp_targetILNS1_3genE10ELNS1_11target_archE1200ELNS1_3gpuE4ELNS1_3repE0EEENS1_30default_config_static_selectorELNS0_4arch9wavefront6targetE0EEEvT1_
	.p2align	8
	.type	_ZN7rocprim17ROCPRIM_400000_NS6detail17trampoline_kernelINS0_14default_configENS1_20scan_config_selectorIN3c104HalfEEEZZNS1_9scan_implILNS1_25lookback_scan_determinismE0ELb0ELb0ES3_PKS6_PS6_S6_ZZZN2at6native31launch_logcumsumexp_cuda_kernelERKNSD_10TensorBaseESH_lENKUlvE_clEvENKUlvE3_clEvEUlS6_S6_E_S6_EEDaPvRmT3_T4_T5_mT6_P12ihipStream_tbENKUlT_T0_E_clISt17integral_constantIbLb0EESX_IbLb1EEEEDaST_SU_EUlST_E_NS1_11comp_targetILNS1_3genE10ELNS1_11target_archE1200ELNS1_3gpuE4ELNS1_3repE0EEENS1_30default_config_static_selectorELNS0_4arch9wavefront6targetE0EEEvT1_,@function
_ZN7rocprim17ROCPRIM_400000_NS6detail17trampoline_kernelINS0_14default_configENS1_20scan_config_selectorIN3c104HalfEEEZZNS1_9scan_implILNS1_25lookback_scan_determinismE0ELb0ELb0ES3_PKS6_PS6_S6_ZZZN2at6native31launch_logcumsumexp_cuda_kernelERKNSD_10TensorBaseESH_lENKUlvE_clEvENKUlvE3_clEvEUlS6_S6_E_S6_EEDaPvRmT3_T4_T5_mT6_P12ihipStream_tbENKUlT_T0_E_clISt17integral_constantIbLb0EESX_IbLb1EEEEDaST_SU_EUlST_E_NS1_11comp_targetILNS1_3genE10ELNS1_11target_archE1200ELNS1_3gpuE4ELNS1_3repE0EEENS1_30default_config_static_selectorELNS0_4arch9wavefront6targetE0EEEvT1_: ; @_ZN7rocprim17ROCPRIM_400000_NS6detail17trampoline_kernelINS0_14default_configENS1_20scan_config_selectorIN3c104HalfEEEZZNS1_9scan_implILNS1_25lookback_scan_determinismE0ELb0ELb0ES3_PKS6_PS6_S6_ZZZN2at6native31launch_logcumsumexp_cuda_kernelERKNSD_10TensorBaseESH_lENKUlvE_clEvENKUlvE3_clEvEUlS6_S6_E_S6_EEDaPvRmT3_T4_T5_mT6_P12ihipStream_tbENKUlT_T0_E_clISt17integral_constantIbLb0EESX_IbLb1EEEEDaST_SU_EUlST_E_NS1_11comp_targetILNS1_3genE10ELNS1_11target_archE1200ELNS1_3gpuE4ELNS1_3repE0EEENS1_30default_config_static_selectorELNS0_4arch9wavefront6targetE0EEEvT1_
; %bb.0:
	.section	.rodata,"a",@progbits
	.p2align	6, 0x0
	.amdhsa_kernel _ZN7rocprim17ROCPRIM_400000_NS6detail17trampoline_kernelINS0_14default_configENS1_20scan_config_selectorIN3c104HalfEEEZZNS1_9scan_implILNS1_25lookback_scan_determinismE0ELb0ELb0ES3_PKS6_PS6_S6_ZZZN2at6native31launch_logcumsumexp_cuda_kernelERKNSD_10TensorBaseESH_lENKUlvE_clEvENKUlvE3_clEvEUlS6_S6_E_S6_EEDaPvRmT3_T4_T5_mT6_P12ihipStream_tbENKUlT_T0_E_clISt17integral_constantIbLb0EESX_IbLb1EEEEDaST_SU_EUlST_E_NS1_11comp_targetILNS1_3genE10ELNS1_11target_archE1200ELNS1_3gpuE4ELNS1_3repE0EEENS1_30default_config_static_selectorELNS0_4arch9wavefront6targetE0EEEvT1_
		.amdhsa_group_segment_fixed_size 0
		.amdhsa_private_segment_fixed_size 0
		.amdhsa_kernarg_size 96
		.amdhsa_user_sgpr_count 2
		.amdhsa_user_sgpr_dispatch_ptr 0
		.amdhsa_user_sgpr_queue_ptr 0
		.amdhsa_user_sgpr_kernarg_segment_ptr 1
		.amdhsa_user_sgpr_dispatch_id 0
		.amdhsa_user_sgpr_private_segment_size 0
		.amdhsa_wavefront_size32 1
		.amdhsa_uses_dynamic_stack 0
		.amdhsa_enable_private_segment 0
		.amdhsa_system_sgpr_workgroup_id_x 1
		.amdhsa_system_sgpr_workgroup_id_y 0
		.amdhsa_system_sgpr_workgroup_id_z 0
		.amdhsa_system_sgpr_workgroup_info 0
		.amdhsa_system_vgpr_workitem_id 0
		.amdhsa_next_free_vgpr 1
		.amdhsa_next_free_sgpr 1
		.amdhsa_reserve_vcc 0
		.amdhsa_float_round_mode_32 0
		.amdhsa_float_round_mode_16_64 0
		.amdhsa_float_denorm_mode_32 3
		.amdhsa_float_denorm_mode_16_64 3
		.amdhsa_fp16_overflow 0
		.amdhsa_workgroup_processor_mode 1
		.amdhsa_memory_ordered 1
		.amdhsa_forward_progress 1
		.amdhsa_inst_pref_size 0
		.amdhsa_round_robin_scheduling 0
		.amdhsa_exception_fp_ieee_invalid_op 0
		.amdhsa_exception_fp_denorm_src 0
		.amdhsa_exception_fp_ieee_div_zero 0
		.amdhsa_exception_fp_ieee_overflow 0
		.amdhsa_exception_fp_ieee_underflow 0
		.amdhsa_exception_fp_ieee_inexact 0
		.amdhsa_exception_int_div_zero 0
	.end_amdhsa_kernel
	.section	.text._ZN7rocprim17ROCPRIM_400000_NS6detail17trampoline_kernelINS0_14default_configENS1_20scan_config_selectorIN3c104HalfEEEZZNS1_9scan_implILNS1_25lookback_scan_determinismE0ELb0ELb0ES3_PKS6_PS6_S6_ZZZN2at6native31launch_logcumsumexp_cuda_kernelERKNSD_10TensorBaseESH_lENKUlvE_clEvENKUlvE3_clEvEUlS6_S6_E_S6_EEDaPvRmT3_T4_T5_mT6_P12ihipStream_tbENKUlT_T0_E_clISt17integral_constantIbLb0EESX_IbLb1EEEEDaST_SU_EUlST_E_NS1_11comp_targetILNS1_3genE10ELNS1_11target_archE1200ELNS1_3gpuE4ELNS1_3repE0EEENS1_30default_config_static_selectorELNS0_4arch9wavefront6targetE0EEEvT1_,"axG",@progbits,_ZN7rocprim17ROCPRIM_400000_NS6detail17trampoline_kernelINS0_14default_configENS1_20scan_config_selectorIN3c104HalfEEEZZNS1_9scan_implILNS1_25lookback_scan_determinismE0ELb0ELb0ES3_PKS6_PS6_S6_ZZZN2at6native31launch_logcumsumexp_cuda_kernelERKNSD_10TensorBaseESH_lENKUlvE_clEvENKUlvE3_clEvEUlS6_S6_E_S6_EEDaPvRmT3_T4_T5_mT6_P12ihipStream_tbENKUlT_T0_E_clISt17integral_constantIbLb0EESX_IbLb1EEEEDaST_SU_EUlST_E_NS1_11comp_targetILNS1_3genE10ELNS1_11target_archE1200ELNS1_3gpuE4ELNS1_3repE0EEENS1_30default_config_static_selectorELNS0_4arch9wavefront6targetE0EEEvT1_,comdat
.Lfunc_end422:
	.size	_ZN7rocprim17ROCPRIM_400000_NS6detail17trampoline_kernelINS0_14default_configENS1_20scan_config_selectorIN3c104HalfEEEZZNS1_9scan_implILNS1_25lookback_scan_determinismE0ELb0ELb0ES3_PKS6_PS6_S6_ZZZN2at6native31launch_logcumsumexp_cuda_kernelERKNSD_10TensorBaseESH_lENKUlvE_clEvENKUlvE3_clEvEUlS6_S6_E_S6_EEDaPvRmT3_T4_T5_mT6_P12ihipStream_tbENKUlT_T0_E_clISt17integral_constantIbLb0EESX_IbLb1EEEEDaST_SU_EUlST_E_NS1_11comp_targetILNS1_3genE10ELNS1_11target_archE1200ELNS1_3gpuE4ELNS1_3repE0EEENS1_30default_config_static_selectorELNS0_4arch9wavefront6targetE0EEEvT1_, .Lfunc_end422-_ZN7rocprim17ROCPRIM_400000_NS6detail17trampoline_kernelINS0_14default_configENS1_20scan_config_selectorIN3c104HalfEEEZZNS1_9scan_implILNS1_25lookback_scan_determinismE0ELb0ELb0ES3_PKS6_PS6_S6_ZZZN2at6native31launch_logcumsumexp_cuda_kernelERKNSD_10TensorBaseESH_lENKUlvE_clEvENKUlvE3_clEvEUlS6_S6_E_S6_EEDaPvRmT3_T4_T5_mT6_P12ihipStream_tbENKUlT_T0_E_clISt17integral_constantIbLb0EESX_IbLb1EEEEDaST_SU_EUlST_E_NS1_11comp_targetILNS1_3genE10ELNS1_11target_archE1200ELNS1_3gpuE4ELNS1_3repE0EEENS1_30default_config_static_selectorELNS0_4arch9wavefront6targetE0EEEvT1_
                                        ; -- End function
	.set _ZN7rocprim17ROCPRIM_400000_NS6detail17trampoline_kernelINS0_14default_configENS1_20scan_config_selectorIN3c104HalfEEEZZNS1_9scan_implILNS1_25lookback_scan_determinismE0ELb0ELb0ES3_PKS6_PS6_S6_ZZZN2at6native31launch_logcumsumexp_cuda_kernelERKNSD_10TensorBaseESH_lENKUlvE_clEvENKUlvE3_clEvEUlS6_S6_E_S6_EEDaPvRmT3_T4_T5_mT6_P12ihipStream_tbENKUlT_T0_E_clISt17integral_constantIbLb0EESX_IbLb1EEEEDaST_SU_EUlST_E_NS1_11comp_targetILNS1_3genE10ELNS1_11target_archE1200ELNS1_3gpuE4ELNS1_3repE0EEENS1_30default_config_static_selectorELNS0_4arch9wavefront6targetE0EEEvT1_.num_vgpr, 0
	.set _ZN7rocprim17ROCPRIM_400000_NS6detail17trampoline_kernelINS0_14default_configENS1_20scan_config_selectorIN3c104HalfEEEZZNS1_9scan_implILNS1_25lookback_scan_determinismE0ELb0ELb0ES3_PKS6_PS6_S6_ZZZN2at6native31launch_logcumsumexp_cuda_kernelERKNSD_10TensorBaseESH_lENKUlvE_clEvENKUlvE3_clEvEUlS6_S6_E_S6_EEDaPvRmT3_T4_T5_mT6_P12ihipStream_tbENKUlT_T0_E_clISt17integral_constantIbLb0EESX_IbLb1EEEEDaST_SU_EUlST_E_NS1_11comp_targetILNS1_3genE10ELNS1_11target_archE1200ELNS1_3gpuE4ELNS1_3repE0EEENS1_30default_config_static_selectorELNS0_4arch9wavefront6targetE0EEEvT1_.num_agpr, 0
	.set _ZN7rocprim17ROCPRIM_400000_NS6detail17trampoline_kernelINS0_14default_configENS1_20scan_config_selectorIN3c104HalfEEEZZNS1_9scan_implILNS1_25lookback_scan_determinismE0ELb0ELb0ES3_PKS6_PS6_S6_ZZZN2at6native31launch_logcumsumexp_cuda_kernelERKNSD_10TensorBaseESH_lENKUlvE_clEvENKUlvE3_clEvEUlS6_S6_E_S6_EEDaPvRmT3_T4_T5_mT6_P12ihipStream_tbENKUlT_T0_E_clISt17integral_constantIbLb0EESX_IbLb1EEEEDaST_SU_EUlST_E_NS1_11comp_targetILNS1_3genE10ELNS1_11target_archE1200ELNS1_3gpuE4ELNS1_3repE0EEENS1_30default_config_static_selectorELNS0_4arch9wavefront6targetE0EEEvT1_.numbered_sgpr, 0
	.set _ZN7rocprim17ROCPRIM_400000_NS6detail17trampoline_kernelINS0_14default_configENS1_20scan_config_selectorIN3c104HalfEEEZZNS1_9scan_implILNS1_25lookback_scan_determinismE0ELb0ELb0ES3_PKS6_PS6_S6_ZZZN2at6native31launch_logcumsumexp_cuda_kernelERKNSD_10TensorBaseESH_lENKUlvE_clEvENKUlvE3_clEvEUlS6_S6_E_S6_EEDaPvRmT3_T4_T5_mT6_P12ihipStream_tbENKUlT_T0_E_clISt17integral_constantIbLb0EESX_IbLb1EEEEDaST_SU_EUlST_E_NS1_11comp_targetILNS1_3genE10ELNS1_11target_archE1200ELNS1_3gpuE4ELNS1_3repE0EEENS1_30default_config_static_selectorELNS0_4arch9wavefront6targetE0EEEvT1_.num_named_barrier, 0
	.set _ZN7rocprim17ROCPRIM_400000_NS6detail17trampoline_kernelINS0_14default_configENS1_20scan_config_selectorIN3c104HalfEEEZZNS1_9scan_implILNS1_25lookback_scan_determinismE0ELb0ELb0ES3_PKS6_PS6_S6_ZZZN2at6native31launch_logcumsumexp_cuda_kernelERKNSD_10TensorBaseESH_lENKUlvE_clEvENKUlvE3_clEvEUlS6_S6_E_S6_EEDaPvRmT3_T4_T5_mT6_P12ihipStream_tbENKUlT_T0_E_clISt17integral_constantIbLb0EESX_IbLb1EEEEDaST_SU_EUlST_E_NS1_11comp_targetILNS1_3genE10ELNS1_11target_archE1200ELNS1_3gpuE4ELNS1_3repE0EEENS1_30default_config_static_selectorELNS0_4arch9wavefront6targetE0EEEvT1_.private_seg_size, 0
	.set _ZN7rocprim17ROCPRIM_400000_NS6detail17trampoline_kernelINS0_14default_configENS1_20scan_config_selectorIN3c104HalfEEEZZNS1_9scan_implILNS1_25lookback_scan_determinismE0ELb0ELb0ES3_PKS6_PS6_S6_ZZZN2at6native31launch_logcumsumexp_cuda_kernelERKNSD_10TensorBaseESH_lENKUlvE_clEvENKUlvE3_clEvEUlS6_S6_E_S6_EEDaPvRmT3_T4_T5_mT6_P12ihipStream_tbENKUlT_T0_E_clISt17integral_constantIbLb0EESX_IbLb1EEEEDaST_SU_EUlST_E_NS1_11comp_targetILNS1_3genE10ELNS1_11target_archE1200ELNS1_3gpuE4ELNS1_3repE0EEENS1_30default_config_static_selectorELNS0_4arch9wavefront6targetE0EEEvT1_.uses_vcc, 0
	.set _ZN7rocprim17ROCPRIM_400000_NS6detail17trampoline_kernelINS0_14default_configENS1_20scan_config_selectorIN3c104HalfEEEZZNS1_9scan_implILNS1_25lookback_scan_determinismE0ELb0ELb0ES3_PKS6_PS6_S6_ZZZN2at6native31launch_logcumsumexp_cuda_kernelERKNSD_10TensorBaseESH_lENKUlvE_clEvENKUlvE3_clEvEUlS6_S6_E_S6_EEDaPvRmT3_T4_T5_mT6_P12ihipStream_tbENKUlT_T0_E_clISt17integral_constantIbLb0EESX_IbLb1EEEEDaST_SU_EUlST_E_NS1_11comp_targetILNS1_3genE10ELNS1_11target_archE1200ELNS1_3gpuE4ELNS1_3repE0EEENS1_30default_config_static_selectorELNS0_4arch9wavefront6targetE0EEEvT1_.uses_flat_scratch, 0
	.set _ZN7rocprim17ROCPRIM_400000_NS6detail17trampoline_kernelINS0_14default_configENS1_20scan_config_selectorIN3c104HalfEEEZZNS1_9scan_implILNS1_25lookback_scan_determinismE0ELb0ELb0ES3_PKS6_PS6_S6_ZZZN2at6native31launch_logcumsumexp_cuda_kernelERKNSD_10TensorBaseESH_lENKUlvE_clEvENKUlvE3_clEvEUlS6_S6_E_S6_EEDaPvRmT3_T4_T5_mT6_P12ihipStream_tbENKUlT_T0_E_clISt17integral_constantIbLb0EESX_IbLb1EEEEDaST_SU_EUlST_E_NS1_11comp_targetILNS1_3genE10ELNS1_11target_archE1200ELNS1_3gpuE4ELNS1_3repE0EEENS1_30default_config_static_selectorELNS0_4arch9wavefront6targetE0EEEvT1_.has_dyn_sized_stack, 0
	.set _ZN7rocprim17ROCPRIM_400000_NS6detail17trampoline_kernelINS0_14default_configENS1_20scan_config_selectorIN3c104HalfEEEZZNS1_9scan_implILNS1_25lookback_scan_determinismE0ELb0ELb0ES3_PKS6_PS6_S6_ZZZN2at6native31launch_logcumsumexp_cuda_kernelERKNSD_10TensorBaseESH_lENKUlvE_clEvENKUlvE3_clEvEUlS6_S6_E_S6_EEDaPvRmT3_T4_T5_mT6_P12ihipStream_tbENKUlT_T0_E_clISt17integral_constantIbLb0EESX_IbLb1EEEEDaST_SU_EUlST_E_NS1_11comp_targetILNS1_3genE10ELNS1_11target_archE1200ELNS1_3gpuE4ELNS1_3repE0EEENS1_30default_config_static_selectorELNS0_4arch9wavefront6targetE0EEEvT1_.has_recursion, 0
	.set _ZN7rocprim17ROCPRIM_400000_NS6detail17trampoline_kernelINS0_14default_configENS1_20scan_config_selectorIN3c104HalfEEEZZNS1_9scan_implILNS1_25lookback_scan_determinismE0ELb0ELb0ES3_PKS6_PS6_S6_ZZZN2at6native31launch_logcumsumexp_cuda_kernelERKNSD_10TensorBaseESH_lENKUlvE_clEvENKUlvE3_clEvEUlS6_S6_E_S6_EEDaPvRmT3_T4_T5_mT6_P12ihipStream_tbENKUlT_T0_E_clISt17integral_constantIbLb0EESX_IbLb1EEEEDaST_SU_EUlST_E_NS1_11comp_targetILNS1_3genE10ELNS1_11target_archE1200ELNS1_3gpuE4ELNS1_3repE0EEENS1_30default_config_static_selectorELNS0_4arch9wavefront6targetE0EEEvT1_.has_indirect_call, 0
	.section	.AMDGPU.csdata,"",@progbits
; Kernel info:
; codeLenInByte = 0
; TotalNumSgprs: 0
; NumVgprs: 0
; ScratchSize: 0
; MemoryBound: 0
; FloatMode: 240
; IeeeMode: 1
; LDSByteSize: 0 bytes/workgroup (compile time only)
; SGPRBlocks: 0
; VGPRBlocks: 0
; NumSGPRsForWavesPerEU: 1
; NumVGPRsForWavesPerEU: 1
; Occupancy: 16
; WaveLimiterHint : 0
; COMPUTE_PGM_RSRC2:SCRATCH_EN: 0
; COMPUTE_PGM_RSRC2:USER_SGPR: 2
; COMPUTE_PGM_RSRC2:TRAP_HANDLER: 0
; COMPUTE_PGM_RSRC2:TGID_X_EN: 1
; COMPUTE_PGM_RSRC2:TGID_Y_EN: 0
; COMPUTE_PGM_RSRC2:TGID_Z_EN: 0
; COMPUTE_PGM_RSRC2:TIDIG_COMP_CNT: 0
	.section	.text._ZN7rocprim17ROCPRIM_400000_NS6detail17trampoline_kernelINS0_14default_configENS1_20scan_config_selectorIN3c104HalfEEEZZNS1_9scan_implILNS1_25lookback_scan_determinismE0ELb0ELb0ES3_PKS6_PS6_S6_ZZZN2at6native31launch_logcumsumexp_cuda_kernelERKNSD_10TensorBaseESH_lENKUlvE_clEvENKUlvE3_clEvEUlS6_S6_E_S6_EEDaPvRmT3_T4_T5_mT6_P12ihipStream_tbENKUlT_T0_E_clISt17integral_constantIbLb0EESX_IbLb1EEEEDaST_SU_EUlST_E_NS1_11comp_targetILNS1_3genE9ELNS1_11target_archE1100ELNS1_3gpuE3ELNS1_3repE0EEENS1_30default_config_static_selectorELNS0_4arch9wavefront6targetE0EEEvT1_,"axG",@progbits,_ZN7rocprim17ROCPRIM_400000_NS6detail17trampoline_kernelINS0_14default_configENS1_20scan_config_selectorIN3c104HalfEEEZZNS1_9scan_implILNS1_25lookback_scan_determinismE0ELb0ELb0ES3_PKS6_PS6_S6_ZZZN2at6native31launch_logcumsumexp_cuda_kernelERKNSD_10TensorBaseESH_lENKUlvE_clEvENKUlvE3_clEvEUlS6_S6_E_S6_EEDaPvRmT3_T4_T5_mT6_P12ihipStream_tbENKUlT_T0_E_clISt17integral_constantIbLb0EESX_IbLb1EEEEDaST_SU_EUlST_E_NS1_11comp_targetILNS1_3genE9ELNS1_11target_archE1100ELNS1_3gpuE3ELNS1_3repE0EEENS1_30default_config_static_selectorELNS0_4arch9wavefront6targetE0EEEvT1_,comdat
	.globl	_ZN7rocprim17ROCPRIM_400000_NS6detail17trampoline_kernelINS0_14default_configENS1_20scan_config_selectorIN3c104HalfEEEZZNS1_9scan_implILNS1_25lookback_scan_determinismE0ELb0ELb0ES3_PKS6_PS6_S6_ZZZN2at6native31launch_logcumsumexp_cuda_kernelERKNSD_10TensorBaseESH_lENKUlvE_clEvENKUlvE3_clEvEUlS6_S6_E_S6_EEDaPvRmT3_T4_T5_mT6_P12ihipStream_tbENKUlT_T0_E_clISt17integral_constantIbLb0EESX_IbLb1EEEEDaST_SU_EUlST_E_NS1_11comp_targetILNS1_3genE9ELNS1_11target_archE1100ELNS1_3gpuE3ELNS1_3repE0EEENS1_30default_config_static_selectorELNS0_4arch9wavefront6targetE0EEEvT1_ ; -- Begin function _ZN7rocprim17ROCPRIM_400000_NS6detail17trampoline_kernelINS0_14default_configENS1_20scan_config_selectorIN3c104HalfEEEZZNS1_9scan_implILNS1_25lookback_scan_determinismE0ELb0ELb0ES3_PKS6_PS6_S6_ZZZN2at6native31launch_logcumsumexp_cuda_kernelERKNSD_10TensorBaseESH_lENKUlvE_clEvENKUlvE3_clEvEUlS6_S6_E_S6_EEDaPvRmT3_T4_T5_mT6_P12ihipStream_tbENKUlT_T0_E_clISt17integral_constantIbLb0EESX_IbLb1EEEEDaST_SU_EUlST_E_NS1_11comp_targetILNS1_3genE9ELNS1_11target_archE1100ELNS1_3gpuE3ELNS1_3repE0EEENS1_30default_config_static_selectorELNS0_4arch9wavefront6targetE0EEEvT1_
	.p2align	8
	.type	_ZN7rocprim17ROCPRIM_400000_NS6detail17trampoline_kernelINS0_14default_configENS1_20scan_config_selectorIN3c104HalfEEEZZNS1_9scan_implILNS1_25lookback_scan_determinismE0ELb0ELb0ES3_PKS6_PS6_S6_ZZZN2at6native31launch_logcumsumexp_cuda_kernelERKNSD_10TensorBaseESH_lENKUlvE_clEvENKUlvE3_clEvEUlS6_S6_E_S6_EEDaPvRmT3_T4_T5_mT6_P12ihipStream_tbENKUlT_T0_E_clISt17integral_constantIbLb0EESX_IbLb1EEEEDaST_SU_EUlST_E_NS1_11comp_targetILNS1_3genE9ELNS1_11target_archE1100ELNS1_3gpuE3ELNS1_3repE0EEENS1_30default_config_static_selectorELNS0_4arch9wavefront6targetE0EEEvT1_,@function
_ZN7rocprim17ROCPRIM_400000_NS6detail17trampoline_kernelINS0_14default_configENS1_20scan_config_selectorIN3c104HalfEEEZZNS1_9scan_implILNS1_25lookback_scan_determinismE0ELb0ELb0ES3_PKS6_PS6_S6_ZZZN2at6native31launch_logcumsumexp_cuda_kernelERKNSD_10TensorBaseESH_lENKUlvE_clEvENKUlvE3_clEvEUlS6_S6_E_S6_EEDaPvRmT3_T4_T5_mT6_P12ihipStream_tbENKUlT_T0_E_clISt17integral_constantIbLb0EESX_IbLb1EEEEDaST_SU_EUlST_E_NS1_11comp_targetILNS1_3genE9ELNS1_11target_archE1100ELNS1_3gpuE3ELNS1_3repE0EEENS1_30default_config_static_selectorELNS0_4arch9wavefront6targetE0EEEvT1_: ; @_ZN7rocprim17ROCPRIM_400000_NS6detail17trampoline_kernelINS0_14default_configENS1_20scan_config_selectorIN3c104HalfEEEZZNS1_9scan_implILNS1_25lookback_scan_determinismE0ELb0ELb0ES3_PKS6_PS6_S6_ZZZN2at6native31launch_logcumsumexp_cuda_kernelERKNSD_10TensorBaseESH_lENKUlvE_clEvENKUlvE3_clEvEUlS6_S6_E_S6_EEDaPvRmT3_T4_T5_mT6_P12ihipStream_tbENKUlT_T0_E_clISt17integral_constantIbLb0EESX_IbLb1EEEEDaST_SU_EUlST_E_NS1_11comp_targetILNS1_3genE9ELNS1_11target_archE1100ELNS1_3gpuE3ELNS1_3repE0EEENS1_30default_config_static_selectorELNS0_4arch9wavefront6targetE0EEEvT1_
; %bb.0:
	.section	.rodata,"a",@progbits
	.p2align	6, 0x0
	.amdhsa_kernel _ZN7rocprim17ROCPRIM_400000_NS6detail17trampoline_kernelINS0_14default_configENS1_20scan_config_selectorIN3c104HalfEEEZZNS1_9scan_implILNS1_25lookback_scan_determinismE0ELb0ELb0ES3_PKS6_PS6_S6_ZZZN2at6native31launch_logcumsumexp_cuda_kernelERKNSD_10TensorBaseESH_lENKUlvE_clEvENKUlvE3_clEvEUlS6_S6_E_S6_EEDaPvRmT3_T4_T5_mT6_P12ihipStream_tbENKUlT_T0_E_clISt17integral_constantIbLb0EESX_IbLb1EEEEDaST_SU_EUlST_E_NS1_11comp_targetILNS1_3genE9ELNS1_11target_archE1100ELNS1_3gpuE3ELNS1_3repE0EEENS1_30default_config_static_selectorELNS0_4arch9wavefront6targetE0EEEvT1_
		.amdhsa_group_segment_fixed_size 0
		.amdhsa_private_segment_fixed_size 0
		.amdhsa_kernarg_size 96
		.amdhsa_user_sgpr_count 2
		.amdhsa_user_sgpr_dispatch_ptr 0
		.amdhsa_user_sgpr_queue_ptr 0
		.amdhsa_user_sgpr_kernarg_segment_ptr 1
		.amdhsa_user_sgpr_dispatch_id 0
		.amdhsa_user_sgpr_private_segment_size 0
		.amdhsa_wavefront_size32 1
		.amdhsa_uses_dynamic_stack 0
		.amdhsa_enable_private_segment 0
		.amdhsa_system_sgpr_workgroup_id_x 1
		.amdhsa_system_sgpr_workgroup_id_y 0
		.amdhsa_system_sgpr_workgroup_id_z 0
		.amdhsa_system_sgpr_workgroup_info 0
		.amdhsa_system_vgpr_workitem_id 0
		.amdhsa_next_free_vgpr 1
		.amdhsa_next_free_sgpr 1
		.amdhsa_reserve_vcc 0
		.amdhsa_float_round_mode_32 0
		.amdhsa_float_round_mode_16_64 0
		.amdhsa_float_denorm_mode_32 3
		.amdhsa_float_denorm_mode_16_64 3
		.amdhsa_fp16_overflow 0
		.amdhsa_workgroup_processor_mode 1
		.amdhsa_memory_ordered 1
		.amdhsa_forward_progress 1
		.amdhsa_inst_pref_size 0
		.amdhsa_round_robin_scheduling 0
		.amdhsa_exception_fp_ieee_invalid_op 0
		.amdhsa_exception_fp_denorm_src 0
		.amdhsa_exception_fp_ieee_div_zero 0
		.amdhsa_exception_fp_ieee_overflow 0
		.amdhsa_exception_fp_ieee_underflow 0
		.amdhsa_exception_fp_ieee_inexact 0
		.amdhsa_exception_int_div_zero 0
	.end_amdhsa_kernel
	.section	.text._ZN7rocprim17ROCPRIM_400000_NS6detail17trampoline_kernelINS0_14default_configENS1_20scan_config_selectorIN3c104HalfEEEZZNS1_9scan_implILNS1_25lookback_scan_determinismE0ELb0ELb0ES3_PKS6_PS6_S6_ZZZN2at6native31launch_logcumsumexp_cuda_kernelERKNSD_10TensorBaseESH_lENKUlvE_clEvENKUlvE3_clEvEUlS6_S6_E_S6_EEDaPvRmT3_T4_T5_mT6_P12ihipStream_tbENKUlT_T0_E_clISt17integral_constantIbLb0EESX_IbLb1EEEEDaST_SU_EUlST_E_NS1_11comp_targetILNS1_3genE9ELNS1_11target_archE1100ELNS1_3gpuE3ELNS1_3repE0EEENS1_30default_config_static_selectorELNS0_4arch9wavefront6targetE0EEEvT1_,"axG",@progbits,_ZN7rocprim17ROCPRIM_400000_NS6detail17trampoline_kernelINS0_14default_configENS1_20scan_config_selectorIN3c104HalfEEEZZNS1_9scan_implILNS1_25lookback_scan_determinismE0ELb0ELb0ES3_PKS6_PS6_S6_ZZZN2at6native31launch_logcumsumexp_cuda_kernelERKNSD_10TensorBaseESH_lENKUlvE_clEvENKUlvE3_clEvEUlS6_S6_E_S6_EEDaPvRmT3_T4_T5_mT6_P12ihipStream_tbENKUlT_T0_E_clISt17integral_constantIbLb0EESX_IbLb1EEEEDaST_SU_EUlST_E_NS1_11comp_targetILNS1_3genE9ELNS1_11target_archE1100ELNS1_3gpuE3ELNS1_3repE0EEENS1_30default_config_static_selectorELNS0_4arch9wavefront6targetE0EEEvT1_,comdat
.Lfunc_end423:
	.size	_ZN7rocprim17ROCPRIM_400000_NS6detail17trampoline_kernelINS0_14default_configENS1_20scan_config_selectorIN3c104HalfEEEZZNS1_9scan_implILNS1_25lookback_scan_determinismE0ELb0ELb0ES3_PKS6_PS6_S6_ZZZN2at6native31launch_logcumsumexp_cuda_kernelERKNSD_10TensorBaseESH_lENKUlvE_clEvENKUlvE3_clEvEUlS6_S6_E_S6_EEDaPvRmT3_T4_T5_mT6_P12ihipStream_tbENKUlT_T0_E_clISt17integral_constantIbLb0EESX_IbLb1EEEEDaST_SU_EUlST_E_NS1_11comp_targetILNS1_3genE9ELNS1_11target_archE1100ELNS1_3gpuE3ELNS1_3repE0EEENS1_30default_config_static_selectorELNS0_4arch9wavefront6targetE0EEEvT1_, .Lfunc_end423-_ZN7rocprim17ROCPRIM_400000_NS6detail17trampoline_kernelINS0_14default_configENS1_20scan_config_selectorIN3c104HalfEEEZZNS1_9scan_implILNS1_25lookback_scan_determinismE0ELb0ELb0ES3_PKS6_PS6_S6_ZZZN2at6native31launch_logcumsumexp_cuda_kernelERKNSD_10TensorBaseESH_lENKUlvE_clEvENKUlvE3_clEvEUlS6_S6_E_S6_EEDaPvRmT3_T4_T5_mT6_P12ihipStream_tbENKUlT_T0_E_clISt17integral_constantIbLb0EESX_IbLb1EEEEDaST_SU_EUlST_E_NS1_11comp_targetILNS1_3genE9ELNS1_11target_archE1100ELNS1_3gpuE3ELNS1_3repE0EEENS1_30default_config_static_selectorELNS0_4arch9wavefront6targetE0EEEvT1_
                                        ; -- End function
	.set _ZN7rocprim17ROCPRIM_400000_NS6detail17trampoline_kernelINS0_14default_configENS1_20scan_config_selectorIN3c104HalfEEEZZNS1_9scan_implILNS1_25lookback_scan_determinismE0ELb0ELb0ES3_PKS6_PS6_S6_ZZZN2at6native31launch_logcumsumexp_cuda_kernelERKNSD_10TensorBaseESH_lENKUlvE_clEvENKUlvE3_clEvEUlS6_S6_E_S6_EEDaPvRmT3_T4_T5_mT6_P12ihipStream_tbENKUlT_T0_E_clISt17integral_constantIbLb0EESX_IbLb1EEEEDaST_SU_EUlST_E_NS1_11comp_targetILNS1_3genE9ELNS1_11target_archE1100ELNS1_3gpuE3ELNS1_3repE0EEENS1_30default_config_static_selectorELNS0_4arch9wavefront6targetE0EEEvT1_.num_vgpr, 0
	.set _ZN7rocprim17ROCPRIM_400000_NS6detail17trampoline_kernelINS0_14default_configENS1_20scan_config_selectorIN3c104HalfEEEZZNS1_9scan_implILNS1_25lookback_scan_determinismE0ELb0ELb0ES3_PKS6_PS6_S6_ZZZN2at6native31launch_logcumsumexp_cuda_kernelERKNSD_10TensorBaseESH_lENKUlvE_clEvENKUlvE3_clEvEUlS6_S6_E_S6_EEDaPvRmT3_T4_T5_mT6_P12ihipStream_tbENKUlT_T0_E_clISt17integral_constantIbLb0EESX_IbLb1EEEEDaST_SU_EUlST_E_NS1_11comp_targetILNS1_3genE9ELNS1_11target_archE1100ELNS1_3gpuE3ELNS1_3repE0EEENS1_30default_config_static_selectorELNS0_4arch9wavefront6targetE0EEEvT1_.num_agpr, 0
	.set _ZN7rocprim17ROCPRIM_400000_NS6detail17trampoline_kernelINS0_14default_configENS1_20scan_config_selectorIN3c104HalfEEEZZNS1_9scan_implILNS1_25lookback_scan_determinismE0ELb0ELb0ES3_PKS6_PS6_S6_ZZZN2at6native31launch_logcumsumexp_cuda_kernelERKNSD_10TensorBaseESH_lENKUlvE_clEvENKUlvE3_clEvEUlS6_S6_E_S6_EEDaPvRmT3_T4_T5_mT6_P12ihipStream_tbENKUlT_T0_E_clISt17integral_constantIbLb0EESX_IbLb1EEEEDaST_SU_EUlST_E_NS1_11comp_targetILNS1_3genE9ELNS1_11target_archE1100ELNS1_3gpuE3ELNS1_3repE0EEENS1_30default_config_static_selectorELNS0_4arch9wavefront6targetE0EEEvT1_.numbered_sgpr, 0
	.set _ZN7rocprim17ROCPRIM_400000_NS6detail17trampoline_kernelINS0_14default_configENS1_20scan_config_selectorIN3c104HalfEEEZZNS1_9scan_implILNS1_25lookback_scan_determinismE0ELb0ELb0ES3_PKS6_PS6_S6_ZZZN2at6native31launch_logcumsumexp_cuda_kernelERKNSD_10TensorBaseESH_lENKUlvE_clEvENKUlvE3_clEvEUlS6_S6_E_S6_EEDaPvRmT3_T4_T5_mT6_P12ihipStream_tbENKUlT_T0_E_clISt17integral_constantIbLb0EESX_IbLb1EEEEDaST_SU_EUlST_E_NS1_11comp_targetILNS1_3genE9ELNS1_11target_archE1100ELNS1_3gpuE3ELNS1_3repE0EEENS1_30default_config_static_selectorELNS0_4arch9wavefront6targetE0EEEvT1_.num_named_barrier, 0
	.set _ZN7rocprim17ROCPRIM_400000_NS6detail17trampoline_kernelINS0_14default_configENS1_20scan_config_selectorIN3c104HalfEEEZZNS1_9scan_implILNS1_25lookback_scan_determinismE0ELb0ELb0ES3_PKS6_PS6_S6_ZZZN2at6native31launch_logcumsumexp_cuda_kernelERKNSD_10TensorBaseESH_lENKUlvE_clEvENKUlvE3_clEvEUlS6_S6_E_S6_EEDaPvRmT3_T4_T5_mT6_P12ihipStream_tbENKUlT_T0_E_clISt17integral_constantIbLb0EESX_IbLb1EEEEDaST_SU_EUlST_E_NS1_11comp_targetILNS1_3genE9ELNS1_11target_archE1100ELNS1_3gpuE3ELNS1_3repE0EEENS1_30default_config_static_selectorELNS0_4arch9wavefront6targetE0EEEvT1_.private_seg_size, 0
	.set _ZN7rocprim17ROCPRIM_400000_NS6detail17trampoline_kernelINS0_14default_configENS1_20scan_config_selectorIN3c104HalfEEEZZNS1_9scan_implILNS1_25lookback_scan_determinismE0ELb0ELb0ES3_PKS6_PS6_S6_ZZZN2at6native31launch_logcumsumexp_cuda_kernelERKNSD_10TensorBaseESH_lENKUlvE_clEvENKUlvE3_clEvEUlS6_S6_E_S6_EEDaPvRmT3_T4_T5_mT6_P12ihipStream_tbENKUlT_T0_E_clISt17integral_constantIbLb0EESX_IbLb1EEEEDaST_SU_EUlST_E_NS1_11comp_targetILNS1_3genE9ELNS1_11target_archE1100ELNS1_3gpuE3ELNS1_3repE0EEENS1_30default_config_static_selectorELNS0_4arch9wavefront6targetE0EEEvT1_.uses_vcc, 0
	.set _ZN7rocprim17ROCPRIM_400000_NS6detail17trampoline_kernelINS0_14default_configENS1_20scan_config_selectorIN3c104HalfEEEZZNS1_9scan_implILNS1_25lookback_scan_determinismE0ELb0ELb0ES3_PKS6_PS6_S6_ZZZN2at6native31launch_logcumsumexp_cuda_kernelERKNSD_10TensorBaseESH_lENKUlvE_clEvENKUlvE3_clEvEUlS6_S6_E_S6_EEDaPvRmT3_T4_T5_mT6_P12ihipStream_tbENKUlT_T0_E_clISt17integral_constantIbLb0EESX_IbLb1EEEEDaST_SU_EUlST_E_NS1_11comp_targetILNS1_3genE9ELNS1_11target_archE1100ELNS1_3gpuE3ELNS1_3repE0EEENS1_30default_config_static_selectorELNS0_4arch9wavefront6targetE0EEEvT1_.uses_flat_scratch, 0
	.set _ZN7rocprim17ROCPRIM_400000_NS6detail17trampoline_kernelINS0_14default_configENS1_20scan_config_selectorIN3c104HalfEEEZZNS1_9scan_implILNS1_25lookback_scan_determinismE0ELb0ELb0ES3_PKS6_PS6_S6_ZZZN2at6native31launch_logcumsumexp_cuda_kernelERKNSD_10TensorBaseESH_lENKUlvE_clEvENKUlvE3_clEvEUlS6_S6_E_S6_EEDaPvRmT3_T4_T5_mT6_P12ihipStream_tbENKUlT_T0_E_clISt17integral_constantIbLb0EESX_IbLb1EEEEDaST_SU_EUlST_E_NS1_11comp_targetILNS1_3genE9ELNS1_11target_archE1100ELNS1_3gpuE3ELNS1_3repE0EEENS1_30default_config_static_selectorELNS0_4arch9wavefront6targetE0EEEvT1_.has_dyn_sized_stack, 0
	.set _ZN7rocprim17ROCPRIM_400000_NS6detail17trampoline_kernelINS0_14default_configENS1_20scan_config_selectorIN3c104HalfEEEZZNS1_9scan_implILNS1_25lookback_scan_determinismE0ELb0ELb0ES3_PKS6_PS6_S6_ZZZN2at6native31launch_logcumsumexp_cuda_kernelERKNSD_10TensorBaseESH_lENKUlvE_clEvENKUlvE3_clEvEUlS6_S6_E_S6_EEDaPvRmT3_T4_T5_mT6_P12ihipStream_tbENKUlT_T0_E_clISt17integral_constantIbLb0EESX_IbLb1EEEEDaST_SU_EUlST_E_NS1_11comp_targetILNS1_3genE9ELNS1_11target_archE1100ELNS1_3gpuE3ELNS1_3repE0EEENS1_30default_config_static_selectorELNS0_4arch9wavefront6targetE0EEEvT1_.has_recursion, 0
	.set _ZN7rocprim17ROCPRIM_400000_NS6detail17trampoline_kernelINS0_14default_configENS1_20scan_config_selectorIN3c104HalfEEEZZNS1_9scan_implILNS1_25lookback_scan_determinismE0ELb0ELb0ES3_PKS6_PS6_S6_ZZZN2at6native31launch_logcumsumexp_cuda_kernelERKNSD_10TensorBaseESH_lENKUlvE_clEvENKUlvE3_clEvEUlS6_S6_E_S6_EEDaPvRmT3_T4_T5_mT6_P12ihipStream_tbENKUlT_T0_E_clISt17integral_constantIbLb0EESX_IbLb1EEEEDaST_SU_EUlST_E_NS1_11comp_targetILNS1_3genE9ELNS1_11target_archE1100ELNS1_3gpuE3ELNS1_3repE0EEENS1_30default_config_static_selectorELNS0_4arch9wavefront6targetE0EEEvT1_.has_indirect_call, 0
	.section	.AMDGPU.csdata,"",@progbits
; Kernel info:
; codeLenInByte = 0
; TotalNumSgprs: 0
; NumVgprs: 0
; ScratchSize: 0
; MemoryBound: 0
; FloatMode: 240
; IeeeMode: 1
; LDSByteSize: 0 bytes/workgroup (compile time only)
; SGPRBlocks: 0
; VGPRBlocks: 0
; NumSGPRsForWavesPerEU: 1
; NumVGPRsForWavesPerEU: 1
; Occupancy: 16
; WaveLimiterHint : 0
; COMPUTE_PGM_RSRC2:SCRATCH_EN: 0
; COMPUTE_PGM_RSRC2:USER_SGPR: 2
; COMPUTE_PGM_RSRC2:TRAP_HANDLER: 0
; COMPUTE_PGM_RSRC2:TGID_X_EN: 1
; COMPUTE_PGM_RSRC2:TGID_Y_EN: 0
; COMPUTE_PGM_RSRC2:TGID_Z_EN: 0
; COMPUTE_PGM_RSRC2:TIDIG_COMP_CNT: 0
	.section	.text._ZN7rocprim17ROCPRIM_400000_NS6detail17trampoline_kernelINS0_14default_configENS1_20scan_config_selectorIN3c104HalfEEEZZNS1_9scan_implILNS1_25lookback_scan_determinismE0ELb0ELb0ES3_PKS6_PS6_S6_ZZZN2at6native31launch_logcumsumexp_cuda_kernelERKNSD_10TensorBaseESH_lENKUlvE_clEvENKUlvE3_clEvEUlS6_S6_E_S6_EEDaPvRmT3_T4_T5_mT6_P12ihipStream_tbENKUlT_T0_E_clISt17integral_constantIbLb0EESX_IbLb1EEEEDaST_SU_EUlST_E_NS1_11comp_targetILNS1_3genE8ELNS1_11target_archE1030ELNS1_3gpuE2ELNS1_3repE0EEENS1_30default_config_static_selectorELNS0_4arch9wavefront6targetE0EEEvT1_,"axG",@progbits,_ZN7rocprim17ROCPRIM_400000_NS6detail17trampoline_kernelINS0_14default_configENS1_20scan_config_selectorIN3c104HalfEEEZZNS1_9scan_implILNS1_25lookback_scan_determinismE0ELb0ELb0ES3_PKS6_PS6_S6_ZZZN2at6native31launch_logcumsumexp_cuda_kernelERKNSD_10TensorBaseESH_lENKUlvE_clEvENKUlvE3_clEvEUlS6_S6_E_S6_EEDaPvRmT3_T4_T5_mT6_P12ihipStream_tbENKUlT_T0_E_clISt17integral_constantIbLb0EESX_IbLb1EEEEDaST_SU_EUlST_E_NS1_11comp_targetILNS1_3genE8ELNS1_11target_archE1030ELNS1_3gpuE2ELNS1_3repE0EEENS1_30default_config_static_selectorELNS0_4arch9wavefront6targetE0EEEvT1_,comdat
	.globl	_ZN7rocprim17ROCPRIM_400000_NS6detail17trampoline_kernelINS0_14default_configENS1_20scan_config_selectorIN3c104HalfEEEZZNS1_9scan_implILNS1_25lookback_scan_determinismE0ELb0ELb0ES3_PKS6_PS6_S6_ZZZN2at6native31launch_logcumsumexp_cuda_kernelERKNSD_10TensorBaseESH_lENKUlvE_clEvENKUlvE3_clEvEUlS6_S6_E_S6_EEDaPvRmT3_T4_T5_mT6_P12ihipStream_tbENKUlT_T0_E_clISt17integral_constantIbLb0EESX_IbLb1EEEEDaST_SU_EUlST_E_NS1_11comp_targetILNS1_3genE8ELNS1_11target_archE1030ELNS1_3gpuE2ELNS1_3repE0EEENS1_30default_config_static_selectorELNS0_4arch9wavefront6targetE0EEEvT1_ ; -- Begin function _ZN7rocprim17ROCPRIM_400000_NS6detail17trampoline_kernelINS0_14default_configENS1_20scan_config_selectorIN3c104HalfEEEZZNS1_9scan_implILNS1_25lookback_scan_determinismE0ELb0ELb0ES3_PKS6_PS6_S6_ZZZN2at6native31launch_logcumsumexp_cuda_kernelERKNSD_10TensorBaseESH_lENKUlvE_clEvENKUlvE3_clEvEUlS6_S6_E_S6_EEDaPvRmT3_T4_T5_mT6_P12ihipStream_tbENKUlT_T0_E_clISt17integral_constantIbLb0EESX_IbLb1EEEEDaST_SU_EUlST_E_NS1_11comp_targetILNS1_3genE8ELNS1_11target_archE1030ELNS1_3gpuE2ELNS1_3repE0EEENS1_30default_config_static_selectorELNS0_4arch9wavefront6targetE0EEEvT1_
	.p2align	8
	.type	_ZN7rocprim17ROCPRIM_400000_NS6detail17trampoline_kernelINS0_14default_configENS1_20scan_config_selectorIN3c104HalfEEEZZNS1_9scan_implILNS1_25lookback_scan_determinismE0ELb0ELb0ES3_PKS6_PS6_S6_ZZZN2at6native31launch_logcumsumexp_cuda_kernelERKNSD_10TensorBaseESH_lENKUlvE_clEvENKUlvE3_clEvEUlS6_S6_E_S6_EEDaPvRmT3_T4_T5_mT6_P12ihipStream_tbENKUlT_T0_E_clISt17integral_constantIbLb0EESX_IbLb1EEEEDaST_SU_EUlST_E_NS1_11comp_targetILNS1_3genE8ELNS1_11target_archE1030ELNS1_3gpuE2ELNS1_3repE0EEENS1_30default_config_static_selectorELNS0_4arch9wavefront6targetE0EEEvT1_,@function
_ZN7rocprim17ROCPRIM_400000_NS6detail17trampoline_kernelINS0_14default_configENS1_20scan_config_selectorIN3c104HalfEEEZZNS1_9scan_implILNS1_25lookback_scan_determinismE0ELb0ELb0ES3_PKS6_PS6_S6_ZZZN2at6native31launch_logcumsumexp_cuda_kernelERKNSD_10TensorBaseESH_lENKUlvE_clEvENKUlvE3_clEvEUlS6_S6_E_S6_EEDaPvRmT3_T4_T5_mT6_P12ihipStream_tbENKUlT_T0_E_clISt17integral_constantIbLb0EESX_IbLb1EEEEDaST_SU_EUlST_E_NS1_11comp_targetILNS1_3genE8ELNS1_11target_archE1030ELNS1_3gpuE2ELNS1_3repE0EEENS1_30default_config_static_selectorELNS0_4arch9wavefront6targetE0EEEvT1_: ; @_ZN7rocprim17ROCPRIM_400000_NS6detail17trampoline_kernelINS0_14default_configENS1_20scan_config_selectorIN3c104HalfEEEZZNS1_9scan_implILNS1_25lookback_scan_determinismE0ELb0ELb0ES3_PKS6_PS6_S6_ZZZN2at6native31launch_logcumsumexp_cuda_kernelERKNSD_10TensorBaseESH_lENKUlvE_clEvENKUlvE3_clEvEUlS6_S6_E_S6_EEDaPvRmT3_T4_T5_mT6_P12ihipStream_tbENKUlT_T0_E_clISt17integral_constantIbLb0EESX_IbLb1EEEEDaST_SU_EUlST_E_NS1_11comp_targetILNS1_3genE8ELNS1_11target_archE1030ELNS1_3gpuE2ELNS1_3repE0EEENS1_30default_config_static_selectorELNS0_4arch9wavefront6targetE0EEEvT1_
; %bb.0:
	.section	.rodata,"a",@progbits
	.p2align	6, 0x0
	.amdhsa_kernel _ZN7rocprim17ROCPRIM_400000_NS6detail17trampoline_kernelINS0_14default_configENS1_20scan_config_selectorIN3c104HalfEEEZZNS1_9scan_implILNS1_25lookback_scan_determinismE0ELb0ELb0ES3_PKS6_PS6_S6_ZZZN2at6native31launch_logcumsumexp_cuda_kernelERKNSD_10TensorBaseESH_lENKUlvE_clEvENKUlvE3_clEvEUlS6_S6_E_S6_EEDaPvRmT3_T4_T5_mT6_P12ihipStream_tbENKUlT_T0_E_clISt17integral_constantIbLb0EESX_IbLb1EEEEDaST_SU_EUlST_E_NS1_11comp_targetILNS1_3genE8ELNS1_11target_archE1030ELNS1_3gpuE2ELNS1_3repE0EEENS1_30default_config_static_selectorELNS0_4arch9wavefront6targetE0EEEvT1_
		.amdhsa_group_segment_fixed_size 0
		.amdhsa_private_segment_fixed_size 0
		.amdhsa_kernarg_size 96
		.amdhsa_user_sgpr_count 2
		.amdhsa_user_sgpr_dispatch_ptr 0
		.amdhsa_user_sgpr_queue_ptr 0
		.amdhsa_user_sgpr_kernarg_segment_ptr 1
		.amdhsa_user_sgpr_dispatch_id 0
		.amdhsa_user_sgpr_private_segment_size 0
		.amdhsa_wavefront_size32 1
		.amdhsa_uses_dynamic_stack 0
		.amdhsa_enable_private_segment 0
		.amdhsa_system_sgpr_workgroup_id_x 1
		.amdhsa_system_sgpr_workgroup_id_y 0
		.amdhsa_system_sgpr_workgroup_id_z 0
		.amdhsa_system_sgpr_workgroup_info 0
		.amdhsa_system_vgpr_workitem_id 0
		.amdhsa_next_free_vgpr 1
		.amdhsa_next_free_sgpr 1
		.amdhsa_reserve_vcc 0
		.amdhsa_float_round_mode_32 0
		.amdhsa_float_round_mode_16_64 0
		.amdhsa_float_denorm_mode_32 3
		.amdhsa_float_denorm_mode_16_64 3
		.amdhsa_fp16_overflow 0
		.amdhsa_workgroup_processor_mode 1
		.amdhsa_memory_ordered 1
		.amdhsa_forward_progress 1
		.amdhsa_inst_pref_size 0
		.amdhsa_round_robin_scheduling 0
		.amdhsa_exception_fp_ieee_invalid_op 0
		.amdhsa_exception_fp_denorm_src 0
		.amdhsa_exception_fp_ieee_div_zero 0
		.amdhsa_exception_fp_ieee_overflow 0
		.amdhsa_exception_fp_ieee_underflow 0
		.amdhsa_exception_fp_ieee_inexact 0
		.amdhsa_exception_int_div_zero 0
	.end_amdhsa_kernel
	.section	.text._ZN7rocprim17ROCPRIM_400000_NS6detail17trampoline_kernelINS0_14default_configENS1_20scan_config_selectorIN3c104HalfEEEZZNS1_9scan_implILNS1_25lookback_scan_determinismE0ELb0ELb0ES3_PKS6_PS6_S6_ZZZN2at6native31launch_logcumsumexp_cuda_kernelERKNSD_10TensorBaseESH_lENKUlvE_clEvENKUlvE3_clEvEUlS6_S6_E_S6_EEDaPvRmT3_T4_T5_mT6_P12ihipStream_tbENKUlT_T0_E_clISt17integral_constantIbLb0EESX_IbLb1EEEEDaST_SU_EUlST_E_NS1_11comp_targetILNS1_3genE8ELNS1_11target_archE1030ELNS1_3gpuE2ELNS1_3repE0EEENS1_30default_config_static_selectorELNS0_4arch9wavefront6targetE0EEEvT1_,"axG",@progbits,_ZN7rocprim17ROCPRIM_400000_NS6detail17trampoline_kernelINS0_14default_configENS1_20scan_config_selectorIN3c104HalfEEEZZNS1_9scan_implILNS1_25lookback_scan_determinismE0ELb0ELb0ES3_PKS6_PS6_S6_ZZZN2at6native31launch_logcumsumexp_cuda_kernelERKNSD_10TensorBaseESH_lENKUlvE_clEvENKUlvE3_clEvEUlS6_S6_E_S6_EEDaPvRmT3_T4_T5_mT6_P12ihipStream_tbENKUlT_T0_E_clISt17integral_constantIbLb0EESX_IbLb1EEEEDaST_SU_EUlST_E_NS1_11comp_targetILNS1_3genE8ELNS1_11target_archE1030ELNS1_3gpuE2ELNS1_3repE0EEENS1_30default_config_static_selectorELNS0_4arch9wavefront6targetE0EEEvT1_,comdat
.Lfunc_end424:
	.size	_ZN7rocprim17ROCPRIM_400000_NS6detail17trampoline_kernelINS0_14default_configENS1_20scan_config_selectorIN3c104HalfEEEZZNS1_9scan_implILNS1_25lookback_scan_determinismE0ELb0ELb0ES3_PKS6_PS6_S6_ZZZN2at6native31launch_logcumsumexp_cuda_kernelERKNSD_10TensorBaseESH_lENKUlvE_clEvENKUlvE3_clEvEUlS6_S6_E_S6_EEDaPvRmT3_T4_T5_mT6_P12ihipStream_tbENKUlT_T0_E_clISt17integral_constantIbLb0EESX_IbLb1EEEEDaST_SU_EUlST_E_NS1_11comp_targetILNS1_3genE8ELNS1_11target_archE1030ELNS1_3gpuE2ELNS1_3repE0EEENS1_30default_config_static_selectorELNS0_4arch9wavefront6targetE0EEEvT1_, .Lfunc_end424-_ZN7rocprim17ROCPRIM_400000_NS6detail17trampoline_kernelINS0_14default_configENS1_20scan_config_selectorIN3c104HalfEEEZZNS1_9scan_implILNS1_25lookback_scan_determinismE0ELb0ELb0ES3_PKS6_PS6_S6_ZZZN2at6native31launch_logcumsumexp_cuda_kernelERKNSD_10TensorBaseESH_lENKUlvE_clEvENKUlvE3_clEvEUlS6_S6_E_S6_EEDaPvRmT3_T4_T5_mT6_P12ihipStream_tbENKUlT_T0_E_clISt17integral_constantIbLb0EESX_IbLb1EEEEDaST_SU_EUlST_E_NS1_11comp_targetILNS1_3genE8ELNS1_11target_archE1030ELNS1_3gpuE2ELNS1_3repE0EEENS1_30default_config_static_selectorELNS0_4arch9wavefront6targetE0EEEvT1_
                                        ; -- End function
	.set _ZN7rocprim17ROCPRIM_400000_NS6detail17trampoline_kernelINS0_14default_configENS1_20scan_config_selectorIN3c104HalfEEEZZNS1_9scan_implILNS1_25lookback_scan_determinismE0ELb0ELb0ES3_PKS6_PS6_S6_ZZZN2at6native31launch_logcumsumexp_cuda_kernelERKNSD_10TensorBaseESH_lENKUlvE_clEvENKUlvE3_clEvEUlS6_S6_E_S6_EEDaPvRmT3_T4_T5_mT6_P12ihipStream_tbENKUlT_T0_E_clISt17integral_constantIbLb0EESX_IbLb1EEEEDaST_SU_EUlST_E_NS1_11comp_targetILNS1_3genE8ELNS1_11target_archE1030ELNS1_3gpuE2ELNS1_3repE0EEENS1_30default_config_static_selectorELNS0_4arch9wavefront6targetE0EEEvT1_.num_vgpr, 0
	.set _ZN7rocprim17ROCPRIM_400000_NS6detail17trampoline_kernelINS0_14default_configENS1_20scan_config_selectorIN3c104HalfEEEZZNS1_9scan_implILNS1_25lookback_scan_determinismE0ELb0ELb0ES3_PKS6_PS6_S6_ZZZN2at6native31launch_logcumsumexp_cuda_kernelERKNSD_10TensorBaseESH_lENKUlvE_clEvENKUlvE3_clEvEUlS6_S6_E_S6_EEDaPvRmT3_T4_T5_mT6_P12ihipStream_tbENKUlT_T0_E_clISt17integral_constantIbLb0EESX_IbLb1EEEEDaST_SU_EUlST_E_NS1_11comp_targetILNS1_3genE8ELNS1_11target_archE1030ELNS1_3gpuE2ELNS1_3repE0EEENS1_30default_config_static_selectorELNS0_4arch9wavefront6targetE0EEEvT1_.num_agpr, 0
	.set _ZN7rocprim17ROCPRIM_400000_NS6detail17trampoline_kernelINS0_14default_configENS1_20scan_config_selectorIN3c104HalfEEEZZNS1_9scan_implILNS1_25lookback_scan_determinismE0ELb0ELb0ES3_PKS6_PS6_S6_ZZZN2at6native31launch_logcumsumexp_cuda_kernelERKNSD_10TensorBaseESH_lENKUlvE_clEvENKUlvE3_clEvEUlS6_S6_E_S6_EEDaPvRmT3_T4_T5_mT6_P12ihipStream_tbENKUlT_T0_E_clISt17integral_constantIbLb0EESX_IbLb1EEEEDaST_SU_EUlST_E_NS1_11comp_targetILNS1_3genE8ELNS1_11target_archE1030ELNS1_3gpuE2ELNS1_3repE0EEENS1_30default_config_static_selectorELNS0_4arch9wavefront6targetE0EEEvT1_.numbered_sgpr, 0
	.set _ZN7rocprim17ROCPRIM_400000_NS6detail17trampoline_kernelINS0_14default_configENS1_20scan_config_selectorIN3c104HalfEEEZZNS1_9scan_implILNS1_25lookback_scan_determinismE0ELb0ELb0ES3_PKS6_PS6_S6_ZZZN2at6native31launch_logcumsumexp_cuda_kernelERKNSD_10TensorBaseESH_lENKUlvE_clEvENKUlvE3_clEvEUlS6_S6_E_S6_EEDaPvRmT3_T4_T5_mT6_P12ihipStream_tbENKUlT_T0_E_clISt17integral_constantIbLb0EESX_IbLb1EEEEDaST_SU_EUlST_E_NS1_11comp_targetILNS1_3genE8ELNS1_11target_archE1030ELNS1_3gpuE2ELNS1_3repE0EEENS1_30default_config_static_selectorELNS0_4arch9wavefront6targetE0EEEvT1_.num_named_barrier, 0
	.set _ZN7rocprim17ROCPRIM_400000_NS6detail17trampoline_kernelINS0_14default_configENS1_20scan_config_selectorIN3c104HalfEEEZZNS1_9scan_implILNS1_25lookback_scan_determinismE0ELb0ELb0ES3_PKS6_PS6_S6_ZZZN2at6native31launch_logcumsumexp_cuda_kernelERKNSD_10TensorBaseESH_lENKUlvE_clEvENKUlvE3_clEvEUlS6_S6_E_S6_EEDaPvRmT3_T4_T5_mT6_P12ihipStream_tbENKUlT_T0_E_clISt17integral_constantIbLb0EESX_IbLb1EEEEDaST_SU_EUlST_E_NS1_11comp_targetILNS1_3genE8ELNS1_11target_archE1030ELNS1_3gpuE2ELNS1_3repE0EEENS1_30default_config_static_selectorELNS0_4arch9wavefront6targetE0EEEvT1_.private_seg_size, 0
	.set _ZN7rocprim17ROCPRIM_400000_NS6detail17trampoline_kernelINS0_14default_configENS1_20scan_config_selectorIN3c104HalfEEEZZNS1_9scan_implILNS1_25lookback_scan_determinismE0ELb0ELb0ES3_PKS6_PS6_S6_ZZZN2at6native31launch_logcumsumexp_cuda_kernelERKNSD_10TensorBaseESH_lENKUlvE_clEvENKUlvE3_clEvEUlS6_S6_E_S6_EEDaPvRmT3_T4_T5_mT6_P12ihipStream_tbENKUlT_T0_E_clISt17integral_constantIbLb0EESX_IbLb1EEEEDaST_SU_EUlST_E_NS1_11comp_targetILNS1_3genE8ELNS1_11target_archE1030ELNS1_3gpuE2ELNS1_3repE0EEENS1_30default_config_static_selectorELNS0_4arch9wavefront6targetE0EEEvT1_.uses_vcc, 0
	.set _ZN7rocprim17ROCPRIM_400000_NS6detail17trampoline_kernelINS0_14default_configENS1_20scan_config_selectorIN3c104HalfEEEZZNS1_9scan_implILNS1_25lookback_scan_determinismE0ELb0ELb0ES3_PKS6_PS6_S6_ZZZN2at6native31launch_logcumsumexp_cuda_kernelERKNSD_10TensorBaseESH_lENKUlvE_clEvENKUlvE3_clEvEUlS6_S6_E_S6_EEDaPvRmT3_T4_T5_mT6_P12ihipStream_tbENKUlT_T0_E_clISt17integral_constantIbLb0EESX_IbLb1EEEEDaST_SU_EUlST_E_NS1_11comp_targetILNS1_3genE8ELNS1_11target_archE1030ELNS1_3gpuE2ELNS1_3repE0EEENS1_30default_config_static_selectorELNS0_4arch9wavefront6targetE0EEEvT1_.uses_flat_scratch, 0
	.set _ZN7rocprim17ROCPRIM_400000_NS6detail17trampoline_kernelINS0_14default_configENS1_20scan_config_selectorIN3c104HalfEEEZZNS1_9scan_implILNS1_25lookback_scan_determinismE0ELb0ELb0ES3_PKS6_PS6_S6_ZZZN2at6native31launch_logcumsumexp_cuda_kernelERKNSD_10TensorBaseESH_lENKUlvE_clEvENKUlvE3_clEvEUlS6_S6_E_S6_EEDaPvRmT3_T4_T5_mT6_P12ihipStream_tbENKUlT_T0_E_clISt17integral_constantIbLb0EESX_IbLb1EEEEDaST_SU_EUlST_E_NS1_11comp_targetILNS1_3genE8ELNS1_11target_archE1030ELNS1_3gpuE2ELNS1_3repE0EEENS1_30default_config_static_selectorELNS0_4arch9wavefront6targetE0EEEvT1_.has_dyn_sized_stack, 0
	.set _ZN7rocprim17ROCPRIM_400000_NS6detail17trampoline_kernelINS0_14default_configENS1_20scan_config_selectorIN3c104HalfEEEZZNS1_9scan_implILNS1_25lookback_scan_determinismE0ELb0ELb0ES3_PKS6_PS6_S6_ZZZN2at6native31launch_logcumsumexp_cuda_kernelERKNSD_10TensorBaseESH_lENKUlvE_clEvENKUlvE3_clEvEUlS6_S6_E_S6_EEDaPvRmT3_T4_T5_mT6_P12ihipStream_tbENKUlT_T0_E_clISt17integral_constantIbLb0EESX_IbLb1EEEEDaST_SU_EUlST_E_NS1_11comp_targetILNS1_3genE8ELNS1_11target_archE1030ELNS1_3gpuE2ELNS1_3repE0EEENS1_30default_config_static_selectorELNS0_4arch9wavefront6targetE0EEEvT1_.has_recursion, 0
	.set _ZN7rocprim17ROCPRIM_400000_NS6detail17trampoline_kernelINS0_14default_configENS1_20scan_config_selectorIN3c104HalfEEEZZNS1_9scan_implILNS1_25lookback_scan_determinismE0ELb0ELb0ES3_PKS6_PS6_S6_ZZZN2at6native31launch_logcumsumexp_cuda_kernelERKNSD_10TensorBaseESH_lENKUlvE_clEvENKUlvE3_clEvEUlS6_S6_E_S6_EEDaPvRmT3_T4_T5_mT6_P12ihipStream_tbENKUlT_T0_E_clISt17integral_constantIbLb0EESX_IbLb1EEEEDaST_SU_EUlST_E_NS1_11comp_targetILNS1_3genE8ELNS1_11target_archE1030ELNS1_3gpuE2ELNS1_3repE0EEENS1_30default_config_static_selectorELNS0_4arch9wavefront6targetE0EEEvT1_.has_indirect_call, 0
	.section	.AMDGPU.csdata,"",@progbits
; Kernel info:
; codeLenInByte = 0
; TotalNumSgprs: 0
; NumVgprs: 0
; ScratchSize: 0
; MemoryBound: 0
; FloatMode: 240
; IeeeMode: 1
; LDSByteSize: 0 bytes/workgroup (compile time only)
; SGPRBlocks: 0
; VGPRBlocks: 0
; NumSGPRsForWavesPerEU: 1
; NumVGPRsForWavesPerEU: 1
; Occupancy: 16
; WaveLimiterHint : 0
; COMPUTE_PGM_RSRC2:SCRATCH_EN: 0
; COMPUTE_PGM_RSRC2:USER_SGPR: 2
; COMPUTE_PGM_RSRC2:TRAP_HANDLER: 0
; COMPUTE_PGM_RSRC2:TGID_X_EN: 1
; COMPUTE_PGM_RSRC2:TGID_Y_EN: 0
; COMPUTE_PGM_RSRC2:TGID_Z_EN: 0
; COMPUTE_PGM_RSRC2:TIDIG_COMP_CNT: 0
	.section	.text._ZN7rocprim17ROCPRIM_400000_NS6detail17trampoline_kernelINS0_14default_configENS1_20scan_config_selectorIN3c104HalfEEEZZNS1_9scan_implILNS1_25lookback_scan_determinismE0ELb0ELb0ES3_PKS6_PS6_S6_ZZZN2at6native31launch_logcumsumexp_cuda_kernelERKNSD_10TensorBaseESH_lENKUlvE_clEvENKUlvE3_clEvEUlS6_S6_E_S6_EEDaPvRmT3_T4_T5_mT6_P12ihipStream_tbENKUlT_T0_E_clISt17integral_constantIbLb0EESX_IbLb1EEEEDaST_SU_EUlST_E0_NS1_11comp_targetILNS1_3genE0ELNS1_11target_archE4294967295ELNS1_3gpuE0ELNS1_3repE0EEENS1_30default_config_static_selectorELNS0_4arch9wavefront6targetE0EEEvT1_,"axG",@progbits,_ZN7rocprim17ROCPRIM_400000_NS6detail17trampoline_kernelINS0_14default_configENS1_20scan_config_selectorIN3c104HalfEEEZZNS1_9scan_implILNS1_25lookback_scan_determinismE0ELb0ELb0ES3_PKS6_PS6_S6_ZZZN2at6native31launch_logcumsumexp_cuda_kernelERKNSD_10TensorBaseESH_lENKUlvE_clEvENKUlvE3_clEvEUlS6_S6_E_S6_EEDaPvRmT3_T4_T5_mT6_P12ihipStream_tbENKUlT_T0_E_clISt17integral_constantIbLb0EESX_IbLb1EEEEDaST_SU_EUlST_E0_NS1_11comp_targetILNS1_3genE0ELNS1_11target_archE4294967295ELNS1_3gpuE0ELNS1_3repE0EEENS1_30default_config_static_selectorELNS0_4arch9wavefront6targetE0EEEvT1_,comdat
	.globl	_ZN7rocprim17ROCPRIM_400000_NS6detail17trampoline_kernelINS0_14default_configENS1_20scan_config_selectorIN3c104HalfEEEZZNS1_9scan_implILNS1_25lookback_scan_determinismE0ELb0ELb0ES3_PKS6_PS6_S6_ZZZN2at6native31launch_logcumsumexp_cuda_kernelERKNSD_10TensorBaseESH_lENKUlvE_clEvENKUlvE3_clEvEUlS6_S6_E_S6_EEDaPvRmT3_T4_T5_mT6_P12ihipStream_tbENKUlT_T0_E_clISt17integral_constantIbLb0EESX_IbLb1EEEEDaST_SU_EUlST_E0_NS1_11comp_targetILNS1_3genE0ELNS1_11target_archE4294967295ELNS1_3gpuE0ELNS1_3repE0EEENS1_30default_config_static_selectorELNS0_4arch9wavefront6targetE0EEEvT1_ ; -- Begin function _ZN7rocprim17ROCPRIM_400000_NS6detail17trampoline_kernelINS0_14default_configENS1_20scan_config_selectorIN3c104HalfEEEZZNS1_9scan_implILNS1_25lookback_scan_determinismE0ELb0ELb0ES3_PKS6_PS6_S6_ZZZN2at6native31launch_logcumsumexp_cuda_kernelERKNSD_10TensorBaseESH_lENKUlvE_clEvENKUlvE3_clEvEUlS6_S6_E_S6_EEDaPvRmT3_T4_T5_mT6_P12ihipStream_tbENKUlT_T0_E_clISt17integral_constantIbLb0EESX_IbLb1EEEEDaST_SU_EUlST_E0_NS1_11comp_targetILNS1_3genE0ELNS1_11target_archE4294967295ELNS1_3gpuE0ELNS1_3repE0EEENS1_30default_config_static_selectorELNS0_4arch9wavefront6targetE0EEEvT1_
	.p2align	8
	.type	_ZN7rocprim17ROCPRIM_400000_NS6detail17trampoline_kernelINS0_14default_configENS1_20scan_config_selectorIN3c104HalfEEEZZNS1_9scan_implILNS1_25lookback_scan_determinismE0ELb0ELb0ES3_PKS6_PS6_S6_ZZZN2at6native31launch_logcumsumexp_cuda_kernelERKNSD_10TensorBaseESH_lENKUlvE_clEvENKUlvE3_clEvEUlS6_S6_E_S6_EEDaPvRmT3_T4_T5_mT6_P12ihipStream_tbENKUlT_T0_E_clISt17integral_constantIbLb0EESX_IbLb1EEEEDaST_SU_EUlST_E0_NS1_11comp_targetILNS1_3genE0ELNS1_11target_archE4294967295ELNS1_3gpuE0ELNS1_3repE0EEENS1_30default_config_static_selectorELNS0_4arch9wavefront6targetE0EEEvT1_,@function
_ZN7rocprim17ROCPRIM_400000_NS6detail17trampoline_kernelINS0_14default_configENS1_20scan_config_selectorIN3c104HalfEEEZZNS1_9scan_implILNS1_25lookback_scan_determinismE0ELb0ELb0ES3_PKS6_PS6_S6_ZZZN2at6native31launch_logcumsumexp_cuda_kernelERKNSD_10TensorBaseESH_lENKUlvE_clEvENKUlvE3_clEvEUlS6_S6_E_S6_EEDaPvRmT3_T4_T5_mT6_P12ihipStream_tbENKUlT_T0_E_clISt17integral_constantIbLb0EESX_IbLb1EEEEDaST_SU_EUlST_E0_NS1_11comp_targetILNS1_3genE0ELNS1_11target_archE4294967295ELNS1_3gpuE0ELNS1_3repE0EEENS1_30default_config_static_selectorELNS0_4arch9wavefront6targetE0EEEvT1_: ; @_ZN7rocprim17ROCPRIM_400000_NS6detail17trampoline_kernelINS0_14default_configENS1_20scan_config_selectorIN3c104HalfEEEZZNS1_9scan_implILNS1_25lookback_scan_determinismE0ELb0ELb0ES3_PKS6_PS6_S6_ZZZN2at6native31launch_logcumsumexp_cuda_kernelERKNSD_10TensorBaseESH_lENKUlvE_clEvENKUlvE3_clEvEUlS6_S6_E_S6_EEDaPvRmT3_T4_T5_mT6_P12ihipStream_tbENKUlT_T0_E_clISt17integral_constantIbLb0EESX_IbLb1EEEEDaST_SU_EUlST_E0_NS1_11comp_targetILNS1_3genE0ELNS1_11target_archE4294967295ELNS1_3gpuE0ELNS1_3repE0EEENS1_30default_config_static_selectorELNS0_4arch9wavefront6targetE0EEEvT1_
; %bb.0:
	.section	.rodata,"a",@progbits
	.p2align	6, 0x0
	.amdhsa_kernel _ZN7rocprim17ROCPRIM_400000_NS6detail17trampoline_kernelINS0_14default_configENS1_20scan_config_selectorIN3c104HalfEEEZZNS1_9scan_implILNS1_25lookback_scan_determinismE0ELb0ELb0ES3_PKS6_PS6_S6_ZZZN2at6native31launch_logcumsumexp_cuda_kernelERKNSD_10TensorBaseESH_lENKUlvE_clEvENKUlvE3_clEvEUlS6_S6_E_S6_EEDaPvRmT3_T4_T5_mT6_P12ihipStream_tbENKUlT_T0_E_clISt17integral_constantIbLb0EESX_IbLb1EEEEDaST_SU_EUlST_E0_NS1_11comp_targetILNS1_3genE0ELNS1_11target_archE4294967295ELNS1_3gpuE0ELNS1_3repE0EEENS1_30default_config_static_selectorELNS0_4arch9wavefront6targetE0EEEvT1_
		.amdhsa_group_segment_fixed_size 0
		.amdhsa_private_segment_fixed_size 0
		.amdhsa_kernarg_size 32
		.amdhsa_user_sgpr_count 2
		.amdhsa_user_sgpr_dispatch_ptr 0
		.amdhsa_user_sgpr_queue_ptr 0
		.amdhsa_user_sgpr_kernarg_segment_ptr 1
		.amdhsa_user_sgpr_dispatch_id 0
		.amdhsa_user_sgpr_private_segment_size 0
		.amdhsa_wavefront_size32 1
		.amdhsa_uses_dynamic_stack 0
		.amdhsa_enable_private_segment 0
		.amdhsa_system_sgpr_workgroup_id_x 1
		.amdhsa_system_sgpr_workgroup_id_y 0
		.amdhsa_system_sgpr_workgroup_id_z 0
		.amdhsa_system_sgpr_workgroup_info 0
		.amdhsa_system_vgpr_workitem_id 0
		.amdhsa_next_free_vgpr 1
		.amdhsa_next_free_sgpr 1
		.amdhsa_reserve_vcc 0
		.amdhsa_float_round_mode_32 0
		.amdhsa_float_round_mode_16_64 0
		.amdhsa_float_denorm_mode_32 3
		.amdhsa_float_denorm_mode_16_64 3
		.amdhsa_fp16_overflow 0
		.amdhsa_workgroup_processor_mode 1
		.amdhsa_memory_ordered 1
		.amdhsa_forward_progress 1
		.amdhsa_inst_pref_size 0
		.amdhsa_round_robin_scheduling 0
		.amdhsa_exception_fp_ieee_invalid_op 0
		.amdhsa_exception_fp_denorm_src 0
		.amdhsa_exception_fp_ieee_div_zero 0
		.amdhsa_exception_fp_ieee_overflow 0
		.amdhsa_exception_fp_ieee_underflow 0
		.amdhsa_exception_fp_ieee_inexact 0
		.amdhsa_exception_int_div_zero 0
	.end_amdhsa_kernel
	.section	.text._ZN7rocprim17ROCPRIM_400000_NS6detail17trampoline_kernelINS0_14default_configENS1_20scan_config_selectorIN3c104HalfEEEZZNS1_9scan_implILNS1_25lookback_scan_determinismE0ELb0ELb0ES3_PKS6_PS6_S6_ZZZN2at6native31launch_logcumsumexp_cuda_kernelERKNSD_10TensorBaseESH_lENKUlvE_clEvENKUlvE3_clEvEUlS6_S6_E_S6_EEDaPvRmT3_T4_T5_mT6_P12ihipStream_tbENKUlT_T0_E_clISt17integral_constantIbLb0EESX_IbLb1EEEEDaST_SU_EUlST_E0_NS1_11comp_targetILNS1_3genE0ELNS1_11target_archE4294967295ELNS1_3gpuE0ELNS1_3repE0EEENS1_30default_config_static_selectorELNS0_4arch9wavefront6targetE0EEEvT1_,"axG",@progbits,_ZN7rocprim17ROCPRIM_400000_NS6detail17trampoline_kernelINS0_14default_configENS1_20scan_config_selectorIN3c104HalfEEEZZNS1_9scan_implILNS1_25lookback_scan_determinismE0ELb0ELb0ES3_PKS6_PS6_S6_ZZZN2at6native31launch_logcumsumexp_cuda_kernelERKNSD_10TensorBaseESH_lENKUlvE_clEvENKUlvE3_clEvEUlS6_S6_E_S6_EEDaPvRmT3_T4_T5_mT6_P12ihipStream_tbENKUlT_T0_E_clISt17integral_constantIbLb0EESX_IbLb1EEEEDaST_SU_EUlST_E0_NS1_11comp_targetILNS1_3genE0ELNS1_11target_archE4294967295ELNS1_3gpuE0ELNS1_3repE0EEENS1_30default_config_static_selectorELNS0_4arch9wavefront6targetE0EEEvT1_,comdat
.Lfunc_end425:
	.size	_ZN7rocprim17ROCPRIM_400000_NS6detail17trampoline_kernelINS0_14default_configENS1_20scan_config_selectorIN3c104HalfEEEZZNS1_9scan_implILNS1_25lookback_scan_determinismE0ELb0ELb0ES3_PKS6_PS6_S6_ZZZN2at6native31launch_logcumsumexp_cuda_kernelERKNSD_10TensorBaseESH_lENKUlvE_clEvENKUlvE3_clEvEUlS6_S6_E_S6_EEDaPvRmT3_T4_T5_mT6_P12ihipStream_tbENKUlT_T0_E_clISt17integral_constantIbLb0EESX_IbLb1EEEEDaST_SU_EUlST_E0_NS1_11comp_targetILNS1_3genE0ELNS1_11target_archE4294967295ELNS1_3gpuE0ELNS1_3repE0EEENS1_30default_config_static_selectorELNS0_4arch9wavefront6targetE0EEEvT1_, .Lfunc_end425-_ZN7rocprim17ROCPRIM_400000_NS6detail17trampoline_kernelINS0_14default_configENS1_20scan_config_selectorIN3c104HalfEEEZZNS1_9scan_implILNS1_25lookback_scan_determinismE0ELb0ELb0ES3_PKS6_PS6_S6_ZZZN2at6native31launch_logcumsumexp_cuda_kernelERKNSD_10TensorBaseESH_lENKUlvE_clEvENKUlvE3_clEvEUlS6_S6_E_S6_EEDaPvRmT3_T4_T5_mT6_P12ihipStream_tbENKUlT_T0_E_clISt17integral_constantIbLb0EESX_IbLb1EEEEDaST_SU_EUlST_E0_NS1_11comp_targetILNS1_3genE0ELNS1_11target_archE4294967295ELNS1_3gpuE0ELNS1_3repE0EEENS1_30default_config_static_selectorELNS0_4arch9wavefront6targetE0EEEvT1_
                                        ; -- End function
	.set _ZN7rocprim17ROCPRIM_400000_NS6detail17trampoline_kernelINS0_14default_configENS1_20scan_config_selectorIN3c104HalfEEEZZNS1_9scan_implILNS1_25lookback_scan_determinismE0ELb0ELb0ES3_PKS6_PS6_S6_ZZZN2at6native31launch_logcumsumexp_cuda_kernelERKNSD_10TensorBaseESH_lENKUlvE_clEvENKUlvE3_clEvEUlS6_S6_E_S6_EEDaPvRmT3_T4_T5_mT6_P12ihipStream_tbENKUlT_T0_E_clISt17integral_constantIbLb0EESX_IbLb1EEEEDaST_SU_EUlST_E0_NS1_11comp_targetILNS1_3genE0ELNS1_11target_archE4294967295ELNS1_3gpuE0ELNS1_3repE0EEENS1_30default_config_static_selectorELNS0_4arch9wavefront6targetE0EEEvT1_.num_vgpr, 0
	.set _ZN7rocprim17ROCPRIM_400000_NS6detail17trampoline_kernelINS0_14default_configENS1_20scan_config_selectorIN3c104HalfEEEZZNS1_9scan_implILNS1_25lookback_scan_determinismE0ELb0ELb0ES3_PKS6_PS6_S6_ZZZN2at6native31launch_logcumsumexp_cuda_kernelERKNSD_10TensorBaseESH_lENKUlvE_clEvENKUlvE3_clEvEUlS6_S6_E_S6_EEDaPvRmT3_T4_T5_mT6_P12ihipStream_tbENKUlT_T0_E_clISt17integral_constantIbLb0EESX_IbLb1EEEEDaST_SU_EUlST_E0_NS1_11comp_targetILNS1_3genE0ELNS1_11target_archE4294967295ELNS1_3gpuE0ELNS1_3repE0EEENS1_30default_config_static_selectorELNS0_4arch9wavefront6targetE0EEEvT1_.num_agpr, 0
	.set _ZN7rocprim17ROCPRIM_400000_NS6detail17trampoline_kernelINS0_14default_configENS1_20scan_config_selectorIN3c104HalfEEEZZNS1_9scan_implILNS1_25lookback_scan_determinismE0ELb0ELb0ES3_PKS6_PS6_S6_ZZZN2at6native31launch_logcumsumexp_cuda_kernelERKNSD_10TensorBaseESH_lENKUlvE_clEvENKUlvE3_clEvEUlS6_S6_E_S6_EEDaPvRmT3_T4_T5_mT6_P12ihipStream_tbENKUlT_T0_E_clISt17integral_constantIbLb0EESX_IbLb1EEEEDaST_SU_EUlST_E0_NS1_11comp_targetILNS1_3genE0ELNS1_11target_archE4294967295ELNS1_3gpuE0ELNS1_3repE0EEENS1_30default_config_static_selectorELNS0_4arch9wavefront6targetE0EEEvT1_.numbered_sgpr, 0
	.set _ZN7rocprim17ROCPRIM_400000_NS6detail17trampoline_kernelINS0_14default_configENS1_20scan_config_selectorIN3c104HalfEEEZZNS1_9scan_implILNS1_25lookback_scan_determinismE0ELb0ELb0ES3_PKS6_PS6_S6_ZZZN2at6native31launch_logcumsumexp_cuda_kernelERKNSD_10TensorBaseESH_lENKUlvE_clEvENKUlvE3_clEvEUlS6_S6_E_S6_EEDaPvRmT3_T4_T5_mT6_P12ihipStream_tbENKUlT_T0_E_clISt17integral_constantIbLb0EESX_IbLb1EEEEDaST_SU_EUlST_E0_NS1_11comp_targetILNS1_3genE0ELNS1_11target_archE4294967295ELNS1_3gpuE0ELNS1_3repE0EEENS1_30default_config_static_selectorELNS0_4arch9wavefront6targetE0EEEvT1_.num_named_barrier, 0
	.set _ZN7rocprim17ROCPRIM_400000_NS6detail17trampoline_kernelINS0_14default_configENS1_20scan_config_selectorIN3c104HalfEEEZZNS1_9scan_implILNS1_25lookback_scan_determinismE0ELb0ELb0ES3_PKS6_PS6_S6_ZZZN2at6native31launch_logcumsumexp_cuda_kernelERKNSD_10TensorBaseESH_lENKUlvE_clEvENKUlvE3_clEvEUlS6_S6_E_S6_EEDaPvRmT3_T4_T5_mT6_P12ihipStream_tbENKUlT_T0_E_clISt17integral_constantIbLb0EESX_IbLb1EEEEDaST_SU_EUlST_E0_NS1_11comp_targetILNS1_3genE0ELNS1_11target_archE4294967295ELNS1_3gpuE0ELNS1_3repE0EEENS1_30default_config_static_selectorELNS0_4arch9wavefront6targetE0EEEvT1_.private_seg_size, 0
	.set _ZN7rocprim17ROCPRIM_400000_NS6detail17trampoline_kernelINS0_14default_configENS1_20scan_config_selectorIN3c104HalfEEEZZNS1_9scan_implILNS1_25lookback_scan_determinismE0ELb0ELb0ES3_PKS6_PS6_S6_ZZZN2at6native31launch_logcumsumexp_cuda_kernelERKNSD_10TensorBaseESH_lENKUlvE_clEvENKUlvE3_clEvEUlS6_S6_E_S6_EEDaPvRmT3_T4_T5_mT6_P12ihipStream_tbENKUlT_T0_E_clISt17integral_constantIbLb0EESX_IbLb1EEEEDaST_SU_EUlST_E0_NS1_11comp_targetILNS1_3genE0ELNS1_11target_archE4294967295ELNS1_3gpuE0ELNS1_3repE0EEENS1_30default_config_static_selectorELNS0_4arch9wavefront6targetE0EEEvT1_.uses_vcc, 0
	.set _ZN7rocprim17ROCPRIM_400000_NS6detail17trampoline_kernelINS0_14default_configENS1_20scan_config_selectorIN3c104HalfEEEZZNS1_9scan_implILNS1_25lookback_scan_determinismE0ELb0ELb0ES3_PKS6_PS6_S6_ZZZN2at6native31launch_logcumsumexp_cuda_kernelERKNSD_10TensorBaseESH_lENKUlvE_clEvENKUlvE3_clEvEUlS6_S6_E_S6_EEDaPvRmT3_T4_T5_mT6_P12ihipStream_tbENKUlT_T0_E_clISt17integral_constantIbLb0EESX_IbLb1EEEEDaST_SU_EUlST_E0_NS1_11comp_targetILNS1_3genE0ELNS1_11target_archE4294967295ELNS1_3gpuE0ELNS1_3repE0EEENS1_30default_config_static_selectorELNS0_4arch9wavefront6targetE0EEEvT1_.uses_flat_scratch, 0
	.set _ZN7rocprim17ROCPRIM_400000_NS6detail17trampoline_kernelINS0_14default_configENS1_20scan_config_selectorIN3c104HalfEEEZZNS1_9scan_implILNS1_25lookback_scan_determinismE0ELb0ELb0ES3_PKS6_PS6_S6_ZZZN2at6native31launch_logcumsumexp_cuda_kernelERKNSD_10TensorBaseESH_lENKUlvE_clEvENKUlvE3_clEvEUlS6_S6_E_S6_EEDaPvRmT3_T4_T5_mT6_P12ihipStream_tbENKUlT_T0_E_clISt17integral_constantIbLb0EESX_IbLb1EEEEDaST_SU_EUlST_E0_NS1_11comp_targetILNS1_3genE0ELNS1_11target_archE4294967295ELNS1_3gpuE0ELNS1_3repE0EEENS1_30default_config_static_selectorELNS0_4arch9wavefront6targetE0EEEvT1_.has_dyn_sized_stack, 0
	.set _ZN7rocprim17ROCPRIM_400000_NS6detail17trampoline_kernelINS0_14default_configENS1_20scan_config_selectorIN3c104HalfEEEZZNS1_9scan_implILNS1_25lookback_scan_determinismE0ELb0ELb0ES3_PKS6_PS6_S6_ZZZN2at6native31launch_logcumsumexp_cuda_kernelERKNSD_10TensorBaseESH_lENKUlvE_clEvENKUlvE3_clEvEUlS6_S6_E_S6_EEDaPvRmT3_T4_T5_mT6_P12ihipStream_tbENKUlT_T0_E_clISt17integral_constantIbLb0EESX_IbLb1EEEEDaST_SU_EUlST_E0_NS1_11comp_targetILNS1_3genE0ELNS1_11target_archE4294967295ELNS1_3gpuE0ELNS1_3repE0EEENS1_30default_config_static_selectorELNS0_4arch9wavefront6targetE0EEEvT1_.has_recursion, 0
	.set _ZN7rocprim17ROCPRIM_400000_NS6detail17trampoline_kernelINS0_14default_configENS1_20scan_config_selectorIN3c104HalfEEEZZNS1_9scan_implILNS1_25lookback_scan_determinismE0ELb0ELb0ES3_PKS6_PS6_S6_ZZZN2at6native31launch_logcumsumexp_cuda_kernelERKNSD_10TensorBaseESH_lENKUlvE_clEvENKUlvE3_clEvEUlS6_S6_E_S6_EEDaPvRmT3_T4_T5_mT6_P12ihipStream_tbENKUlT_T0_E_clISt17integral_constantIbLb0EESX_IbLb1EEEEDaST_SU_EUlST_E0_NS1_11comp_targetILNS1_3genE0ELNS1_11target_archE4294967295ELNS1_3gpuE0ELNS1_3repE0EEENS1_30default_config_static_selectorELNS0_4arch9wavefront6targetE0EEEvT1_.has_indirect_call, 0
	.section	.AMDGPU.csdata,"",@progbits
; Kernel info:
; codeLenInByte = 0
; TotalNumSgprs: 0
; NumVgprs: 0
; ScratchSize: 0
; MemoryBound: 0
; FloatMode: 240
; IeeeMode: 1
; LDSByteSize: 0 bytes/workgroup (compile time only)
; SGPRBlocks: 0
; VGPRBlocks: 0
; NumSGPRsForWavesPerEU: 1
; NumVGPRsForWavesPerEU: 1
; Occupancy: 16
; WaveLimiterHint : 0
; COMPUTE_PGM_RSRC2:SCRATCH_EN: 0
; COMPUTE_PGM_RSRC2:USER_SGPR: 2
; COMPUTE_PGM_RSRC2:TRAP_HANDLER: 0
; COMPUTE_PGM_RSRC2:TGID_X_EN: 1
; COMPUTE_PGM_RSRC2:TGID_Y_EN: 0
; COMPUTE_PGM_RSRC2:TGID_Z_EN: 0
; COMPUTE_PGM_RSRC2:TIDIG_COMP_CNT: 0
	.section	.text._ZN7rocprim17ROCPRIM_400000_NS6detail17trampoline_kernelINS0_14default_configENS1_20scan_config_selectorIN3c104HalfEEEZZNS1_9scan_implILNS1_25lookback_scan_determinismE0ELb0ELb0ES3_PKS6_PS6_S6_ZZZN2at6native31launch_logcumsumexp_cuda_kernelERKNSD_10TensorBaseESH_lENKUlvE_clEvENKUlvE3_clEvEUlS6_S6_E_S6_EEDaPvRmT3_T4_T5_mT6_P12ihipStream_tbENKUlT_T0_E_clISt17integral_constantIbLb0EESX_IbLb1EEEEDaST_SU_EUlST_E0_NS1_11comp_targetILNS1_3genE5ELNS1_11target_archE942ELNS1_3gpuE9ELNS1_3repE0EEENS1_30default_config_static_selectorELNS0_4arch9wavefront6targetE0EEEvT1_,"axG",@progbits,_ZN7rocprim17ROCPRIM_400000_NS6detail17trampoline_kernelINS0_14default_configENS1_20scan_config_selectorIN3c104HalfEEEZZNS1_9scan_implILNS1_25lookback_scan_determinismE0ELb0ELb0ES3_PKS6_PS6_S6_ZZZN2at6native31launch_logcumsumexp_cuda_kernelERKNSD_10TensorBaseESH_lENKUlvE_clEvENKUlvE3_clEvEUlS6_S6_E_S6_EEDaPvRmT3_T4_T5_mT6_P12ihipStream_tbENKUlT_T0_E_clISt17integral_constantIbLb0EESX_IbLb1EEEEDaST_SU_EUlST_E0_NS1_11comp_targetILNS1_3genE5ELNS1_11target_archE942ELNS1_3gpuE9ELNS1_3repE0EEENS1_30default_config_static_selectorELNS0_4arch9wavefront6targetE0EEEvT1_,comdat
	.globl	_ZN7rocprim17ROCPRIM_400000_NS6detail17trampoline_kernelINS0_14default_configENS1_20scan_config_selectorIN3c104HalfEEEZZNS1_9scan_implILNS1_25lookback_scan_determinismE0ELb0ELb0ES3_PKS6_PS6_S6_ZZZN2at6native31launch_logcumsumexp_cuda_kernelERKNSD_10TensorBaseESH_lENKUlvE_clEvENKUlvE3_clEvEUlS6_S6_E_S6_EEDaPvRmT3_T4_T5_mT6_P12ihipStream_tbENKUlT_T0_E_clISt17integral_constantIbLb0EESX_IbLb1EEEEDaST_SU_EUlST_E0_NS1_11comp_targetILNS1_3genE5ELNS1_11target_archE942ELNS1_3gpuE9ELNS1_3repE0EEENS1_30default_config_static_selectorELNS0_4arch9wavefront6targetE0EEEvT1_ ; -- Begin function _ZN7rocprim17ROCPRIM_400000_NS6detail17trampoline_kernelINS0_14default_configENS1_20scan_config_selectorIN3c104HalfEEEZZNS1_9scan_implILNS1_25lookback_scan_determinismE0ELb0ELb0ES3_PKS6_PS6_S6_ZZZN2at6native31launch_logcumsumexp_cuda_kernelERKNSD_10TensorBaseESH_lENKUlvE_clEvENKUlvE3_clEvEUlS6_S6_E_S6_EEDaPvRmT3_T4_T5_mT6_P12ihipStream_tbENKUlT_T0_E_clISt17integral_constantIbLb0EESX_IbLb1EEEEDaST_SU_EUlST_E0_NS1_11comp_targetILNS1_3genE5ELNS1_11target_archE942ELNS1_3gpuE9ELNS1_3repE0EEENS1_30default_config_static_selectorELNS0_4arch9wavefront6targetE0EEEvT1_
	.p2align	8
	.type	_ZN7rocprim17ROCPRIM_400000_NS6detail17trampoline_kernelINS0_14default_configENS1_20scan_config_selectorIN3c104HalfEEEZZNS1_9scan_implILNS1_25lookback_scan_determinismE0ELb0ELb0ES3_PKS6_PS6_S6_ZZZN2at6native31launch_logcumsumexp_cuda_kernelERKNSD_10TensorBaseESH_lENKUlvE_clEvENKUlvE3_clEvEUlS6_S6_E_S6_EEDaPvRmT3_T4_T5_mT6_P12ihipStream_tbENKUlT_T0_E_clISt17integral_constantIbLb0EESX_IbLb1EEEEDaST_SU_EUlST_E0_NS1_11comp_targetILNS1_3genE5ELNS1_11target_archE942ELNS1_3gpuE9ELNS1_3repE0EEENS1_30default_config_static_selectorELNS0_4arch9wavefront6targetE0EEEvT1_,@function
_ZN7rocprim17ROCPRIM_400000_NS6detail17trampoline_kernelINS0_14default_configENS1_20scan_config_selectorIN3c104HalfEEEZZNS1_9scan_implILNS1_25lookback_scan_determinismE0ELb0ELb0ES3_PKS6_PS6_S6_ZZZN2at6native31launch_logcumsumexp_cuda_kernelERKNSD_10TensorBaseESH_lENKUlvE_clEvENKUlvE3_clEvEUlS6_S6_E_S6_EEDaPvRmT3_T4_T5_mT6_P12ihipStream_tbENKUlT_T0_E_clISt17integral_constantIbLb0EESX_IbLb1EEEEDaST_SU_EUlST_E0_NS1_11comp_targetILNS1_3genE5ELNS1_11target_archE942ELNS1_3gpuE9ELNS1_3repE0EEENS1_30default_config_static_selectorELNS0_4arch9wavefront6targetE0EEEvT1_: ; @_ZN7rocprim17ROCPRIM_400000_NS6detail17trampoline_kernelINS0_14default_configENS1_20scan_config_selectorIN3c104HalfEEEZZNS1_9scan_implILNS1_25lookback_scan_determinismE0ELb0ELb0ES3_PKS6_PS6_S6_ZZZN2at6native31launch_logcumsumexp_cuda_kernelERKNSD_10TensorBaseESH_lENKUlvE_clEvENKUlvE3_clEvEUlS6_S6_E_S6_EEDaPvRmT3_T4_T5_mT6_P12ihipStream_tbENKUlT_T0_E_clISt17integral_constantIbLb0EESX_IbLb1EEEEDaST_SU_EUlST_E0_NS1_11comp_targetILNS1_3genE5ELNS1_11target_archE942ELNS1_3gpuE9ELNS1_3repE0EEENS1_30default_config_static_selectorELNS0_4arch9wavefront6targetE0EEEvT1_
; %bb.0:
	.section	.rodata,"a",@progbits
	.p2align	6, 0x0
	.amdhsa_kernel _ZN7rocprim17ROCPRIM_400000_NS6detail17trampoline_kernelINS0_14default_configENS1_20scan_config_selectorIN3c104HalfEEEZZNS1_9scan_implILNS1_25lookback_scan_determinismE0ELb0ELb0ES3_PKS6_PS6_S6_ZZZN2at6native31launch_logcumsumexp_cuda_kernelERKNSD_10TensorBaseESH_lENKUlvE_clEvENKUlvE3_clEvEUlS6_S6_E_S6_EEDaPvRmT3_T4_T5_mT6_P12ihipStream_tbENKUlT_T0_E_clISt17integral_constantIbLb0EESX_IbLb1EEEEDaST_SU_EUlST_E0_NS1_11comp_targetILNS1_3genE5ELNS1_11target_archE942ELNS1_3gpuE9ELNS1_3repE0EEENS1_30default_config_static_selectorELNS0_4arch9wavefront6targetE0EEEvT1_
		.amdhsa_group_segment_fixed_size 0
		.amdhsa_private_segment_fixed_size 0
		.amdhsa_kernarg_size 32
		.amdhsa_user_sgpr_count 2
		.amdhsa_user_sgpr_dispatch_ptr 0
		.amdhsa_user_sgpr_queue_ptr 0
		.amdhsa_user_sgpr_kernarg_segment_ptr 1
		.amdhsa_user_sgpr_dispatch_id 0
		.amdhsa_user_sgpr_private_segment_size 0
		.amdhsa_wavefront_size32 1
		.amdhsa_uses_dynamic_stack 0
		.amdhsa_enable_private_segment 0
		.amdhsa_system_sgpr_workgroup_id_x 1
		.amdhsa_system_sgpr_workgroup_id_y 0
		.amdhsa_system_sgpr_workgroup_id_z 0
		.amdhsa_system_sgpr_workgroup_info 0
		.amdhsa_system_vgpr_workitem_id 0
		.amdhsa_next_free_vgpr 1
		.amdhsa_next_free_sgpr 1
		.amdhsa_reserve_vcc 0
		.amdhsa_float_round_mode_32 0
		.amdhsa_float_round_mode_16_64 0
		.amdhsa_float_denorm_mode_32 3
		.amdhsa_float_denorm_mode_16_64 3
		.amdhsa_fp16_overflow 0
		.amdhsa_workgroup_processor_mode 1
		.amdhsa_memory_ordered 1
		.amdhsa_forward_progress 1
		.amdhsa_inst_pref_size 0
		.amdhsa_round_robin_scheduling 0
		.amdhsa_exception_fp_ieee_invalid_op 0
		.amdhsa_exception_fp_denorm_src 0
		.amdhsa_exception_fp_ieee_div_zero 0
		.amdhsa_exception_fp_ieee_overflow 0
		.amdhsa_exception_fp_ieee_underflow 0
		.amdhsa_exception_fp_ieee_inexact 0
		.amdhsa_exception_int_div_zero 0
	.end_amdhsa_kernel
	.section	.text._ZN7rocprim17ROCPRIM_400000_NS6detail17trampoline_kernelINS0_14default_configENS1_20scan_config_selectorIN3c104HalfEEEZZNS1_9scan_implILNS1_25lookback_scan_determinismE0ELb0ELb0ES3_PKS6_PS6_S6_ZZZN2at6native31launch_logcumsumexp_cuda_kernelERKNSD_10TensorBaseESH_lENKUlvE_clEvENKUlvE3_clEvEUlS6_S6_E_S6_EEDaPvRmT3_T4_T5_mT6_P12ihipStream_tbENKUlT_T0_E_clISt17integral_constantIbLb0EESX_IbLb1EEEEDaST_SU_EUlST_E0_NS1_11comp_targetILNS1_3genE5ELNS1_11target_archE942ELNS1_3gpuE9ELNS1_3repE0EEENS1_30default_config_static_selectorELNS0_4arch9wavefront6targetE0EEEvT1_,"axG",@progbits,_ZN7rocprim17ROCPRIM_400000_NS6detail17trampoline_kernelINS0_14default_configENS1_20scan_config_selectorIN3c104HalfEEEZZNS1_9scan_implILNS1_25lookback_scan_determinismE0ELb0ELb0ES3_PKS6_PS6_S6_ZZZN2at6native31launch_logcumsumexp_cuda_kernelERKNSD_10TensorBaseESH_lENKUlvE_clEvENKUlvE3_clEvEUlS6_S6_E_S6_EEDaPvRmT3_T4_T5_mT6_P12ihipStream_tbENKUlT_T0_E_clISt17integral_constantIbLb0EESX_IbLb1EEEEDaST_SU_EUlST_E0_NS1_11comp_targetILNS1_3genE5ELNS1_11target_archE942ELNS1_3gpuE9ELNS1_3repE0EEENS1_30default_config_static_selectorELNS0_4arch9wavefront6targetE0EEEvT1_,comdat
.Lfunc_end426:
	.size	_ZN7rocprim17ROCPRIM_400000_NS6detail17trampoline_kernelINS0_14default_configENS1_20scan_config_selectorIN3c104HalfEEEZZNS1_9scan_implILNS1_25lookback_scan_determinismE0ELb0ELb0ES3_PKS6_PS6_S6_ZZZN2at6native31launch_logcumsumexp_cuda_kernelERKNSD_10TensorBaseESH_lENKUlvE_clEvENKUlvE3_clEvEUlS6_S6_E_S6_EEDaPvRmT3_T4_T5_mT6_P12ihipStream_tbENKUlT_T0_E_clISt17integral_constantIbLb0EESX_IbLb1EEEEDaST_SU_EUlST_E0_NS1_11comp_targetILNS1_3genE5ELNS1_11target_archE942ELNS1_3gpuE9ELNS1_3repE0EEENS1_30default_config_static_selectorELNS0_4arch9wavefront6targetE0EEEvT1_, .Lfunc_end426-_ZN7rocprim17ROCPRIM_400000_NS6detail17trampoline_kernelINS0_14default_configENS1_20scan_config_selectorIN3c104HalfEEEZZNS1_9scan_implILNS1_25lookback_scan_determinismE0ELb0ELb0ES3_PKS6_PS6_S6_ZZZN2at6native31launch_logcumsumexp_cuda_kernelERKNSD_10TensorBaseESH_lENKUlvE_clEvENKUlvE3_clEvEUlS6_S6_E_S6_EEDaPvRmT3_T4_T5_mT6_P12ihipStream_tbENKUlT_T0_E_clISt17integral_constantIbLb0EESX_IbLb1EEEEDaST_SU_EUlST_E0_NS1_11comp_targetILNS1_3genE5ELNS1_11target_archE942ELNS1_3gpuE9ELNS1_3repE0EEENS1_30default_config_static_selectorELNS0_4arch9wavefront6targetE0EEEvT1_
                                        ; -- End function
	.set _ZN7rocprim17ROCPRIM_400000_NS6detail17trampoline_kernelINS0_14default_configENS1_20scan_config_selectorIN3c104HalfEEEZZNS1_9scan_implILNS1_25lookback_scan_determinismE0ELb0ELb0ES3_PKS6_PS6_S6_ZZZN2at6native31launch_logcumsumexp_cuda_kernelERKNSD_10TensorBaseESH_lENKUlvE_clEvENKUlvE3_clEvEUlS6_S6_E_S6_EEDaPvRmT3_T4_T5_mT6_P12ihipStream_tbENKUlT_T0_E_clISt17integral_constantIbLb0EESX_IbLb1EEEEDaST_SU_EUlST_E0_NS1_11comp_targetILNS1_3genE5ELNS1_11target_archE942ELNS1_3gpuE9ELNS1_3repE0EEENS1_30default_config_static_selectorELNS0_4arch9wavefront6targetE0EEEvT1_.num_vgpr, 0
	.set _ZN7rocprim17ROCPRIM_400000_NS6detail17trampoline_kernelINS0_14default_configENS1_20scan_config_selectorIN3c104HalfEEEZZNS1_9scan_implILNS1_25lookback_scan_determinismE0ELb0ELb0ES3_PKS6_PS6_S6_ZZZN2at6native31launch_logcumsumexp_cuda_kernelERKNSD_10TensorBaseESH_lENKUlvE_clEvENKUlvE3_clEvEUlS6_S6_E_S6_EEDaPvRmT3_T4_T5_mT6_P12ihipStream_tbENKUlT_T0_E_clISt17integral_constantIbLb0EESX_IbLb1EEEEDaST_SU_EUlST_E0_NS1_11comp_targetILNS1_3genE5ELNS1_11target_archE942ELNS1_3gpuE9ELNS1_3repE0EEENS1_30default_config_static_selectorELNS0_4arch9wavefront6targetE0EEEvT1_.num_agpr, 0
	.set _ZN7rocprim17ROCPRIM_400000_NS6detail17trampoline_kernelINS0_14default_configENS1_20scan_config_selectorIN3c104HalfEEEZZNS1_9scan_implILNS1_25lookback_scan_determinismE0ELb0ELb0ES3_PKS6_PS6_S6_ZZZN2at6native31launch_logcumsumexp_cuda_kernelERKNSD_10TensorBaseESH_lENKUlvE_clEvENKUlvE3_clEvEUlS6_S6_E_S6_EEDaPvRmT3_T4_T5_mT6_P12ihipStream_tbENKUlT_T0_E_clISt17integral_constantIbLb0EESX_IbLb1EEEEDaST_SU_EUlST_E0_NS1_11comp_targetILNS1_3genE5ELNS1_11target_archE942ELNS1_3gpuE9ELNS1_3repE0EEENS1_30default_config_static_selectorELNS0_4arch9wavefront6targetE0EEEvT1_.numbered_sgpr, 0
	.set _ZN7rocprim17ROCPRIM_400000_NS6detail17trampoline_kernelINS0_14default_configENS1_20scan_config_selectorIN3c104HalfEEEZZNS1_9scan_implILNS1_25lookback_scan_determinismE0ELb0ELb0ES3_PKS6_PS6_S6_ZZZN2at6native31launch_logcumsumexp_cuda_kernelERKNSD_10TensorBaseESH_lENKUlvE_clEvENKUlvE3_clEvEUlS6_S6_E_S6_EEDaPvRmT3_T4_T5_mT6_P12ihipStream_tbENKUlT_T0_E_clISt17integral_constantIbLb0EESX_IbLb1EEEEDaST_SU_EUlST_E0_NS1_11comp_targetILNS1_3genE5ELNS1_11target_archE942ELNS1_3gpuE9ELNS1_3repE0EEENS1_30default_config_static_selectorELNS0_4arch9wavefront6targetE0EEEvT1_.num_named_barrier, 0
	.set _ZN7rocprim17ROCPRIM_400000_NS6detail17trampoline_kernelINS0_14default_configENS1_20scan_config_selectorIN3c104HalfEEEZZNS1_9scan_implILNS1_25lookback_scan_determinismE0ELb0ELb0ES3_PKS6_PS6_S6_ZZZN2at6native31launch_logcumsumexp_cuda_kernelERKNSD_10TensorBaseESH_lENKUlvE_clEvENKUlvE3_clEvEUlS6_S6_E_S6_EEDaPvRmT3_T4_T5_mT6_P12ihipStream_tbENKUlT_T0_E_clISt17integral_constantIbLb0EESX_IbLb1EEEEDaST_SU_EUlST_E0_NS1_11comp_targetILNS1_3genE5ELNS1_11target_archE942ELNS1_3gpuE9ELNS1_3repE0EEENS1_30default_config_static_selectorELNS0_4arch9wavefront6targetE0EEEvT1_.private_seg_size, 0
	.set _ZN7rocprim17ROCPRIM_400000_NS6detail17trampoline_kernelINS0_14default_configENS1_20scan_config_selectorIN3c104HalfEEEZZNS1_9scan_implILNS1_25lookback_scan_determinismE0ELb0ELb0ES3_PKS6_PS6_S6_ZZZN2at6native31launch_logcumsumexp_cuda_kernelERKNSD_10TensorBaseESH_lENKUlvE_clEvENKUlvE3_clEvEUlS6_S6_E_S6_EEDaPvRmT3_T4_T5_mT6_P12ihipStream_tbENKUlT_T0_E_clISt17integral_constantIbLb0EESX_IbLb1EEEEDaST_SU_EUlST_E0_NS1_11comp_targetILNS1_3genE5ELNS1_11target_archE942ELNS1_3gpuE9ELNS1_3repE0EEENS1_30default_config_static_selectorELNS0_4arch9wavefront6targetE0EEEvT1_.uses_vcc, 0
	.set _ZN7rocprim17ROCPRIM_400000_NS6detail17trampoline_kernelINS0_14default_configENS1_20scan_config_selectorIN3c104HalfEEEZZNS1_9scan_implILNS1_25lookback_scan_determinismE0ELb0ELb0ES3_PKS6_PS6_S6_ZZZN2at6native31launch_logcumsumexp_cuda_kernelERKNSD_10TensorBaseESH_lENKUlvE_clEvENKUlvE3_clEvEUlS6_S6_E_S6_EEDaPvRmT3_T4_T5_mT6_P12ihipStream_tbENKUlT_T0_E_clISt17integral_constantIbLb0EESX_IbLb1EEEEDaST_SU_EUlST_E0_NS1_11comp_targetILNS1_3genE5ELNS1_11target_archE942ELNS1_3gpuE9ELNS1_3repE0EEENS1_30default_config_static_selectorELNS0_4arch9wavefront6targetE0EEEvT1_.uses_flat_scratch, 0
	.set _ZN7rocprim17ROCPRIM_400000_NS6detail17trampoline_kernelINS0_14default_configENS1_20scan_config_selectorIN3c104HalfEEEZZNS1_9scan_implILNS1_25lookback_scan_determinismE0ELb0ELb0ES3_PKS6_PS6_S6_ZZZN2at6native31launch_logcumsumexp_cuda_kernelERKNSD_10TensorBaseESH_lENKUlvE_clEvENKUlvE3_clEvEUlS6_S6_E_S6_EEDaPvRmT3_T4_T5_mT6_P12ihipStream_tbENKUlT_T0_E_clISt17integral_constantIbLb0EESX_IbLb1EEEEDaST_SU_EUlST_E0_NS1_11comp_targetILNS1_3genE5ELNS1_11target_archE942ELNS1_3gpuE9ELNS1_3repE0EEENS1_30default_config_static_selectorELNS0_4arch9wavefront6targetE0EEEvT1_.has_dyn_sized_stack, 0
	.set _ZN7rocprim17ROCPRIM_400000_NS6detail17trampoline_kernelINS0_14default_configENS1_20scan_config_selectorIN3c104HalfEEEZZNS1_9scan_implILNS1_25lookback_scan_determinismE0ELb0ELb0ES3_PKS6_PS6_S6_ZZZN2at6native31launch_logcumsumexp_cuda_kernelERKNSD_10TensorBaseESH_lENKUlvE_clEvENKUlvE3_clEvEUlS6_S6_E_S6_EEDaPvRmT3_T4_T5_mT6_P12ihipStream_tbENKUlT_T0_E_clISt17integral_constantIbLb0EESX_IbLb1EEEEDaST_SU_EUlST_E0_NS1_11comp_targetILNS1_3genE5ELNS1_11target_archE942ELNS1_3gpuE9ELNS1_3repE0EEENS1_30default_config_static_selectorELNS0_4arch9wavefront6targetE0EEEvT1_.has_recursion, 0
	.set _ZN7rocprim17ROCPRIM_400000_NS6detail17trampoline_kernelINS0_14default_configENS1_20scan_config_selectorIN3c104HalfEEEZZNS1_9scan_implILNS1_25lookback_scan_determinismE0ELb0ELb0ES3_PKS6_PS6_S6_ZZZN2at6native31launch_logcumsumexp_cuda_kernelERKNSD_10TensorBaseESH_lENKUlvE_clEvENKUlvE3_clEvEUlS6_S6_E_S6_EEDaPvRmT3_T4_T5_mT6_P12ihipStream_tbENKUlT_T0_E_clISt17integral_constantIbLb0EESX_IbLb1EEEEDaST_SU_EUlST_E0_NS1_11comp_targetILNS1_3genE5ELNS1_11target_archE942ELNS1_3gpuE9ELNS1_3repE0EEENS1_30default_config_static_selectorELNS0_4arch9wavefront6targetE0EEEvT1_.has_indirect_call, 0
	.section	.AMDGPU.csdata,"",@progbits
; Kernel info:
; codeLenInByte = 0
; TotalNumSgprs: 0
; NumVgprs: 0
; ScratchSize: 0
; MemoryBound: 0
; FloatMode: 240
; IeeeMode: 1
; LDSByteSize: 0 bytes/workgroup (compile time only)
; SGPRBlocks: 0
; VGPRBlocks: 0
; NumSGPRsForWavesPerEU: 1
; NumVGPRsForWavesPerEU: 1
; Occupancy: 16
; WaveLimiterHint : 0
; COMPUTE_PGM_RSRC2:SCRATCH_EN: 0
; COMPUTE_PGM_RSRC2:USER_SGPR: 2
; COMPUTE_PGM_RSRC2:TRAP_HANDLER: 0
; COMPUTE_PGM_RSRC2:TGID_X_EN: 1
; COMPUTE_PGM_RSRC2:TGID_Y_EN: 0
; COMPUTE_PGM_RSRC2:TGID_Z_EN: 0
; COMPUTE_PGM_RSRC2:TIDIG_COMP_CNT: 0
	.section	.text._ZN7rocprim17ROCPRIM_400000_NS6detail17trampoline_kernelINS0_14default_configENS1_20scan_config_selectorIN3c104HalfEEEZZNS1_9scan_implILNS1_25lookback_scan_determinismE0ELb0ELb0ES3_PKS6_PS6_S6_ZZZN2at6native31launch_logcumsumexp_cuda_kernelERKNSD_10TensorBaseESH_lENKUlvE_clEvENKUlvE3_clEvEUlS6_S6_E_S6_EEDaPvRmT3_T4_T5_mT6_P12ihipStream_tbENKUlT_T0_E_clISt17integral_constantIbLb0EESX_IbLb1EEEEDaST_SU_EUlST_E0_NS1_11comp_targetILNS1_3genE4ELNS1_11target_archE910ELNS1_3gpuE8ELNS1_3repE0EEENS1_30default_config_static_selectorELNS0_4arch9wavefront6targetE0EEEvT1_,"axG",@progbits,_ZN7rocprim17ROCPRIM_400000_NS6detail17trampoline_kernelINS0_14default_configENS1_20scan_config_selectorIN3c104HalfEEEZZNS1_9scan_implILNS1_25lookback_scan_determinismE0ELb0ELb0ES3_PKS6_PS6_S6_ZZZN2at6native31launch_logcumsumexp_cuda_kernelERKNSD_10TensorBaseESH_lENKUlvE_clEvENKUlvE3_clEvEUlS6_S6_E_S6_EEDaPvRmT3_T4_T5_mT6_P12ihipStream_tbENKUlT_T0_E_clISt17integral_constantIbLb0EESX_IbLb1EEEEDaST_SU_EUlST_E0_NS1_11comp_targetILNS1_3genE4ELNS1_11target_archE910ELNS1_3gpuE8ELNS1_3repE0EEENS1_30default_config_static_selectorELNS0_4arch9wavefront6targetE0EEEvT1_,comdat
	.globl	_ZN7rocprim17ROCPRIM_400000_NS6detail17trampoline_kernelINS0_14default_configENS1_20scan_config_selectorIN3c104HalfEEEZZNS1_9scan_implILNS1_25lookback_scan_determinismE0ELb0ELb0ES3_PKS6_PS6_S6_ZZZN2at6native31launch_logcumsumexp_cuda_kernelERKNSD_10TensorBaseESH_lENKUlvE_clEvENKUlvE3_clEvEUlS6_S6_E_S6_EEDaPvRmT3_T4_T5_mT6_P12ihipStream_tbENKUlT_T0_E_clISt17integral_constantIbLb0EESX_IbLb1EEEEDaST_SU_EUlST_E0_NS1_11comp_targetILNS1_3genE4ELNS1_11target_archE910ELNS1_3gpuE8ELNS1_3repE0EEENS1_30default_config_static_selectorELNS0_4arch9wavefront6targetE0EEEvT1_ ; -- Begin function _ZN7rocprim17ROCPRIM_400000_NS6detail17trampoline_kernelINS0_14default_configENS1_20scan_config_selectorIN3c104HalfEEEZZNS1_9scan_implILNS1_25lookback_scan_determinismE0ELb0ELb0ES3_PKS6_PS6_S6_ZZZN2at6native31launch_logcumsumexp_cuda_kernelERKNSD_10TensorBaseESH_lENKUlvE_clEvENKUlvE3_clEvEUlS6_S6_E_S6_EEDaPvRmT3_T4_T5_mT6_P12ihipStream_tbENKUlT_T0_E_clISt17integral_constantIbLb0EESX_IbLb1EEEEDaST_SU_EUlST_E0_NS1_11comp_targetILNS1_3genE4ELNS1_11target_archE910ELNS1_3gpuE8ELNS1_3repE0EEENS1_30default_config_static_selectorELNS0_4arch9wavefront6targetE0EEEvT1_
	.p2align	8
	.type	_ZN7rocprim17ROCPRIM_400000_NS6detail17trampoline_kernelINS0_14default_configENS1_20scan_config_selectorIN3c104HalfEEEZZNS1_9scan_implILNS1_25lookback_scan_determinismE0ELb0ELb0ES3_PKS6_PS6_S6_ZZZN2at6native31launch_logcumsumexp_cuda_kernelERKNSD_10TensorBaseESH_lENKUlvE_clEvENKUlvE3_clEvEUlS6_S6_E_S6_EEDaPvRmT3_T4_T5_mT6_P12ihipStream_tbENKUlT_T0_E_clISt17integral_constantIbLb0EESX_IbLb1EEEEDaST_SU_EUlST_E0_NS1_11comp_targetILNS1_3genE4ELNS1_11target_archE910ELNS1_3gpuE8ELNS1_3repE0EEENS1_30default_config_static_selectorELNS0_4arch9wavefront6targetE0EEEvT1_,@function
_ZN7rocprim17ROCPRIM_400000_NS6detail17trampoline_kernelINS0_14default_configENS1_20scan_config_selectorIN3c104HalfEEEZZNS1_9scan_implILNS1_25lookback_scan_determinismE0ELb0ELb0ES3_PKS6_PS6_S6_ZZZN2at6native31launch_logcumsumexp_cuda_kernelERKNSD_10TensorBaseESH_lENKUlvE_clEvENKUlvE3_clEvEUlS6_S6_E_S6_EEDaPvRmT3_T4_T5_mT6_P12ihipStream_tbENKUlT_T0_E_clISt17integral_constantIbLb0EESX_IbLb1EEEEDaST_SU_EUlST_E0_NS1_11comp_targetILNS1_3genE4ELNS1_11target_archE910ELNS1_3gpuE8ELNS1_3repE0EEENS1_30default_config_static_selectorELNS0_4arch9wavefront6targetE0EEEvT1_: ; @_ZN7rocprim17ROCPRIM_400000_NS6detail17trampoline_kernelINS0_14default_configENS1_20scan_config_selectorIN3c104HalfEEEZZNS1_9scan_implILNS1_25lookback_scan_determinismE0ELb0ELb0ES3_PKS6_PS6_S6_ZZZN2at6native31launch_logcumsumexp_cuda_kernelERKNSD_10TensorBaseESH_lENKUlvE_clEvENKUlvE3_clEvEUlS6_S6_E_S6_EEDaPvRmT3_T4_T5_mT6_P12ihipStream_tbENKUlT_T0_E_clISt17integral_constantIbLb0EESX_IbLb1EEEEDaST_SU_EUlST_E0_NS1_11comp_targetILNS1_3genE4ELNS1_11target_archE910ELNS1_3gpuE8ELNS1_3repE0EEENS1_30default_config_static_selectorELNS0_4arch9wavefront6targetE0EEEvT1_
; %bb.0:
	.section	.rodata,"a",@progbits
	.p2align	6, 0x0
	.amdhsa_kernel _ZN7rocprim17ROCPRIM_400000_NS6detail17trampoline_kernelINS0_14default_configENS1_20scan_config_selectorIN3c104HalfEEEZZNS1_9scan_implILNS1_25lookback_scan_determinismE0ELb0ELb0ES3_PKS6_PS6_S6_ZZZN2at6native31launch_logcumsumexp_cuda_kernelERKNSD_10TensorBaseESH_lENKUlvE_clEvENKUlvE3_clEvEUlS6_S6_E_S6_EEDaPvRmT3_T4_T5_mT6_P12ihipStream_tbENKUlT_T0_E_clISt17integral_constantIbLb0EESX_IbLb1EEEEDaST_SU_EUlST_E0_NS1_11comp_targetILNS1_3genE4ELNS1_11target_archE910ELNS1_3gpuE8ELNS1_3repE0EEENS1_30default_config_static_selectorELNS0_4arch9wavefront6targetE0EEEvT1_
		.amdhsa_group_segment_fixed_size 0
		.amdhsa_private_segment_fixed_size 0
		.amdhsa_kernarg_size 32
		.amdhsa_user_sgpr_count 2
		.amdhsa_user_sgpr_dispatch_ptr 0
		.amdhsa_user_sgpr_queue_ptr 0
		.amdhsa_user_sgpr_kernarg_segment_ptr 1
		.amdhsa_user_sgpr_dispatch_id 0
		.amdhsa_user_sgpr_private_segment_size 0
		.amdhsa_wavefront_size32 1
		.amdhsa_uses_dynamic_stack 0
		.amdhsa_enable_private_segment 0
		.amdhsa_system_sgpr_workgroup_id_x 1
		.amdhsa_system_sgpr_workgroup_id_y 0
		.amdhsa_system_sgpr_workgroup_id_z 0
		.amdhsa_system_sgpr_workgroup_info 0
		.amdhsa_system_vgpr_workitem_id 0
		.amdhsa_next_free_vgpr 1
		.amdhsa_next_free_sgpr 1
		.amdhsa_reserve_vcc 0
		.amdhsa_float_round_mode_32 0
		.amdhsa_float_round_mode_16_64 0
		.amdhsa_float_denorm_mode_32 3
		.amdhsa_float_denorm_mode_16_64 3
		.amdhsa_fp16_overflow 0
		.amdhsa_workgroup_processor_mode 1
		.amdhsa_memory_ordered 1
		.amdhsa_forward_progress 1
		.amdhsa_inst_pref_size 0
		.amdhsa_round_robin_scheduling 0
		.amdhsa_exception_fp_ieee_invalid_op 0
		.amdhsa_exception_fp_denorm_src 0
		.amdhsa_exception_fp_ieee_div_zero 0
		.amdhsa_exception_fp_ieee_overflow 0
		.amdhsa_exception_fp_ieee_underflow 0
		.amdhsa_exception_fp_ieee_inexact 0
		.amdhsa_exception_int_div_zero 0
	.end_amdhsa_kernel
	.section	.text._ZN7rocprim17ROCPRIM_400000_NS6detail17trampoline_kernelINS0_14default_configENS1_20scan_config_selectorIN3c104HalfEEEZZNS1_9scan_implILNS1_25lookback_scan_determinismE0ELb0ELb0ES3_PKS6_PS6_S6_ZZZN2at6native31launch_logcumsumexp_cuda_kernelERKNSD_10TensorBaseESH_lENKUlvE_clEvENKUlvE3_clEvEUlS6_S6_E_S6_EEDaPvRmT3_T4_T5_mT6_P12ihipStream_tbENKUlT_T0_E_clISt17integral_constantIbLb0EESX_IbLb1EEEEDaST_SU_EUlST_E0_NS1_11comp_targetILNS1_3genE4ELNS1_11target_archE910ELNS1_3gpuE8ELNS1_3repE0EEENS1_30default_config_static_selectorELNS0_4arch9wavefront6targetE0EEEvT1_,"axG",@progbits,_ZN7rocprim17ROCPRIM_400000_NS6detail17trampoline_kernelINS0_14default_configENS1_20scan_config_selectorIN3c104HalfEEEZZNS1_9scan_implILNS1_25lookback_scan_determinismE0ELb0ELb0ES3_PKS6_PS6_S6_ZZZN2at6native31launch_logcumsumexp_cuda_kernelERKNSD_10TensorBaseESH_lENKUlvE_clEvENKUlvE3_clEvEUlS6_S6_E_S6_EEDaPvRmT3_T4_T5_mT6_P12ihipStream_tbENKUlT_T0_E_clISt17integral_constantIbLb0EESX_IbLb1EEEEDaST_SU_EUlST_E0_NS1_11comp_targetILNS1_3genE4ELNS1_11target_archE910ELNS1_3gpuE8ELNS1_3repE0EEENS1_30default_config_static_selectorELNS0_4arch9wavefront6targetE0EEEvT1_,comdat
.Lfunc_end427:
	.size	_ZN7rocprim17ROCPRIM_400000_NS6detail17trampoline_kernelINS0_14default_configENS1_20scan_config_selectorIN3c104HalfEEEZZNS1_9scan_implILNS1_25lookback_scan_determinismE0ELb0ELb0ES3_PKS6_PS6_S6_ZZZN2at6native31launch_logcumsumexp_cuda_kernelERKNSD_10TensorBaseESH_lENKUlvE_clEvENKUlvE3_clEvEUlS6_S6_E_S6_EEDaPvRmT3_T4_T5_mT6_P12ihipStream_tbENKUlT_T0_E_clISt17integral_constantIbLb0EESX_IbLb1EEEEDaST_SU_EUlST_E0_NS1_11comp_targetILNS1_3genE4ELNS1_11target_archE910ELNS1_3gpuE8ELNS1_3repE0EEENS1_30default_config_static_selectorELNS0_4arch9wavefront6targetE0EEEvT1_, .Lfunc_end427-_ZN7rocprim17ROCPRIM_400000_NS6detail17trampoline_kernelINS0_14default_configENS1_20scan_config_selectorIN3c104HalfEEEZZNS1_9scan_implILNS1_25lookback_scan_determinismE0ELb0ELb0ES3_PKS6_PS6_S6_ZZZN2at6native31launch_logcumsumexp_cuda_kernelERKNSD_10TensorBaseESH_lENKUlvE_clEvENKUlvE3_clEvEUlS6_S6_E_S6_EEDaPvRmT3_T4_T5_mT6_P12ihipStream_tbENKUlT_T0_E_clISt17integral_constantIbLb0EESX_IbLb1EEEEDaST_SU_EUlST_E0_NS1_11comp_targetILNS1_3genE4ELNS1_11target_archE910ELNS1_3gpuE8ELNS1_3repE0EEENS1_30default_config_static_selectorELNS0_4arch9wavefront6targetE0EEEvT1_
                                        ; -- End function
	.set _ZN7rocprim17ROCPRIM_400000_NS6detail17trampoline_kernelINS0_14default_configENS1_20scan_config_selectorIN3c104HalfEEEZZNS1_9scan_implILNS1_25lookback_scan_determinismE0ELb0ELb0ES3_PKS6_PS6_S6_ZZZN2at6native31launch_logcumsumexp_cuda_kernelERKNSD_10TensorBaseESH_lENKUlvE_clEvENKUlvE3_clEvEUlS6_S6_E_S6_EEDaPvRmT3_T4_T5_mT6_P12ihipStream_tbENKUlT_T0_E_clISt17integral_constantIbLb0EESX_IbLb1EEEEDaST_SU_EUlST_E0_NS1_11comp_targetILNS1_3genE4ELNS1_11target_archE910ELNS1_3gpuE8ELNS1_3repE0EEENS1_30default_config_static_selectorELNS0_4arch9wavefront6targetE0EEEvT1_.num_vgpr, 0
	.set _ZN7rocprim17ROCPRIM_400000_NS6detail17trampoline_kernelINS0_14default_configENS1_20scan_config_selectorIN3c104HalfEEEZZNS1_9scan_implILNS1_25lookback_scan_determinismE0ELb0ELb0ES3_PKS6_PS6_S6_ZZZN2at6native31launch_logcumsumexp_cuda_kernelERKNSD_10TensorBaseESH_lENKUlvE_clEvENKUlvE3_clEvEUlS6_S6_E_S6_EEDaPvRmT3_T4_T5_mT6_P12ihipStream_tbENKUlT_T0_E_clISt17integral_constantIbLb0EESX_IbLb1EEEEDaST_SU_EUlST_E0_NS1_11comp_targetILNS1_3genE4ELNS1_11target_archE910ELNS1_3gpuE8ELNS1_3repE0EEENS1_30default_config_static_selectorELNS0_4arch9wavefront6targetE0EEEvT1_.num_agpr, 0
	.set _ZN7rocprim17ROCPRIM_400000_NS6detail17trampoline_kernelINS0_14default_configENS1_20scan_config_selectorIN3c104HalfEEEZZNS1_9scan_implILNS1_25lookback_scan_determinismE0ELb0ELb0ES3_PKS6_PS6_S6_ZZZN2at6native31launch_logcumsumexp_cuda_kernelERKNSD_10TensorBaseESH_lENKUlvE_clEvENKUlvE3_clEvEUlS6_S6_E_S6_EEDaPvRmT3_T4_T5_mT6_P12ihipStream_tbENKUlT_T0_E_clISt17integral_constantIbLb0EESX_IbLb1EEEEDaST_SU_EUlST_E0_NS1_11comp_targetILNS1_3genE4ELNS1_11target_archE910ELNS1_3gpuE8ELNS1_3repE0EEENS1_30default_config_static_selectorELNS0_4arch9wavefront6targetE0EEEvT1_.numbered_sgpr, 0
	.set _ZN7rocprim17ROCPRIM_400000_NS6detail17trampoline_kernelINS0_14default_configENS1_20scan_config_selectorIN3c104HalfEEEZZNS1_9scan_implILNS1_25lookback_scan_determinismE0ELb0ELb0ES3_PKS6_PS6_S6_ZZZN2at6native31launch_logcumsumexp_cuda_kernelERKNSD_10TensorBaseESH_lENKUlvE_clEvENKUlvE3_clEvEUlS6_S6_E_S6_EEDaPvRmT3_T4_T5_mT6_P12ihipStream_tbENKUlT_T0_E_clISt17integral_constantIbLb0EESX_IbLb1EEEEDaST_SU_EUlST_E0_NS1_11comp_targetILNS1_3genE4ELNS1_11target_archE910ELNS1_3gpuE8ELNS1_3repE0EEENS1_30default_config_static_selectorELNS0_4arch9wavefront6targetE0EEEvT1_.num_named_barrier, 0
	.set _ZN7rocprim17ROCPRIM_400000_NS6detail17trampoline_kernelINS0_14default_configENS1_20scan_config_selectorIN3c104HalfEEEZZNS1_9scan_implILNS1_25lookback_scan_determinismE0ELb0ELb0ES3_PKS6_PS6_S6_ZZZN2at6native31launch_logcumsumexp_cuda_kernelERKNSD_10TensorBaseESH_lENKUlvE_clEvENKUlvE3_clEvEUlS6_S6_E_S6_EEDaPvRmT3_T4_T5_mT6_P12ihipStream_tbENKUlT_T0_E_clISt17integral_constantIbLb0EESX_IbLb1EEEEDaST_SU_EUlST_E0_NS1_11comp_targetILNS1_3genE4ELNS1_11target_archE910ELNS1_3gpuE8ELNS1_3repE0EEENS1_30default_config_static_selectorELNS0_4arch9wavefront6targetE0EEEvT1_.private_seg_size, 0
	.set _ZN7rocprim17ROCPRIM_400000_NS6detail17trampoline_kernelINS0_14default_configENS1_20scan_config_selectorIN3c104HalfEEEZZNS1_9scan_implILNS1_25lookback_scan_determinismE0ELb0ELb0ES3_PKS6_PS6_S6_ZZZN2at6native31launch_logcumsumexp_cuda_kernelERKNSD_10TensorBaseESH_lENKUlvE_clEvENKUlvE3_clEvEUlS6_S6_E_S6_EEDaPvRmT3_T4_T5_mT6_P12ihipStream_tbENKUlT_T0_E_clISt17integral_constantIbLb0EESX_IbLb1EEEEDaST_SU_EUlST_E0_NS1_11comp_targetILNS1_3genE4ELNS1_11target_archE910ELNS1_3gpuE8ELNS1_3repE0EEENS1_30default_config_static_selectorELNS0_4arch9wavefront6targetE0EEEvT1_.uses_vcc, 0
	.set _ZN7rocprim17ROCPRIM_400000_NS6detail17trampoline_kernelINS0_14default_configENS1_20scan_config_selectorIN3c104HalfEEEZZNS1_9scan_implILNS1_25lookback_scan_determinismE0ELb0ELb0ES3_PKS6_PS6_S6_ZZZN2at6native31launch_logcumsumexp_cuda_kernelERKNSD_10TensorBaseESH_lENKUlvE_clEvENKUlvE3_clEvEUlS6_S6_E_S6_EEDaPvRmT3_T4_T5_mT6_P12ihipStream_tbENKUlT_T0_E_clISt17integral_constantIbLb0EESX_IbLb1EEEEDaST_SU_EUlST_E0_NS1_11comp_targetILNS1_3genE4ELNS1_11target_archE910ELNS1_3gpuE8ELNS1_3repE0EEENS1_30default_config_static_selectorELNS0_4arch9wavefront6targetE0EEEvT1_.uses_flat_scratch, 0
	.set _ZN7rocprim17ROCPRIM_400000_NS6detail17trampoline_kernelINS0_14default_configENS1_20scan_config_selectorIN3c104HalfEEEZZNS1_9scan_implILNS1_25lookback_scan_determinismE0ELb0ELb0ES3_PKS6_PS6_S6_ZZZN2at6native31launch_logcumsumexp_cuda_kernelERKNSD_10TensorBaseESH_lENKUlvE_clEvENKUlvE3_clEvEUlS6_S6_E_S6_EEDaPvRmT3_T4_T5_mT6_P12ihipStream_tbENKUlT_T0_E_clISt17integral_constantIbLb0EESX_IbLb1EEEEDaST_SU_EUlST_E0_NS1_11comp_targetILNS1_3genE4ELNS1_11target_archE910ELNS1_3gpuE8ELNS1_3repE0EEENS1_30default_config_static_selectorELNS0_4arch9wavefront6targetE0EEEvT1_.has_dyn_sized_stack, 0
	.set _ZN7rocprim17ROCPRIM_400000_NS6detail17trampoline_kernelINS0_14default_configENS1_20scan_config_selectorIN3c104HalfEEEZZNS1_9scan_implILNS1_25lookback_scan_determinismE0ELb0ELb0ES3_PKS6_PS6_S6_ZZZN2at6native31launch_logcumsumexp_cuda_kernelERKNSD_10TensorBaseESH_lENKUlvE_clEvENKUlvE3_clEvEUlS6_S6_E_S6_EEDaPvRmT3_T4_T5_mT6_P12ihipStream_tbENKUlT_T0_E_clISt17integral_constantIbLb0EESX_IbLb1EEEEDaST_SU_EUlST_E0_NS1_11comp_targetILNS1_3genE4ELNS1_11target_archE910ELNS1_3gpuE8ELNS1_3repE0EEENS1_30default_config_static_selectorELNS0_4arch9wavefront6targetE0EEEvT1_.has_recursion, 0
	.set _ZN7rocprim17ROCPRIM_400000_NS6detail17trampoline_kernelINS0_14default_configENS1_20scan_config_selectorIN3c104HalfEEEZZNS1_9scan_implILNS1_25lookback_scan_determinismE0ELb0ELb0ES3_PKS6_PS6_S6_ZZZN2at6native31launch_logcumsumexp_cuda_kernelERKNSD_10TensorBaseESH_lENKUlvE_clEvENKUlvE3_clEvEUlS6_S6_E_S6_EEDaPvRmT3_T4_T5_mT6_P12ihipStream_tbENKUlT_T0_E_clISt17integral_constantIbLb0EESX_IbLb1EEEEDaST_SU_EUlST_E0_NS1_11comp_targetILNS1_3genE4ELNS1_11target_archE910ELNS1_3gpuE8ELNS1_3repE0EEENS1_30default_config_static_selectorELNS0_4arch9wavefront6targetE0EEEvT1_.has_indirect_call, 0
	.section	.AMDGPU.csdata,"",@progbits
; Kernel info:
; codeLenInByte = 0
; TotalNumSgprs: 0
; NumVgprs: 0
; ScratchSize: 0
; MemoryBound: 0
; FloatMode: 240
; IeeeMode: 1
; LDSByteSize: 0 bytes/workgroup (compile time only)
; SGPRBlocks: 0
; VGPRBlocks: 0
; NumSGPRsForWavesPerEU: 1
; NumVGPRsForWavesPerEU: 1
; Occupancy: 16
; WaveLimiterHint : 0
; COMPUTE_PGM_RSRC2:SCRATCH_EN: 0
; COMPUTE_PGM_RSRC2:USER_SGPR: 2
; COMPUTE_PGM_RSRC2:TRAP_HANDLER: 0
; COMPUTE_PGM_RSRC2:TGID_X_EN: 1
; COMPUTE_PGM_RSRC2:TGID_Y_EN: 0
; COMPUTE_PGM_RSRC2:TGID_Z_EN: 0
; COMPUTE_PGM_RSRC2:TIDIG_COMP_CNT: 0
	.section	.text._ZN7rocprim17ROCPRIM_400000_NS6detail17trampoline_kernelINS0_14default_configENS1_20scan_config_selectorIN3c104HalfEEEZZNS1_9scan_implILNS1_25lookback_scan_determinismE0ELb0ELb0ES3_PKS6_PS6_S6_ZZZN2at6native31launch_logcumsumexp_cuda_kernelERKNSD_10TensorBaseESH_lENKUlvE_clEvENKUlvE3_clEvEUlS6_S6_E_S6_EEDaPvRmT3_T4_T5_mT6_P12ihipStream_tbENKUlT_T0_E_clISt17integral_constantIbLb0EESX_IbLb1EEEEDaST_SU_EUlST_E0_NS1_11comp_targetILNS1_3genE3ELNS1_11target_archE908ELNS1_3gpuE7ELNS1_3repE0EEENS1_30default_config_static_selectorELNS0_4arch9wavefront6targetE0EEEvT1_,"axG",@progbits,_ZN7rocprim17ROCPRIM_400000_NS6detail17trampoline_kernelINS0_14default_configENS1_20scan_config_selectorIN3c104HalfEEEZZNS1_9scan_implILNS1_25lookback_scan_determinismE0ELb0ELb0ES3_PKS6_PS6_S6_ZZZN2at6native31launch_logcumsumexp_cuda_kernelERKNSD_10TensorBaseESH_lENKUlvE_clEvENKUlvE3_clEvEUlS6_S6_E_S6_EEDaPvRmT3_T4_T5_mT6_P12ihipStream_tbENKUlT_T0_E_clISt17integral_constantIbLb0EESX_IbLb1EEEEDaST_SU_EUlST_E0_NS1_11comp_targetILNS1_3genE3ELNS1_11target_archE908ELNS1_3gpuE7ELNS1_3repE0EEENS1_30default_config_static_selectorELNS0_4arch9wavefront6targetE0EEEvT1_,comdat
	.globl	_ZN7rocprim17ROCPRIM_400000_NS6detail17trampoline_kernelINS0_14default_configENS1_20scan_config_selectorIN3c104HalfEEEZZNS1_9scan_implILNS1_25lookback_scan_determinismE0ELb0ELb0ES3_PKS6_PS6_S6_ZZZN2at6native31launch_logcumsumexp_cuda_kernelERKNSD_10TensorBaseESH_lENKUlvE_clEvENKUlvE3_clEvEUlS6_S6_E_S6_EEDaPvRmT3_T4_T5_mT6_P12ihipStream_tbENKUlT_T0_E_clISt17integral_constantIbLb0EESX_IbLb1EEEEDaST_SU_EUlST_E0_NS1_11comp_targetILNS1_3genE3ELNS1_11target_archE908ELNS1_3gpuE7ELNS1_3repE0EEENS1_30default_config_static_selectorELNS0_4arch9wavefront6targetE0EEEvT1_ ; -- Begin function _ZN7rocprim17ROCPRIM_400000_NS6detail17trampoline_kernelINS0_14default_configENS1_20scan_config_selectorIN3c104HalfEEEZZNS1_9scan_implILNS1_25lookback_scan_determinismE0ELb0ELb0ES3_PKS6_PS6_S6_ZZZN2at6native31launch_logcumsumexp_cuda_kernelERKNSD_10TensorBaseESH_lENKUlvE_clEvENKUlvE3_clEvEUlS6_S6_E_S6_EEDaPvRmT3_T4_T5_mT6_P12ihipStream_tbENKUlT_T0_E_clISt17integral_constantIbLb0EESX_IbLb1EEEEDaST_SU_EUlST_E0_NS1_11comp_targetILNS1_3genE3ELNS1_11target_archE908ELNS1_3gpuE7ELNS1_3repE0EEENS1_30default_config_static_selectorELNS0_4arch9wavefront6targetE0EEEvT1_
	.p2align	8
	.type	_ZN7rocprim17ROCPRIM_400000_NS6detail17trampoline_kernelINS0_14default_configENS1_20scan_config_selectorIN3c104HalfEEEZZNS1_9scan_implILNS1_25lookback_scan_determinismE0ELb0ELb0ES3_PKS6_PS6_S6_ZZZN2at6native31launch_logcumsumexp_cuda_kernelERKNSD_10TensorBaseESH_lENKUlvE_clEvENKUlvE3_clEvEUlS6_S6_E_S6_EEDaPvRmT3_T4_T5_mT6_P12ihipStream_tbENKUlT_T0_E_clISt17integral_constantIbLb0EESX_IbLb1EEEEDaST_SU_EUlST_E0_NS1_11comp_targetILNS1_3genE3ELNS1_11target_archE908ELNS1_3gpuE7ELNS1_3repE0EEENS1_30default_config_static_selectorELNS0_4arch9wavefront6targetE0EEEvT1_,@function
_ZN7rocprim17ROCPRIM_400000_NS6detail17trampoline_kernelINS0_14default_configENS1_20scan_config_selectorIN3c104HalfEEEZZNS1_9scan_implILNS1_25lookback_scan_determinismE0ELb0ELb0ES3_PKS6_PS6_S6_ZZZN2at6native31launch_logcumsumexp_cuda_kernelERKNSD_10TensorBaseESH_lENKUlvE_clEvENKUlvE3_clEvEUlS6_S6_E_S6_EEDaPvRmT3_T4_T5_mT6_P12ihipStream_tbENKUlT_T0_E_clISt17integral_constantIbLb0EESX_IbLb1EEEEDaST_SU_EUlST_E0_NS1_11comp_targetILNS1_3genE3ELNS1_11target_archE908ELNS1_3gpuE7ELNS1_3repE0EEENS1_30default_config_static_selectorELNS0_4arch9wavefront6targetE0EEEvT1_: ; @_ZN7rocprim17ROCPRIM_400000_NS6detail17trampoline_kernelINS0_14default_configENS1_20scan_config_selectorIN3c104HalfEEEZZNS1_9scan_implILNS1_25lookback_scan_determinismE0ELb0ELb0ES3_PKS6_PS6_S6_ZZZN2at6native31launch_logcumsumexp_cuda_kernelERKNSD_10TensorBaseESH_lENKUlvE_clEvENKUlvE3_clEvEUlS6_S6_E_S6_EEDaPvRmT3_T4_T5_mT6_P12ihipStream_tbENKUlT_T0_E_clISt17integral_constantIbLb0EESX_IbLb1EEEEDaST_SU_EUlST_E0_NS1_11comp_targetILNS1_3genE3ELNS1_11target_archE908ELNS1_3gpuE7ELNS1_3repE0EEENS1_30default_config_static_selectorELNS0_4arch9wavefront6targetE0EEEvT1_
; %bb.0:
	.section	.rodata,"a",@progbits
	.p2align	6, 0x0
	.amdhsa_kernel _ZN7rocprim17ROCPRIM_400000_NS6detail17trampoline_kernelINS0_14default_configENS1_20scan_config_selectorIN3c104HalfEEEZZNS1_9scan_implILNS1_25lookback_scan_determinismE0ELb0ELb0ES3_PKS6_PS6_S6_ZZZN2at6native31launch_logcumsumexp_cuda_kernelERKNSD_10TensorBaseESH_lENKUlvE_clEvENKUlvE3_clEvEUlS6_S6_E_S6_EEDaPvRmT3_T4_T5_mT6_P12ihipStream_tbENKUlT_T0_E_clISt17integral_constantIbLb0EESX_IbLb1EEEEDaST_SU_EUlST_E0_NS1_11comp_targetILNS1_3genE3ELNS1_11target_archE908ELNS1_3gpuE7ELNS1_3repE0EEENS1_30default_config_static_selectorELNS0_4arch9wavefront6targetE0EEEvT1_
		.amdhsa_group_segment_fixed_size 0
		.amdhsa_private_segment_fixed_size 0
		.amdhsa_kernarg_size 32
		.amdhsa_user_sgpr_count 2
		.amdhsa_user_sgpr_dispatch_ptr 0
		.amdhsa_user_sgpr_queue_ptr 0
		.amdhsa_user_sgpr_kernarg_segment_ptr 1
		.amdhsa_user_sgpr_dispatch_id 0
		.amdhsa_user_sgpr_private_segment_size 0
		.amdhsa_wavefront_size32 1
		.amdhsa_uses_dynamic_stack 0
		.amdhsa_enable_private_segment 0
		.amdhsa_system_sgpr_workgroup_id_x 1
		.amdhsa_system_sgpr_workgroup_id_y 0
		.amdhsa_system_sgpr_workgroup_id_z 0
		.amdhsa_system_sgpr_workgroup_info 0
		.amdhsa_system_vgpr_workitem_id 0
		.amdhsa_next_free_vgpr 1
		.amdhsa_next_free_sgpr 1
		.amdhsa_reserve_vcc 0
		.amdhsa_float_round_mode_32 0
		.amdhsa_float_round_mode_16_64 0
		.amdhsa_float_denorm_mode_32 3
		.amdhsa_float_denorm_mode_16_64 3
		.amdhsa_fp16_overflow 0
		.amdhsa_workgroup_processor_mode 1
		.amdhsa_memory_ordered 1
		.amdhsa_forward_progress 1
		.amdhsa_inst_pref_size 0
		.amdhsa_round_robin_scheduling 0
		.amdhsa_exception_fp_ieee_invalid_op 0
		.amdhsa_exception_fp_denorm_src 0
		.amdhsa_exception_fp_ieee_div_zero 0
		.amdhsa_exception_fp_ieee_overflow 0
		.amdhsa_exception_fp_ieee_underflow 0
		.amdhsa_exception_fp_ieee_inexact 0
		.amdhsa_exception_int_div_zero 0
	.end_amdhsa_kernel
	.section	.text._ZN7rocprim17ROCPRIM_400000_NS6detail17trampoline_kernelINS0_14default_configENS1_20scan_config_selectorIN3c104HalfEEEZZNS1_9scan_implILNS1_25lookback_scan_determinismE0ELb0ELb0ES3_PKS6_PS6_S6_ZZZN2at6native31launch_logcumsumexp_cuda_kernelERKNSD_10TensorBaseESH_lENKUlvE_clEvENKUlvE3_clEvEUlS6_S6_E_S6_EEDaPvRmT3_T4_T5_mT6_P12ihipStream_tbENKUlT_T0_E_clISt17integral_constantIbLb0EESX_IbLb1EEEEDaST_SU_EUlST_E0_NS1_11comp_targetILNS1_3genE3ELNS1_11target_archE908ELNS1_3gpuE7ELNS1_3repE0EEENS1_30default_config_static_selectorELNS0_4arch9wavefront6targetE0EEEvT1_,"axG",@progbits,_ZN7rocprim17ROCPRIM_400000_NS6detail17trampoline_kernelINS0_14default_configENS1_20scan_config_selectorIN3c104HalfEEEZZNS1_9scan_implILNS1_25lookback_scan_determinismE0ELb0ELb0ES3_PKS6_PS6_S6_ZZZN2at6native31launch_logcumsumexp_cuda_kernelERKNSD_10TensorBaseESH_lENKUlvE_clEvENKUlvE3_clEvEUlS6_S6_E_S6_EEDaPvRmT3_T4_T5_mT6_P12ihipStream_tbENKUlT_T0_E_clISt17integral_constantIbLb0EESX_IbLb1EEEEDaST_SU_EUlST_E0_NS1_11comp_targetILNS1_3genE3ELNS1_11target_archE908ELNS1_3gpuE7ELNS1_3repE0EEENS1_30default_config_static_selectorELNS0_4arch9wavefront6targetE0EEEvT1_,comdat
.Lfunc_end428:
	.size	_ZN7rocprim17ROCPRIM_400000_NS6detail17trampoline_kernelINS0_14default_configENS1_20scan_config_selectorIN3c104HalfEEEZZNS1_9scan_implILNS1_25lookback_scan_determinismE0ELb0ELb0ES3_PKS6_PS6_S6_ZZZN2at6native31launch_logcumsumexp_cuda_kernelERKNSD_10TensorBaseESH_lENKUlvE_clEvENKUlvE3_clEvEUlS6_S6_E_S6_EEDaPvRmT3_T4_T5_mT6_P12ihipStream_tbENKUlT_T0_E_clISt17integral_constantIbLb0EESX_IbLb1EEEEDaST_SU_EUlST_E0_NS1_11comp_targetILNS1_3genE3ELNS1_11target_archE908ELNS1_3gpuE7ELNS1_3repE0EEENS1_30default_config_static_selectorELNS0_4arch9wavefront6targetE0EEEvT1_, .Lfunc_end428-_ZN7rocprim17ROCPRIM_400000_NS6detail17trampoline_kernelINS0_14default_configENS1_20scan_config_selectorIN3c104HalfEEEZZNS1_9scan_implILNS1_25lookback_scan_determinismE0ELb0ELb0ES3_PKS6_PS6_S6_ZZZN2at6native31launch_logcumsumexp_cuda_kernelERKNSD_10TensorBaseESH_lENKUlvE_clEvENKUlvE3_clEvEUlS6_S6_E_S6_EEDaPvRmT3_T4_T5_mT6_P12ihipStream_tbENKUlT_T0_E_clISt17integral_constantIbLb0EESX_IbLb1EEEEDaST_SU_EUlST_E0_NS1_11comp_targetILNS1_3genE3ELNS1_11target_archE908ELNS1_3gpuE7ELNS1_3repE0EEENS1_30default_config_static_selectorELNS0_4arch9wavefront6targetE0EEEvT1_
                                        ; -- End function
	.set _ZN7rocprim17ROCPRIM_400000_NS6detail17trampoline_kernelINS0_14default_configENS1_20scan_config_selectorIN3c104HalfEEEZZNS1_9scan_implILNS1_25lookback_scan_determinismE0ELb0ELb0ES3_PKS6_PS6_S6_ZZZN2at6native31launch_logcumsumexp_cuda_kernelERKNSD_10TensorBaseESH_lENKUlvE_clEvENKUlvE3_clEvEUlS6_S6_E_S6_EEDaPvRmT3_T4_T5_mT6_P12ihipStream_tbENKUlT_T0_E_clISt17integral_constantIbLb0EESX_IbLb1EEEEDaST_SU_EUlST_E0_NS1_11comp_targetILNS1_3genE3ELNS1_11target_archE908ELNS1_3gpuE7ELNS1_3repE0EEENS1_30default_config_static_selectorELNS0_4arch9wavefront6targetE0EEEvT1_.num_vgpr, 0
	.set _ZN7rocprim17ROCPRIM_400000_NS6detail17trampoline_kernelINS0_14default_configENS1_20scan_config_selectorIN3c104HalfEEEZZNS1_9scan_implILNS1_25lookback_scan_determinismE0ELb0ELb0ES3_PKS6_PS6_S6_ZZZN2at6native31launch_logcumsumexp_cuda_kernelERKNSD_10TensorBaseESH_lENKUlvE_clEvENKUlvE3_clEvEUlS6_S6_E_S6_EEDaPvRmT3_T4_T5_mT6_P12ihipStream_tbENKUlT_T0_E_clISt17integral_constantIbLb0EESX_IbLb1EEEEDaST_SU_EUlST_E0_NS1_11comp_targetILNS1_3genE3ELNS1_11target_archE908ELNS1_3gpuE7ELNS1_3repE0EEENS1_30default_config_static_selectorELNS0_4arch9wavefront6targetE0EEEvT1_.num_agpr, 0
	.set _ZN7rocprim17ROCPRIM_400000_NS6detail17trampoline_kernelINS0_14default_configENS1_20scan_config_selectorIN3c104HalfEEEZZNS1_9scan_implILNS1_25lookback_scan_determinismE0ELb0ELb0ES3_PKS6_PS6_S6_ZZZN2at6native31launch_logcumsumexp_cuda_kernelERKNSD_10TensorBaseESH_lENKUlvE_clEvENKUlvE3_clEvEUlS6_S6_E_S6_EEDaPvRmT3_T4_T5_mT6_P12ihipStream_tbENKUlT_T0_E_clISt17integral_constantIbLb0EESX_IbLb1EEEEDaST_SU_EUlST_E0_NS1_11comp_targetILNS1_3genE3ELNS1_11target_archE908ELNS1_3gpuE7ELNS1_3repE0EEENS1_30default_config_static_selectorELNS0_4arch9wavefront6targetE0EEEvT1_.numbered_sgpr, 0
	.set _ZN7rocprim17ROCPRIM_400000_NS6detail17trampoline_kernelINS0_14default_configENS1_20scan_config_selectorIN3c104HalfEEEZZNS1_9scan_implILNS1_25lookback_scan_determinismE0ELb0ELb0ES3_PKS6_PS6_S6_ZZZN2at6native31launch_logcumsumexp_cuda_kernelERKNSD_10TensorBaseESH_lENKUlvE_clEvENKUlvE3_clEvEUlS6_S6_E_S6_EEDaPvRmT3_T4_T5_mT6_P12ihipStream_tbENKUlT_T0_E_clISt17integral_constantIbLb0EESX_IbLb1EEEEDaST_SU_EUlST_E0_NS1_11comp_targetILNS1_3genE3ELNS1_11target_archE908ELNS1_3gpuE7ELNS1_3repE0EEENS1_30default_config_static_selectorELNS0_4arch9wavefront6targetE0EEEvT1_.num_named_barrier, 0
	.set _ZN7rocprim17ROCPRIM_400000_NS6detail17trampoline_kernelINS0_14default_configENS1_20scan_config_selectorIN3c104HalfEEEZZNS1_9scan_implILNS1_25lookback_scan_determinismE0ELb0ELb0ES3_PKS6_PS6_S6_ZZZN2at6native31launch_logcumsumexp_cuda_kernelERKNSD_10TensorBaseESH_lENKUlvE_clEvENKUlvE3_clEvEUlS6_S6_E_S6_EEDaPvRmT3_T4_T5_mT6_P12ihipStream_tbENKUlT_T0_E_clISt17integral_constantIbLb0EESX_IbLb1EEEEDaST_SU_EUlST_E0_NS1_11comp_targetILNS1_3genE3ELNS1_11target_archE908ELNS1_3gpuE7ELNS1_3repE0EEENS1_30default_config_static_selectorELNS0_4arch9wavefront6targetE0EEEvT1_.private_seg_size, 0
	.set _ZN7rocprim17ROCPRIM_400000_NS6detail17trampoline_kernelINS0_14default_configENS1_20scan_config_selectorIN3c104HalfEEEZZNS1_9scan_implILNS1_25lookback_scan_determinismE0ELb0ELb0ES3_PKS6_PS6_S6_ZZZN2at6native31launch_logcumsumexp_cuda_kernelERKNSD_10TensorBaseESH_lENKUlvE_clEvENKUlvE3_clEvEUlS6_S6_E_S6_EEDaPvRmT3_T4_T5_mT6_P12ihipStream_tbENKUlT_T0_E_clISt17integral_constantIbLb0EESX_IbLb1EEEEDaST_SU_EUlST_E0_NS1_11comp_targetILNS1_3genE3ELNS1_11target_archE908ELNS1_3gpuE7ELNS1_3repE0EEENS1_30default_config_static_selectorELNS0_4arch9wavefront6targetE0EEEvT1_.uses_vcc, 0
	.set _ZN7rocprim17ROCPRIM_400000_NS6detail17trampoline_kernelINS0_14default_configENS1_20scan_config_selectorIN3c104HalfEEEZZNS1_9scan_implILNS1_25lookback_scan_determinismE0ELb0ELb0ES3_PKS6_PS6_S6_ZZZN2at6native31launch_logcumsumexp_cuda_kernelERKNSD_10TensorBaseESH_lENKUlvE_clEvENKUlvE3_clEvEUlS6_S6_E_S6_EEDaPvRmT3_T4_T5_mT6_P12ihipStream_tbENKUlT_T0_E_clISt17integral_constantIbLb0EESX_IbLb1EEEEDaST_SU_EUlST_E0_NS1_11comp_targetILNS1_3genE3ELNS1_11target_archE908ELNS1_3gpuE7ELNS1_3repE0EEENS1_30default_config_static_selectorELNS0_4arch9wavefront6targetE0EEEvT1_.uses_flat_scratch, 0
	.set _ZN7rocprim17ROCPRIM_400000_NS6detail17trampoline_kernelINS0_14default_configENS1_20scan_config_selectorIN3c104HalfEEEZZNS1_9scan_implILNS1_25lookback_scan_determinismE0ELb0ELb0ES3_PKS6_PS6_S6_ZZZN2at6native31launch_logcumsumexp_cuda_kernelERKNSD_10TensorBaseESH_lENKUlvE_clEvENKUlvE3_clEvEUlS6_S6_E_S6_EEDaPvRmT3_T4_T5_mT6_P12ihipStream_tbENKUlT_T0_E_clISt17integral_constantIbLb0EESX_IbLb1EEEEDaST_SU_EUlST_E0_NS1_11comp_targetILNS1_3genE3ELNS1_11target_archE908ELNS1_3gpuE7ELNS1_3repE0EEENS1_30default_config_static_selectorELNS0_4arch9wavefront6targetE0EEEvT1_.has_dyn_sized_stack, 0
	.set _ZN7rocprim17ROCPRIM_400000_NS6detail17trampoline_kernelINS0_14default_configENS1_20scan_config_selectorIN3c104HalfEEEZZNS1_9scan_implILNS1_25lookback_scan_determinismE0ELb0ELb0ES3_PKS6_PS6_S6_ZZZN2at6native31launch_logcumsumexp_cuda_kernelERKNSD_10TensorBaseESH_lENKUlvE_clEvENKUlvE3_clEvEUlS6_S6_E_S6_EEDaPvRmT3_T4_T5_mT6_P12ihipStream_tbENKUlT_T0_E_clISt17integral_constantIbLb0EESX_IbLb1EEEEDaST_SU_EUlST_E0_NS1_11comp_targetILNS1_3genE3ELNS1_11target_archE908ELNS1_3gpuE7ELNS1_3repE0EEENS1_30default_config_static_selectorELNS0_4arch9wavefront6targetE0EEEvT1_.has_recursion, 0
	.set _ZN7rocprim17ROCPRIM_400000_NS6detail17trampoline_kernelINS0_14default_configENS1_20scan_config_selectorIN3c104HalfEEEZZNS1_9scan_implILNS1_25lookback_scan_determinismE0ELb0ELb0ES3_PKS6_PS6_S6_ZZZN2at6native31launch_logcumsumexp_cuda_kernelERKNSD_10TensorBaseESH_lENKUlvE_clEvENKUlvE3_clEvEUlS6_S6_E_S6_EEDaPvRmT3_T4_T5_mT6_P12ihipStream_tbENKUlT_T0_E_clISt17integral_constantIbLb0EESX_IbLb1EEEEDaST_SU_EUlST_E0_NS1_11comp_targetILNS1_3genE3ELNS1_11target_archE908ELNS1_3gpuE7ELNS1_3repE0EEENS1_30default_config_static_selectorELNS0_4arch9wavefront6targetE0EEEvT1_.has_indirect_call, 0
	.section	.AMDGPU.csdata,"",@progbits
; Kernel info:
; codeLenInByte = 0
; TotalNumSgprs: 0
; NumVgprs: 0
; ScratchSize: 0
; MemoryBound: 0
; FloatMode: 240
; IeeeMode: 1
; LDSByteSize: 0 bytes/workgroup (compile time only)
; SGPRBlocks: 0
; VGPRBlocks: 0
; NumSGPRsForWavesPerEU: 1
; NumVGPRsForWavesPerEU: 1
; Occupancy: 16
; WaveLimiterHint : 0
; COMPUTE_PGM_RSRC2:SCRATCH_EN: 0
; COMPUTE_PGM_RSRC2:USER_SGPR: 2
; COMPUTE_PGM_RSRC2:TRAP_HANDLER: 0
; COMPUTE_PGM_RSRC2:TGID_X_EN: 1
; COMPUTE_PGM_RSRC2:TGID_Y_EN: 0
; COMPUTE_PGM_RSRC2:TGID_Z_EN: 0
; COMPUTE_PGM_RSRC2:TIDIG_COMP_CNT: 0
	.section	.text._ZN7rocprim17ROCPRIM_400000_NS6detail17trampoline_kernelINS0_14default_configENS1_20scan_config_selectorIN3c104HalfEEEZZNS1_9scan_implILNS1_25lookback_scan_determinismE0ELb0ELb0ES3_PKS6_PS6_S6_ZZZN2at6native31launch_logcumsumexp_cuda_kernelERKNSD_10TensorBaseESH_lENKUlvE_clEvENKUlvE3_clEvEUlS6_S6_E_S6_EEDaPvRmT3_T4_T5_mT6_P12ihipStream_tbENKUlT_T0_E_clISt17integral_constantIbLb0EESX_IbLb1EEEEDaST_SU_EUlST_E0_NS1_11comp_targetILNS1_3genE2ELNS1_11target_archE906ELNS1_3gpuE6ELNS1_3repE0EEENS1_30default_config_static_selectorELNS0_4arch9wavefront6targetE0EEEvT1_,"axG",@progbits,_ZN7rocprim17ROCPRIM_400000_NS6detail17trampoline_kernelINS0_14default_configENS1_20scan_config_selectorIN3c104HalfEEEZZNS1_9scan_implILNS1_25lookback_scan_determinismE0ELb0ELb0ES3_PKS6_PS6_S6_ZZZN2at6native31launch_logcumsumexp_cuda_kernelERKNSD_10TensorBaseESH_lENKUlvE_clEvENKUlvE3_clEvEUlS6_S6_E_S6_EEDaPvRmT3_T4_T5_mT6_P12ihipStream_tbENKUlT_T0_E_clISt17integral_constantIbLb0EESX_IbLb1EEEEDaST_SU_EUlST_E0_NS1_11comp_targetILNS1_3genE2ELNS1_11target_archE906ELNS1_3gpuE6ELNS1_3repE0EEENS1_30default_config_static_selectorELNS0_4arch9wavefront6targetE0EEEvT1_,comdat
	.globl	_ZN7rocprim17ROCPRIM_400000_NS6detail17trampoline_kernelINS0_14default_configENS1_20scan_config_selectorIN3c104HalfEEEZZNS1_9scan_implILNS1_25lookback_scan_determinismE0ELb0ELb0ES3_PKS6_PS6_S6_ZZZN2at6native31launch_logcumsumexp_cuda_kernelERKNSD_10TensorBaseESH_lENKUlvE_clEvENKUlvE3_clEvEUlS6_S6_E_S6_EEDaPvRmT3_T4_T5_mT6_P12ihipStream_tbENKUlT_T0_E_clISt17integral_constantIbLb0EESX_IbLb1EEEEDaST_SU_EUlST_E0_NS1_11comp_targetILNS1_3genE2ELNS1_11target_archE906ELNS1_3gpuE6ELNS1_3repE0EEENS1_30default_config_static_selectorELNS0_4arch9wavefront6targetE0EEEvT1_ ; -- Begin function _ZN7rocprim17ROCPRIM_400000_NS6detail17trampoline_kernelINS0_14default_configENS1_20scan_config_selectorIN3c104HalfEEEZZNS1_9scan_implILNS1_25lookback_scan_determinismE0ELb0ELb0ES3_PKS6_PS6_S6_ZZZN2at6native31launch_logcumsumexp_cuda_kernelERKNSD_10TensorBaseESH_lENKUlvE_clEvENKUlvE3_clEvEUlS6_S6_E_S6_EEDaPvRmT3_T4_T5_mT6_P12ihipStream_tbENKUlT_T0_E_clISt17integral_constantIbLb0EESX_IbLb1EEEEDaST_SU_EUlST_E0_NS1_11comp_targetILNS1_3genE2ELNS1_11target_archE906ELNS1_3gpuE6ELNS1_3repE0EEENS1_30default_config_static_selectorELNS0_4arch9wavefront6targetE0EEEvT1_
	.p2align	8
	.type	_ZN7rocprim17ROCPRIM_400000_NS6detail17trampoline_kernelINS0_14default_configENS1_20scan_config_selectorIN3c104HalfEEEZZNS1_9scan_implILNS1_25lookback_scan_determinismE0ELb0ELb0ES3_PKS6_PS6_S6_ZZZN2at6native31launch_logcumsumexp_cuda_kernelERKNSD_10TensorBaseESH_lENKUlvE_clEvENKUlvE3_clEvEUlS6_S6_E_S6_EEDaPvRmT3_T4_T5_mT6_P12ihipStream_tbENKUlT_T0_E_clISt17integral_constantIbLb0EESX_IbLb1EEEEDaST_SU_EUlST_E0_NS1_11comp_targetILNS1_3genE2ELNS1_11target_archE906ELNS1_3gpuE6ELNS1_3repE0EEENS1_30default_config_static_selectorELNS0_4arch9wavefront6targetE0EEEvT1_,@function
_ZN7rocprim17ROCPRIM_400000_NS6detail17trampoline_kernelINS0_14default_configENS1_20scan_config_selectorIN3c104HalfEEEZZNS1_9scan_implILNS1_25lookback_scan_determinismE0ELb0ELb0ES3_PKS6_PS6_S6_ZZZN2at6native31launch_logcumsumexp_cuda_kernelERKNSD_10TensorBaseESH_lENKUlvE_clEvENKUlvE3_clEvEUlS6_S6_E_S6_EEDaPvRmT3_T4_T5_mT6_P12ihipStream_tbENKUlT_T0_E_clISt17integral_constantIbLb0EESX_IbLb1EEEEDaST_SU_EUlST_E0_NS1_11comp_targetILNS1_3genE2ELNS1_11target_archE906ELNS1_3gpuE6ELNS1_3repE0EEENS1_30default_config_static_selectorELNS0_4arch9wavefront6targetE0EEEvT1_: ; @_ZN7rocprim17ROCPRIM_400000_NS6detail17trampoline_kernelINS0_14default_configENS1_20scan_config_selectorIN3c104HalfEEEZZNS1_9scan_implILNS1_25lookback_scan_determinismE0ELb0ELb0ES3_PKS6_PS6_S6_ZZZN2at6native31launch_logcumsumexp_cuda_kernelERKNSD_10TensorBaseESH_lENKUlvE_clEvENKUlvE3_clEvEUlS6_S6_E_S6_EEDaPvRmT3_T4_T5_mT6_P12ihipStream_tbENKUlT_T0_E_clISt17integral_constantIbLb0EESX_IbLb1EEEEDaST_SU_EUlST_E0_NS1_11comp_targetILNS1_3genE2ELNS1_11target_archE906ELNS1_3gpuE6ELNS1_3repE0EEENS1_30default_config_static_selectorELNS0_4arch9wavefront6targetE0EEEvT1_
; %bb.0:
	.section	.rodata,"a",@progbits
	.p2align	6, 0x0
	.amdhsa_kernel _ZN7rocprim17ROCPRIM_400000_NS6detail17trampoline_kernelINS0_14default_configENS1_20scan_config_selectorIN3c104HalfEEEZZNS1_9scan_implILNS1_25lookback_scan_determinismE0ELb0ELb0ES3_PKS6_PS6_S6_ZZZN2at6native31launch_logcumsumexp_cuda_kernelERKNSD_10TensorBaseESH_lENKUlvE_clEvENKUlvE3_clEvEUlS6_S6_E_S6_EEDaPvRmT3_T4_T5_mT6_P12ihipStream_tbENKUlT_T0_E_clISt17integral_constantIbLb0EESX_IbLb1EEEEDaST_SU_EUlST_E0_NS1_11comp_targetILNS1_3genE2ELNS1_11target_archE906ELNS1_3gpuE6ELNS1_3repE0EEENS1_30default_config_static_selectorELNS0_4arch9wavefront6targetE0EEEvT1_
		.amdhsa_group_segment_fixed_size 0
		.amdhsa_private_segment_fixed_size 0
		.amdhsa_kernarg_size 32
		.amdhsa_user_sgpr_count 2
		.amdhsa_user_sgpr_dispatch_ptr 0
		.amdhsa_user_sgpr_queue_ptr 0
		.amdhsa_user_sgpr_kernarg_segment_ptr 1
		.amdhsa_user_sgpr_dispatch_id 0
		.amdhsa_user_sgpr_private_segment_size 0
		.amdhsa_wavefront_size32 1
		.amdhsa_uses_dynamic_stack 0
		.amdhsa_enable_private_segment 0
		.amdhsa_system_sgpr_workgroup_id_x 1
		.amdhsa_system_sgpr_workgroup_id_y 0
		.amdhsa_system_sgpr_workgroup_id_z 0
		.amdhsa_system_sgpr_workgroup_info 0
		.amdhsa_system_vgpr_workitem_id 0
		.amdhsa_next_free_vgpr 1
		.amdhsa_next_free_sgpr 1
		.amdhsa_reserve_vcc 0
		.amdhsa_float_round_mode_32 0
		.amdhsa_float_round_mode_16_64 0
		.amdhsa_float_denorm_mode_32 3
		.amdhsa_float_denorm_mode_16_64 3
		.amdhsa_fp16_overflow 0
		.amdhsa_workgroup_processor_mode 1
		.amdhsa_memory_ordered 1
		.amdhsa_forward_progress 1
		.amdhsa_inst_pref_size 0
		.amdhsa_round_robin_scheduling 0
		.amdhsa_exception_fp_ieee_invalid_op 0
		.amdhsa_exception_fp_denorm_src 0
		.amdhsa_exception_fp_ieee_div_zero 0
		.amdhsa_exception_fp_ieee_overflow 0
		.amdhsa_exception_fp_ieee_underflow 0
		.amdhsa_exception_fp_ieee_inexact 0
		.amdhsa_exception_int_div_zero 0
	.end_amdhsa_kernel
	.section	.text._ZN7rocprim17ROCPRIM_400000_NS6detail17trampoline_kernelINS0_14default_configENS1_20scan_config_selectorIN3c104HalfEEEZZNS1_9scan_implILNS1_25lookback_scan_determinismE0ELb0ELb0ES3_PKS6_PS6_S6_ZZZN2at6native31launch_logcumsumexp_cuda_kernelERKNSD_10TensorBaseESH_lENKUlvE_clEvENKUlvE3_clEvEUlS6_S6_E_S6_EEDaPvRmT3_T4_T5_mT6_P12ihipStream_tbENKUlT_T0_E_clISt17integral_constantIbLb0EESX_IbLb1EEEEDaST_SU_EUlST_E0_NS1_11comp_targetILNS1_3genE2ELNS1_11target_archE906ELNS1_3gpuE6ELNS1_3repE0EEENS1_30default_config_static_selectorELNS0_4arch9wavefront6targetE0EEEvT1_,"axG",@progbits,_ZN7rocprim17ROCPRIM_400000_NS6detail17trampoline_kernelINS0_14default_configENS1_20scan_config_selectorIN3c104HalfEEEZZNS1_9scan_implILNS1_25lookback_scan_determinismE0ELb0ELb0ES3_PKS6_PS6_S6_ZZZN2at6native31launch_logcumsumexp_cuda_kernelERKNSD_10TensorBaseESH_lENKUlvE_clEvENKUlvE3_clEvEUlS6_S6_E_S6_EEDaPvRmT3_T4_T5_mT6_P12ihipStream_tbENKUlT_T0_E_clISt17integral_constantIbLb0EESX_IbLb1EEEEDaST_SU_EUlST_E0_NS1_11comp_targetILNS1_3genE2ELNS1_11target_archE906ELNS1_3gpuE6ELNS1_3repE0EEENS1_30default_config_static_selectorELNS0_4arch9wavefront6targetE0EEEvT1_,comdat
.Lfunc_end429:
	.size	_ZN7rocprim17ROCPRIM_400000_NS6detail17trampoline_kernelINS0_14default_configENS1_20scan_config_selectorIN3c104HalfEEEZZNS1_9scan_implILNS1_25lookback_scan_determinismE0ELb0ELb0ES3_PKS6_PS6_S6_ZZZN2at6native31launch_logcumsumexp_cuda_kernelERKNSD_10TensorBaseESH_lENKUlvE_clEvENKUlvE3_clEvEUlS6_S6_E_S6_EEDaPvRmT3_T4_T5_mT6_P12ihipStream_tbENKUlT_T0_E_clISt17integral_constantIbLb0EESX_IbLb1EEEEDaST_SU_EUlST_E0_NS1_11comp_targetILNS1_3genE2ELNS1_11target_archE906ELNS1_3gpuE6ELNS1_3repE0EEENS1_30default_config_static_selectorELNS0_4arch9wavefront6targetE0EEEvT1_, .Lfunc_end429-_ZN7rocprim17ROCPRIM_400000_NS6detail17trampoline_kernelINS0_14default_configENS1_20scan_config_selectorIN3c104HalfEEEZZNS1_9scan_implILNS1_25lookback_scan_determinismE0ELb0ELb0ES3_PKS6_PS6_S6_ZZZN2at6native31launch_logcumsumexp_cuda_kernelERKNSD_10TensorBaseESH_lENKUlvE_clEvENKUlvE3_clEvEUlS6_S6_E_S6_EEDaPvRmT3_T4_T5_mT6_P12ihipStream_tbENKUlT_T0_E_clISt17integral_constantIbLb0EESX_IbLb1EEEEDaST_SU_EUlST_E0_NS1_11comp_targetILNS1_3genE2ELNS1_11target_archE906ELNS1_3gpuE6ELNS1_3repE0EEENS1_30default_config_static_selectorELNS0_4arch9wavefront6targetE0EEEvT1_
                                        ; -- End function
	.set _ZN7rocprim17ROCPRIM_400000_NS6detail17trampoline_kernelINS0_14default_configENS1_20scan_config_selectorIN3c104HalfEEEZZNS1_9scan_implILNS1_25lookback_scan_determinismE0ELb0ELb0ES3_PKS6_PS6_S6_ZZZN2at6native31launch_logcumsumexp_cuda_kernelERKNSD_10TensorBaseESH_lENKUlvE_clEvENKUlvE3_clEvEUlS6_S6_E_S6_EEDaPvRmT3_T4_T5_mT6_P12ihipStream_tbENKUlT_T0_E_clISt17integral_constantIbLb0EESX_IbLb1EEEEDaST_SU_EUlST_E0_NS1_11comp_targetILNS1_3genE2ELNS1_11target_archE906ELNS1_3gpuE6ELNS1_3repE0EEENS1_30default_config_static_selectorELNS0_4arch9wavefront6targetE0EEEvT1_.num_vgpr, 0
	.set _ZN7rocprim17ROCPRIM_400000_NS6detail17trampoline_kernelINS0_14default_configENS1_20scan_config_selectorIN3c104HalfEEEZZNS1_9scan_implILNS1_25lookback_scan_determinismE0ELb0ELb0ES3_PKS6_PS6_S6_ZZZN2at6native31launch_logcumsumexp_cuda_kernelERKNSD_10TensorBaseESH_lENKUlvE_clEvENKUlvE3_clEvEUlS6_S6_E_S6_EEDaPvRmT3_T4_T5_mT6_P12ihipStream_tbENKUlT_T0_E_clISt17integral_constantIbLb0EESX_IbLb1EEEEDaST_SU_EUlST_E0_NS1_11comp_targetILNS1_3genE2ELNS1_11target_archE906ELNS1_3gpuE6ELNS1_3repE0EEENS1_30default_config_static_selectorELNS0_4arch9wavefront6targetE0EEEvT1_.num_agpr, 0
	.set _ZN7rocprim17ROCPRIM_400000_NS6detail17trampoline_kernelINS0_14default_configENS1_20scan_config_selectorIN3c104HalfEEEZZNS1_9scan_implILNS1_25lookback_scan_determinismE0ELb0ELb0ES3_PKS6_PS6_S6_ZZZN2at6native31launch_logcumsumexp_cuda_kernelERKNSD_10TensorBaseESH_lENKUlvE_clEvENKUlvE3_clEvEUlS6_S6_E_S6_EEDaPvRmT3_T4_T5_mT6_P12ihipStream_tbENKUlT_T0_E_clISt17integral_constantIbLb0EESX_IbLb1EEEEDaST_SU_EUlST_E0_NS1_11comp_targetILNS1_3genE2ELNS1_11target_archE906ELNS1_3gpuE6ELNS1_3repE0EEENS1_30default_config_static_selectorELNS0_4arch9wavefront6targetE0EEEvT1_.numbered_sgpr, 0
	.set _ZN7rocprim17ROCPRIM_400000_NS6detail17trampoline_kernelINS0_14default_configENS1_20scan_config_selectorIN3c104HalfEEEZZNS1_9scan_implILNS1_25lookback_scan_determinismE0ELb0ELb0ES3_PKS6_PS6_S6_ZZZN2at6native31launch_logcumsumexp_cuda_kernelERKNSD_10TensorBaseESH_lENKUlvE_clEvENKUlvE3_clEvEUlS6_S6_E_S6_EEDaPvRmT3_T4_T5_mT6_P12ihipStream_tbENKUlT_T0_E_clISt17integral_constantIbLb0EESX_IbLb1EEEEDaST_SU_EUlST_E0_NS1_11comp_targetILNS1_3genE2ELNS1_11target_archE906ELNS1_3gpuE6ELNS1_3repE0EEENS1_30default_config_static_selectorELNS0_4arch9wavefront6targetE0EEEvT1_.num_named_barrier, 0
	.set _ZN7rocprim17ROCPRIM_400000_NS6detail17trampoline_kernelINS0_14default_configENS1_20scan_config_selectorIN3c104HalfEEEZZNS1_9scan_implILNS1_25lookback_scan_determinismE0ELb0ELb0ES3_PKS6_PS6_S6_ZZZN2at6native31launch_logcumsumexp_cuda_kernelERKNSD_10TensorBaseESH_lENKUlvE_clEvENKUlvE3_clEvEUlS6_S6_E_S6_EEDaPvRmT3_T4_T5_mT6_P12ihipStream_tbENKUlT_T0_E_clISt17integral_constantIbLb0EESX_IbLb1EEEEDaST_SU_EUlST_E0_NS1_11comp_targetILNS1_3genE2ELNS1_11target_archE906ELNS1_3gpuE6ELNS1_3repE0EEENS1_30default_config_static_selectorELNS0_4arch9wavefront6targetE0EEEvT1_.private_seg_size, 0
	.set _ZN7rocprim17ROCPRIM_400000_NS6detail17trampoline_kernelINS0_14default_configENS1_20scan_config_selectorIN3c104HalfEEEZZNS1_9scan_implILNS1_25lookback_scan_determinismE0ELb0ELb0ES3_PKS6_PS6_S6_ZZZN2at6native31launch_logcumsumexp_cuda_kernelERKNSD_10TensorBaseESH_lENKUlvE_clEvENKUlvE3_clEvEUlS6_S6_E_S6_EEDaPvRmT3_T4_T5_mT6_P12ihipStream_tbENKUlT_T0_E_clISt17integral_constantIbLb0EESX_IbLb1EEEEDaST_SU_EUlST_E0_NS1_11comp_targetILNS1_3genE2ELNS1_11target_archE906ELNS1_3gpuE6ELNS1_3repE0EEENS1_30default_config_static_selectorELNS0_4arch9wavefront6targetE0EEEvT1_.uses_vcc, 0
	.set _ZN7rocprim17ROCPRIM_400000_NS6detail17trampoline_kernelINS0_14default_configENS1_20scan_config_selectorIN3c104HalfEEEZZNS1_9scan_implILNS1_25lookback_scan_determinismE0ELb0ELb0ES3_PKS6_PS6_S6_ZZZN2at6native31launch_logcumsumexp_cuda_kernelERKNSD_10TensorBaseESH_lENKUlvE_clEvENKUlvE3_clEvEUlS6_S6_E_S6_EEDaPvRmT3_T4_T5_mT6_P12ihipStream_tbENKUlT_T0_E_clISt17integral_constantIbLb0EESX_IbLb1EEEEDaST_SU_EUlST_E0_NS1_11comp_targetILNS1_3genE2ELNS1_11target_archE906ELNS1_3gpuE6ELNS1_3repE0EEENS1_30default_config_static_selectorELNS0_4arch9wavefront6targetE0EEEvT1_.uses_flat_scratch, 0
	.set _ZN7rocprim17ROCPRIM_400000_NS6detail17trampoline_kernelINS0_14default_configENS1_20scan_config_selectorIN3c104HalfEEEZZNS1_9scan_implILNS1_25lookback_scan_determinismE0ELb0ELb0ES3_PKS6_PS6_S6_ZZZN2at6native31launch_logcumsumexp_cuda_kernelERKNSD_10TensorBaseESH_lENKUlvE_clEvENKUlvE3_clEvEUlS6_S6_E_S6_EEDaPvRmT3_T4_T5_mT6_P12ihipStream_tbENKUlT_T0_E_clISt17integral_constantIbLb0EESX_IbLb1EEEEDaST_SU_EUlST_E0_NS1_11comp_targetILNS1_3genE2ELNS1_11target_archE906ELNS1_3gpuE6ELNS1_3repE0EEENS1_30default_config_static_selectorELNS0_4arch9wavefront6targetE0EEEvT1_.has_dyn_sized_stack, 0
	.set _ZN7rocprim17ROCPRIM_400000_NS6detail17trampoline_kernelINS0_14default_configENS1_20scan_config_selectorIN3c104HalfEEEZZNS1_9scan_implILNS1_25lookback_scan_determinismE0ELb0ELb0ES3_PKS6_PS6_S6_ZZZN2at6native31launch_logcumsumexp_cuda_kernelERKNSD_10TensorBaseESH_lENKUlvE_clEvENKUlvE3_clEvEUlS6_S6_E_S6_EEDaPvRmT3_T4_T5_mT6_P12ihipStream_tbENKUlT_T0_E_clISt17integral_constantIbLb0EESX_IbLb1EEEEDaST_SU_EUlST_E0_NS1_11comp_targetILNS1_3genE2ELNS1_11target_archE906ELNS1_3gpuE6ELNS1_3repE0EEENS1_30default_config_static_selectorELNS0_4arch9wavefront6targetE0EEEvT1_.has_recursion, 0
	.set _ZN7rocprim17ROCPRIM_400000_NS6detail17trampoline_kernelINS0_14default_configENS1_20scan_config_selectorIN3c104HalfEEEZZNS1_9scan_implILNS1_25lookback_scan_determinismE0ELb0ELb0ES3_PKS6_PS6_S6_ZZZN2at6native31launch_logcumsumexp_cuda_kernelERKNSD_10TensorBaseESH_lENKUlvE_clEvENKUlvE3_clEvEUlS6_S6_E_S6_EEDaPvRmT3_T4_T5_mT6_P12ihipStream_tbENKUlT_T0_E_clISt17integral_constantIbLb0EESX_IbLb1EEEEDaST_SU_EUlST_E0_NS1_11comp_targetILNS1_3genE2ELNS1_11target_archE906ELNS1_3gpuE6ELNS1_3repE0EEENS1_30default_config_static_selectorELNS0_4arch9wavefront6targetE0EEEvT1_.has_indirect_call, 0
	.section	.AMDGPU.csdata,"",@progbits
; Kernel info:
; codeLenInByte = 0
; TotalNumSgprs: 0
; NumVgprs: 0
; ScratchSize: 0
; MemoryBound: 0
; FloatMode: 240
; IeeeMode: 1
; LDSByteSize: 0 bytes/workgroup (compile time only)
; SGPRBlocks: 0
; VGPRBlocks: 0
; NumSGPRsForWavesPerEU: 1
; NumVGPRsForWavesPerEU: 1
; Occupancy: 16
; WaveLimiterHint : 0
; COMPUTE_PGM_RSRC2:SCRATCH_EN: 0
; COMPUTE_PGM_RSRC2:USER_SGPR: 2
; COMPUTE_PGM_RSRC2:TRAP_HANDLER: 0
; COMPUTE_PGM_RSRC2:TGID_X_EN: 1
; COMPUTE_PGM_RSRC2:TGID_Y_EN: 0
; COMPUTE_PGM_RSRC2:TGID_Z_EN: 0
; COMPUTE_PGM_RSRC2:TIDIG_COMP_CNT: 0
	.section	.text._ZN7rocprim17ROCPRIM_400000_NS6detail17trampoline_kernelINS0_14default_configENS1_20scan_config_selectorIN3c104HalfEEEZZNS1_9scan_implILNS1_25lookback_scan_determinismE0ELb0ELb0ES3_PKS6_PS6_S6_ZZZN2at6native31launch_logcumsumexp_cuda_kernelERKNSD_10TensorBaseESH_lENKUlvE_clEvENKUlvE3_clEvEUlS6_S6_E_S6_EEDaPvRmT3_T4_T5_mT6_P12ihipStream_tbENKUlT_T0_E_clISt17integral_constantIbLb0EESX_IbLb1EEEEDaST_SU_EUlST_E0_NS1_11comp_targetILNS1_3genE10ELNS1_11target_archE1201ELNS1_3gpuE5ELNS1_3repE0EEENS1_30default_config_static_selectorELNS0_4arch9wavefront6targetE0EEEvT1_,"axG",@progbits,_ZN7rocprim17ROCPRIM_400000_NS6detail17trampoline_kernelINS0_14default_configENS1_20scan_config_selectorIN3c104HalfEEEZZNS1_9scan_implILNS1_25lookback_scan_determinismE0ELb0ELb0ES3_PKS6_PS6_S6_ZZZN2at6native31launch_logcumsumexp_cuda_kernelERKNSD_10TensorBaseESH_lENKUlvE_clEvENKUlvE3_clEvEUlS6_S6_E_S6_EEDaPvRmT3_T4_T5_mT6_P12ihipStream_tbENKUlT_T0_E_clISt17integral_constantIbLb0EESX_IbLb1EEEEDaST_SU_EUlST_E0_NS1_11comp_targetILNS1_3genE10ELNS1_11target_archE1201ELNS1_3gpuE5ELNS1_3repE0EEENS1_30default_config_static_selectorELNS0_4arch9wavefront6targetE0EEEvT1_,comdat
	.globl	_ZN7rocprim17ROCPRIM_400000_NS6detail17trampoline_kernelINS0_14default_configENS1_20scan_config_selectorIN3c104HalfEEEZZNS1_9scan_implILNS1_25lookback_scan_determinismE0ELb0ELb0ES3_PKS6_PS6_S6_ZZZN2at6native31launch_logcumsumexp_cuda_kernelERKNSD_10TensorBaseESH_lENKUlvE_clEvENKUlvE3_clEvEUlS6_S6_E_S6_EEDaPvRmT3_T4_T5_mT6_P12ihipStream_tbENKUlT_T0_E_clISt17integral_constantIbLb0EESX_IbLb1EEEEDaST_SU_EUlST_E0_NS1_11comp_targetILNS1_3genE10ELNS1_11target_archE1201ELNS1_3gpuE5ELNS1_3repE0EEENS1_30default_config_static_selectorELNS0_4arch9wavefront6targetE0EEEvT1_ ; -- Begin function _ZN7rocprim17ROCPRIM_400000_NS6detail17trampoline_kernelINS0_14default_configENS1_20scan_config_selectorIN3c104HalfEEEZZNS1_9scan_implILNS1_25lookback_scan_determinismE0ELb0ELb0ES3_PKS6_PS6_S6_ZZZN2at6native31launch_logcumsumexp_cuda_kernelERKNSD_10TensorBaseESH_lENKUlvE_clEvENKUlvE3_clEvEUlS6_S6_E_S6_EEDaPvRmT3_T4_T5_mT6_P12ihipStream_tbENKUlT_T0_E_clISt17integral_constantIbLb0EESX_IbLb1EEEEDaST_SU_EUlST_E0_NS1_11comp_targetILNS1_3genE10ELNS1_11target_archE1201ELNS1_3gpuE5ELNS1_3repE0EEENS1_30default_config_static_selectorELNS0_4arch9wavefront6targetE0EEEvT1_
	.p2align	8
	.type	_ZN7rocprim17ROCPRIM_400000_NS6detail17trampoline_kernelINS0_14default_configENS1_20scan_config_selectorIN3c104HalfEEEZZNS1_9scan_implILNS1_25lookback_scan_determinismE0ELb0ELb0ES3_PKS6_PS6_S6_ZZZN2at6native31launch_logcumsumexp_cuda_kernelERKNSD_10TensorBaseESH_lENKUlvE_clEvENKUlvE3_clEvEUlS6_S6_E_S6_EEDaPvRmT3_T4_T5_mT6_P12ihipStream_tbENKUlT_T0_E_clISt17integral_constantIbLb0EESX_IbLb1EEEEDaST_SU_EUlST_E0_NS1_11comp_targetILNS1_3genE10ELNS1_11target_archE1201ELNS1_3gpuE5ELNS1_3repE0EEENS1_30default_config_static_selectorELNS0_4arch9wavefront6targetE0EEEvT1_,@function
_ZN7rocprim17ROCPRIM_400000_NS6detail17trampoline_kernelINS0_14default_configENS1_20scan_config_selectorIN3c104HalfEEEZZNS1_9scan_implILNS1_25lookback_scan_determinismE0ELb0ELb0ES3_PKS6_PS6_S6_ZZZN2at6native31launch_logcumsumexp_cuda_kernelERKNSD_10TensorBaseESH_lENKUlvE_clEvENKUlvE3_clEvEUlS6_S6_E_S6_EEDaPvRmT3_T4_T5_mT6_P12ihipStream_tbENKUlT_T0_E_clISt17integral_constantIbLb0EESX_IbLb1EEEEDaST_SU_EUlST_E0_NS1_11comp_targetILNS1_3genE10ELNS1_11target_archE1201ELNS1_3gpuE5ELNS1_3repE0EEENS1_30default_config_static_selectorELNS0_4arch9wavefront6targetE0EEEvT1_: ; @_ZN7rocprim17ROCPRIM_400000_NS6detail17trampoline_kernelINS0_14default_configENS1_20scan_config_selectorIN3c104HalfEEEZZNS1_9scan_implILNS1_25lookback_scan_determinismE0ELb0ELb0ES3_PKS6_PS6_S6_ZZZN2at6native31launch_logcumsumexp_cuda_kernelERKNSD_10TensorBaseESH_lENKUlvE_clEvENKUlvE3_clEvEUlS6_S6_E_S6_EEDaPvRmT3_T4_T5_mT6_P12ihipStream_tbENKUlT_T0_E_clISt17integral_constantIbLb0EESX_IbLb1EEEEDaST_SU_EUlST_E0_NS1_11comp_targetILNS1_3genE10ELNS1_11target_archE1201ELNS1_3gpuE5ELNS1_3repE0EEENS1_30default_config_static_selectorELNS0_4arch9wavefront6targetE0EEEvT1_
; %bb.0:
	s_load_b128 s[16:19], s[0:1], 0x0
	v_mov_b32_e32 v1, 0
	s_wait_kmcnt 0x0
	global_load_u16 v1, v1, s[16:17]
	v_cmp_gt_u32_e32 vcc_lo, s18, v0
	s_wait_loadcnt 0x0
	v_dual_mov_b32 v2, v1 :: v_dual_lshlrev_b32 v7, 1, v0
	s_and_saveexec_b32 s2, vcc_lo
	s_cbranch_execz .LBB430_2
; %bb.1:
	global_load_u16 v2, v7, s[16:17]
.LBB430_2:
	s_or_b32 exec_lo, exec_lo, s2
	v_or_b32_e32 v3, 0x100, v0
	s_delay_alu instid0(VALU_DEP_1)
	v_cmp_gt_u32_e64 s2, s18, v3
	v_mov_b32_e32 v3, v1
	s_and_saveexec_b32 s3, s2
	s_cbranch_execz .LBB430_4
; %bb.3:
	global_load_u16 v3, v7, s[16:17] offset:512
.LBB430_4:
	s_or_b32 exec_lo, exec_lo, s3
	v_or_b32_e32 v4, 0x200, v0
	s_delay_alu instid0(VALU_DEP_1)
	v_cmp_gt_u32_e64 s3, s18, v4
	v_mov_b32_e32 v4, v1
	s_and_saveexec_b32 s4, s3
	s_cbranch_execz .LBB430_6
; %bb.5:
	global_load_u16 v4, v7, s[16:17] offset:1024
.LBB430_6:
	;; [unrolled: 10-line block ×10, first 2 shown]
	s_or_b32 exec_lo, exec_lo, s12
	v_or_b32_e32 v14, 0xb00, v0
	s_delay_alu instid0(VALU_DEP_1) | instskip(SKIP_2) | instid1(SALU_CYCLE_1)
	v_cmp_gt_u32_e64 s12, s18, v14
	v_cmp_le_u32_e64 s13, s18, v14
	s_and_saveexec_b32 s14, s13
	s_xor_b32 s13, exec_lo, s14
	s_delay_alu instid0(SALU_CYCLE_1)
	s_and_not1_saveexec_b32 s13, s13
	s_cbranch_execz .LBB430_24
; %bb.23:
	v_lshlrev_b32_e32 v1, 1, v0
	global_load_u16 v1, v1, s[16:17] offset:5632
.LBB430_24:
	s_or_b32 exec_lo, exec_lo, s13
	s_wait_loadcnt 0x0
	ds_store_b16 v7, v2
	ds_store_b16 v7, v3 offset:512
	ds_store_b16 v7, v4 offset:1024
	;; [unrolled: 1-line block ×11, first 2 shown]
	v_mad_u32_u24 v5, v0, 22, v7
	s_wait_dscnt 0x0
	s_barrier_signal -1
	s_barrier_wait -1
	global_inv scope:SCOPE_SE
	ds_load_2addr_b64 v[1:4], v5 offset1:1
	ds_load_b64 v[5:6], v5 offset:16
	s_wait_loadcnt_dscnt 0x0
	s_barrier_signal -1
	s_barrier_wait -1
	global_inv scope:SCOPE_SE
	v_lshrrev_b32_e32 v10, 16, v1
	v_cvt_f32_f16_e32 v8, v1
	v_cmp_u_f16_e64 s24, v1, v1
	v_dual_mov_b32 v17, v1 :: v_dual_mov_b32 v18, v1
	s_delay_alu instid0(VALU_DEP_4) | instskip(SKIP_2) | instid1(VALU_DEP_3)
	v_cvt_f32_f16_e32 v9, v10
	v_cmp_u_f16_e64 s13, v10, v10
	v_mov_b32_e32 v19, v8
	v_min_num_f32_e32 v15, v8, v9
	v_max_num_f32_e32 v16, v8, v9
	s_delay_alu instid0(VALU_DEP_2) | instskip(NEXT) | instid1(VALU_DEP_2)
	v_cndmask_b32_e64 v11, v15, v8, s24
	v_cndmask_b32_e64 v12, v16, v8, s24
	s_delay_alu instid0(VALU_DEP_2) | instskip(NEXT) | instid1(VALU_DEP_2)
	v_cndmask_b32_e64 v11, v11, v9, s13
	v_cndmask_b32_e64 v10, v12, v9, s13
	s_delay_alu instid0(VALU_DEP_2) | instskip(NEXT) | instid1(VALU_DEP_2)
	v_cmp_class_f32_e64 s15, v11, 0x1f8
	v_cmp_neq_f32_e64 s14, v11, v10
	s_or_b32 s14, s14, s15
	s_delay_alu instid0(SALU_CYCLE_1)
	s_and_saveexec_b32 s15, s14
	s_cbranch_execz .LBB430_26
; %bb.25:
	v_sub_f32_e32 v11, v11, v10
	s_delay_alu instid0(VALU_DEP_1) | instskip(NEXT) | instid1(VALU_DEP_1)
	v_mul_f32_e32 v12, 0x3fb8aa3b, v11
	v_fma_f32 v13, 0x3fb8aa3b, v11, -v12
	v_rndne_f32_e32 v14, v12
	s_delay_alu instid0(VALU_DEP_1) | instskip(NEXT) | instid1(VALU_DEP_1)
	v_dual_fmamk_f32 v13, v11, 0x32a5705f, v13 :: v_dual_sub_f32 v12, v12, v14
	v_add_f32_e32 v12, v12, v13
	v_cvt_i32_f32_e32 v13, v14
	v_cmp_ngt_f32_e64 s14, 0xc2ce8ed0, v11
	s_delay_alu instid0(VALU_DEP_3) | instskip(NEXT) | instid1(TRANS32_DEP_1)
	v_exp_f32_e32 v12, v12
	v_ldexp_f32 v12, v12, v13
	s_delay_alu instid0(VALU_DEP_1) | instskip(SKIP_2) | instid1(VALU_DEP_1)
	v_cndmask_b32_e64 v12, 0, v12, s14
	v_cmp_nlt_f32_e64 s14, 0x42b17218, v11
	s_wait_alu 0xf1ff
	v_cndmask_b32_e64 v13, 0x7f800000, v12, s14
	s_delay_alu instid0(VALU_DEP_1) | instskip(NEXT) | instid1(VALU_DEP_1)
	v_add_f32_e32 v14, 1.0, v13
	v_cvt_f64_f32_e32 v[11:12], v14
	s_delay_alu instid0(VALU_DEP_1) | instskip(SKIP_1) | instid1(VALU_DEP_1)
	v_frexp_exp_i32_f64_e32 v11, v[11:12]
	v_frexp_mant_f32_e32 v12, v14
	v_cmp_gt_f32_e64 s14, 0x3f2aaaab, v12
	v_add_f32_e32 v12, -1.0, v14
	s_delay_alu instid0(VALU_DEP_1) | instskip(NEXT) | instid1(VALU_DEP_1)
	v_sub_f32_e32 v18, v12, v14
	v_add_f32_e32 v18, 1.0, v18
	s_wait_alu 0xf1ff
	v_subrev_co_ci_u32_e64 v11, null, 0, v11, s14
	s_mov_b32 s14, 0x3e9b6dac
	v_sub_nc_u32_e32 v17, 0, v11
	v_cvt_f32_i32_e32 v11, v11
	s_delay_alu instid0(VALU_DEP_2) | instskip(NEXT) | instid1(VALU_DEP_1)
	v_ldexp_f32 v14, v14, v17
	v_dual_sub_f32 v12, v13, v12 :: v_dual_add_f32 v19, 1.0, v14
	s_delay_alu instid0(VALU_DEP_1) | instskip(NEXT) | instid1(VALU_DEP_2)
	v_add_f32_e32 v12, v12, v18
	v_add_f32_e32 v18, -1.0, v19
	s_delay_alu instid0(VALU_DEP_2) | instskip(SKIP_1) | instid1(VALU_DEP_3)
	v_ldexp_f32 v12, v12, v17
	v_add_f32_e32 v17, -1.0, v14
	v_sub_f32_e32 v18, v14, v18
	s_delay_alu instid0(VALU_DEP_2) | instskip(NEXT) | instid1(VALU_DEP_2)
	v_add_f32_e32 v20, 1.0, v17
	v_add_f32_e32 v18, v12, v18
	s_delay_alu instid0(VALU_DEP_2) | instskip(NEXT) | instid1(VALU_DEP_2)
	v_sub_f32_e32 v14, v14, v20
	v_add_f32_e32 v20, v19, v18
	s_delay_alu instid0(VALU_DEP_2) | instskip(NEXT) | instid1(VALU_DEP_2)
	v_add_f32_e32 v12, v12, v14
	v_rcp_f32_e32 v14, v20
	v_sub_f32_e32 v19, v19, v20
	s_delay_alu instid0(VALU_DEP_1) | instskip(NEXT) | instid1(VALU_DEP_1)
	v_dual_add_f32 v21, v17, v12 :: v_dual_add_f32 v18, v18, v19
	v_sub_f32_e32 v17, v17, v21
	s_delay_alu instid0(TRANS32_DEP_1) | instskip(NEXT) | instid1(VALU_DEP_2)
	v_mul_f32_e32 v22, v21, v14
	v_add_f32_e32 v12, v12, v17
	s_delay_alu instid0(VALU_DEP_2) | instskip(NEXT) | instid1(VALU_DEP_1)
	v_mul_f32_e32 v23, v20, v22
	v_fma_f32 v19, v22, v20, -v23
	s_delay_alu instid0(VALU_DEP_1) | instskip(NEXT) | instid1(VALU_DEP_1)
	v_fmac_f32_e32 v19, v22, v18
	v_add_f32_e32 v24, v23, v19
	s_delay_alu instid0(VALU_DEP_1) | instskip(SKIP_1) | instid1(VALU_DEP_2)
	v_sub_f32_e32 v25, v21, v24
	v_sub_f32_e32 v17, v24, v23
	;; [unrolled: 1-line block ×3, first 2 shown]
	s_delay_alu instid0(VALU_DEP_2) | instskip(NEXT) | instid1(VALU_DEP_2)
	v_sub_f32_e32 v17, v17, v19
	v_sub_f32_e32 v21, v21, v24
	s_delay_alu instid0(VALU_DEP_1) | instskip(NEXT) | instid1(VALU_DEP_1)
	v_add_f32_e32 v12, v12, v21
	v_add_f32_e32 v12, v17, v12
	s_delay_alu instid0(VALU_DEP_1) | instskip(NEXT) | instid1(VALU_DEP_1)
	v_add_f32_e32 v17, v25, v12
	v_mul_f32_e32 v19, v14, v17
	s_delay_alu instid0(VALU_DEP_1) | instskip(NEXT) | instid1(VALU_DEP_1)
	v_dual_sub_f32 v24, v25, v17 :: v_dual_mul_f32 v21, v20, v19
	v_fma_f32 v20, v19, v20, -v21
	s_delay_alu instid0(VALU_DEP_1) | instskip(NEXT) | instid1(VALU_DEP_1)
	v_fmac_f32_e32 v20, v19, v18
	v_add_f32_e32 v18, v21, v20
	s_delay_alu instid0(VALU_DEP_1) | instskip(SKIP_1) | instid1(VALU_DEP_2)
	v_sub_f32_e32 v23, v17, v18
	v_dual_sub_f32 v21, v18, v21 :: v_dual_add_f32 v12, v12, v24
	v_sub_f32_e32 v17, v17, v23
	s_delay_alu instid0(VALU_DEP_1) | instskip(NEXT) | instid1(VALU_DEP_1)
	v_sub_f32_e32 v17, v17, v18
	v_dual_add_f32 v12, v12, v17 :: v_dual_add_f32 v17, v22, v19
	s_delay_alu instid0(VALU_DEP_4) | instskip(NEXT) | instid1(VALU_DEP_1)
	v_sub_f32_e32 v18, v21, v20
	v_add_f32_e32 v12, v18, v12
	s_delay_alu instid0(VALU_DEP_3) | instskip(NEXT) | instid1(VALU_DEP_2)
	v_sub_f32_e32 v18, v17, v22
	v_add_f32_e32 v12, v23, v12
	s_delay_alu instid0(VALU_DEP_2) | instskip(NEXT) | instid1(VALU_DEP_2)
	v_sub_f32_e32 v18, v19, v18
	v_mul_f32_e32 v12, v14, v12
	s_delay_alu instid0(VALU_DEP_1) | instskip(NEXT) | instid1(VALU_DEP_1)
	v_add_f32_e32 v12, v18, v12
	v_add_f32_e32 v14, v17, v12
	s_delay_alu instid0(VALU_DEP_1) | instskip(SKIP_1) | instid1(VALU_DEP_1)
	v_mul_f32_e32 v18, v14, v14
	s_wait_alu 0xfffe
	v_fmaak_f32 v19, s14, v18, 0x3ecc95a3
	v_mul_f32_e32 v20, v14, v18
	v_cmp_neq_f32_e64 s14, 0x7f800000, v13
	s_delay_alu instid0(VALU_DEP_3) | instskip(SKIP_2) | instid1(VALU_DEP_3)
	v_fmaak_f32 v18, v18, v19, 0x3f2aaada
	v_ldexp_f32 v19, v14, 1
	v_sub_f32_e32 v14, v14, v17
	v_mul_f32_e32 v18, v20, v18
	v_mul_f32_e32 v20, 0x3f317218, v11
	s_delay_alu instid0(VALU_DEP_3) | instskip(NEXT) | instid1(VALU_DEP_3)
	v_sub_f32_e32 v12, v12, v14
	v_add_f32_e32 v17, v19, v18
	s_delay_alu instid0(VALU_DEP_2) | instskip(NEXT) | instid1(VALU_DEP_2)
	v_ldexp_f32 v12, v12, 1
	v_sub_f32_e32 v14, v17, v19
	v_fma_f32 v19, 0x3f317218, v11, -v20
	s_delay_alu instid0(VALU_DEP_1) | instskip(NEXT) | instid1(VALU_DEP_1)
	v_dual_sub_f32 v14, v18, v14 :: v_dual_fmamk_f32 v11, v11, 0xb102e308, v19
	v_add_f32_e32 v12, v12, v14
	s_delay_alu instid0(VALU_DEP_2) | instskip(NEXT) | instid1(VALU_DEP_2)
	v_add_f32_e32 v14, v20, v11
	v_add_f32_e32 v18, v17, v12
	s_delay_alu instid0(VALU_DEP_2) | instskip(NEXT) | instid1(VALU_DEP_2)
	v_sub_f32_e32 v20, v14, v20
	v_add_f32_e32 v19, v14, v18
	v_sub_f32_e32 v17, v18, v17
	s_delay_alu instid0(VALU_DEP_3) | instskip(NEXT) | instid1(VALU_DEP_2)
	v_sub_f32_e32 v11, v11, v20
	v_dual_sub_f32 v21, v19, v14 :: v_dual_sub_f32 v12, v12, v17
	s_delay_alu instid0(VALU_DEP_1) | instskip(NEXT) | instid1(VALU_DEP_2)
	v_sub_f32_e32 v22, v19, v21
	v_dual_sub_f32 v17, v18, v21 :: v_dual_add_f32 v18, v11, v12
	s_delay_alu instid0(VALU_DEP_2) | instskip(NEXT) | instid1(VALU_DEP_1)
	v_sub_f32_e32 v14, v14, v22
	v_dual_add_f32 v14, v17, v14 :: v_dual_sub_f32 v17, v18, v11
	s_delay_alu instid0(VALU_DEP_1) | instskip(NEXT) | instid1(VALU_DEP_2)
	v_add_f32_e32 v14, v18, v14
	v_sub_f32_e32 v18, v18, v17
	v_sub_f32_e32 v12, v12, v17
	s_delay_alu instid0(VALU_DEP_3) | instskip(NEXT) | instid1(VALU_DEP_3)
	v_add_f32_e32 v20, v19, v14
	v_sub_f32_e32 v11, v11, v18
	s_delay_alu instid0(VALU_DEP_2) | instskip(NEXT) | instid1(VALU_DEP_1)
	v_sub_f32_e32 v17, v20, v19
	v_dual_add_f32 v11, v12, v11 :: v_dual_sub_f32 v12, v14, v17
	s_delay_alu instid0(VALU_DEP_1) | instskip(NEXT) | instid1(VALU_DEP_1)
	v_add_f32_e32 v11, v11, v12
	v_add_f32_e32 v11, v20, v11
	s_wait_alu 0xf1ff
	s_delay_alu instid0(VALU_DEP_1) | instskip(SKIP_2) | instid1(VALU_DEP_1)
	v_cndmask_b32_e64 v11, 0x7f800000, v11, s14
	v_cmp_gt_f32_e64 s14, 0x33800000, |v13|
	s_wait_alu 0xf1ff
	v_cndmask_b32_e64 v11, v11, v13, s14
	s_delay_alu instid0(VALU_DEP_1) | instskip(NEXT) | instid1(VALU_DEP_1)
	v_add_f32_e32 v10, v10, v11
	v_cvt_f16_f32_e32 v17, v10
	s_delay_alu instid0(VALU_DEP_1)
	v_cvt_f32_f16_e32 v19, v17
	v_mov_b32_e32 v18, v17
.LBB430_26:
	s_or_b32 exec_lo, exec_lo, s15
	v_cvt_f32_f16_e32 v10, v2
	s_delay_alu instid0(VALU_DEP_3) | instskip(SKIP_1) | instid1(VALU_DEP_2)
	v_max_num_f32_e32 v11, v19, v19
	v_cmp_u_f16_e64 s14, v17, v17
	v_min_num_f32_e32 v12, v11, v10
	v_max_num_f32_e32 v11, v11, v10
	s_wait_alu 0xf1ff
	s_delay_alu instid0(VALU_DEP_2) | instskip(NEXT) | instid1(VALU_DEP_2)
	v_cndmask_b32_e64 v12, v12, v19, s14
	v_cndmask_b32_e64 v11, v11, v19, s14
	v_cmp_u_f16_e64 s14, v2, v2
	s_wait_alu 0xf1ff
	s_delay_alu instid0(VALU_DEP_1) | instskip(NEXT) | instid1(VALU_DEP_3)
	v_cndmask_b32_e64 v12, v12, v10, s14
	v_cndmask_b32_e64 v11, v11, v10, s14
	s_delay_alu instid0(VALU_DEP_2) | instskip(NEXT) | instid1(VALU_DEP_2)
	v_cmp_class_f32_e64 s16, v12, 0x1f8
	v_cmp_neq_f32_e64 s15, v12, v11
	s_or_b32 s15, s15, s16
	s_wait_alu 0xfffe
	s_and_saveexec_b32 s16, s15
	s_cbranch_execz .LBB430_28
; %bb.27:
	v_sub_f32_e32 v12, v12, v11
	s_delay_alu instid0(VALU_DEP_1) | instskip(NEXT) | instid1(VALU_DEP_1)
	v_mul_f32_e32 v13, 0x3fb8aa3b, v12
	v_fma_f32 v14, 0x3fb8aa3b, v12, -v13
	v_rndne_f32_e32 v17, v13
	s_delay_alu instid0(VALU_DEP_1) | instskip(SKIP_1) | instid1(VALU_DEP_2)
	v_dual_sub_f32 v13, v13, v17 :: v_dual_fmamk_f32 v14, v12, 0x32a5705f, v14
	v_cmp_ngt_f32_e64 s15, 0xc2ce8ed0, v12
	v_add_f32_e32 v13, v13, v14
	v_cvt_i32_f32_e32 v14, v17
	s_delay_alu instid0(VALU_DEP_2) | instskip(NEXT) | instid1(TRANS32_DEP_1)
	v_exp_f32_e32 v13, v13
	v_ldexp_f32 v13, v13, v14
	s_wait_alu 0xf1ff
	s_delay_alu instid0(VALU_DEP_1) | instskip(SKIP_2) | instid1(VALU_DEP_1)
	v_cndmask_b32_e64 v13, 0, v13, s15
	v_cmp_nlt_f32_e64 s15, 0x42b17218, v12
	s_wait_alu 0xf1ff
	v_cndmask_b32_e64 v14, 0x7f800000, v13, s15
	s_delay_alu instid0(VALU_DEP_1) | instskip(NEXT) | instid1(VALU_DEP_1)
	v_add_f32_e32 v17, 1.0, v14
	v_cvt_f64_f32_e32 v[12:13], v17
	s_delay_alu instid0(VALU_DEP_1) | instskip(SKIP_1) | instid1(VALU_DEP_1)
	v_frexp_exp_i32_f64_e32 v12, v[12:13]
	v_frexp_mant_f32_e32 v13, v17
	v_cmp_gt_f32_e64 s15, 0x3f2aaaab, v13
	v_add_f32_e32 v13, -1.0, v17
	s_delay_alu instid0(VALU_DEP_1)
	v_sub_f32_e32 v19, v13, v17
	v_sub_f32_e32 v13, v14, v13
	s_wait_alu 0xf1ff
	v_subrev_co_ci_u32_e64 v12, null, 0, v12, s15
	s_mov_b32 s15, 0x3e9b6dac
	v_sub_nc_u32_e32 v18, 0, v12
	v_cvt_f32_i32_e32 v12, v12
	s_delay_alu instid0(VALU_DEP_2) | instskip(NEXT) | instid1(VALU_DEP_1)
	v_ldexp_f32 v17, v17, v18
	v_dual_add_f32 v20, 1.0, v17 :: v_dual_add_f32 v19, 1.0, v19
	s_delay_alu instid0(VALU_DEP_1) | instskip(NEXT) | instid1(VALU_DEP_2)
	v_add_f32_e32 v13, v13, v19
	v_add_f32_e32 v19, -1.0, v20
	s_delay_alu instid0(VALU_DEP_2) | instskip(NEXT) | instid1(VALU_DEP_2)
	v_ldexp_f32 v13, v13, v18
	v_dual_add_f32 v18, -1.0, v17 :: v_dual_sub_f32 v19, v17, v19
	s_delay_alu instid0(VALU_DEP_1) | instskip(NEXT) | instid1(VALU_DEP_2)
	v_add_f32_e32 v21, 1.0, v18
	v_add_f32_e32 v19, v13, v19
	s_delay_alu instid0(VALU_DEP_2) | instskip(NEXT) | instid1(VALU_DEP_2)
	v_sub_f32_e32 v17, v17, v21
	v_add_f32_e32 v21, v20, v19
	s_delay_alu instid0(VALU_DEP_2) | instskip(NEXT) | instid1(VALU_DEP_2)
	v_add_f32_e32 v13, v13, v17
	v_rcp_f32_e32 v17, v21
	v_sub_f32_e32 v20, v20, v21
	s_delay_alu instid0(VALU_DEP_1) | instskip(NEXT) | instid1(VALU_DEP_1)
	v_dual_add_f32 v22, v18, v13 :: v_dual_add_f32 v19, v19, v20
	v_sub_f32_e32 v18, v18, v22
	s_delay_alu instid0(TRANS32_DEP_1) | instskip(NEXT) | instid1(VALU_DEP_2)
	v_mul_f32_e32 v23, v22, v17
	v_add_f32_e32 v13, v13, v18
	s_delay_alu instid0(VALU_DEP_2) | instskip(NEXT) | instid1(VALU_DEP_1)
	v_mul_f32_e32 v24, v21, v23
	v_fma_f32 v20, v23, v21, -v24
	s_delay_alu instid0(VALU_DEP_1) | instskip(NEXT) | instid1(VALU_DEP_1)
	v_fmac_f32_e32 v20, v23, v19
	v_add_f32_e32 v25, v24, v20
	s_delay_alu instid0(VALU_DEP_1) | instskip(SKIP_1) | instid1(VALU_DEP_2)
	v_sub_f32_e32 v26, v22, v25
	v_sub_f32_e32 v18, v25, v24
	;; [unrolled: 1-line block ×3, first 2 shown]
	s_delay_alu instid0(VALU_DEP_2) | instskip(NEXT) | instid1(VALU_DEP_2)
	v_sub_f32_e32 v18, v18, v20
	v_sub_f32_e32 v22, v22, v25
	s_delay_alu instid0(VALU_DEP_1) | instskip(NEXT) | instid1(VALU_DEP_1)
	v_add_f32_e32 v13, v13, v22
	v_add_f32_e32 v13, v18, v13
	s_delay_alu instid0(VALU_DEP_1) | instskip(NEXT) | instid1(VALU_DEP_1)
	v_add_f32_e32 v18, v26, v13
	v_mul_f32_e32 v20, v17, v18
	s_delay_alu instid0(VALU_DEP_1) | instskip(NEXT) | instid1(VALU_DEP_1)
	v_dual_sub_f32 v25, v26, v18 :: v_dual_mul_f32 v22, v21, v20
	v_add_f32_e32 v13, v13, v25
	s_delay_alu instid0(VALU_DEP_2) | instskip(NEXT) | instid1(VALU_DEP_1)
	v_fma_f32 v21, v20, v21, -v22
	v_fmac_f32_e32 v21, v20, v19
	s_delay_alu instid0(VALU_DEP_1) | instskip(NEXT) | instid1(VALU_DEP_1)
	v_add_f32_e32 v19, v22, v21
	v_sub_f32_e32 v24, v18, v19
	v_sub_f32_e32 v22, v19, v22
	s_delay_alu instid0(VALU_DEP_2) | instskip(NEXT) | instid1(VALU_DEP_1)
	v_sub_f32_e32 v18, v18, v24
	v_sub_f32_e32 v18, v18, v19
	s_delay_alu instid0(VALU_DEP_3) | instskip(NEXT) | instid1(VALU_DEP_2)
	v_sub_f32_e32 v19, v22, v21
	v_dual_add_f32 v13, v13, v18 :: v_dual_add_f32 v18, v23, v20
	s_delay_alu instid0(VALU_DEP_1) | instskip(NEXT) | instid1(VALU_DEP_2)
	v_add_f32_e32 v13, v19, v13
	v_sub_f32_e32 v19, v18, v23
	s_delay_alu instid0(VALU_DEP_2) | instskip(NEXT) | instid1(VALU_DEP_2)
	v_add_f32_e32 v13, v24, v13
	v_sub_f32_e32 v19, v20, v19
	s_delay_alu instid0(VALU_DEP_2) | instskip(NEXT) | instid1(VALU_DEP_1)
	v_mul_f32_e32 v13, v17, v13
	v_add_f32_e32 v13, v19, v13
	s_delay_alu instid0(VALU_DEP_1) | instskip(NEXT) | instid1(VALU_DEP_1)
	v_add_f32_e32 v17, v18, v13
	v_mul_f32_e32 v19, v17, v17
	s_wait_alu 0xfffe
	s_delay_alu instid0(VALU_DEP_1) | instskip(SKIP_2) | instid1(VALU_DEP_3)
	v_fmaak_f32 v20, s15, v19, 0x3ecc95a3
	v_mul_f32_e32 v21, v17, v19
	v_cmp_neq_f32_e64 s15, 0x7f800000, v14
	v_fmaak_f32 v19, v19, v20, 0x3f2aaada
	v_ldexp_f32 v20, v17, 1
	v_sub_f32_e32 v17, v17, v18
	s_delay_alu instid0(VALU_DEP_3) | instskip(SKIP_1) | instid1(VALU_DEP_2)
	v_mul_f32_e32 v19, v21, v19
	v_mul_f32_e32 v21, 0x3f317218, v12
	v_dual_sub_f32 v13, v13, v17 :: v_dual_add_f32 v18, v20, v19
	s_delay_alu instid0(VALU_DEP_1) | instskip(NEXT) | instid1(VALU_DEP_2)
	v_ldexp_f32 v13, v13, 1
	v_sub_f32_e32 v17, v18, v20
	s_delay_alu instid0(VALU_DEP_4) | instskip(NEXT) | instid1(VALU_DEP_1)
	v_fma_f32 v20, 0x3f317218, v12, -v21
	v_dual_sub_f32 v17, v19, v17 :: v_dual_fmamk_f32 v12, v12, 0xb102e308, v20
	s_delay_alu instid0(VALU_DEP_1) | instskip(NEXT) | instid1(VALU_DEP_2)
	v_add_f32_e32 v13, v13, v17
	v_add_f32_e32 v17, v21, v12
	s_delay_alu instid0(VALU_DEP_2) | instskip(NEXT) | instid1(VALU_DEP_2)
	v_add_f32_e32 v19, v18, v13
	v_sub_f32_e32 v21, v17, v21
	s_delay_alu instid0(VALU_DEP_2) | instskip(SKIP_1) | instid1(VALU_DEP_3)
	v_add_f32_e32 v20, v17, v19
	v_sub_f32_e32 v18, v19, v18
	v_sub_f32_e32 v12, v12, v21
	s_delay_alu instid0(VALU_DEP_2) | instskip(NEXT) | instid1(VALU_DEP_1)
	v_dual_sub_f32 v22, v20, v17 :: v_dual_sub_f32 v13, v13, v18
	v_sub_f32_e32 v23, v20, v22
	s_delay_alu instid0(VALU_DEP_2) | instskip(NEXT) | instid1(VALU_DEP_2)
	v_dual_sub_f32 v18, v19, v22 :: v_dual_add_f32 v19, v12, v13
	v_sub_f32_e32 v17, v17, v23
	s_delay_alu instid0(VALU_DEP_1) | instskip(NEXT) | instid1(VALU_DEP_1)
	v_dual_add_f32 v17, v18, v17 :: v_dual_sub_f32 v18, v19, v12
	v_add_f32_e32 v17, v19, v17
	s_delay_alu instid0(VALU_DEP_2) | instskip(SKIP_1) | instid1(VALU_DEP_3)
	v_sub_f32_e32 v19, v19, v18
	v_sub_f32_e32 v13, v13, v18
	v_add_f32_e32 v21, v20, v17
	s_delay_alu instid0(VALU_DEP_3) | instskip(NEXT) | instid1(VALU_DEP_2)
	v_sub_f32_e32 v12, v12, v19
	v_sub_f32_e32 v18, v21, v20
	s_delay_alu instid0(VALU_DEP_2) | instskip(NEXT) | instid1(VALU_DEP_2)
	v_add_f32_e32 v12, v13, v12
	v_sub_f32_e32 v13, v17, v18
	s_delay_alu instid0(VALU_DEP_1) | instskip(NEXT) | instid1(VALU_DEP_1)
	v_add_f32_e32 v12, v12, v13
	v_add_f32_e32 v12, v21, v12
	s_wait_alu 0xf1ff
	s_delay_alu instid0(VALU_DEP_1) | instskip(SKIP_2) | instid1(VALU_DEP_1)
	v_cndmask_b32_e64 v12, 0x7f800000, v12, s15
	v_cmp_gt_f32_e64 s15, 0x33800000, |v14|
	s_wait_alu 0xf1ff
	v_cndmask_b32_e64 v12, v12, v14, s15
	s_delay_alu instid0(VALU_DEP_1) | instskip(NEXT) | instid1(VALU_DEP_1)
	v_add_f32_e32 v11, v11, v12
	v_cvt_f16_f32_e32 v17, v11
	s_delay_alu instid0(VALU_DEP_1)
	v_cvt_f32_f16_e32 v19, v17
	v_mov_b32_e32 v18, v17
.LBB430_28:
	s_or_b32 exec_lo, exec_lo, s16
	v_lshrrev_b32_e32 v2, 16, v2
	s_delay_alu instid0(VALU_DEP_3) | instskip(SKIP_1) | instid1(VALU_DEP_3)
	v_max_num_f32_e32 v12, v19, v19
	v_cmp_u_f16_e64 s15, v17, v17
	v_cvt_f32_f16_e32 v11, v2
	s_delay_alu instid0(VALU_DEP_1) | instskip(SKIP_2) | instid1(VALU_DEP_2)
	v_min_num_f32_e32 v13, v12, v11
	v_max_num_f32_e32 v12, v12, v11
	s_wait_alu 0xf1ff
	v_cndmask_b32_e64 v13, v13, v19, s15
	s_delay_alu instid0(VALU_DEP_2) | instskip(SKIP_2) | instid1(VALU_DEP_1)
	v_cndmask_b32_e64 v14, v12, v19, s15
	v_cmp_u_f16_e64 s15, v2, v2
	s_wait_alu 0xf1ff
	v_cndmask_b32_e64 v12, v13, v11, s15
	s_delay_alu instid0(VALU_DEP_3) | instskip(NEXT) | instid1(VALU_DEP_2)
	v_cndmask_b32_e64 v2, v14, v11, s15
	v_cmp_class_f32_e64 s17, v12, 0x1f8
	s_delay_alu instid0(VALU_DEP_2) | instskip(SKIP_1) | instid1(SALU_CYCLE_1)
	v_cmp_neq_f32_e64 s16, v12, v2
	s_or_b32 s16, s16, s17
	s_and_saveexec_b32 s17, s16
	s_cbranch_execz .LBB430_30
; %bb.29:
	v_sub_f32_e32 v12, v12, v2
	s_delay_alu instid0(VALU_DEP_1) | instskip(NEXT) | instid1(VALU_DEP_1)
	v_mul_f32_e32 v13, 0x3fb8aa3b, v12
	v_fma_f32 v14, 0x3fb8aa3b, v12, -v13
	v_rndne_f32_e32 v17, v13
	s_delay_alu instid0(VALU_DEP_1) | instskip(SKIP_1) | instid1(VALU_DEP_2)
	v_dual_sub_f32 v13, v13, v17 :: v_dual_fmamk_f32 v14, v12, 0x32a5705f, v14
	v_cmp_ngt_f32_e64 s16, 0xc2ce8ed0, v12
	v_add_f32_e32 v13, v13, v14
	v_cvt_i32_f32_e32 v14, v17
	s_delay_alu instid0(VALU_DEP_2) | instskip(NEXT) | instid1(TRANS32_DEP_1)
	v_exp_f32_e32 v13, v13
	v_ldexp_f32 v13, v13, v14
	s_delay_alu instid0(VALU_DEP_1) | instskip(SKIP_2) | instid1(VALU_DEP_1)
	v_cndmask_b32_e64 v13, 0, v13, s16
	v_cmp_nlt_f32_e64 s16, 0x42b17218, v12
	s_wait_alu 0xf1ff
	v_cndmask_b32_e64 v14, 0x7f800000, v13, s16
	s_delay_alu instid0(VALU_DEP_1) | instskip(NEXT) | instid1(VALU_DEP_1)
	v_add_f32_e32 v17, 1.0, v14
	v_cvt_f64_f32_e32 v[12:13], v17
	s_delay_alu instid0(VALU_DEP_1) | instskip(SKIP_1) | instid1(VALU_DEP_1)
	v_frexp_exp_i32_f64_e32 v12, v[12:13]
	v_frexp_mant_f32_e32 v13, v17
	v_cmp_gt_f32_e64 s16, 0x3f2aaaab, v13
	v_add_f32_e32 v13, -1.0, v17
	s_delay_alu instid0(VALU_DEP_1)
	v_sub_f32_e32 v19, v13, v17
	v_sub_f32_e32 v13, v14, v13
	s_wait_alu 0xf1ff
	v_subrev_co_ci_u32_e64 v12, null, 0, v12, s16
	s_mov_b32 s16, 0x3e9b6dac
	v_sub_nc_u32_e32 v18, 0, v12
	v_cvt_f32_i32_e32 v12, v12
	s_delay_alu instid0(VALU_DEP_2) | instskip(NEXT) | instid1(VALU_DEP_1)
	v_ldexp_f32 v17, v17, v18
	v_dual_add_f32 v20, 1.0, v17 :: v_dual_add_f32 v19, 1.0, v19
	s_delay_alu instid0(VALU_DEP_1) | instskip(NEXT) | instid1(VALU_DEP_2)
	v_add_f32_e32 v13, v13, v19
	v_add_f32_e32 v19, -1.0, v20
	s_delay_alu instid0(VALU_DEP_2) | instskip(NEXT) | instid1(VALU_DEP_2)
	v_ldexp_f32 v13, v13, v18
	v_dual_add_f32 v18, -1.0, v17 :: v_dual_sub_f32 v19, v17, v19
	s_delay_alu instid0(VALU_DEP_1) | instskip(NEXT) | instid1(VALU_DEP_2)
	v_add_f32_e32 v21, 1.0, v18
	v_add_f32_e32 v19, v13, v19
	s_delay_alu instid0(VALU_DEP_2) | instskip(NEXT) | instid1(VALU_DEP_2)
	v_sub_f32_e32 v17, v17, v21
	v_add_f32_e32 v21, v20, v19
	s_delay_alu instid0(VALU_DEP_2) | instskip(NEXT) | instid1(VALU_DEP_2)
	v_add_f32_e32 v13, v13, v17
	v_rcp_f32_e32 v17, v21
	v_sub_f32_e32 v20, v20, v21
	s_delay_alu instid0(VALU_DEP_1) | instskip(NEXT) | instid1(VALU_DEP_1)
	v_dual_add_f32 v22, v18, v13 :: v_dual_add_f32 v19, v19, v20
	v_sub_f32_e32 v18, v18, v22
	s_delay_alu instid0(TRANS32_DEP_1) | instskip(NEXT) | instid1(VALU_DEP_2)
	v_mul_f32_e32 v23, v22, v17
	v_add_f32_e32 v13, v13, v18
	s_delay_alu instid0(VALU_DEP_2) | instskip(NEXT) | instid1(VALU_DEP_1)
	v_mul_f32_e32 v24, v21, v23
	v_fma_f32 v20, v23, v21, -v24
	s_delay_alu instid0(VALU_DEP_1) | instskip(NEXT) | instid1(VALU_DEP_1)
	v_fmac_f32_e32 v20, v23, v19
	v_add_f32_e32 v25, v24, v20
	s_delay_alu instid0(VALU_DEP_1) | instskip(SKIP_1) | instid1(VALU_DEP_2)
	v_sub_f32_e32 v26, v22, v25
	v_sub_f32_e32 v18, v25, v24
	v_sub_f32_e32 v22, v22, v26
	s_delay_alu instid0(VALU_DEP_2) | instskip(NEXT) | instid1(VALU_DEP_2)
	v_sub_f32_e32 v18, v18, v20
	v_sub_f32_e32 v22, v22, v25
	s_delay_alu instid0(VALU_DEP_1) | instskip(NEXT) | instid1(VALU_DEP_1)
	v_add_f32_e32 v13, v13, v22
	v_add_f32_e32 v13, v18, v13
	s_delay_alu instid0(VALU_DEP_1) | instskip(NEXT) | instid1(VALU_DEP_1)
	v_add_f32_e32 v18, v26, v13
	v_mul_f32_e32 v20, v17, v18
	s_delay_alu instid0(VALU_DEP_1) | instskip(NEXT) | instid1(VALU_DEP_1)
	v_dual_sub_f32 v25, v26, v18 :: v_dual_mul_f32 v22, v21, v20
	v_add_f32_e32 v13, v13, v25
	s_delay_alu instid0(VALU_DEP_2) | instskip(NEXT) | instid1(VALU_DEP_1)
	v_fma_f32 v21, v20, v21, -v22
	v_fmac_f32_e32 v21, v20, v19
	s_delay_alu instid0(VALU_DEP_1) | instskip(NEXT) | instid1(VALU_DEP_1)
	v_add_f32_e32 v19, v22, v21
	v_sub_f32_e32 v24, v18, v19
	v_sub_f32_e32 v22, v19, v22
	s_delay_alu instid0(VALU_DEP_2) | instskip(NEXT) | instid1(VALU_DEP_1)
	v_sub_f32_e32 v18, v18, v24
	v_sub_f32_e32 v18, v18, v19
	s_delay_alu instid0(VALU_DEP_3) | instskip(NEXT) | instid1(VALU_DEP_2)
	v_sub_f32_e32 v19, v22, v21
	v_dual_add_f32 v13, v13, v18 :: v_dual_add_f32 v18, v23, v20
	s_delay_alu instid0(VALU_DEP_1) | instskip(NEXT) | instid1(VALU_DEP_2)
	v_add_f32_e32 v13, v19, v13
	v_sub_f32_e32 v19, v18, v23
	s_delay_alu instid0(VALU_DEP_2) | instskip(NEXT) | instid1(VALU_DEP_2)
	v_add_f32_e32 v13, v24, v13
	v_sub_f32_e32 v19, v20, v19
	s_delay_alu instid0(VALU_DEP_2) | instskip(NEXT) | instid1(VALU_DEP_1)
	v_mul_f32_e32 v13, v17, v13
	v_add_f32_e32 v13, v19, v13
	s_delay_alu instid0(VALU_DEP_1) | instskip(NEXT) | instid1(VALU_DEP_1)
	v_add_f32_e32 v17, v18, v13
	v_mul_f32_e32 v19, v17, v17
	s_wait_alu 0xfffe
	s_delay_alu instid0(VALU_DEP_1) | instskip(SKIP_2) | instid1(VALU_DEP_3)
	v_fmaak_f32 v20, s16, v19, 0x3ecc95a3
	v_mul_f32_e32 v21, v17, v19
	v_cmp_neq_f32_e64 s16, 0x7f800000, v14
	v_fmaak_f32 v19, v19, v20, 0x3f2aaada
	v_ldexp_f32 v20, v17, 1
	v_sub_f32_e32 v17, v17, v18
	s_delay_alu instid0(VALU_DEP_3) | instskip(SKIP_1) | instid1(VALU_DEP_2)
	v_mul_f32_e32 v19, v21, v19
	v_mul_f32_e32 v21, 0x3f317218, v12
	v_dual_sub_f32 v13, v13, v17 :: v_dual_add_f32 v18, v20, v19
	s_delay_alu instid0(VALU_DEP_1) | instskip(NEXT) | instid1(VALU_DEP_2)
	v_ldexp_f32 v13, v13, 1
	v_sub_f32_e32 v17, v18, v20
	s_delay_alu instid0(VALU_DEP_4) | instskip(NEXT) | instid1(VALU_DEP_1)
	v_fma_f32 v20, 0x3f317218, v12, -v21
	v_dual_sub_f32 v17, v19, v17 :: v_dual_fmamk_f32 v12, v12, 0xb102e308, v20
	s_delay_alu instid0(VALU_DEP_1) | instskip(NEXT) | instid1(VALU_DEP_2)
	v_add_f32_e32 v13, v13, v17
	v_add_f32_e32 v17, v21, v12
	s_delay_alu instid0(VALU_DEP_2) | instskip(NEXT) | instid1(VALU_DEP_2)
	v_add_f32_e32 v19, v18, v13
	v_sub_f32_e32 v21, v17, v21
	s_delay_alu instid0(VALU_DEP_2) | instskip(SKIP_1) | instid1(VALU_DEP_3)
	v_add_f32_e32 v20, v17, v19
	v_sub_f32_e32 v18, v19, v18
	v_sub_f32_e32 v12, v12, v21
	s_delay_alu instid0(VALU_DEP_2) | instskip(NEXT) | instid1(VALU_DEP_1)
	v_dual_sub_f32 v22, v20, v17 :: v_dual_sub_f32 v13, v13, v18
	v_sub_f32_e32 v23, v20, v22
	s_delay_alu instid0(VALU_DEP_2) | instskip(NEXT) | instid1(VALU_DEP_2)
	v_dual_sub_f32 v18, v19, v22 :: v_dual_add_f32 v19, v12, v13
	v_sub_f32_e32 v17, v17, v23
	s_delay_alu instid0(VALU_DEP_1) | instskip(NEXT) | instid1(VALU_DEP_1)
	v_dual_add_f32 v17, v18, v17 :: v_dual_sub_f32 v18, v19, v12
	v_add_f32_e32 v17, v19, v17
	s_delay_alu instid0(VALU_DEP_2) | instskip(SKIP_1) | instid1(VALU_DEP_3)
	v_sub_f32_e32 v19, v19, v18
	v_sub_f32_e32 v13, v13, v18
	v_add_f32_e32 v21, v20, v17
	s_delay_alu instid0(VALU_DEP_3) | instskip(NEXT) | instid1(VALU_DEP_2)
	v_sub_f32_e32 v12, v12, v19
	v_sub_f32_e32 v18, v21, v20
	s_delay_alu instid0(VALU_DEP_2) | instskip(NEXT) | instid1(VALU_DEP_2)
	v_add_f32_e32 v12, v13, v12
	v_sub_f32_e32 v13, v17, v18
	s_delay_alu instid0(VALU_DEP_1) | instskip(NEXT) | instid1(VALU_DEP_1)
	v_add_f32_e32 v12, v12, v13
	v_add_f32_e32 v12, v21, v12
	s_wait_alu 0xf1ff
	s_delay_alu instid0(VALU_DEP_1) | instskip(SKIP_2) | instid1(VALU_DEP_1)
	v_cndmask_b32_e64 v12, 0x7f800000, v12, s16
	v_cmp_gt_f32_e64 s16, 0x33800000, |v14|
	s_wait_alu 0xf1ff
	v_cndmask_b32_e64 v12, v12, v14, s16
	s_delay_alu instid0(VALU_DEP_1) | instskip(NEXT) | instid1(VALU_DEP_1)
	v_add_f32_e32 v2, v2, v12
	v_cvt_f16_f32_e32 v17, v2
	s_delay_alu instid0(VALU_DEP_1)
	v_cvt_f32_f16_e32 v19, v17
	v_mov_b32_e32 v18, v17
.LBB430_30:
	s_or_b32 exec_lo, exec_lo, s17
	v_cvt_f32_f16_e32 v2, v3
	s_delay_alu instid0(VALU_DEP_3) | instskip(SKIP_1) | instid1(VALU_DEP_2)
	v_max_num_f32_e32 v12, v19, v19
	v_cmp_u_f16_e64 s16, v17, v17
	v_min_num_f32_e32 v13, v12, v2
	v_max_num_f32_e32 v12, v12, v2
	s_wait_alu 0xf1ff
	s_delay_alu instid0(VALU_DEP_2) | instskip(NEXT) | instid1(VALU_DEP_2)
	v_cndmask_b32_e64 v13, v13, v19, s16
	v_cndmask_b32_e64 v12, v12, v19, s16
	v_cmp_u_f16_e64 s16, v3, v3
	s_wait_alu 0xf1ff
	s_delay_alu instid0(VALU_DEP_1) | instskip(NEXT) | instid1(VALU_DEP_3)
	v_cndmask_b32_e64 v13, v13, v2, s16
	v_cndmask_b32_e64 v12, v12, v2, s16
	s_delay_alu instid0(VALU_DEP_2) | instskip(NEXT) | instid1(VALU_DEP_2)
	v_cmp_class_f32_e64 s18, v13, 0x1f8
	v_cmp_neq_f32_e64 s17, v13, v12
	s_or_b32 s17, s17, s18
	s_wait_alu 0xfffe
	s_and_saveexec_b32 s18, s17
	s_cbranch_execz .LBB430_32
; %bb.31:
	v_sub_f32_e32 v13, v13, v12
	s_delay_alu instid0(VALU_DEP_1) | instskip(NEXT) | instid1(VALU_DEP_1)
	v_mul_f32_e32 v14, 0x3fb8aa3b, v13
	v_fma_f32 v17, 0x3fb8aa3b, v13, -v14
	v_rndne_f32_e32 v18, v14
	s_delay_alu instid0(VALU_DEP_1) | instskip(SKIP_1) | instid1(VALU_DEP_2)
	v_dual_sub_f32 v14, v14, v18 :: v_dual_fmamk_f32 v17, v13, 0x32a5705f, v17
	v_cmp_ngt_f32_e64 s17, 0xc2ce8ed0, v13
	v_add_f32_e32 v14, v14, v17
	v_cvt_i32_f32_e32 v17, v18
	s_delay_alu instid0(VALU_DEP_2) | instskip(NEXT) | instid1(TRANS32_DEP_1)
	v_exp_f32_e32 v14, v14
	v_ldexp_f32 v14, v14, v17
	s_wait_alu 0xf1ff
	s_delay_alu instid0(VALU_DEP_1) | instskip(SKIP_2) | instid1(VALU_DEP_1)
	v_cndmask_b32_e64 v14, 0, v14, s17
	v_cmp_nlt_f32_e64 s17, 0x42b17218, v13
	s_wait_alu 0xf1ff
	v_cndmask_b32_e64 v17, 0x7f800000, v14, s17
	s_delay_alu instid0(VALU_DEP_1) | instskip(NEXT) | instid1(VALU_DEP_1)
	v_add_f32_e32 v18, 1.0, v17
	v_cvt_f64_f32_e32 v[13:14], v18
	s_delay_alu instid0(VALU_DEP_1) | instskip(SKIP_1) | instid1(VALU_DEP_1)
	v_frexp_exp_i32_f64_e32 v13, v[13:14]
	v_frexp_mant_f32_e32 v14, v18
	v_cmp_gt_f32_e64 s17, 0x3f2aaaab, v14
	v_add_f32_e32 v14, -1.0, v18
	s_delay_alu instid0(VALU_DEP_1)
	v_sub_f32_e32 v20, v14, v18
	v_sub_f32_e32 v14, v17, v14
	s_wait_alu 0xf1ff
	v_subrev_co_ci_u32_e64 v13, null, 0, v13, s17
	s_mov_b32 s17, 0x3e9b6dac
	v_sub_nc_u32_e32 v19, 0, v13
	v_cvt_f32_i32_e32 v13, v13
	s_delay_alu instid0(VALU_DEP_2) | instskip(NEXT) | instid1(VALU_DEP_1)
	v_ldexp_f32 v18, v18, v19
	v_dual_add_f32 v21, 1.0, v18 :: v_dual_add_f32 v20, 1.0, v20
	s_delay_alu instid0(VALU_DEP_1) | instskip(NEXT) | instid1(VALU_DEP_2)
	v_add_f32_e32 v14, v14, v20
	v_add_f32_e32 v20, -1.0, v21
	s_delay_alu instid0(VALU_DEP_2) | instskip(NEXT) | instid1(VALU_DEP_2)
	v_ldexp_f32 v14, v14, v19
	v_dual_add_f32 v19, -1.0, v18 :: v_dual_sub_f32 v20, v18, v20
	s_delay_alu instid0(VALU_DEP_1) | instskip(NEXT) | instid1(VALU_DEP_2)
	v_add_f32_e32 v22, 1.0, v19
	v_add_f32_e32 v20, v14, v20
	s_delay_alu instid0(VALU_DEP_2) | instskip(NEXT) | instid1(VALU_DEP_2)
	v_sub_f32_e32 v18, v18, v22
	v_add_f32_e32 v22, v21, v20
	s_delay_alu instid0(VALU_DEP_2) | instskip(NEXT) | instid1(VALU_DEP_2)
	v_add_f32_e32 v14, v14, v18
	v_rcp_f32_e32 v18, v22
	v_sub_f32_e32 v21, v21, v22
	s_delay_alu instid0(VALU_DEP_1) | instskip(NEXT) | instid1(VALU_DEP_1)
	v_dual_add_f32 v23, v19, v14 :: v_dual_add_f32 v20, v20, v21
	v_sub_f32_e32 v19, v19, v23
	s_delay_alu instid0(TRANS32_DEP_1) | instskip(NEXT) | instid1(VALU_DEP_2)
	v_mul_f32_e32 v24, v23, v18
	v_add_f32_e32 v14, v14, v19
	s_delay_alu instid0(VALU_DEP_2) | instskip(NEXT) | instid1(VALU_DEP_1)
	v_mul_f32_e32 v25, v22, v24
	v_fma_f32 v21, v24, v22, -v25
	s_delay_alu instid0(VALU_DEP_1) | instskip(NEXT) | instid1(VALU_DEP_1)
	v_fmac_f32_e32 v21, v24, v20
	v_add_f32_e32 v26, v25, v21
	s_delay_alu instid0(VALU_DEP_1) | instskip(SKIP_1) | instid1(VALU_DEP_2)
	v_sub_f32_e32 v27, v23, v26
	v_sub_f32_e32 v19, v26, v25
	;; [unrolled: 1-line block ×3, first 2 shown]
	s_delay_alu instid0(VALU_DEP_2) | instskip(NEXT) | instid1(VALU_DEP_2)
	v_sub_f32_e32 v19, v19, v21
	v_sub_f32_e32 v23, v23, v26
	s_delay_alu instid0(VALU_DEP_1) | instskip(NEXT) | instid1(VALU_DEP_1)
	v_add_f32_e32 v14, v14, v23
	v_add_f32_e32 v14, v19, v14
	s_delay_alu instid0(VALU_DEP_1) | instskip(NEXT) | instid1(VALU_DEP_1)
	v_add_f32_e32 v19, v27, v14
	v_mul_f32_e32 v21, v18, v19
	s_delay_alu instid0(VALU_DEP_1) | instskip(NEXT) | instid1(VALU_DEP_1)
	v_dual_sub_f32 v26, v27, v19 :: v_dual_mul_f32 v23, v22, v21
	v_add_f32_e32 v14, v14, v26
	s_delay_alu instid0(VALU_DEP_2) | instskip(NEXT) | instid1(VALU_DEP_1)
	v_fma_f32 v22, v21, v22, -v23
	v_fmac_f32_e32 v22, v21, v20
	s_delay_alu instid0(VALU_DEP_1) | instskip(NEXT) | instid1(VALU_DEP_1)
	v_add_f32_e32 v20, v23, v22
	v_sub_f32_e32 v25, v19, v20
	v_sub_f32_e32 v23, v20, v23
	s_delay_alu instid0(VALU_DEP_2) | instskip(NEXT) | instid1(VALU_DEP_1)
	v_sub_f32_e32 v19, v19, v25
	v_sub_f32_e32 v19, v19, v20
	s_delay_alu instid0(VALU_DEP_3) | instskip(NEXT) | instid1(VALU_DEP_2)
	v_sub_f32_e32 v20, v23, v22
	v_dual_add_f32 v14, v14, v19 :: v_dual_add_f32 v19, v24, v21
	s_delay_alu instid0(VALU_DEP_1) | instskip(NEXT) | instid1(VALU_DEP_2)
	v_add_f32_e32 v14, v20, v14
	v_sub_f32_e32 v20, v19, v24
	s_delay_alu instid0(VALU_DEP_2) | instskip(NEXT) | instid1(VALU_DEP_2)
	v_add_f32_e32 v14, v25, v14
	v_sub_f32_e32 v20, v21, v20
	s_delay_alu instid0(VALU_DEP_2) | instskip(NEXT) | instid1(VALU_DEP_1)
	v_mul_f32_e32 v14, v18, v14
	v_add_f32_e32 v14, v20, v14
	s_delay_alu instid0(VALU_DEP_1) | instskip(NEXT) | instid1(VALU_DEP_1)
	v_add_f32_e32 v18, v19, v14
	v_mul_f32_e32 v20, v18, v18
	s_wait_alu 0xfffe
	s_delay_alu instid0(VALU_DEP_1) | instskip(SKIP_2) | instid1(VALU_DEP_3)
	v_fmaak_f32 v21, s17, v20, 0x3ecc95a3
	v_mul_f32_e32 v22, v18, v20
	v_cmp_neq_f32_e64 s17, 0x7f800000, v17
	v_fmaak_f32 v20, v20, v21, 0x3f2aaada
	v_ldexp_f32 v21, v18, 1
	v_sub_f32_e32 v18, v18, v19
	s_delay_alu instid0(VALU_DEP_3) | instskip(SKIP_1) | instid1(VALU_DEP_2)
	v_mul_f32_e32 v20, v22, v20
	v_mul_f32_e32 v22, 0x3f317218, v13
	v_dual_sub_f32 v14, v14, v18 :: v_dual_add_f32 v19, v21, v20
	s_delay_alu instid0(VALU_DEP_1) | instskip(NEXT) | instid1(VALU_DEP_2)
	v_ldexp_f32 v14, v14, 1
	v_sub_f32_e32 v18, v19, v21
	s_delay_alu instid0(VALU_DEP_4) | instskip(NEXT) | instid1(VALU_DEP_1)
	v_fma_f32 v21, 0x3f317218, v13, -v22
	v_dual_sub_f32 v18, v20, v18 :: v_dual_fmamk_f32 v13, v13, 0xb102e308, v21
	s_delay_alu instid0(VALU_DEP_1) | instskip(NEXT) | instid1(VALU_DEP_2)
	v_add_f32_e32 v14, v14, v18
	v_add_f32_e32 v18, v22, v13
	s_delay_alu instid0(VALU_DEP_2) | instskip(NEXT) | instid1(VALU_DEP_2)
	v_add_f32_e32 v20, v19, v14
	v_sub_f32_e32 v22, v18, v22
	s_delay_alu instid0(VALU_DEP_2) | instskip(SKIP_1) | instid1(VALU_DEP_3)
	v_add_f32_e32 v21, v18, v20
	v_sub_f32_e32 v19, v20, v19
	v_sub_f32_e32 v13, v13, v22
	s_delay_alu instid0(VALU_DEP_2) | instskip(NEXT) | instid1(VALU_DEP_1)
	v_dual_sub_f32 v23, v21, v18 :: v_dual_sub_f32 v14, v14, v19
	v_sub_f32_e32 v24, v21, v23
	s_delay_alu instid0(VALU_DEP_2) | instskip(NEXT) | instid1(VALU_DEP_2)
	v_dual_sub_f32 v19, v20, v23 :: v_dual_add_f32 v20, v13, v14
	v_sub_f32_e32 v18, v18, v24
	s_delay_alu instid0(VALU_DEP_1) | instskip(NEXT) | instid1(VALU_DEP_1)
	v_dual_add_f32 v18, v19, v18 :: v_dual_sub_f32 v19, v20, v13
	v_add_f32_e32 v18, v20, v18
	s_delay_alu instid0(VALU_DEP_2) | instskip(SKIP_1) | instid1(VALU_DEP_3)
	v_sub_f32_e32 v20, v20, v19
	v_sub_f32_e32 v14, v14, v19
	v_add_f32_e32 v22, v21, v18
	s_delay_alu instid0(VALU_DEP_3) | instskip(NEXT) | instid1(VALU_DEP_2)
	v_sub_f32_e32 v13, v13, v20
	v_sub_f32_e32 v19, v22, v21
	s_delay_alu instid0(VALU_DEP_2) | instskip(NEXT) | instid1(VALU_DEP_2)
	v_add_f32_e32 v13, v14, v13
	v_sub_f32_e32 v14, v18, v19
	s_delay_alu instid0(VALU_DEP_1) | instskip(NEXT) | instid1(VALU_DEP_1)
	v_add_f32_e32 v13, v13, v14
	v_add_f32_e32 v13, v22, v13
	s_wait_alu 0xf1ff
	s_delay_alu instid0(VALU_DEP_1) | instskip(SKIP_2) | instid1(VALU_DEP_1)
	v_cndmask_b32_e64 v13, 0x7f800000, v13, s17
	v_cmp_gt_f32_e64 s17, 0x33800000, |v17|
	s_wait_alu 0xf1ff
	v_cndmask_b32_e64 v13, v13, v17, s17
	s_delay_alu instid0(VALU_DEP_1) | instskip(NEXT) | instid1(VALU_DEP_1)
	v_add_f32_e32 v12, v12, v13
	v_cvt_f16_f32_e32 v17, v12
	s_delay_alu instid0(VALU_DEP_1)
	v_cvt_f32_f16_e32 v19, v17
	v_mov_b32_e32 v18, v17
.LBB430_32:
	s_wait_alu 0xfffe
	s_or_b32 exec_lo, exec_lo, s18
	v_lshrrev_b32_e32 v3, 16, v3
	v_max_num_f32_e32 v13, v19, v19
	v_cmp_u_f16_e64 s17, v17, v17
	s_delay_alu instid0(VALU_DEP_3) | instskip(NEXT) | instid1(VALU_DEP_1)
	v_cvt_f32_f16_e32 v12, v3
	v_min_num_f32_e32 v14, v13, v12
	v_max_num_f32_e32 v13, v13, v12
	s_wait_alu 0xf1ff
	s_delay_alu instid0(VALU_DEP_2) | instskip(NEXT) | instid1(VALU_DEP_2)
	v_cndmask_b32_e64 v14, v14, v19, s17
	v_cndmask_b32_e64 v20, v13, v19, s17
	v_cmp_u_f16_e64 s17, v3, v3
	s_wait_alu 0xf1ff
	s_delay_alu instid0(VALU_DEP_1) | instskip(NEXT) | instid1(VALU_DEP_3)
	v_cndmask_b32_e64 v13, v14, v12, s17
	v_cndmask_b32_e64 v3, v20, v12, s17
	s_delay_alu instid0(VALU_DEP_2) | instskip(NEXT) | instid1(VALU_DEP_2)
	v_cmp_class_f32_e64 s19, v13, 0x1f8
	v_cmp_neq_f32_e64 s18, v13, v3
	s_or_b32 s18, s18, s19
	s_wait_alu 0xfffe
	s_and_saveexec_b32 s19, s18
	s_cbranch_execz .LBB430_34
; %bb.33:
	v_sub_f32_e32 v13, v13, v3
	s_delay_alu instid0(VALU_DEP_1) | instskip(NEXT) | instid1(VALU_DEP_1)
	v_mul_f32_e32 v14, 0x3fb8aa3b, v13
	v_fma_f32 v17, 0x3fb8aa3b, v13, -v14
	v_rndne_f32_e32 v18, v14
	s_delay_alu instid0(VALU_DEP_1) | instskip(SKIP_1) | instid1(VALU_DEP_2)
	v_dual_sub_f32 v14, v14, v18 :: v_dual_fmamk_f32 v17, v13, 0x32a5705f, v17
	v_cmp_ngt_f32_e64 s18, 0xc2ce8ed0, v13
	v_add_f32_e32 v14, v14, v17
	v_cvt_i32_f32_e32 v17, v18
	s_delay_alu instid0(VALU_DEP_2) | instskip(NEXT) | instid1(TRANS32_DEP_1)
	v_exp_f32_e32 v14, v14
	v_ldexp_f32 v14, v14, v17
	s_wait_alu 0xf1ff
	s_delay_alu instid0(VALU_DEP_1) | instskip(SKIP_2) | instid1(VALU_DEP_1)
	v_cndmask_b32_e64 v14, 0, v14, s18
	v_cmp_nlt_f32_e64 s18, 0x42b17218, v13
	s_wait_alu 0xf1ff
	v_cndmask_b32_e64 v17, 0x7f800000, v14, s18
	s_delay_alu instid0(VALU_DEP_1) | instskip(NEXT) | instid1(VALU_DEP_1)
	v_add_f32_e32 v18, 1.0, v17
	v_cvt_f64_f32_e32 v[13:14], v18
	s_delay_alu instid0(VALU_DEP_1) | instskip(SKIP_1) | instid1(VALU_DEP_1)
	v_frexp_exp_i32_f64_e32 v13, v[13:14]
	v_frexp_mant_f32_e32 v14, v18
	v_cmp_gt_f32_e64 s18, 0x3f2aaaab, v14
	v_add_f32_e32 v14, -1.0, v18
	s_delay_alu instid0(VALU_DEP_1)
	v_sub_f32_e32 v20, v14, v18
	v_sub_f32_e32 v14, v17, v14
	s_wait_alu 0xf1ff
	v_subrev_co_ci_u32_e64 v13, null, 0, v13, s18
	s_mov_b32 s18, 0x3e9b6dac
	v_sub_nc_u32_e32 v19, 0, v13
	v_cvt_f32_i32_e32 v13, v13
	s_delay_alu instid0(VALU_DEP_2) | instskip(NEXT) | instid1(VALU_DEP_1)
	v_ldexp_f32 v18, v18, v19
	v_dual_add_f32 v21, 1.0, v18 :: v_dual_add_f32 v20, 1.0, v20
	s_delay_alu instid0(VALU_DEP_1) | instskip(NEXT) | instid1(VALU_DEP_2)
	v_add_f32_e32 v14, v14, v20
	v_add_f32_e32 v20, -1.0, v21
	s_delay_alu instid0(VALU_DEP_2) | instskip(NEXT) | instid1(VALU_DEP_2)
	v_ldexp_f32 v14, v14, v19
	v_dual_add_f32 v19, -1.0, v18 :: v_dual_sub_f32 v20, v18, v20
	s_delay_alu instid0(VALU_DEP_1) | instskip(NEXT) | instid1(VALU_DEP_2)
	v_add_f32_e32 v22, 1.0, v19
	v_add_f32_e32 v20, v14, v20
	s_delay_alu instid0(VALU_DEP_2) | instskip(NEXT) | instid1(VALU_DEP_2)
	v_sub_f32_e32 v18, v18, v22
	v_add_f32_e32 v22, v21, v20
	s_delay_alu instid0(VALU_DEP_2) | instskip(NEXT) | instid1(VALU_DEP_2)
	v_add_f32_e32 v14, v14, v18
	v_rcp_f32_e32 v18, v22
	v_sub_f32_e32 v21, v21, v22
	s_delay_alu instid0(VALU_DEP_1) | instskip(NEXT) | instid1(VALU_DEP_1)
	v_dual_add_f32 v23, v19, v14 :: v_dual_add_f32 v20, v20, v21
	v_sub_f32_e32 v19, v19, v23
	s_delay_alu instid0(TRANS32_DEP_1) | instskip(NEXT) | instid1(VALU_DEP_2)
	v_mul_f32_e32 v24, v23, v18
	v_add_f32_e32 v14, v14, v19
	s_delay_alu instid0(VALU_DEP_2) | instskip(NEXT) | instid1(VALU_DEP_1)
	v_mul_f32_e32 v25, v22, v24
	v_fma_f32 v21, v24, v22, -v25
	s_delay_alu instid0(VALU_DEP_1) | instskip(NEXT) | instid1(VALU_DEP_1)
	v_fmac_f32_e32 v21, v24, v20
	v_add_f32_e32 v26, v25, v21
	s_delay_alu instid0(VALU_DEP_1) | instskip(SKIP_1) | instid1(VALU_DEP_2)
	v_sub_f32_e32 v27, v23, v26
	v_sub_f32_e32 v19, v26, v25
	;; [unrolled: 1-line block ×3, first 2 shown]
	s_delay_alu instid0(VALU_DEP_2) | instskip(NEXT) | instid1(VALU_DEP_2)
	v_sub_f32_e32 v19, v19, v21
	v_sub_f32_e32 v23, v23, v26
	s_delay_alu instid0(VALU_DEP_1) | instskip(NEXT) | instid1(VALU_DEP_1)
	v_add_f32_e32 v14, v14, v23
	v_add_f32_e32 v14, v19, v14
	s_delay_alu instid0(VALU_DEP_1) | instskip(NEXT) | instid1(VALU_DEP_1)
	v_add_f32_e32 v19, v27, v14
	v_mul_f32_e32 v21, v18, v19
	s_delay_alu instid0(VALU_DEP_1) | instskip(NEXT) | instid1(VALU_DEP_1)
	v_dual_sub_f32 v26, v27, v19 :: v_dual_mul_f32 v23, v22, v21
	v_add_f32_e32 v14, v14, v26
	s_delay_alu instid0(VALU_DEP_2) | instskip(NEXT) | instid1(VALU_DEP_1)
	v_fma_f32 v22, v21, v22, -v23
	v_fmac_f32_e32 v22, v21, v20
	s_delay_alu instid0(VALU_DEP_1) | instskip(NEXT) | instid1(VALU_DEP_1)
	v_add_f32_e32 v20, v23, v22
	v_sub_f32_e32 v25, v19, v20
	v_sub_f32_e32 v23, v20, v23
	s_delay_alu instid0(VALU_DEP_2) | instskip(NEXT) | instid1(VALU_DEP_1)
	v_sub_f32_e32 v19, v19, v25
	v_sub_f32_e32 v19, v19, v20
	s_delay_alu instid0(VALU_DEP_3) | instskip(NEXT) | instid1(VALU_DEP_2)
	v_sub_f32_e32 v20, v23, v22
	v_dual_add_f32 v14, v14, v19 :: v_dual_add_f32 v19, v24, v21
	s_delay_alu instid0(VALU_DEP_1) | instskip(NEXT) | instid1(VALU_DEP_2)
	v_add_f32_e32 v14, v20, v14
	v_sub_f32_e32 v20, v19, v24
	s_delay_alu instid0(VALU_DEP_2) | instskip(NEXT) | instid1(VALU_DEP_2)
	v_add_f32_e32 v14, v25, v14
	v_sub_f32_e32 v20, v21, v20
	s_delay_alu instid0(VALU_DEP_2) | instskip(NEXT) | instid1(VALU_DEP_1)
	v_mul_f32_e32 v14, v18, v14
	v_add_f32_e32 v14, v20, v14
	s_delay_alu instid0(VALU_DEP_1) | instskip(NEXT) | instid1(VALU_DEP_1)
	v_add_f32_e32 v18, v19, v14
	v_mul_f32_e32 v20, v18, v18
	s_wait_alu 0xfffe
	s_delay_alu instid0(VALU_DEP_1) | instskip(SKIP_2) | instid1(VALU_DEP_3)
	v_fmaak_f32 v21, s18, v20, 0x3ecc95a3
	v_mul_f32_e32 v22, v18, v20
	v_cmp_neq_f32_e64 s18, 0x7f800000, v17
	v_fmaak_f32 v20, v20, v21, 0x3f2aaada
	v_ldexp_f32 v21, v18, 1
	v_sub_f32_e32 v18, v18, v19
	s_delay_alu instid0(VALU_DEP_3) | instskip(SKIP_1) | instid1(VALU_DEP_2)
	v_mul_f32_e32 v20, v22, v20
	v_mul_f32_e32 v22, 0x3f317218, v13
	v_dual_sub_f32 v14, v14, v18 :: v_dual_add_f32 v19, v21, v20
	s_delay_alu instid0(VALU_DEP_1) | instskip(NEXT) | instid1(VALU_DEP_2)
	v_ldexp_f32 v14, v14, 1
	v_sub_f32_e32 v18, v19, v21
	s_delay_alu instid0(VALU_DEP_4) | instskip(NEXT) | instid1(VALU_DEP_1)
	v_fma_f32 v21, 0x3f317218, v13, -v22
	v_dual_sub_f32 v18, v20, v18 :: v_dual_fmamk_f32 v13, v13, 0xb102e308, v21
	s_delay_alu instid0(VALU_DEP_1) | instskip(NEXT) | instid1(VALU_DEP_2)
	v_add_f32_e32 v14, v14, v18
	v_add_f32_e32 v18, v22, v13
	s_delay_alu instid0(VALU_DEP_2) | instskip(NEXT) | instid1(VALU_DEP_2)
	v_add_f32_e32 v20, v19, v14
	v_sub_f32_e32 v22, v18, v22
	s_delay_alu instid0(VALU_DEP_2) | instskip(SKIP_1) | instid1(VALU_DEP_3)
	v_add_f32_e32 v21, v18, v20
	v_sub_f32_e32 v19, v20, v19
	v_sub_f32_e32 v13, v13, v22
	s_delay_alu instid0(VALU_DEP_2) | instskip(NEXT) | instid1(VALU_DEP_1)
	v_dual_sub_f32 v23, v21, v18 :: v_dual_sub_f32 v14, v14, v19
	v_sub_f32_e32 v24, v21, v23
	s_delay_alu instid0(VALU_DEP_2) | instskip(NEXT) | instid1(VALU_DEP_2)
	v_dual_sub_f32 v19, v20, v23 :: v_dual_add_f32 v20, v13, v14
	v_sub_f32_e32 v18, v18, v24
	s_delay_alu instid0(VALU_DEP_1) | instskip(NEXT) | instid1(VALU_DEP_1)
	v_dual_add_f32 v18, v19, v18 :: v_dual_sub_f32 v19, v20, v13
	v_add_f32_e32 v18, v20, v18
	s_delay_alu instid0(VALU_DEP_2) | instskip(SKIP_1) | instid1(VALU_DEP_3)
	v_sub_f32_e32 v20, v20, v19
	v_sub_f32_e32 v14, v14, v19
	v_add_f32_e32 v22, v21, v18
	s_delay_alu instid0(VALU_DEP_3) | instskip(NEXT) | instid1(VALU_DEP_2)
	v_sub_f32_e32 v13, v13, v20
	v_sub_f32_e32 v19, v22, v21
	s_delay_alu instid0(VALU_DEP_2) | instskip(NEXT) | instid1(VALU_DEP_2)
	v_add_f32_e32 v13, v14, v13
	v_sub_f32_e32 v14, v18, v19
	s_delay_alu instid0(VALU_DEP_1) | instskip(NEXT) | instid1(VALU_DEP_1)
	v_add_f32_e32 v13, v13, v14
	v_add_f32_e32 v13, v22, v13
	s_wait_alu 0xf1ff
	s_delay_alu instid0(VALU_DEP_1) | instskip(SKIP_2) | instid1(VALU_DEP_1)
	v_cndmask_b32_e64 v13, 0x7f800000, v13, s18
	v_cmp_gt_f32_e64 s18, 0x33800000, |v17|
	s_wait_alu 0xf1ff
	v_cndmask_b32_e64 v13, v13, v17, s18
	s_delay_alu instid0(VALU_DEP_1) | instskip(NEXT) | instid1(VALU_DEP_1)
	v_add_f32_e32 v3, v3, v13
	v_cvt_f16_f32_e32 v17, v3
	s_delay_alu instid0(VALU_DEP_1)
	v_cvt_f32_f16_e32 v19, v17
	v_mov_b32_e32 v18, v17
.LBB430_34:
	s_wait_alu 0xfffe
	s_or_b32 exec_lo, exec_lo, s19
	v_cvt_f32_f16_e32 v3, v4
	v_max_num_f32_e32 v13, v19, v19
	v_cmp_u_f16_e64 s18, v17, v17
	s_delay_alu instid0(VALU_DEP_2) | instskip(SKIP_2) | instid1(VALU_DEP_2)
	v_min_num_f32_e32 v14, v13, v3
	v_max_num_f32_e32 v13, v13, v3
	s_wait_alu 0xf1ff
	v_cndmask_b32_e64 v14, v14, v19, s18
	s_delay_alu instid0(VALU_DEP_2) | instskip(SKIP_2) | instid1(VALU_DEP_1)
	v_cndmask_b32_e64 v13, v13, v19, s18
	v_cmp_u_f16_e64 s18, v4, v4
	s_wait_alu 0xf1ff
	v_cndmask_b32_e64 v14, v14, v3, s18
	s_delay_alu instid0(VALU_DEP_3) | instskip(NEXT) | instid1(VALU_DEP_2)
	v_cndmask_b32_e64 v13, v13, v3, s18
	v_cmp_class_f32_e64 s20, v14, 0x1f8
	s_delay_alu instid0(VALU_DEP_2)
	v_cmp_neq_f32_e64 s19, v14, v13
	s_or_b32 s19, s19, s20
	s_wait_alu 0xfffe
	s_and_saveexec_b32 s20, s19
	s_cbranch_execz .LBB430_36
; %bb.35:
	v_sub_f32_e32 v14, v14, v13
	s_delay_alu instid0(VALU_DEP_1) | instskip(NEXT) | instid1(VALU_DEP_1)
	v_mul_f32_e32 v17, 0x3fb8aa3b, v14
	v_fma_f32 v18, 0x3fb8aa3b, v14, -v17
	v_rndne_f32_e32 v19, v17
	s_delay_alu instid0(VALU_DEP_1) | instskip(SKIP_1) | instid1(VALU_DEP_2)
	v_dual_sub_f32 v17, v17, v19 :: v_dual_fmamk_f32 v18, v14, 0x32a5705f, v18
	v_cmp_ngt_f32_e64 s19, 0xc2ce8ed0, v14
	v_add_f32_e32 v17, v17, v18
	v_cvt_i32_f32_e32 v18, v19
	s_delay_alu instid0(VALU_DEP_2) | instskip(NEXT) | instid1(TRANS32_DEP_1)
	v_exp_f32_e32 v17, v17
	v_ldexp_f32 v17, v17, v18
	s_wait_alu 0xf1ff
	s_delay_alu instid0(VALU_DEP_1) | instskip(SKIP_2) | instid1(VALU_DEP_1)
	v_cndmask_b32_e64 v17, 0, v17, s19
	v_cmp_nlt_f32_e64 s19, 0x42b17218, v14
	s_wait_alu 0xf1ff
	v_cndmask_b32_e64 v14, 0x7f800000, v17, s19
	s_delay_alu instid0(VALU_DEP_1) | instskip(NEXT) | instid1(VALU_DEP_1)
	v_add_f32_e32 v19, 1.0, v14
	v_cvt_f64_f32_e32 v[17:18], v19
	s_delay_alu instid0(VALU_DEP_1) | instskip(SKIP_1) | instid1(VALU_DEP_1)
	v_frexp_exp_i32_f64_e32 v17, v[17:18]
	v_frexp_mant_f32_e32 v18, v19
	v_cmp_gt_f32_e64 s19, 0x3f2aaaab, v18
	v_add_f32_e32 v18, -1.0, v19
	s_delay_alu instid0(VALU_DEP_1) | instskip(NEXT) | instid1(VALU_DEP_1)
	v_sub_f32_e32 v21, v18, v19
	v_dual_sub_f32 v18, v14, v18 :: v_dual_add_f32 v21, 1.0, v21
	s_wait_alu 0xf1ff
	v_subrev_co_ci_u32_e64 v17, null, 0, v17, s19
	s_mov_b32 s19, 0x3e9b6dac
	v_sub_nc_u32_e32 v20, 0, v17
	v_cvt_f32_i32_e32 v17, v17
	s_delay_alu instid0(VALU_DEP_2) | instskip(NEXT) | instid1(VALU_DEP_1)
	v_ldexp_f32 v19, v19, v20
	v_add_f32_e32 v22, 1.0, v19
	s_delay_alu instid0(VALU_DEP_1) | instskip(NEXT) | instid1(VALU_DEP_1)
	v_dual_add_f32 v18, v18, v21 :: v_dual_add_f32 v21, -1.0, v22
	v_ldexp_f32 v18, v18, v20
	s_delay_alu instid0(VALU_DEP_2) | instskip(NEXT) | instid1(VALU_DEP_1)
	v_dual_add_f32 v20, -1.0, v19 :: v_dual_sub_f32 v21, v19, v21
	v_add_f32_e32 v23, 1.0, v20
	s_delay_alu instid0(VALU_DEP_2) | instskip(NEXT) | instid1(VALU_DEP_2)
	v_add_f32_e32 v21, v18, v21
	v_sub_f32_e32 v19, v19, v23
	s_delay_alu instid0(VALU_DEP_1) | instskip(NEXT) | instid1(VALU_DEP_1)
	v_add_f32_e32 v18, v18, v19
	v_dual_add_f32 v24, v20, v18 :: v_dual_add_f32 v23, v22, v21
	s_delay_alu instid0(VALU_DEP_1) | instskip(NEXT) | instid1(VALU_DEP_2)
	v_sub_f32_e32 v20, v20, v24
	v_rcp_f32_e32 v19, v23
	v_sub_f32_e32 v22, v22, v23
	s_delay_alu instid0(VALU_DEP_1) | instskip(NEXT) | instid1(TRANS32_DEP_1)
	v_dual_add_f32 v18, v18, v20 :: v_dual_add_f32 v21, v21, v22
	v_mul_f32_e32 v25, v24, v19
	s_delay_alu instid0(VALU_DEP_1) | instskip(NEXT) | instid1(VALU_DEP_1)
	v_mul_f32_e32 v26, v23, v25
	v_fma_f32 v22, v25, v23, -v26
	s_delay_alu instid0(VALU_DEP_1) | instskip(NEXT) | instid1(VALU_DEP_1)
	v_fmac_f32_e32 v22, v25, v21
	v_add_f32_e32 v27, v26, v22
	s_delay_alu instid0(VALU_DEP_1) | instskip(NEXT) | instid1(VALU_DEP_1)
	v_sub_f32_e32 v28, v24, v27
	v_sub_f32_e32 v24, v24, v28
	;; [unrolled: 1-line block ×3, first 2 shown]
	s_delay_alu instid0(VALU_DEP_2) | instskip(NEXT) | instid1(VALU_DEP_2)
	v_sub_f32_e32 v24, v24, v27
	v_sub_f32_e32 v20, v20, v22
	s_delay_alu instid0(VALU_DEP_2) | instskip(NEXT) | instid1(VALU_DEP_1)
	v_add_f32_e32 v18, v18, v24
	v_add_f32_e32 v18, v20, v18
	s_delay_alu instid0(VALU_DEP_1) | instskip(NEXT) | instid1(VALU_DEP_1)
	v_add_f32_e32 v20, v28, v18
	v_mul_f32_e32 v22, v19, v20
	s_delay_alu instid0(VALU_DEP_1) | instskip(NEXT) | instid1(VALU_DEP_1)
	v_dual_sub_f32 v27, v28, v20 :: v_dual_mul_f32 v24, v23, v22
	v_add_f32_e32 v18, v18, v27
	s_delay_alu instid0(VALU_DEP_2) | instskip(NEXT) | instid1(VALU_DEP_1)
	v_fma_f32 v23, v22, v23, -v24
	v_fmac_f32_e32 v23, v22, v21
	s_delay_alu instid0(VALU_DEP_1) | instskip(NEXT) | instid1(VALU_DEP_1)
	v_add_f32_e32 v21, v24, v23
	v_sub_f32_e32 v26, v20, v21
	v_sub_f32_e32 v24, v21, v24
	s_delay_alu instid0(VALU_DEP_2) | instskip(NEXT) | instid1(VALU_DEP_1)
	v_sub_f32_e32 v20, v20, v26
	v_sub_f32_e32 v20, v20, v21
	s_delay_alu instid0(VALU_DEP_1) | instskip(SKIP_1) | instid1(VALU_DEP_1)
	v_dual_sub_f32 v21, v24, v23 :: v_dual_add_f32 v18, v18, v20
	v_add_f32_e32 v20, v25, v22
	v_dual_add_f32 v18, v21, v18 :: v_dual_sub_f32 v21, v20, v25
	s_delay_alu instid0(VALU_DEP_1) | instskip(NEXT) | instid1(VALU_DEP_1)
	v_add_f32_e32 v18, v26, v18
	v_dual_sub_f32 v21, v22, v21 :: v_dual_mul_f32 v18, v19, v18
	s_delay_alu instid0(VALU_DEP_1) | instskip(NEXT) | instid1(VALU_DEP_1)
	v_add_f32_e32 v18, v21, v18
	v_add_f32_e32 v19, v20, v18
	s_delay_alu instid0(VALU_DEP_1) | instskip(SKIP_1) | instid1(VALU_DEP_1)
	v_mul_f32_e32 v21, v19, v19
	s_wait_alu 0xfffe
	v_fmaak_f32 v22, s19, v21, 0x3ecc95a3
	v_mul_f32_e32 v23, v19, v21
	v_cmp_neq_f32_e64 s19, 0x7f800000, v14
	s_delay_alu instid0(VALU_DEP_3) | instskip(SKIP_2) | instid1(VALU_DEP_3)
	v_fmaak_f32 v21, v21, v22, 0x3f2aaada
	v_ldexp_f32 v22, v19, 1
	v_sub_f32_e32 v19, v19, v20
	v_mul_f32_e32 v21, v23, v21
	s_delay_alu instid0(VALU_DEP_2) | instskip(NEXT) | instid1(VALU_DEP_2)
	v_dual_mul_f32 v23, 0x3f317218, v17 :: v_dual_sub_f32 v18, v18, v19
	v_add_f32_e32 v20, v22, v21
	s_delay_alu instid0(VALU_DEP_2) | instskip(NEXT) | instid1(VALU_DEP_2)
	v_ldexp_f32 v18, v18, 1
	v_sub_f32_e32 v19, v20, v22
	s_delay_alu instid0(VALU_DEP_4) | instskip(NEXT) | instid1(VALU_DEP_2)
	v_fma_f32 v22, 0x3f317218, v17, -v23
	v_sub_f32_e32 v19, v21, v19
	s_delay_alu instid0(VALU_DEP_1) | instskip(NEXT) | instid1(VALU_DEP_1)
	v_dual_fmamk_f32 v17, v17, 0xb102e308, v22 :: v_dual_add_f32 v18, v18, v19
	v_add_f32_e32 v19, v23, v17
	s_delay_alu instid0(VALU_DEP_1) | instskip(NEXT) | instid1(VALU_DEP_1)
	v_sub_f32_e32 v23, v19, v23
	v_sub_f32_e32 v17, v17, v23
	s_delay_alu instid0(VALU_DEP_4) | instskip(NEXT) | instid1(VALU_DEP_1)
	v_add_f32_e32 v21, v20, v18
	v_sub_f32_e32 v20, v21, v20
	s_delay_alu instid0(VALU_DEP_1) | instskip(SKIP_1) | instid1(VALU_DEP_1)
	v_sub_f32_e32 v18, v18, v20
	v_add_f32_e32 v22, v19, v21
	v_sub_f32_e32 v24, v22, v19
	s_delay_alu instid0(VALU_DEP_1) | instskip(NEXT) | instid1(VALU_DEP_4)
	v_sub_f32_e32 v20, v21, v24
	v_add_f32_e32 v21, v17, v18
	v_sub_f32_e32 v25, v22, v24
	s_delay_alu instid0(VALU_DEP_1) | instskip(NEXT) | instid1(VALU_DEP_1)
	v_sub_f32_e32 v19, v19, v25
	v_dual_add_f32 v19, v20, v19 :: v_dual_sub_f32 v20, v21, v17
	s_delay_alu instid0(VALU_DEP_1) | instskip(SKIP_1) | instid1(VALU_DEP_2)
	v_dual_add_f32 v19, v21, v19 :: v_dual_sub_f32 v18, v18, v20
	v_sub_f32_e32 v21, v21, v20
	v_add_f32_e32 v23, v22, v19
	s_delay_alu instid0(VALU_DEP_1) | instskip(NEXT) | instid1(VALU_DEP_1)
	v_dual_sub_f32 v17, v17, v21 :: v_dual_sub_f32 v20, v23, v22
	v_dual_add_f32 v17, v18, v17 :: v_dual_sub_f32 v18, v19, v20
	s_delay_alu instid0(VALU_DEP_1) | instskip(NEXT) | instid1(VALU_DEP_1)
	v_add_f32_e32 v17, v17, v18
	v_add_f32_e32 v17, v23, v17
	s_wait_alu 0xf1ff
	s_delay_alu instid0(VALU_DEP_1) | instskip(SKIP_2) | instid1(VALU_DEP_1)
	v_cndmask_b32_e64 v17, 0x7f800000, v17, s19
	v_cmp_gt_f32_e64 s19, 0x33800000, |v14|
	s_wait_alu 0xf1ff
	v_cndmask_b32_e64 v14, v17, v14, s19
	s_delay_alu instid0(VALU_DEP_1) | instskip(NEXT) | instid1(VALU_DEP_1)
	v_add_f32_e32 v13, v13, v14
	v_cvt_f16_f32_e32 v17, v13
	s_delay_alu instid0(VALU_DEP_1)
	v_cvt_f32_f16_e32 v19, v17
	v_mov_b32_e32 v18, v17
.LBB430_36:
	s_or_b32 exec_lo, exec_lo, s20
	v_lshrrev_b32_e32 v4, 16, v4
	s_delay_alu instid0(VALU_DEP_3) | instskip(SKIP_1) | instid1(VALU_DEP_3)
	v_max_num_f32_e32 v14, v19, v19
	v_cmp_u_f16_e64 s19, v17, v17
	v_cvt_f32_f16_e32 v13, v4
	s_delay_alu instid0(VALU_DEP_1) | instskip(SKIP_2) | instid1(VALU_DEP_2)
	v_min_num_f32_e32 v20, v14, v13
	v_max_num_f32_e32 v14, v14, v13
	s_wait_alu 0xf1ff
	v_cndmask_b32_e64 v20, v20, v19, s19
	s_delay_alu instid0(VALU_DEP_2) | instskip(SKIP_2) | instid1(VALU_DEP_1)
	v_cndmask_b32_e64 v21, v14, v19, s19
	v_cmp_u_f16_e64 s19, v4, v4
	s_wait_alu 0xf1ff
	v_cndmask_b32_e64 v14, v20, v13, s19
	s_delay_alu instid0(VALU_DEP_3) | instskip(NEXT) | instid1(VALU_DEP_2)
	v_cndmask_b32_e64 v4, v21, v13, s19
	v_cmp_class_f32_e64 s21, v14, 0x1f8
	s_delay_alu instid0(VALU_DEP_2) | instskip(SKIP_1) | instid1(SALU_CYCLE_1)
	v_cmp_neq_f32_e64 s20, v14, v4
	s_or_b32 s20, s20, s21
	s_and_saveexec_b32 s21, s20
	s_cbranch_execz .LBB430_38
; %bb.37:
	v_sub_f32_e32 v14, v14, v4
	s_delay_alu instid0(VALU_DEP_1) | instskip(NEXT) | instid1(VALU_DEP_1)
	v_mul_f32_e32 v17, 0x3fb8aa3b, v14
	v_fma_f32 v18, 0x3fb8aa3b, v14, -v17
	v_rndne_f32_e32 v19, v17
	s_delay_alu instid0(VALU_DEP_1) | instskip(SKIP_1) | instid1(VALU_DEP_2)
	v_dual_sub_f32 v17, v17, v19 :: v_dual_fmamk_f32 v18, v14, 0x32a5705f, v18
	v_cmp_ngt_f32_e64 s20, 0xc2ce8ed0, v14
	v_add_f32_e32 v17, v17, v18
	v_cvt_i32_f32_e32 v18, v19
	s_delay_alu instid0(VALU_DEP_2) | instskip(NEXT) | instid1(TRANS32_DEP_1)
	v_exp_f32_e32 v17, v17
	v_ldexp_f32 v17, v17, v18
	s_delay_alu instid0(VALU_DEP_1) | instskip(SKIP_2) | instid1(VALU_DEP_1)
	v_cndmask_b32_e64 v17, 0, v17, s20
	v_cmp_nlt_f32_e64 s20, 0x42b17218, v14
	s_wait_alu 0xf1ff
	v_cndmask_b32_e64 v14, 0x7f800000, v17, s20
	s_delay_alu instid0(VALU_DEP_1) | instskip(NEXT) | instid1(VALU_DEP_1)
	v_add_f32_e32 v19, 1.0, v14
	v_cvt_f64_f32_e32 v[17:18], v19
	s_delay_alu instid0(VALU_DEP_1) | instskip(SKIP_1) | instid1(VALU_DEP_1)
	v_frexp_exp_i32_f64_e32 v17, v[17:18]
	v_frexp_mant_f32_e32 v18, v19
	v_cmp_gt_f32_e64 s20, 0x3f2aaaab, v18
	v_add_f32_e32 v18, -1.0, v19
	s_delay_alu instid0(VALU_DEP_1) | instskip(NEXT) | instid1(VALU_DEP_1)
	v_sub_f32_e32 v21, v18, v19
	v_dual_sub_f32 v18, v14, v18 :: v_dual_add_f32 v21, 1.0, v21
	s_wait_alu 0xf1ff
	v_subrev_co_ci_u32_e64 v17, null, 0, v17, s20
	s_mov_b32 s20, 0x3e9b6dac
	v_sub_nc_u32_e32 v20, 0, v17
	v_cvt_f32_i32_e32 v17, v17
	s_delay_alu instid0(VALU_DEP_2) | instskip(NEXT) | instid1(VALU_DEP_1)
	v_ldexp_f32 v19, v19, v20
	v_add_f32_e32 v22, 1.0, v19
	s_delay_alu instid0(VALU_DEP_1) | instskip(NEXT) | instid1(VALU_DEP_1)
	v_dual_add_f32 v18, v18, v21 :: v_dual_add_f32 v21, -1.0, v22
	v_ldexp_f32 v18, v18, v20
	s_delay_alu instid0(VALU_DEP_2) | instskip(NEXT) | instid1(VALU_DEP_1)
	v_dual_add_f32 v20, -1.0, v19 :: v_dual_sub_f32 v21, v19, v21
	v_add_f32_e32 v23, 1.0, v20
	s_delay_alu instid0(VALU_DEP_2) | instskip(NEXT) | instid1(VALU_DEP_2)
	v_add_f32_e32 v21, v18, v21
	v_sub_f32_e32 v19, v19, v23
	s_delay_alu instid0(VALU_DEP_1) | instskip(NEXT) | instid1(VALU_DEP_1)
	v_add_f32_e32 v18, v18, v19
	v_dual_add_f32 v24, v20, v18 :: v_dual_add_f32 v23, v22, v21
	s_delay_alu instid0(VALU_DEP_1) | instskip(NEXT) | instid1(VALU_DEP_2)
	v_sub_f32_e32 v20, v20, v24
	v_rcp_f32_e32 v19, v23
	v_sub_f32_e32 v22, v22, v23
	s_delay_alu instid0(VALU_DEP_1) | instskip(NEXT) | instid1(TRANS32_DEP_1)
	v_dual_add_f32 v18, v18, v20 :: v_dual_add_f32 v21, v21, v22
	v_mul_f32_e32 v25, v24, v19
	s_delay_alu instid0(VALU_DEP_1) | instskip(NEXT) | instid1(VALU_DEP_1)
	v_mul_f32_e32 v26, v23, v25
	v_fma_f32 v22, v25, v23, -v26
	s_delay_alu instid0(VALU_DEP_1) | instskip(NEXT) | instid1(VALU_DEP_1)
	v_fmac_f32_e32 v22, v25, v21
	v_add_f32_e32 v27, v26, v22
	s_delay_alu instid0(VALU_DEP_1) | instskip(NEXT) | instid1(VALU_DEP_1)
	v_sub_f32_e32 v28, v24, v27
	v_sub_f32_e32 v24, v24, v28
	;; [unrolled: 1-line block ×3, first 2 shown]
	s_delay_alu instid0(VALU_DEP_2) | instskip(NEXT) | instid1(VALU_DEP_2)
	v_sub_f32_e32 v24, v24, v27
	v_sub_f32_e32 v20, v20, v22
	s_delay_alu instid0(VALU_DEP_2) | instskip(NEXT) | instid1(VALU_DEP_1)
	v_add_f32_e32 v18, v18, v24
	v_add_f32_e32 v18, v20, v18
	s_delay_alu instid0(VALU_DEP_1) | instskip(NEXT) | instid1(VALU_DEP_1)
	v_add_f32_e32 v20, v28, v18
	v_mul_f32_e32 v22, v19, v20
	s_delay_alu instid0(VALU_DEP_1) | instskip(NEXT) | instid1(VALU_DEP_1)
	v_dual_sub_f32 v27, v28, v20 :: v_dual_mul_f32 v24, v23, v22
	v_add_f32_e32 v18, v18, v27
	s_delay_alu instid0(VALU_DEP_2) | instskip(NEXT) | instid1(VALU_DEP_1)
	v_fma_f32 v23, v22, v23, -v24
	v_fmac_f32_e32 v23, v22, v21
	s_delay_alu instid0(VALU_DEP_1) | instskip(NEXT) | instid1(VALU_DEP_1)
	v_add_f32_e32 v21, v24, v23
	v_sub_f32_e32 v26, v20, v21
	v_sub_f32_e32 v24, v21, v24
	s_delay_alu instid0(VALU_DEP_2) | instskip(NEXT) | instid1(VALU_DEP_1)
	v_sub_f32_e32 v20, v20, v26
	v_sub_f32_e32 v20, v20, v21
	s_delay_alu instid0(VALU_DEP_1) | instskip(SKIP_1) | instid1(VALU_DEP_1)
	v_dual_sub_f32 v21, v24, v23 :: v_dual_add_f32 v18, v18, v20
	v_add_f32_e32 v20, v25, v22
	v_dual_add_f32 v18, v21, v18 :: v_dual_sub_f32 v21, v20, v25
	s_delay_alu instid0(VALU_DEP_1) | instskip(NEXT) | instid1(VALU_DEP_1)
	v_add_f32_e32 v18, v26, v18
	v_dual_sub_f32 v21, v22, v21 :: v_dual_mul_f32 v18, v19, v18
	s_delay_alu instid0(VALU_DEP_1) | instskip(NEXT) | instid1(VALU_DEP_1)
	v_add_f32_e32 v18, v21, v18
	v_add_f32_e32 v19, v20, v18
	s_delay_alu instid0(VALU_DEP_1) | instskip(SKIP_1) | instid1(VALU_DEP_1)
	v_mul_f32_e32 v21, v19, v19
	s_wait_alu 0xfffe
	v_fmaak_f32 v22, s20, v21, 0x3ecc95a3
	v_mul_f32_e32 v23, v19, v21
	v_cmp_neq_f32_e64 s20, 0x7f800000, v14
	s_delay_alu instid0(VALU_DEP_3) | instskip(SKIP_2) | instid1(VALU_DEP_3)
	v_fmaak_f32 v21, v21, v22, 0x3f2aaada
	v_ldexp_f32 v22, v19, 1
	v_sub_f32_e32 v19, v19, v20
	v_mul_f32_e32 v21, v23, v21
	s_delay_alu instid0(VALU_DEP_2) | instskip(NEXT) | instid1(VALU_DEP_2)
	v_dual_mul_f32 v23, 0x3f317218, v17 :: v_dual_sub_f32 v18, v18, v19
	v_add_f32_e32 v20, v22, v21
	s_delay_alu instid0(VALU_DEP_2) | instskip(NEXT) | instid1(VALU_DEP_2)
	v_ldexp_f32 v18, v18, 1
	v_sub_f32_e32 v19, v20, v22
	s_delay_alu instid0(VALU_DEP_4) | instskip(NEXT) | instid1(VALU_DEP_2)
	v_fma_f32 v22, 0x3f317218, v17, -v23
	v_sub_f32_e32 v19, v21, v19
	s_delay_alu instid0(VALU_DEP_1) | instskip(NEXT) | instid1(VALU_DEP_1)
	v_dual_fmamk_f32 v17, v17, 0xb102e308, v22 :: v_dual_add_f32 v18, v18, v19
	v_add_f32_e32 v19, v23, v17
	s_delay_alu instid0(VALU_DEP_1) | instskip(NEXT) | instid1(VALU_DEP_1)
	v_sub_f32_e32 v23, v19, v23
	v_sub_f32_e32 v17, v17, v23
	s_delay_alu instid0(VALU_DEP_4) | instskip(NEXT) | instid1(VALU_DEP_1)
	v_add_f32_e32 v21, v20, v18
	v_sub_f32_e32 v20, v21, v20
	s_delay_alu instid0(VALU_DEP_1) | instskip(SKIP_1) | instid1(VALU_DEP_1)
	v_sub_f32_e32 v18, v18, v20
	v_add_f32_e32 v22, v19, v21
	v_sub_f32_e32 v24, v22, v19
	s_delay_alu instid0(VALU_DEP_1) | instskip(NEXT) | instid1(VALU_DEP_4)
	v_sub_f32_e32 v20, v21, v24
	v_add_f32_e32 v21, v17, v18
	v_sub_f32_e32 v25, v22, v24
	s_delay_alu instid0(VALU_DEP_1) | instskip(NEXT) | instid1(VALU_DEP_1)
	v_sub_f32_e32 v19, v19, v25
	v_dual_add_f32 v19, v20, v19 :: v_dual_sub_f32 v20, v21, v17
	s_delay_alu instid0(VALU_DEP_1) | instskip(SKIP_1) | instid1(VALU_DEP_2)
	v_dual_add_f32 v19, v21, v19 :: v_dual_sub_f32 v18, v18, v20
	v_sub_f32_e32 v21, v21, v20
	v_add_f32_e32 v23, v22, v19
	s_delay_alu instid0(VALU_DEP_1) | instskip(NEXT) | instid1(VALU_DEP_1)
	v_dual_sub_f32 v17, v17, v21 :: v_dual_sub_f32 v20, v23, v22
	v_dual_add_f32 v17, v18, v17 :: v_dual_sub_f32 v18, v19, v20
	s_delay_alu instid0(VALU_DEP_1) | instskip(NEXT) | instid1(VALU_DEP_1)
	v_add_f32_e32 v17, v17, v18
	v_add_f32_e32 v17, v23, v17
	s_wait_alu 0xf1ff
	s_delay_alu instid0(VALU_DEP_1) | instskip(SKIP_2) | instid1(VALU_DEP_1)
	v_cndmask_b32_e64 v17, 0x7f800000, v17, s20
	v_cmp_gt_f32_e64 s20, 0x33800000, |v14|
	s_wait_alu 0xf1ff
	v_cndmask_b32_e64 v14, v17, v14, s20
	s_delay_alu instid0(VALU_DEP_1) | instskip(NEXT) | instid1(VALU_DEP_1)
	v_add_f32_e32 v4, v4, v14
	v_cvt_f16_f32_e32 v17, v4
	s_delay_alu instid0(VALU_DEP_1)
	v_cvt_f32_f16_e32 v19, v17
	v_mov_b32_e32 v18, v17
.LBB430_38:
	s_or_b32 exec_lo, exec_lo, s21
	v_cvt_f32_f16_e32 v4, v5
	s_delay_alu instid0(VALU_DEP_3) | instskip(SKIP_1) | instid1(VALU_DEP_2)
	v_max_num_f32_e32 v14, v19, v19
	v_cmp_u_f16_e64 s20, v17, v17
	v_min_num_f32_e32 v20, v14, v4
	v_max_num_f32_e32 v14, v14, v4
	s_wait_alu 0xf1ff
	s_delay_alu instid0(VALU_DEP_2) | instskip(NEXT) | instid1(VALU_DEP_2)
	v_cndmask_b32_e64 v20, v20, v19, s20
	v_cndmask_b32_e64 v14, v14, v19, s20
	v_cmp_u_f16_e64 s20, v5, v5
	s_wait_alu 0xf1ff
	s_delay_alu instid0(VALU_DEP_1) | instskip(NEXT) | instid1(VALU_DEP_3)
	v_cndmask_b32_e64 v20, v20, v4, s20
	v_cndmask_b32_e64 v14, v14, v4, s20
	s_delay_alu instid0(VALU_DEP_2) | instskip(NEXT) | instid1(VALU_DEP_2)
	v_cmp_class_f32_e64 s22, v20, 0x1f8
	v_cmp_neq_f32_e64 s21, v20, v14
	s_or_b32 s21, s21, s22
	s_wait_alu 0xfffe
	s_and_saveexec_b32 s22, s21
	s_cbranch_execz .LBB430_40
; %bb.39:
	v_sub_f32_e32 v17, v20, v14
	s_delay_alu instid0(VALU_DEP_1) | instskip(NEXT) | instid1(VALU_DEP_1)
	v_mul_f32_e32 v18, 0x3fb8aa3b, v17
	v_fma_f32 v19, 0x3fb8aa3b, v17, -v18
	v_rndne_f32_e32 v20, v18
	s_delay_alu instid0(VALU_DEP_1) | instskip(SKIP_1) | instid1(VALU_DEP_2)
	v_dual_sub_f32 v18, v18, v20 :: v_dual_fmamk_f32 v19, v17, 0x32a5705f, v19
	v_cmp_ngt_f32_e64 s21, 0xc2ce8ed0, v17
	v_add_f32_e32 v18, v18, v19
	v_cvt_i32_f32_e32 v19, v20
	s_delay_alu instid0(VALU_DEP_2) | instskip(NEXT) | instid1(TRANS32_DEP_1)
	v_exp_f32_e32 v18, v18
	v_ldexp_f32 v18, v18, v19
	s_wait_alu 0xf1ff
	s_delay_alu instid0(VALU_DEP_1) | instskip(SKIP_2) | instid1(VALU_DEP_1)
	v_cndmask_b32_e64 v18, 0, v18, s21
	v_cmp_nlt_f32_e64 s21, 0x42b17218, v17
	s_wait_alu 0xf1ff
	v_cndmask_b32_e64 v19, 0x7f800000, v18, s21
	s_delay_alu instid0(VALU_DEP_1) | instskip(NEXT) | instid1(VALU_DEP_1)
	v_add_f32_e32 v20, 1.0, v19
	v_cvt_f64_f32_e32 v[17:18], v20
	s_delay_alu instid0(VALU_DEP_1) | instskip(SKIP_1) | instid1(VALU_DEP_1)
	v_frexp_exp_i32_f64_e32 v17, v[17:18]
	v_frexp_mant_f32_e32 v18, v20
	v_cmp_gt_f32_e64 s21, 0x3f2aaaab, v18
	v_add_f32_e32 v18, -1.0, v20
	s_delay_alu instid0(VALU_DEP_1)
	v_sub_f32_e32 v22, v18, v20
	v_sub_f32_e32 v18, v19, v18
	s_wait_alu 0xf1ff
	v_subrev_co_ci_u32_e64 v17, null, 0, v17, s21
	s_mov_b32 s21, 0x3e9b6dac
	v_sub_nc_u32_e32 v21, 0, v17
	v_cvt_f32_i32_e32 v17, v17
	s_delay_alu instid0(VALU_DEP_2) | instskip(NEXT) | instid1(VALU_DEP_1)
	v_ldexp_f32 v20, v20, v21
	v_dual_add_f32 v23, 1.0, v20 :: v_dual_add_f32 v22, 1.0, v22
	s_delay_alu instid0(VALU_DEP_1) | instskip(NEXT) | instid1(VALU_DEP_2)
	v_add_f32_e32 v18, v18, v22
	v_add_f32_e32 v22, -1.0, v23
	s_delay_alu instid0(VALU_DEP_2) | instskip(NEXT) | instid1(VALU_DEP_2)
	v_ldexp_f32 v18, v18, v21
	v_dual_add_f32 v21, -1.0, v20 :: v_dual_sub_f32 v22, v20, v22
	s_delay_alu instid0(VALU_DEP_1) | instskip(NEXT) | instid1(VALU_DEP_2)
	v_add_f32_e32 v24, 1.0, v21
	v_add_f32_e32 v22, v18, v22
	s_delay_alu instid0(VALU_DEP_2) | instskip(NEXT) | instid1(VALU_DEP_2)
	v_sub_f32_e32 v20, v20, v24
	v_add_f32_e32 v24, v23, v22
	s_delay_alu instid0(VALU_DEP_2) | instskip(NEXT) | instid1(VALU_DEP_2)
	v_add_f32_e32 v18, v18, v20
	v_rcp_f32_e32 v20, v24
	v_sub_f32_e32 v23, v23, v24
	s_delay_alu instid0(VALU_DEP_1) | instskip(NEXT) | instid1(VALU_DEP_1)
	v_dual_add_f32 v25, v21, v18 :: v_dual_add_f32 v22, v22, v23
	v_sub_f32_e32 v21, v21, v25
	s_delay_alu instid0(TRANS32_DEP_1) | instskip(NEXT) | instid1(VALU_DEP_1)
	v_mul_f32_e32 v26, v25, v20
	v_dual_add_f32 v18, v18, v21 :: v_dual_mul_f32 v27, v24, v26
	s_delay_alu instid0(VALU_DEP_1) | instskip(NEXT) | instid1(VALU_DEP_1)
	v_fma_f32 v23, v26, v24, -v27
	v_fmac_f32_e32 v23, v26, v22
	s_delay_alu instid0(VALU_DEP_1) | instskip(NEXT) | instid1(VALU_DEP_1)
	v_add_f32_e32 v28, v27, v23
	v_sub_f32_e32 v29, v25, v28
	v_sub_f32_e32 v21, v28, v27
	s_delay_alu instid0(VALU_DEP_2) | instskip(NEXT) | instid1(VALU_DEP_2)
	v_sub_f32_e32 v25, v25, v29
	v_sub_f32_e32 v21, v21, v23
	s_delay_alu instid0(VALU_DEP_2) | instskip(NEXT) | instid1(VALU_DEP_1)
	v_sub_f32_e32 v25, v25, v28
	v_add_f32_e32 v18, v18, v25
	s_delay_alu instid0(VALU_DEP_1) | instskip(NEXT) | instid1(VALU_DEP_1)
	v_add_f32_e32 v18, v21, v18
	v_add_f32_e32 v21, v29, v18
	s_delay_alu instid0(VALU_DEP_1) | instskip(NEXT) | instid1(VALU_DEP_1)
	v_mul_f32_e32 v23, v20, v21
	v_dual_sub_f32 v28, v29, v21 :: v_dual_mul_f32 v25, v24, v23
	s_delay_alu instid0(VALU_DEP_1) | instskip(NEXT) | instid1(VALU_DEP_2)
	v_add_f32_e32 v18, v18, v28
	v_fma_f32 v24, v23, v24, -v25
	s_delay_alu instid0(VALU_DEP_1) | instskip(NEXT) | instid1(VALU_DEP_1)
	v_fmac_f32_e32 v24, v23, v22
	v_add_f32_e32 v22, v25, v24
	s_delay_alu instid0(VALU_DEP_1) | instskip(SKIP_1) | instid1(VALU_DEP_2)
	v_sub_f32_e32 v27, v21, v22
	v_sub_f32_e32 v25, v22, v25
	v_sub_f32_e32 v21, v21, v27
	s_delay_alu instid0(VALU_DEP_1) | instskip(NEXT) | instid1(VALU_DEP_3)
	v_sub_f32_e32 v21, v21, v22
	v_sub_f32_e32 v22, v25, v24
	s_delay_alu instid0(VALU_DEP_2) | instskip(SKIP_1) | instid1(VALU_DEP_2)
	v_add_f32_e32 v18, v18, v21
	v_add_f32_e32 v21, v26, v23
	;; [unrolled: 1-line block ×3, first 2 shown]
	s_delay_alu instid0(VALU_DEP_2) | instskip(NEXT) | instid1(VALU_DEP_2)
	v_sub_f32_e32 v22, v21, v26
	v_add_f32_e32 v18, v27, v18
	s_delay_alu instid0(VALU_DEP_2) | instskip(NEXT) | instid1(VALU_DEP_2)
	v_sub_f32_e32 v22, v23, v22
	v_mul_f32_e32 v18, v20, v18
	s_delay_alu instid0(VALU_DEP_1) | instskip(NEXT) | instid1(VALU_DEP_1)
	v_add_f32_e32 v18, v22, v18
	v_add_f32_e32 v20, v21, v18
	s_delay_alu instid0(VALU_DEP_1) | instskip(SKIP_1) | instid1(VALU_DEP_1)
	v_mul_f32_e32 v22, v20, v20
	s_wait_alu 0xfffe
	v_fmaak_f32 v23, s21, v22, 0x3ecc95a3
	v_mul_f32_e32 v24, v20, v22
	v_cmp_neq_f32_e64 s21, 0x7f800000, v19
	s_delay_alu instid0(VALU_DEP_3) | instskip(SKIP_2) | instid1(VALU_DEP_3)
	v_fmaak_f32 v22, v22, v23, 0x3f2aaada
	v_ldexp_f32 v23, v20, 1
	v_sub_f32_e32 v20, v20, v21
	v_mul_f32_e32 v22, v24, v22
	v_mul_f32_e32 v24, 0x3f317218, v17
	s_delay_alu instid0(VALU_DEP_2) | instskip(NEXT) | instid1(VALU_DEP_1)
	v_dual_sub_f32 v18, v18, v20 :: v_dual_add_f32 v21, v23, v22
	v_ldexp_f32 v18, v18, 1
	s_delay_alu instid0(VALU_DEP_2) | instskip(NEXT) | instid1(VALU_DEP_4)
	v_sub_f32_e32 v20, v21, v23
	v_fma_f32 v23, 0x3f317218, v17, -v24
	s_delay_alu instid0(VALU_DEP_1) | instskip(NEXT) | instid1(VALU_DEP_1)
	v_dual_sub_f32 v20, v22, v20 :: v_dual_fmamk_f32 v17, v17, 0xb102e308, v23
	v_add_f32_e32 v18, v18, v20
	s_delay_alu instid0(VALU_DEP_2) | instskip(NEXT) | instid1(VALU_DEP_2)
	v_add_f32_e32 v20, v24, v17
	v_add_f32_e32 v22, v21, v18
	s_delay_alu instid0(VALU_DEP_2) | instskip(NEXT) | instid1(VALU_DEP_2)
	v_sub_f32_e32 v24, v20, v24
	v_add_f32_e32 v23, v20, v22
	v_sub_f32_e32 v21, v22, v21
	s_delay_alu instid0(VALU_DEP_3) | instskip(NEXT) | instid1(VALU_DEP_2)
	v_sub_f32_e32 v17, v17, v24
	v_dual_sub_f32 v25, v23, v20 :: v_dual_sub_f32 v18, v18, v21
	s_delay_alu instid0(VALU_DEP_1) | instskip(NEXT) | instid1(VALU_DEP_2)
	v_sub_f32_e32 v26, v23, v25
	v_dual_sub_f32 v21, v22, v25 :: v_dual_add_f32 v22, v17, v18
	s_delay_alu instid0(VALU_DEP_2) | instskip(NEXT) | instid1(VALU_DEP_1)
	v_sub_f32_e32 v20, v20, v26
	v_dual_add_f32 v20, v21, v20 :: v_dual_sub_f32 v21, v22, v17
	s_delay_alu instid0(VALU_DEP_1) | instskip(NEXT) | instid1(VALU_DEP_2)
	v_add_f32_e32 v20, v22, v20
	v_sub_f32_e32 v22, v22, v21
	v_sub_f32_e32 v18, v18, v21
	s_delay_alu instid0(VALU_DEP_2) | instskip(NEXT) | instid1(VALU_DEP_1)
	v_dual_add_f32 v24, v23, v20 :: v_dual_sub_f32 v17, v17, v22
	v_sub_f32_e32 v21, v24, v23
	s_delay_alu instid0(VALU_DEP_2) | instskip(NEXT) | instid1(VALU_DEP_2)
	v_add_f32_e32 v17, v18, v17
	v_sub_f32_e32 v18, v20, v21
	s_delay_alu instid0(VALU_DEP_1) | instskip(NEXT) | instid1(VALU_DEP_1)
	v_add_f32_e32 v17, v17, v18
	v_add_f32_e32 v17, v24, v17
	s_wait_alu 0xf1ff
	s_delay_alu instid0(VALU_DEP_1) | instskip(SKIP_2) | instid1(VALU_DEP_1)
	v_cndmask_b32_e64 v17, 0x7f800000, v17, s21
	v_cmp_gt_f32_e64 s21, 0x33800000, |v19|
	s_wait_alu 0xf1ff
	v_cndmask_b32_e64 v17, v17, v19, s21
	s_delay_alu instid0(VALU_DEP_1) | instskip(NEXT) | instid1(VALU_DEP_1)
	v_add_f32_e32 v14, v14, v17
	v_cvt_f16_f32_e32 v17, v14
	s_delay_alu instid0(VALU_DEP_1)
	v_cvt_f32_f16_e32 v19, v17
	v_mov_b32_e32 v18, v17
.LBB430_40:
	s_or_b32 exec_lo, exec_lo, s22
	v_lshrrev_b32_e32 v5, 16, v5
	s_delay_alu instid0(VALU_DEP_3) | instskip(SKIP_1) | instid1(VALU_DEP_3)
	v_max_num_f32_e32 v20, v19, v19
	v_cmp_u_f16_e64 s21, v17, v17
	v_cvt_f32_f16_e32 v14, v5
	s_delay_alu instid0(VALU_DEP_1) | instskip(SKIP_2) | instid1(VALU_DEP_2)
	v_min_num_f32_e32 v21, v20, v14
	v_max_num_f32_e32 v20, v20, v14
	s_wait_alu 0xf1ff
	v_cndmask_b32_e64 v21, v21, v19, s21
	s_delay_alu instid0(VALU_DEP_2) | instskip(SKIP_2) | instid1(VALU_DEP_1)
	v_cndmask_b32_e64 v22, v20, v19, s21
	v_cmp_u_f16_e64 s21, v5, v5
	s_wait_alu 0xf1ff
	v_cndmask_b32_e64 v20, v21, v14, s21
	s_delay_alu instid0(VALU_DEP_3) | instskip(NEXT) | instid1(VALU_DEP_2)
	v_cndmask_b32_e64 v5, v22, v14, s21
	v_cmp_class_f32_e64 s23, v20, 0x1f8
	s_delay_alu instid0(VALU_DEP_2) | instskip(SKIP_1) | instid1(SALU_CYCLE_1)
	v_cmp_neq_f32_e64 s22, v20, v5
	s_or_b32 s22, s22, s23
	s_and_saveexec_b32 s23, s22
	s_cbranch_execz .LBB430_42
; %bb.41:
	v_sub_f32_e32 v17, v20, v5
	s_delay_alu instid0(VALU_DEP_1) | instskip(NEXT) | instid1(VALU_DEP_1)
	v_mul_f32_e32 v18, 0x3fb8aa3b, v17
	v_fma_f32 v19, 0x3fb8aa3b, v17, -v18
	v_rndne_f32_e32 v20, v18
	s_delay_alu instid0(VALU_DEP_1) | instskip(SKIP_1) | instid1(VALU_DEP_2)
	v_dual_sub_f32 v18, v18, v20 :: v_dual_fmamk_f32 v19, v17, 0x32a5705f, v19
	v_cmp_ngt_f32_e64 s22, 0xc2ce8ed0, v17
	v_add_f32_e32 v18, v18, v19
	v_cvt_i32_f32_e32 v19, v20
	s_delay_alu instid0(VALU_DEP_2) | instskip(NEXT) | instid1(TRANS32_DEP_1)
	v_exp_f32_e32 v18, v18
	v_ldexp_f32 v18, v18, v19
	s_delay_alu instid0(VALU_DEP_1) | instskip(SKIP_2) | instid1(VALU_DEP_1)
	v_cndmask_b32_e64 v18, 0, v18, s22
	v_cmp_nlt_f32_e64 s22, 0x42b17218, v17
	s_wait_alu 0xf1ff
	v_cndmask_b32_e64 v19, 0x7f800000, v18, s22
	s_delay_alu instid0(VALU_DEP_1) | instskip(NEXT) | instid1(VALU_DEP_1)
	v_add_f32_e32 v20, 1.0, v19
	v_cvt_f64_f32_e32 v[17:18], v20
	s_delay_alu instid0(VALU_DEP_1) | instskip(SKIP_1) | instid1(VALU_DEP_1)
	v_frexp_exp_i32_f64_e32 v17, v[17:18]
	v_frexp_mant_f32_e32 v18, v20
	v_cmp_gt_f32_e64 s22, 0x3f2aaaab, v18
	v_add_f32_e32 v18, -1.0, v20
	s_delay_alu instid0(VALU_DEP_1)
	v_sub_f32_e32 v22, v18, v20
	v_sub_f32_e32 v18, v19, v18
	s_wait_alu 0xf1ff
	v_subrev_co_ci_u32_e64 v17, null, 0, v17, s22
	s_mov_b32 s22, 0x3e9b6dac
	v_sub_nc_u32_e32 v21, 0, v17
	v_cvt_f32_i32_e32 v17, v17
	s_delay_alu instid0(VALU_DEP_2) | instskip(NEXT) | instid1(VALU_DEP_1)
	v_ldexp_f32 v20, v20, v21
	v_dual_add_f32 v23, 1.0, v20 :: v_dual_add_f32 v22, 1.0, v22
	s_delay_alu instid0(VALU_DEP_1) | instskip(NEXT) | instid1(VALU_DEP_2)
	v_add_f32_e32 v18, v18, v22
	v_add_f32_e32 v22, -1.0, v23
	s_delay_alu instid0(VALU_DEP_2) | instskip(NEXT) | instid1(VALU_DEP_2)
	v_ldexp_f32 v18, v18, v21
	v_dual_add_f32 v21, -1.0, v20 :: v_dual_sub_f32 v22, v20, v22
	s_delay_alu instid0(VALU_DEP_1) | instskip(NEXT) | instid1(VALU_DEP_2)
	v_add_f32_e32 v24, 1.0, v21
	v_add_f32_e32 v22, v18, v22
	s_delay_alu instid0(VALU_DEP_2) | instskip(NEXT) | instid1(VALU_DEP_2)
	v_sub_f32_e32 v20, v20, v24
	v_add_f32_e32 v24, v23, v22
	s_delay_alu instid0(VALU_DEP_2) | instskip(NEXT) | instid1(VALU_DEP_2)
	v_add_f32_e32 v18, v18, v20
	v_rcp_f32_e32 v20, v24
	v_sub_f32_e32 v23, v23, v24
	s_delay_alu instid0(VALU_DEP_1) | instskip(NEXT) | instid1(VALU_DEP_1)
	v_dual_add_f32 v25, v21, v18 :: v_dual_add_f32 v22, v22, v23
	v_sub_f32_e32 v21, v21, v25
	s_delay_alu instid0(TRANS32_DEP_1) | instskip(NEXT) | instid1(VALU_DEP_1)
	v_mul_f32_e32 v26, v25, v20
	v_dual_add_f32 v18, v18, v21 :: v_dual_mul_f32 v27, v24, v26
	s_delay_alu instid0(VALU_DEP_1) | instskip(NEXT) | instid1(VALU_DEP_1)
	v_fma_f32 v23, v26, v24, -v27
	v_fmac_f32_e32 v23, v26, v22
	s_delay_alu instid0(VALU_DEP_1) | instskip(NEXT) | instid1(VALU_DEP_1)
	v_add_f32_e32 v28, v27, v23
	v_sub_f32_e32 v29, v25, v28
	v_sub_f32_e32 v21, v28, v27
	s_delay_alu instid0(VALU_DEP_2) | instskip(NEXT) | instid1(VALU_DEP_2)
	v_sub_f32_e32 v25, v25, v29
	v_sub_f32_e32 v21, v21, v23
	s_delay_alu instid0(VALU_DEP_2) | instskip(NEXT) | instid1(VALU_DEP_1)
	v_sub_f32_e32 v25, v25, v28
	v_add_f32_e32 v18, v18, v25
	s_delay_alu instid0(VALU_DEP_1) | instskip(NEXT) | instid1(VALU_DEP_1)
	v_add_f32_e32 v18, v21, v18
	v_add_f32_e32 v21, v29, v18
	s_delay_alu instid0(VALU_DEP_1) | instskip(NEXT) | instid1(VALU_DEP_1)
	v_mul_f32_e32 v23, v20, v21
	v_dual_sub_f32 v28, v29, v21 :: v_dual_mul_f32 v25, v24, v23
	s_delay_alu instid0(VALU_DEP_1) | instskip(NEXT) | instid1(VALU_DEP_2)
	v_add_f32_e32 v18, v18, v28
	v_fma_f32 v24, v23, v24, -v25
	s_delay_alu instid0(VALU_DEP_1) | instskip(NEXT) | instid1(VALU_DEP_1)
	v_fmac_f32_e32 v24, v23, v22
	v_add_f32_e32 v22, v25, v24
	s_delay_alu instid0(VALU_DEP_1) | instskip(SKIP_1) | instid1(VALU_DEP_2)
	v_sub_f32_e32 v27, v21, v22
	v_sub_f32_e32 v25, v22, v25
	;; [unrolled: 1-line block ×3, first 2 shown]
	s_delay_alu instid0(VALU_DEP_1) | instskip(NEXT) | instid1(VALU_DEP_3)
	v_sub_f32_e32 v21, v21, v22
	v_sub_f32_e32 v22, v25, v24
	s_delay_alu instid0(VALU_DEP_2) | instskip(SKIP_1) | instid1(VALU_DEP_2)
	v_add_f32_e32 v18, v18, v21
	v_add_f32_e32 v21, v26, v23
	v_add_f32_e32 v18, v22, v18
	s_delay_alu instid0(VALU_DEP_2) | instskip(NEXT) | instid1(VALU_DEP_2)
	v_sub_f32_e32 v22, v21, v26
	v_add_f32_e32 v18, v27, v18
	s_delay_alu instid0(VALU_DEP_2) | instskip(NEXT) | instid1(VALU_DEP_2)
	v_sub_f32_e32 v22, v23, v22
	v_mul_f32_e32 v18, v20, v18
	s_delay_alu instid0(VALU_DEP_1) | instskip(NEXT) | instid1(VALU_DEP_1)
	v_add_f32_e32 v18, v22, v18
	v_add_f32_e32 v20, v21, v18
	s_delay_alu instid0(VALU_DEP_1) | instskip(SKIP_1) | instid1(VALU_DEP_1)
	v_mul_f32_e32 v22, v20, v20
	s_wait_alu 0xfffe
	v_fmaak_f32 v23, s22, v22, 0x3ecc95a3
	v_mul_f32_e32 v24, v20, v22
	v_cmp_neq_f32_e64 s22, 0x7f800000, v19
	s_delay_alu instid0(VALU_DEP_3) | instskip(SKIP_2) | instid1(VALU_DEP_3)
	v_fmaak_f32 v22, v22, v23, 0x3f2aaada
	v_ldexp_f32 v23, v20, 1
	v_sub_f32_e32 v20, v20, v21
	v_mul_f32_e32 v22, v24, v22
	v_mul_f32_e32 v24, 0x3f317218, v17
	s_delay_alu instid0(VALU_DEP_2) | instskip(NEXT) | instid1(VALU_DEP_1)
	v_dual_sub_f32 v18, v18, v20 :: v_dual_add_f32 v21, v23, v22
	v_ldexp_f32 v18, v18, 1
	s_delay_alu instid0(VALU_DEP_2) | instskip(NEXT) | instid1(VALU_DEP_4)
	v_sub_f32_e32 v20, v21, v23
	v_fma_f32 v23, 0x3f317218, v17, -v24
	s_delay_alu instid0(VALU_DEP_1) | instskip(NEXT) | instid1(VALU_DEP_1)
	v_dual_sub_f32 v20, v22, v20 :: v_dual_fmamk_f32 v17, v17, 0xb102e308, v23
	v_add_f32_e32 v18, v18, v20
	s_delay_alu instid0(VALU_DEP_2) | instskip(NEXT) | instid1(VALU_DEP_2)
	v_add_f32_e32 v20, v24, v17
	v_add_f32_e32 v22, v21, v18
	s_delay_alu instid0(VALU_DEP_2) | instskip(NEXT) | instid1(VALU_DEP_2)
	v_sub_f32_e32 v24, v20, v24
	v_add_f32_e32 v23, v20, v22
	v_sub_f32_e32 v21, v22, v21
	s_delay_alu instid0(VALU_DEP_3) | instskip(NEXT) | instid1(VALU_DEP_2)
	v_sub_f32_e32 v17, v17, v24
	v_dual_sub_f32 v25, v23, v20 :: v_dual_sub_f32 v18, v18, v21
	s_delay_alu instid0(VALU_DEP_1) | instskip(NEXT) | instid1(VALU_DEP_2)
	v_sub_f32_e32 v26, v23, v25
	v_dual_sub_f32 v21, v22, v25 :: v_dual_add_f32 v22, v17, v18
	s_delay_alu instid0(VALU_DEP_2) | instskip(NEXT) | instid1(VALU_DEP_1)
	v_sub_f32_e32 v20, v20, v26
	v_dual_add_f32 v20, v21, v20 :: v_dual_sub_f32 v21, v22, v17
	s_delay_alu instid0(VALU_DEP_1) | instskip(NEXT) | instid1(VALU_DEP_2)
	v_add_f32_e32 v20, v22, v20
	v_sub_f32_e32 v22, v22, v21
	v_sub_f32_e32 v18, v18, v21
	s_delay_alu instid0(VALU_DEP_2) | instskip(NEXT) | instid1(VALU_DEP_1)
	v_dual_add_f32 v24, v23, v20 :: v_dual_sub_f32 v17, v17, v22
	v_sub_f32_e32 v21, v24, v23
	s_delay_alu instid0(VALU_DEP_2) | instskip(NEXT) | instid1(VALU_DEP_2)
	v_add_f32_e32 v17, v18, v17
	v_sub_f32_e32 v18, v20, v21
	s_delay_alu instid0(VALU_DEP_1) | instskip(NEXT) | instid1(VALU_DEP_1)
	v_add_f32_e32 v17, v17, v18
	v_add_f32_e32 v17, v24, v17
	s_wait_alu 0xf1ff
	s_delay_alu instid0(VALU_DEP_1) | instskip(SKIP_2) | instid1(VALU_DEP_1)
	v_cndmask_b32_e64 v17, 0x7f800000, v17, s22
	v_cmp_gt_f32_e64 s22, 0x33800000, |v19|
	s_wait_alu 0xf1ff
	v_cndmask_b32_e64 v17, v17, v19, s22
	s_delay_alu instid0(VALU_DEP_1) | instskip(NEXT) | instid1(VALU_DEP_1)
	v_add_f32_e32 v5, v5, v17
	v_cvt_f16_f32_e32 v17, v5
	s_delay_alu instid0(VALU_DEP_1)
	v_cvt_f32_f16_e32 v19, v17
	v_mov_b32_e32 v18, v17
.LBB430_42:
	s_or_b32 exec_lo, exec_lo, s23
	v_cvt_f32_f16_e32 v5, v6
	s_delay_alu instid0(VALU_DEP_3) | instskip(SKIP_1) | instid1(VALU_DEP_2)
	v_max_num_f32_e32 v20, v19, v19
	v_cmp_u_f16_e64 s22, v17, v17
	v_min_num_f32_e32 v21, v20, v5
	v_max_num_f32_e32 v20, v20, v5
	s_wait_alu 0xf1ff
	s_delay_alu instid0(VALU_DEP_2) | instskip(NEXT) | instid1(VALU_DEP_2)
	v_cndmask_b32_e64 v21, v21, v19, s22
	v_cndmask_b32_e64 v20, v20, v19, s22
	v_cmp_u_f16_e64 s22, v6, v6
	s_wait_alu 0xf1ff
	s_delay_alu instid0(VALU_DEP_1) | instskip(NEXT) | instid1(VALU_DEP_3)
	v_cndmask_b32_e64 v21, v21, v5, s22
	v_cndmask_b32_e64 v20, v20, v5, s22
	s_delay_alu instid0(VALU_DEP_2) | instskip(NEXT) | instid1(VALU_DEP_2)
	v_cmp_class_f32_e64 s25, v21, 0x1f8
	v_cmp_neq_f32_e64 s23, v21, v20
	s_or_b32 s23, s23, s25
	s_wait_alu 0xfffe
	s_and_saveexec_b32 s25, s23
	s_cbranch_execz .LBB430_44
; %bb.43:
	v_sub_f32_e32 v17, v21, v20
	s_delay_alu instid0(VALU_DEP_1) | instskip(NEXT) | instid1(VALU_DEP_1)
	v_mul_f32_e32 v18, 0x3fb8aa3b, v17
	v_fma_f32 v19, 0x3fb8aa3b, v17, -v18
	v_rndne_f32_e32 v21, v18
	s_delay_alu instid0(VALU_DEP_1) | instskip(SKIP_1) | instid1(VALU_DEP_2)
	v_dual_sub_f32 v18, v18, v21 :: v_dual_fmamk_f32 v19, v17, 0x32a5705f, v19
	v_cmp_ngt_f32_e64 s23, 0xc2ce8ed0, v17
	v_add_f32_e32 v18, v18, v19
	v_cvt_i32_f32_e32 v19, v21
	s_delay_alu instid0(VALU_DEP_2) | instskip(NEXT) | instid1(TRANS32_DEP_1)
	v_exp_f32_e32 v18, v18
	v_ldexp_f32 v18, v18, v19
	s_wait_alu 0xf1ff
	s_delay_alu instid0(VALU_DEP_1) | instskip(SKIP_2) | instid1(VALU_DEP_1)
	v_cndmask_b32_e64 v18, 0, v18, s23
	v_cmp_nlt_f32_e64 s23, 0x42b17218, v17
	s_wait_alu 0xf1ff
	v_cndmask_b32_e64 v19, 0x7f800000, v18, s23
	s_delay_alu instid0(VALU_DEP_1) | instskip(NEXT) | instid1(VALU_DEP_1)
	v_add_f32_e32 v21, 1.0, v19
	v_cvt_f64_f32_e32 v[17:18], v21
	s_delay_alu instid0(VALU_DEP_1) | instskip(SKIP_1) | instid1(VALU_DEP_1)
	v_frexp_exp_i32_f64_e32 v17, v[17:18]
	v_frexp_mant_f32_e32 v18, v21
	v_cmp_gt_f32_e64 s23, 0x3f2aaaab, v18
	v_add_f32_e32 v18, -1.0, v21
	s_delay_alu instid0(VALU_DEP_1) | instskip(SKIP_1) | instid1(VALU_DEP_3)
	v_dual_sub_f32 v23, v18, v21 :: v_dual_sub_f32 v18, v19, v18
	s_wait_alu 0xf1ff
	v_subrev_co_ci_u32_e64 v17, null, 0, v17, s23
	s_mov_b32 s23, 0x3e9b6dac
	v_sub_nc_u32_e32 v22, 0, v17
	v_cvt_f32_i32_e32 v17, v17
	s_delay_alu instid0(VALU_DEP_2) | instskip(NEXT) | instid1(VALU_DEP_1)
	v_ldexp_f32 v21, v21, v22
	v_dual_add_f32 v23, 1.0, v23 :: v_dual_add_f32 v24, 1.0, v21
	s_delay_alu instid0(VALU_DEP_1) | instskip(NEXT) | instid1(VALU_DEP_1)
	v_dual_add_f32 v18, v18, v23 :: v_dual_add_f32 v23, -1.0, v24
	v_ldexp_f32 v18, v18, v22
	s_delay_alu instid0(VALU_DEP_2) | instskip(NEXT) | instid1(VALU_DEP_1)
	v_dual_add_f32 v22, -1.0, v21 :: v_dual_sub_f32 v23, v21, v23
	v_add_f32_e32 v25, 1.0, v22
	s_delay_alu instid0(VALU_DEP_2) | instskip(NEXT) | instid1(VALU_DEP_2)
	v_add_f32_e32 v23, v18, v23
	v_sub_f32_e32 v21, v21, v25
	s_delay_alu instid0(VALU_DEP_1) | instskip(NEXT) | instid1(VALU_DEP_1)
	v_dual_add_f32 v25, v24, v23 :: v_dual_add_f32 v18, v18, v21
	v_rcp_f32_e32 v21, v25
	v_sub_f32_e32 v24, v24, v25
	s_delay_alu instid0(VALU_DEP_1) | instskip(NEXT) | instid1(VALU_DEP_1)
	v_dual_add_f32 v26, v22, v18 :: v_dual_add_f32 v23, v23, v24
	v_sub_f32_e32 v22, v22, v26
	s_delay_alu instid0(TRANS32_DEP_1) | instskip(NEXT) | instid1(VALU_DEP_2)
	v_mul_f32_e32 v27, v26, v21
	v_add_f32_e32 v18, v18, v22
	s_delay_alu instid0(VALU_DEP_2) | instskip(NEXT) | instid1(VALU_DEP_1)
	v_mul_f32_e32 v28, v25, v27
	v_fma_f32 v24, v27, v25, -v28
	s_delay_alu instid0(VALU_DEP_1) | instskip(NEXT) | instid1(VALU_DEP_1)
	v_fmac_f32_e32 v24, v27, v23
	v_add_f32_e32 v29, v28, v24
	s_delay_alu instid0(VALU_DEP_1) | instskip(SKIP_1) | instid1(VALU_DEP_2)
	v_sub_f32_e32 v30, v26, v29
	v_sub_f32_e32 v22, v29, v28
	;; [unrolled: 1-line block ×3, first 2 shown]
	s_delay_alu instid0(VALU_DEP_2) | instskip(NEXT) | instid1(VALU_DEP_2)
	v_sub_f32_e32 v22, v22, v24
	v_sub_f32_e32 v26, v26, v29
	s_delay_alu instid0(VALU_DEP_1) | instskip(NEXT) | instid1(VALU_DEP_1)
	v_add_f32_e32 v18, v18, v26
	v_add_f32_e32 v18, v22, v18
	s_delay_alu instid0(VALU_DEP_1) | instskip(NEXT) | instid1(VALU_DEP_1)
	v_add_f32_e32 v22, v30, v18
	v_mul_f32_e32 v24, v21, v22
	s_delay_alu instid0(VALU_DEP_1) | instskip(NEXT) | instid1(VALU_DEP_1)
	v_mul_f32_e32 v26, v25, v24
	v_fma_f32 v25, v24, v25, -v26
	s_delay_alu instid0(VALU_DEP_1) | instskip(SKIP_1) | instid1(VALU_DEP_2)
	v_fmac_f32_e32 v25, v24, v23
	v_sub_f32_e32 v29, v30, v22
	v_add_f32_e32 v23, v26, v25
	s_delay_alu instid0(VALU_DEP_2) | instskip(NEXT) | instid1(VALU_DEP_2)
	v_add_f32_e32 v18, v18, v29
	v_sub_f32_e32 v28, v22, v23
	v_sub_f32_e32 v26, v23, v26
	s_delay_alu instid0(VALU_DEP_2) | instskip(NEXT) | instid1(VALU_DEP_1)
	v_sub_f32_e32 v22, v22, v28
	v_sub_f32_e32 v22, v22, v23
	s_delay_alu instid0(VALU_DEP_3) | instskip(NEXT) | instid1(VALU_DEP_2)
	v_sub_f32_e32 v23, v26, v25
	v_add_f32_e32 v18, v18, v22
	v_add_f32_e32 v22, v27, v24
	s_delay_alu instid0(VALU_DEP_1) | instskip(NEXT) | instid1(VALU_DEP_1)
	v_dual_add_f32 v18, v23, v18 :: v_dual_sub_f32 v23, v22, v27
	v_add_f32_e32 v18, v28, v18
	s_delay_alu instid0(VALU_DEP_1) | instskip(NEXT) | instid1(VALU_DEP_1)
	v_dual_sub_f32 v23, v24, v23 :: v_dual_mul_f32 v18, v21, v18
	v_add_f32_e32 v18, v23, v18
	s_delay_alu instid0(VALU_DEP_1) | instskip(NEXT) | instid1(VALU_DEP_1)
	v_add_f32_e32 v21, v22, v18
	v_mul_f32_e32 v23, v21, v21
	s_wait_alu 0xfffe
	s_delay_alu instid0(VALU_DEP_1) | instskip(SKIP_2) | instid1(VALU_DEP_3)
	v_fmaak_f32 v24, s23, v23, 0x3ecc95a3
	v_mul_f32_e32 v25, v21, v23
	v_cmp_neq_f32_e64 s23, 0x7f800000, v19
	v_fmaak_f32 v23, v23, v24, 0x3f2aaada
	v_ldexp_f32 v24, v21, 1
	v_sub_f32_e32 v21, v21, v22
	s_delay_alu instid0(VALU_DEP_3) | instskip(SKIP_1) | instid1(VALU_DEP_3)
	v_mul_f32_e32 v23, v25, v23
	v_mul_f32_e32 v25, 0x3f317218, v17
	v_sub_f32_e32 v18, v18, v21
	s_delay_alu instid0(VALU_DEP_3) | instskip(NEXT) | instid1(VALU_DEP_2)
	v_add_f32_e32 v22, v24, v23
	v_ldexp_f32 v18, v18, 1
	s_delay_alu instid0(VALU_DEP_2) | instskip(SKIP_1) | instid1(VALU_DEP_2)
	v_sub_f32_e32 v21, v22, v24
	v_fma_f32 v24, 0x3f317218, v17, -v25
	v_sub_f32_e32 v21, v23, v21
	s_delay_alu instid0(VALU_DEP_1) | instskip(NEXT) | instid1(VALU_DEP_1)
	v_dual_fmamk_f32 v17, v17, 0xb102e308, v24 :: v_dual_add_f32 v18, v18, v21
	v_add_f32_e32 v21, v25, v17
	s_delay_alu instid0(VALU_DEP_2) | instskip(NEXT) | instid1(VALU_DEP_2)
	v_add_f32_e32 v23, v22, v18
	v_sub_f32_e32 v25, v21, v25
	s_delay_alu instid0(VALU_DEP_2) | instskip(NEXT) | instid1(VALU_DEP_2)
	v_add_f32_e32 v24, v21, v23
	v_sub_f32_e32 v17, v17, v25
	s_delay_alu instid0(VALU_DEP_2) | instskip(SKIP_1) | instid1(VALU_DEP_2)
	v_sub_f32_e32 v26, v24, v21
	v_sub_f32_e32 v22, v23, v22
	;; [unrolled: 1-line block ×3, first 2 shown]
	s_delay_alu instid0(VALU_DEP_2) | instskip(NEXT) | instid1(VALU_DEP_2)
	v_sub_f32_e32 v18, v18, v22
	v_dual_sub_f32 v22, v23, v26 :: v_dual_sub_f32 v21, v21, v27
	s_delay_alu instid0(VALU_DEP_2) | instskip(NEXT) | instid1(VALU_DEP_2)
	v_add_f32_e32 v23, v17, v18
	v_add_f32_e32 v21, v22, v21
	s_delay_alu instid0(VALU_DEP_2) | instskip(NEXT) | instid1(VALU_DEP_2)
	v_sub_f32_e32 v22, v23, v17
	v_add_f32_e32 v21, v23, v21
	s_delay_alu instid0(VALU_DEP_2) | instskip(NEXT) | instid1(VALU_DEP_2)
	v_sub_f32_e32 v23, v23, v22
	v_dual_sub_f32 v18, v18, v22 :: v_dual_add_f32 v25, v24, v21
	s_delay_alu instid0(VALU_DEP_2) | instskip(NEXT) | instid1(VALU_DEP_1)
	v_sub_f32_e32 v17, v17, v23
	v_dual_sub_f32 v22, v25, v24 :: v_dual_add_f32 v17, v18, v17
	s_delay_alu instid0(VALU_DEP_1) | instskip(NEXT) | instid1(VALU_DEP_1)
	v_sub_f32_e32 v18, v21, v22
	v_add_f32_e32 v17, v17, v18
	s_delay_alu instid0(VALU_DEP_1) | instskip(SKIP_1) | instid1(VALU_DEP_1)
	v_add_f32_e32 v17, v25, v17
	s_wait_alu 0xf1ff
	v_cndmask_b32_e64 v17, 0x7f800000, v17, s23
	v_cmp_gt_f32_e64 s23, 0x33800000, |v19|
	s_wait_alu 0xf1ff
	s_delay_alu instid0(VALU_DEP_1) | instskip(NEXT) | instid1(VALU_DEP_1)
	v_cndmask_b32_e64 v17, v17, v19, s23
	v_add_f32_e32 v17, v20, v17
	s_delay_alu instid0(VALU_DEP_1) | instskip(NEXT) | instid1(VALU_DEP_1)
	v_cvt_f16_f32_e32 v17, v17
	v_cvt_f32_f16_e32 v19, v17
	v_mov_b32_e32 v18, v17
.LBB430_44:
	s_wait_alu 0xfffe
	s_or_b32 exec_lo, exec_lo, s25
	v_lshrrev_b32_e32 v20, 16, v6
	v_max_num_f32_e32 v21, v19, v19
	v_cmp_u_f16_e64 s23, v17, v17
	s_delay_alu instid0(VALU_DEP_3) | instskip(NEXT) | instid1(VALU_DEP_1)
	v_cvt_f32_f16_e32 v6, v20
	v_min_num_f32_e32 v22, v21, v6
	v_max_num_f32_e32 v21, v21, v6
	s_wait_alu 0xf1ff
	s_delay_alu instid0(VALU_DEP_2) | instskip(NEXT) | instid1(VALU_DEP_2)
	v_cndmask_b32_e64 v17, v22, v19, s23
	v_cndmask_b32_e64 v21, v21, v19, s23
	v_cmp_u_f16_e64 s23, v20, v20
	s_wait_alu 0xf1ff
	s_delay_alu instid0(VALU_DEP_1) | instskip(NEXT) | instid1(VALU_DEP_3)
	v_cndmask_b32_e64 v19, v17, v6, s23
	v_cndmask_b32_e64 v17, v21, v6, s23
	s_delay_alu instid0(VALU_DEP_2) | instskip(NEXT) | instid1(VALU_DEP_2)
	v_cmp_class_f32_e64 s26, v19, 0x1f8
	v_cmp_neq_f32_e64 s25, v19, v17
	s_or_b32 s25, s25, s26
	s_wait_alu 0xfffe
	s_and_saveexec_b32 s26, s25
	s_cbranch_execz .LBB430_46
; %bb.45:
	v_sub_f32_e32 v18, v19, v17
	s_delay_alu instid0(VALU_DEP_1) | instskip(SKIP_1) | instid1(VALU_DEP_2)
	v_mul_f32_e32 v19, 0x3fb8aa3b, v18
	v_cmp_ngt_f32_e64 s25, 0xc2ce8ed0, v18
	v_fma_f32 v20, 0x3fb8aa3b, v18, -v19
	v_rndne_f32_e32 v21, v19
	s_delay_alu instid0(VALU_DEP_1) | instskip(NEXT) | instid1(VALU_DEP_1)
	v_dual_fmamk_f32 v20, v18, 0x32a5705f, v20 :: v_dual_sub_f32 v19, v19, v21
	v_add_f32_e32 v19, v19, v20
	v_cvt_i32_f32_e32 v20, v21
	s_delay_alu instid0(VALU_DEP_2) | instskip(NEXT) | instid1(TRANS32_DEP_1)
	v_exp_f32_e32 v19, v19
	v_ldexp_f32 v19, v19, v20
	s_wait_alu 0xf1ff
	s_delay_alu instid0(VALU_DEP_1) | instskip(SKIP_2) | instid1(VALU_DEP_1)
	v_cndmask_b32_e64 v19, 0, v19, s25
	v_cmp_nlt_f32_e64 s25, 0x42b17218, v18
	s_wait_alu 0xf1ff
	v_cndmask_b32_e64 v20, 0x7f800000, v19, s25
	s_delay_alu instid0(VALU_DEP_1) | instskip(NEXT) | instid1(VALU_DEP_1)
	v_add_f32_e32 v21, 1.0, v20
	v_cvt_f64_f32_e32 v[18:19], v21
	s_delay_alu instid0(VALU_DEP_1) | instskip(SKIP_1) | instid1(VALU_DEP_1)
	v_frexp_exp_i32_f64_e32 v18, v[18:19]
	v_frexp_mant_f32_e32 v19, v21
	v_cmp_gt_f32_e64 s25, 0x3f2aaaab, v19
	v_add_f32_e32 v19, -1.0, v21
	s_delay_alu instid0(VALU_DEP_1)
	v_sub_f32_e32 v23, v19, v21
	v_sub_f32_e32 v19, v20, v19
	s_wait_alu 0xf1ff
	v_subrev_co_ci_u32_e64 v18, null, 0, v18, s25
	s_mov_b32 s25, 0x3e9b6dac
	v_sub_nc_u32_e32 v22, 0, v18
	v_cvt_f32_i32_e32 v18, v18
	s_delay_alu instid0(VALU_DEP_2) | instskip(NEXT) | instid1(VALU_DEP_1)
	v_ldexp_f32 v21, v21, v22
	v_dual_add_f32 v24, 1.0, v21 :: v_dual_add_f32 v23, 1.0, v23
	s_delay_alu instid0(VALU_DEP_1) | instskip(NEXT) | instid1(VALU_DEP_2)
	v_add_f32_e32 v19, v19, v23
	v_add_f32_e32 v23, -1.0, v24
	s_delay_alu instid0(VALU_DEP_2) | instskip(NEXT) | instid1(VALU_DEP_2)
	v_ldexp_f32 v19, v19, v22
	v_dual_add_f32 v22, -1.0, v21 :: v_dual_sub_f32 v23, v21, v23
	s_delay_alu instid0(VALU_DEP_1) | instskip(NEXT) | instid1(VALU_DEP_2)
	v_add_f32_e32 v25, 1.0, v22
	v_add_f32_e32 v23, v19, v23
	s_delay_alu instid0(VALU_DEP_2) | instskip(NEXT) | instid1(VALU_DEP_2)
	v_sub_f32_e32 v21, v21, v25
	v_add_f32_e32 v25, v24, v23
	s_delay_alu instid0(VALU_DEP_2) | instskip(NEXT) | instid1(VALU_DEP_2)
	v_add_f32_e32 v19, v19, v21
	v_rcp_f32_e32 v21, v25
	v_sub_f32_e32 v24, v24, v25
	s_delay_alu instid0(VALU_DEP_1) | instskip(NEXT) | instid1(VALU_DEP_1)
	v_dual_add_f32 v26, v22, v19 :: v_dual_add_f32 v23, v23, v24
	v_sub_f32_e32 v22, v22, v26
	s_delay_alu instid0(TRANS32_DEP_1) | instskip(NEXT) | instid1(VALU_DEP_1)
	v_mul_f32_e32 v27, v26, v21
	v_dual_add_f32 v19, v19, v22 :: v_dual_mul_f32 v28, v25, v27
	s_delay_alu instid0(VALU_DEP_1) | instskip(NEXT) | instid1(VALU_DEP_1)
	v_fma_f32 v24, v27, v25, -v28
	v_fmac_f32_e32 v24, v27, v23
	s_delay_alu instid0(VALU_DEP_1) | instskip(NEXT) | instid1(VALU_DEP_1)
	v_add_f32_e32 v29, v28, v24
	v_sub_f32_e32 v30, v26, v29
	v_sub_f32_e32 v22, v29, v28
	s_delay_alu instid0(VALU_DEP_2) | instskip(NEXT) | instid1(VALU_DEP_2)
	v_sub_f32_e32 v26, v26, v30
	v_sub_f32_e32 v22, v22, v24
	s_delay_alu instid0(VALU_DEP_2) | instskip(NEXT) | instid1(VALU_DEP_1)
	v_sub_f32_e32 v26, v26, v29
	v_add_f32_e32 v19, v19, v26
	s_delay_alu instid0(VALU_DEP_1) | instskip(NEXT) | instid1(VALU_DEP_1)
	v_add_f32_e32 v19, v22, v19
	v_add_f32_e32 v22, v30, v19
	s_delay_alu instid0(VALU_DEP_1) | instskip(NEXT) | instid1(VALU_DEP_1)
	v_mul_f32_e32 v24, v21, v22
	v_dual_sub_f32 v29, v30, v22 :: v_dual_mul_f32 v26, v25, v24
	s_delay_alu instid0(VALU_DEP_1) | instskip(NEXT) | instid1(VALU_DEP_2)
	v_add_f32_e32 v19, v19, v29
	v_fma_f32 v25, v24, v25, -v26
	s_delay_alu instid0(VALU_DEP_1) | instskip(NEXT) | instid1(VALU_DEP_1)
	v_fmac_f32_e32 v25, v24, v23
	v_add_f32_e32 v23, v26, v25
	s_delay_alu instid0(VALU_DEP_1) | instskip(SKIP_1) | instid1(VALU_DEP_2)
	v_sub_f32_e32 v28, v22, v23
	v_sub_f32_e32 v26, v23, v26
	;; [unrolled: 1-line block ×3, first 2 shown]
	s_delay_alu instid0(VALU_DEP_1) | instskip(NEXT) | instid1(VALU_DEP_3)
	v_sub_f32_e32 v22, v22, v23
	v_sub_f32_e32 v23, v26, v25
	s_delay_alu instid0(VALU_DEP_2) | instskip(SKIP_1) | instid1(VALU_DEP_2)
	v_add_f32_e32 v19, v19, v22
	v_add_f32_e32 v22, v27, v24
	;; [unrolled: 1-line block ×3, first 2 shown]
	s_delay_alu instid0(VALU_DEP_2) | instskip(NEXT) | instid1(VALU_DEP_2)
	v_sub_f32_e32 v23, v22, v27
	v_add_f32_e32 v19, v28, v19
	s_delay_alu instid0(VALU_DEP_2) | instskip(NEXT) | instid1(VALU_DEP_2)
	v_sub_f32_e32 v23, v24, v23
	v_mul_f32_e32 v19, v21, v19
	s_delay_alu instid0(VALU_DEP_1) | instskip(NEXT) | instid1(VALU_DEP_1)
	v_add_f32_e32 v19, v23, v19
	v_add_f32_e32 v21, v22, v19
	s_delay_alu instid0(VALU_DEP_1) | instskip(SKIP_1) | instid1(VALU_DEP_1)
	v_mul_f32_e32 v23, v21, v21
	s_wait_alu 0xfffe
	v_fmaak_f32 v24, s25, v23, 0x3ecc95a3
	v_mul_f32_e32 v25, v21, v23
	v_cmp_neq_f32_e64 s25, 0x7f800000, v20
	s_delay_alu instid0(VALU_DEP_3) | instskip(SKIP_2) | instid1(VALU_DEP_3)
	v_fmaak_f32 v23, v23, v24, 0x3f2aaada
	v_ldexp_f32 v24, v21, 1
	v_sub_f32_e32 v21, v21, v22
	v_mul_f32_e32 v23, v25, v23
	v_mul_f32_e32 v25, 0x3f317218, v18
	s_delay_alu instid0(VALU_DEP_2) | instskip(NEXT) | instid1(VALU_DEP_1)
	v_dual_sub_f32 v19, v19, v21 :: v_dual_add_f32 v22, v24, v23
	v_ldexp_f32 v19, v19, 1
	s_delay_alu instid0(VALU_DEP_2) | instskip(NEXT) | instid1(VALU_DEP_4)
	v_sub_f32_e32 v21, v22, v24
	v_fma_f32 v24, 0x3f317218, v18, -v25
	s_delay_alu instid0(VALU_DEP_1) | instskip(NEXT) | instid1(VALU_DEP_1)
	v_dual_sub_f32 v21, v23, v21 :: v_dual_fmamk_f32 v18, v18, 0xb102e308, v24
	v_add_f32_e32 v19, v19, v21
	s_delay_alu instid0(VALU_DEP_2) | instskip(NEXT) | instid1(VALU_DEP_2)
	v_add_f32_e32 v21, v25, v18
	v_add_f32_e32 v23, v22, v19
	s_delay_alu instid0(VALU_DEP_2) | instskip(NEXT) | instid1(VALU_DEP_2)
	v_sub_f32_e32 v25, v21, v25
	v_add_f32_e32 v24, v21, v23
	v_sub_f32_e32 v22, v23, v22
	s_delay_alu instid0(VALU_DEP_3) | instskip(NEXT) | instid1(VALU_DEP_2)
	v_sub_f32_e32 v18, v18, v25
	v_dual_sub_f32 v26, v24, v21 :: v_dual_sub_f32 v19, v19, v22
	s_delay_alu instid0(VALU_DEP_1) | instskip(NEXT) | instid1(VALU_DEP_2)
	v_sub_f32_e32 v27, v24, v26
	v_dual_sub_f32 v22, v23, v26 :: v_dual_add_f32 v23, v18, v19
	s_delay_alu instid0(VALU_DEP_2) | instskip(NEXT) | instid1(VALU_DEP_1)
	v_sub_f32_e32 v21, v21, v27
	v_dual_add_f32 v21, v22, v21 :: v_dual_sub_f32 v22, v23, v18
	s_delay_alu instid0(VALU_DEP_1) | instskip(NEXT) | instid1(VALU_DEP_2)
	v_add_f32_e32 v21, v23, v21
	v_sub_f32_e32 v23, v23, v22
	v_sub_f32_e32 v19, v19, v22
	s_delay_alu instid0(VALU_DEP_2) | instskip(NEXT) | instid1(VALU_DEP_1)
	v_dual_add_f32 v25, v24, v21 :: v_dual_sub_f32 v18, v18, v23
	v_sub_f32_e32 v22, v25, v24
	s_delay_alu instid0(VALU_DEP_2) | instskip(NEXT) | instid1(VALU_DEP_2)
	v_add_f32_e32 v18, v19, v18
	v_sub_f32_e32 v19, v21, v22
	s_delay_alu instid0(VALU_DEP_1) | instskip(NEXT) | instid1(VALU_DEP_1)
	v_add_f32_e32 v18, v18, v19
	v_add_f32_e32 v18, v25, v18
	s_wait_alu 0xf1ff
	s_delay_alu instid0(VALU_DEP_1) | instskip(SKIP_2) | instid1(VALU_DEP_1)
	v_cndmask_b32_e64 v18, 0x7f800000, v18, s25
	v_cmp_gt_f32_e64 s25, 0x33800000, |v20|
	s_wait_alu 0xf1ff
	v_cndmask_b32_e64 v18, v18, v20, s25
	s_delay_alu instid0(VALU_DEP_1) | instskip(NEXT) | instid1(VALU_DEP_1)
	v_add_f32_e32 v17, v17, v18
	v_cvt_f16_f32_e32 v18, v17
.LBB430_46:
	s_or_b32 exec_lo, exec_lo, s26
	s_load_b64 s[26:27], s[0:1], 0x18
	v_lshrrev_b32_e32 v17, 4, v0
	s_mov_b32 s25, exec_lo
	s_delay_alu instid0(VALU_DEP_1) | instskip(NEXT) | instid1(VALU_DEP_1)
	v_and_b32_e32 v17, 14, v17
	v_lshl_add_u32 v17, v0, 1, v17
	ds_store_b16 v17, v18
	s_wait_loadcnt_dscnt 0x0
	s_barrier_signal -1
	s_barrier_wait -1
	global_inv scope:SCOPE_SE
	v_cmpx_gt_u32_e32 32, v0
	s_cbranch_execz .LBB430_98
; %bb.47:
	v_lshrrev_b32_e32 v17, 1, v0
	v_lshlrev_b32_e32 v19, 4, v0
	s_delay_alu instid0(VALU_DEP_2) | instskip(NEXT) | instid1(VALU_DEP_1)
	v_and_b32_e32 v17, 0x7e, v17
	v_add_nc_u32_e32 v17, v17, v19
	ds_load_u16 v22, v17
	ds_load_u16 v20, v17 offset:2
	s_wait_dscnt 0x1
	v_cvt_f32_f16_e32 v19, v22
	s_wait_dscnt 0x0
	v_cvt_f32_f16_e32 v21, v20
	v_cmp_u_f16_e64 s0, v22, v22
	v_cmp_u_f16_e64 s1, v20, v20
	v_mov_b32_e32 v20, v19
	s_delay_alu instid0(VALU_DEP_4) | instskip(SKIP_1) | instid1(VALU_DEP_2)
	v_min_num_f32_e32 v23, v19, v21
	v_max_num_f32_e32 v24, v19, v21
	v_cndmask_b32_e64 v23, v23, v19, s0
	s_delay_alu instid0(VALU_DEP_2) | instskip(NEXT) | instid1(VALU_DEP_2)
	v_cndmask_b32_e64 v24, v24, v19, s0
	v_cndmask_b32_e64 v23, v23, v21, s1
	s_delay_alu instid0(VALU_DEP_2) | instskip(NEXT) | instid1(VALU_DEP_2)
	v_cndmask_b32_e64 v21, v24, v21, s1
	v_cmp_class_f32_e64 s28, v23, 0x1f8
	s_delay_alu instid0(VALU_DEP_2)
	v_cmp_neq_f32_e64 s1, v23, v21
	s_or_b32 s1, s1, s28
	s_wait_alu 0xfffe
	s_and_saveexec_b32 s28, s1
	s_cbranch_execz .LBB430_49
; %bb.48:
	v_sub_f32_e32 v20, v23, v21
	s_delay_alu instid0(VALU_DEP_1) | instskip(SKIP_1) | instid1(VALU_DEP_2)
	v_mul_f32_e32 v22, 0x3fb8aa3b, v20
	v_cmp_ngt_f32_e64 s1, 0xc2ce8ed0, v20
	v_fma_f32 v23, 0x3fb8aa3b, v20, -v22
	v_rndne_f32_e32 v24, v22
	s_delay_alu instid0(VALU_DEP_1) | instskip(NEXT) | instid1(VALU_DEP_1)
	v_dual_fmamk_f32 v23, v20, 0x32a5705f, v23 :: v_dual_sub_f32 v22, v22, v24
	v_add_f32_e32 v22, v22, v23
	v_cvt_i32_f32_e32 v23, v24
	s_delay_alu instid0(VALU_DEP_2) | instskip(NEXT) | instid1(TRANS32_DEP_1)
	v_exp_f32_e32 v22, v22
	v_ldexp_f32 v22, v22, v23
	s_wait_alu 0xf1ff
	s_delay_alu instid0(VALU_DEP_1) | instskip(SKIP_2) | instid1(VALU_DEP_1)
	v_cndmask_b32_e64 v22, 0, v22, s1
	v_cmp_nlt_f32_e64 s1, 0x42b17218, v20
	s_wait_alu 0xf1ff
	v_cndmask_b32_e64 v20, 0x7f800000, v22, s1
	s_delay_alu instid0(VALU_DEP_1) | instskip(NEXT) | instid1(VALU_DEP_1)
	v_add_f32_e32 v24, 1.0, v20
	v_cvt_f64_f32_e32 v[22:23], v24
	s_delay_alu instid0(VALU_DEP_1) | instskip(SKIP_1) | instid1(VALU_DEP_1)
	v_frexp_exp_i32_f64_e32 v22, v[22:23]
	v_frexp_mant_f32_e32 v23, v24
	v_cmp_gt_f32_e64 s1, 0x3f2aaaab, v23
	v_add_f32_e32 v23, -1.0, v24
	s_delay_alu instid0(VALU_DEP_1) | instskip(NEXT) | instid1(VALU_DEP_1)
	v_dual_sub_f32 v26, v23, v24 :: v_dual_sub_f32 v23, v20, v23
	v_add_f32_e32 v26, 1.0, v26
	s_delay_alu instid0(VALU_DEP_1)
	v_add_f32_e32 v23, v23, v26
	s_wait_alu 0xf1ff
	v_subrev_co_ci_u32_e64 v22, null, 0, v22, s1
	s_mov_b32 s1, 0x3e9b6dac
	v_sub_nc_u32_e32 v25, 0, v22
	v_cvt_f32_i32_e32 v22, v22
	s_delay_alu instid0(VALU_DEP_2) | instskip(SKIP_1) | instid1(VALU_DEP_2)
	v_ldexp_f32 v24, v24, v25
	v_ldexp_f32 v23, v23, v25
	v_add_f32_e32 v27, 1.0, v24
	s_delay_alu instid0(VALU_DEP_1) | instskip(NEXT) | instid1(VALU_DEP_1)
	v_dual_add_f32 v25, -1.0, v24 :: v_dual_add_f32 v26, -1.0, v27
	v_add_f32_e32 v28, 1.0, v25
	s_delay_alu instid0(VALU_DEP_2) | instskip(NEXT) | instid1(VALU_DEP_2)
	v_sub_f32_e32 v26, v24, v26
	v_sub_f32_e32 v24, v24, v28
	s_delay_alu instid0(VALU_DEP_2) | instskip(NEXT) | instid1(VALU_DEP_2)
	v_add_f32_e32 v26, v23, v26
	v_add_f32_e32 v23, v23, v24
	s_delay_alu instid0(VALU_DEP_1) | instskip(NEXT) | instid1(VALU_DEP_1)
	v_dual_add_f32 v29, v25, v23 :: v_dual_add_f32 v28, v27, v26
	v_sub_f32_e32 v25, v25, v29
	s_delay_alu instid0(VALU_DEP_2) | instskip(SKIP_1) | instid1(VALU_DEP_1)
	v_rcp_f32_e32 v24, v28
	v_sub_f32_e32 v27, v27, v28
	v_dual_add_f32 v23, v23, v25 :: v_dual_add_f32 v26, v26, v27
	s_delay_alu instid0(TRANS32_DEP_1) | instskip(NEXT) | instid1(VALU_DEP_1)
	v_mul_f32_e32 v30, v29, v24
	v_mul_f32_e32 v31, v28, v30
	s_delay_alu instid0(VALU_DEP_1) | instskip(NEXT) | instid1(VALU_DEP_1)
	v_fma_f32 v27, v30, v28, -v31
	v_fmac_f32_e32 v27, v30, v26
	s_delay_alu instid0(VALU_DEP_1) | instskip(NEXT) | instid1(VALU_DEP_1)
	v_add_f32_e32 v32, v31, v27
	v_sub_f32_e32 v33, v29, v32
	v_sub_f32_e32 v25, v32, v31
	s_delay_alu instid0(VALU_DEP_2) | instskip(NEXT) | instid1(VALU_DEP_2)
	v_sub_f32_e32 v29, v29, v33
	v_sub_f32_e32 v25, v25, v27
	s_delay_alu instid0(VALU_DEP_2) | instskip(NEXT) | instid1(VALU_DEP_1)
	v_sub_f32_e32 v29, v29, v32
	v_add_f32_e32 v23, v23, v29
	s_delay_alu instid0(VALU_DEP_1) | instskip(NEXT) | instid1(VALU_DEP_1)
	v_add_f32_e32 v23, v25, v23
	v_add_f32_e32 v25, v33, v23
	s_delay_alu instid0(VALU_DEP_1) | instskip(NEXT) | instid1(VALU_DEP_1)
	v_mul_f32_e32 v27, v24, v25
	v_dual_sub_f32 v32, v33, v25 :: v_dual_mul_f32 v29, v28, v27
	s_delay_alu instid0(VALU_DEP_1) | instskip(NEXT) | instid1(VALU_DEP_2)
	v_add_f32_e32 v23, v23, v32
	v_fma_f32 v28, v27, v28, -v29
	s_delay_alu instid0(VALU_DEP_1) | instskip(NEXT) | instid1(VALU_DEP_1)
	v_fmac_f32_e32 v28, v27, v26
	v_add_f32_e32 v26, v29, v28
	s_delay_alu instid0(VALU_DEP_1) | instskip(NEXT) | instid1(VALU_DEP_1)
	v_sub_f32_e32 v31, v25, v26
	v_sub_f32_e32 v25, v25, v31
	s_delay_alu instid0(VALU_DEP_1) | instskip(NEXT) | instid1(VALU_DEP_1)
	v_sub_f32_e32 v25, v25, v26
	v_add_f32_e32 v23, v23, v25
	v_add_f32_e32 v25, v30, v27
	v_sub_f32_e32 v29, v26, v29
	s_delay_alu instid0(VALU_DEP_1) | instskip(NEXT) | instid1(VALU_DEP_1)
	v_sub_f32_e32 v26, v29, v28
	v_dual_add_f32 v23, v26, v23 :: v_dual_sub_f32 v26, v25, v30
	s_delay_alu instid0(VALU_DEP_1) | instskip(NEXT) | instid1(VALU_DEP_1)
	v_add_f32_e32 v23, v31, v23
	v_dual_sub_f32 v26, v27, v26 :: v_dual_mul_f32 v23, v24, v23
	s_delay_alu instid0(VALU_DEP_1) | instskip(NEXT) | instid1(VALU_DEP_1)
	v_add_f32_e32 v23, v26, v23
	v_add_f32_e32 v24, v25, v23
	s_delay_alu instid0(VALU_DEP_1) | instskip(SKIP_1) | instid1(VALU_DEP_1)
	v_mul_f32_e32 v26, v24, v24
	s_wait_alu 0xfffe
	v_fmaak_f32 v27, s1, v26, 0x3ecc95a3
	v_mul_f32_e32 v28, v24, v26
	v_cmp_neq_f32_e64 s1, 0x7f800000, v20
	s_delay_alu instid0(VALU_DEP_3) | instskip(SKIP_2) | instid1(VALU_DEP_3)
	v_fmaak_f32 v26, v26, v27, 0x3f2aaada
	v_ldexp_f32 v27, v24, 1
	v_sub_f32_e32 v24, v24, v25
	v_mul_f32_e32 v26, v28, v26
	s_delay_alu instid0(VALU_DEP_2) | instskip(NEXT) | instid1(VALU_DEP_2)
	v_dual_mul_f32 v28, 0x3f317218, v22 :: v_dual_sub_f32 v23, v23, v24
	v_add_f32_e32 v25, v27, v26
	s_delay_alu instid0(VALU_DEP_2) | instskip(NEXT) | instid1(VALU_DEP_2)
	v_ldexp_f32 v23, v23, 1
	v_sub_f32_e32 v24, v25, v27
	s_delay_alu instid0(VALU_DEP_4) | instskip(NEXT) | instid1(VALU_DEP_2)
	v_fma_f32 v27, 0x3f317218, v22, -v28
	v_sub_f32_e32 v24, v26, v24
	s_delay_alu instid0(VALU_DEP_1) | instskip(NEXT) | instid1(VALU_DEP_1)
	v_dual_fmamk_f32 v22, v22, 0xb102e308, v27 :: v_dual_add_f32 v23, v23, v24
	v_add_f32_e32 v24, v28, v22
	s_delay_alu instid0(VALU_DEP_1) | instskip(NEXT) | instid1(VALU_DEP_1)
	v_sub_f32_e32 v28, v24, v28
	v_sub_f32_e32 v22, v22, v28
	s_delay_alu instid0(VALU_DEP_4) | instskip(NEXT) | instid1(VALU_DEP_1)
	v_add_f32_e32 v26, v25, v23
	v_sub_f32_e32 v25, v26, v25
	s_delay_alu instid0(VALU_DEP_1) | instskip(SKIP_1) | instid1(VALU_DEP_1)
	v_sub_f32_e32 v23, v23, v25
	v_add_f32_e32 v27, v24, v26
	v_sub_f32_e32 v29, v27, v24
	s_delay_alu instid0(VALU_DEP_1) | instskip(NEXT) | instid1(VALU_DEP_4)
	v_sub_f32_e32 v25, v26, v29
	v_add_f32_e32 v26, v22, v23
	v_sub_f32_e32 v30, v27, v29
	s_delay_alu instid0(VALU_DEP_1) | instskip(NEXT) | instid1(VALU_DEP_1)
	v_sub_f32_e32 v24, v24, v30
	v_dual_add_f32 v24, v25, v24 :: v_dual_sub_f32 v25, v26, v22
	s_delay_alu instid0(VALU_DEP_1) | instskip(SKIP_1) | instid1(VALU_DEP_2)
	v_dual_add_f32 v24, v26, v24 :: v_dual_sub_f32 v23, v23, v25
	v_sub_f32_e32 v26, v26, v25
	v_add_f32_e32 v28, v27, v24
	s_delay_alu instid0(VALU_DEP_1) | instskip(NEXT) | instid1(VALU_DEP_1)
	v_dual_sub_f32 v22, v22, v26 :: v_dual_sub_f32 v25, v28, v27
	v_dual_add_f32 v22, v23, v22 :: v_dual_sub_f32 v23, v24, v25
	s_delay_alu instid0(VALU_DEP_1) | instskip(NEXT) | instid1(VALU_DEP_1)
	v_add_f32_e32 v22, v22, v23
	v_add_f32_e32 v22, v28, v22
	s_wait_alu 0xf1ff
	s_delay_alu instid0(VALU_DEP_1) | instskip(SKIP_2) | instid1(VALU_DEP_1)
	v_cndmask_b32_e64 v22, 0x7f800000, v22, s1
	v_cmp_gt_f32_e64 s1, 0x33800000, |v20|
	s_wait_alu 0xf1ff
	v_cndmask_b32_e64 v20, v22, v20, s1
	s_delay_alu instid0(VALU_DEP_1) | instskip(NEXT) | instid1(VALU_DEP_1)
	v_add_f32_e32 v20, v21, v20
	v_cvt_f16_f32_e32 v22, v20
	s_delay_alu instid0(VALU_DEP_1)
	v_cvt_f32_f16_e32 v20, v22
.LBB430_49:
	s_or_b32 exec_lo, exec_lo, s28
	ds_load_u16 v21, v17 offset:4
	v_max_num_f32_e32 v23, v20, v20
	v_cmp_u_f16_e64 s1, v22, v22
	s_wait_dscnt 0x0
	v_cvt_f32_f16_e32 v24, v21
	s_delay_alu instid0(VALU_DEP_1) | instskip(SKIP_2) | instid1(VALU_DEP_2)
	v_min_num_f32_e32 v25, v23, v24
	v_max_num_f32_e32 v23, v23, v24
	s_wait_alu 0xf1ff
	v_cndmask_b32_e64 v25, v25, v20, s1
	s_delay_alu instid0(VALU_DEP_2) | instskip(SKIP_2) | instid1(VALU_DEP_1)
	v_cndmask_b32_e64 v26, v23, v20, s1
	v_cmp_u_f16_e64 s1, v21, v21
	s_wait_alu 0xf1ff
	v_cndmask_b32_e64 v23, v25, v24, s1
	s_delay_alu instid0(VALU_DEP_3) | instskip(NEXT) | instid1(VALU_DEP_2)
	v_cndmask_b32_e64 v21, v26, v24, s1
	v_cmp_class_f32_e64 s28, v23, 0x1f8
	s_delay_alu instid0(VALU_DEP_2)
	v_cmp_neq_f32_e64 s1, v23, v21
	s_or_b32 s1, s1, s28
	s_wait_alu 0xfffe
	s_and_saveexec_b32 s28, s1
	s_cbranch_execz .LBB430_51
; %bb.50:
	v_sub_f32_e32 v20, v23, v21
	s_delay_alu instid0(VALU_DEP_1) | instskip(SKIP_1) | instid1(VALU_DEP_2)
	v_mul_f32_e32 v22, 0x3fb8aa3b, v20
	v_cmp_ngt_f32_e64 s1, 0xc2ce8ed0, v20
	v_fma_f32 v23, 0x3fb8aa3b, v20, -v22
	v_rndne_f32_e32 v24, v22
	s_delay_alu instid0(VALU_DEP_1) | instskip(NEXT) | instid1(VALU_DEP_1)
	v_dual_fmamk_f32 v23, v20, 0x32a5705f, v23 :: v_dual_sub_f32 v22, v22, v24
	v_add_f32_e32 v22, v22, v23
	v_cvt_i32_f32_e32 v23, v24
	s_delay_alu instid0(VALU_DEP_2) | instskip(NEXT) | instid1(TRANS32_DEP_1)
	v_exp_f32_e32 v22, v22
	v_ldexp_f32 v22, v22, v23
	s_wait_alu 0xf1ff
	s_delay_alu instid0(VALU_DEP_1) | instskip(SKIP_2) | instid1(VALU_DEP_1)
	v_cndmask_b32_e64 v22, 0, v22, s1
	v_cmp_nlt_f32_e64 s1, 0x42b17218, v20
	s_wait_alu 0xf1ff
	v_cndmask_b32_e64 v20, 0x7f800000, v22, s1
	s_delay_alu instid0(VALU_DEP_1) | instskip(NEXT) | instid1(VALU_DEP_1)
	v_add_f32_e32 v24, 1.0, v20
	v_cvt_f64_f32_e32 v[22:23], v24
	s_delay_alu instid0(VALU_DEP_1) | instskip(SKIP_1) | instid1(VALU_DEP_1)
	v_frexp_exp_i32_f64_e32 v22, v[22:23]
	v_frexp_mant_f32_e32 v23, v24
	v_cmp_gt_f32_e64 s1, 0x3f2aaaab, v23
	v_add_f32_e32 v23, -1.0, v24
	s_delay_alu instid0(VALU_DEP_1) | instskip(NEXT) | instid1(VALU_DEP_1)
	v_dual_sub_f32 v26, v23, v24 :: v_dual_sub_f32 v23, v20, v23
	v_add_f32_e32 v26, 1.0, v26
	s_delay_alu instid0(VALU_DEP_1)
	v_add_f32_e32 v23, v23, v26
	s_wait_alu 0xf1ff
	v_subrev_co_ci_u32_e64 v22, null, 0, v22, s1
	s_mov_b32 s1, 0x3e9b6dac
	v_sub_nc_u32_e32 v25, 0, v22
	v_cvt_f32_i32_e32 v22, v22
	s_delay_alu instid0(VALU_DEP_2) | instskip(SKIP_1) | instid1(VALU_DEP_2)
	v_ldexp_f32 v24, v24, v25
	v_ldexp_f32 v23, v23, v25
	v_add_f32_e32 v27, 1.0, v24
	s_delay_alu instid0(VALU_DEP_1) | instskip(NEXT) | instid1(VALU_DEP_1)
	v_dual_add_f32 v25, -1.0, v24 :: v_dual_add_f32 v26, -1.0, v27
	v_add_f32_e32 v28, 1.0, v25
	s_delay_alu instid0(VALU_DEP_2) | instskip(NEXT) | instid1(VALU_DEP_2)
	v_sub_f32_e32 v26, v24, v26
	v_sub_f32_e32 v24, v24, v28
	s_delay_alu instid0(VALU_DEP_2) | instskip(NEXT) | instid1(VALU_DEP_2)
	v_add_f32_e32 v26, v23, v26
	v_add_f32_e32 v23, v23, v24
	s_delay_alu instid0(VALU_DEP_1) | instskip(NEXT) | instid1(VALU_DEP_1)
	v_dual_add_f32 v29, v25, v23 :: v_dual_add_f32 v28, v27, v26
	v_sub_f32_e32 v25, v25, v29
	s_delay_alu instid0(VALU_DEP_2) | instskip(SKIP_1) | instid1(VALU_DEP_1)
	v_rcp_f32_e32 v24, v28
	v_sub_f32_e32 v27, v27, v28
	v_dual_add_f32 v23, v23, v25 :: v_dual_add_f32 v26, v26, v27
	s_delay_alu instid0(TRANS32_DEP_1) | instskip(NEXT) | instid1(VALU_DEP_1)
	v_mul_f32_e32 v30, v29, v24
	v_mul_f32_e32 v31, v28, v30
	s_delay_alu instid0(VALU_DEP_1) | instskip(NEXT) | instid1(VALU_DEP_1)
	v_fma_f32 v27, v30, v28, -v31
	v_fmac_f32_e32 v27, v30, v26
	s_delay_alu instid0(VALU_DEP_1) | instskip(NEXT) | instid1(VALU_DEP_1)
	v_add_f32_e32 v32, v31, v27
	v_sub_f32_e32 v33, v29, v32
	v_sub_f32_e32 v25, v32, v31
	s_delay_alu instid0(VALU_DEP_2) | instskip(NEXT) | instid1(VALU_DEP_2)
	v_sub_f32_e32 v29, v29, v33
	v_sub_f32_e32 v25, v25, v27
	s_delay_alu instid0(VALU_DEP_2) | instskip(NEXT) | instid1(VALU_DEP_1)
	v_sub_f32_e32 v29, v29, v32
	v_add_f32_e32 v23, v23, v29
	s_delay_alu instid0(VALU_DEP_1) | instskip(NEXT) | instid1(VALU_DEP_1)
	v_add_f32_e32 v23, v25, v23
	v_add_f32_e32 v25, v33, v23
	s_delay_alu instid0(VALU_DEP_1) | instskip(NEXT) | instid1(VALU_DEP_1)
	v_mul_f32_e32 v27, v24, v25
	v_dual_sub_f32 v32, v33, v25 :: v_dual_mul_f32 v29, v28, v27
	s_delay_alu instid0(VALU_DEP_1) | instskip(NEXT) | instid1(VALU_DEP_2)
	v_add_f32_e32 v23, v23, v32
	v_fma_f32 v28, v27, v28, -v29
	s_delay_alu instid0(VALU_DEP_1) | instskip(NEXT) | instid1(VALU_DEP_1)
	v_fmac_f32_e32 v28, v27, v26
	v_add_f32_e32 v26, v29, v28
	s_delay_alu instid0(VALU_DEP_1) | instskip(NEXT) | instid1(VALU_DEP_1)
	v_sub_f32_e32 v31, v25, v26
	v_sub_f32_e32 v25, v25, v31
	s_delay_alu instid0(VALU_DEP_1) | instskip(NEXT) | instid1(VALU_DEP_1)
	v_sub_f32_e32 v25, v25, v26
	v_add_f32_e32 v23, v23, v25
	v_add_f32_e32 v25, v30, v27
	v_sub_f32_e32 v29, v26, v29
	s_delay_alu instid0(VALU_DEP_1) | instskip(NEXT) | instid1(VALU_DEP_1)
	v_sub_f32_e32 v26, v29, v28
	v_dual_add_f32 v23, v26, v23 :: v_dual_sub_f32 v26, v25, v30
	s_delay_alu instid0(VALU_DEP_1) | instskip(NEXT) | instid1(VALU_DEP_1)
	v_add_f32_e32 v23, v31, v23
	v_dual_sub_f32 v26, v27, v26 :: v_dual_mul_f32 v23, v24, v23
	s_delay_alu instid0(VALU_DEP_1) | instskip(NEXT) | instid1(VALU_DEP_1)
	v_add_f32_e32 v23, v26, v23
	v_add_f32_e32 v24, v25, v23
	s_delay_alu instid0(VALU_DEP_1) | instskip(SKIP_1) | instid1(VALU_DEP_1)
	v_mul_f32_e32 v26, v24, v24
	s_wait_alu 0xfffe
	v_fmaak_f32 v27, s1, v26, 0x3ecc95a3
	v_mul_f32_e32 v28, v24, v26
	v_cmp_neq_f32_e64 s1, 0x7f800000, v20
	s_delay_alu instid0(VALU_DEP_3) | instskip(SKIP_2) | instid1(VALU_DEP_3)
	v_fmaak_f32 v26, v26, v27, 0x3f2aaada
	v_ldexp_f32 v27, v24, 1
	v_sub_f32_e32 v24, v24, v25
	v_mul_f32_e32 v26, v28, v26
	s_delay_alu instid0(VALU_DEP_2) | instskip(NEXT) | instid1(VALU_DEP_2)
	v_dual_mul_f32 v28, 0x3f317218, v22 :: v_dual_sub_f32 v23, v23, v24
	v_add_f32_e32 v25, v27, v26
	s_delay_alu instid0(VALU_DEP_2) | instskip(NEXT) | instid1(VALU_DEP_2)
	v_ldexp_f32 v23, v23, 1
	v_sub_f32_e32 v24, v25, v27
	s_delay_alu instid0(VALU_DEP_4) | instskip(NEXT) | instid1(VALU_DEP_2)
	v_fma_f32 v27, 0x3f317218, v22, -v28
	v_sub_f32_e32 v24, v26, v24
	s_delay_alu instid0(VALU_DEP_1) | instskip(NEXT) | instid1(VALU_DEP_1)
	v_dual_fmamk_f32 v22, v22, 0xb102e308, v27 :: v_dual_add_f32 v23, v23, v24
	v_add_f32_e32 v24, v28, v22
	s_delay_alu instid0(VALU_DEP_1) | instskip(NEXT) | instid1(VALU_DEP_1)
	v_sub_f32_e32 v28, v24, v28
	v_sub_f32_e32 v22, v22, v28
	s_delay_alu instid0(VALU_DEP_4) | instskip(NEXT) | instid1(VALU_DEP_1)
	v_add_f32_e32 v26, v25, v23
	v_sub_f32_e32 v25, v26, v25
	s_delay_alu instid0(VALU_DEP_1) | instskip(SKIP_1) | instid1(VALU_DEP_1)
	v_sub_f32_e32 v23, v23, v25
	v_add_f32_e32 v27, v24, v26
	v_sub_f32_e32 v29, v27, v24
	s_delay_alu instid0(VALU_DEP_1) | instskip(NEXT) | instid1(VALU_DEP_4)
	v_sub_f32_e32 v25, v26, v29
	v_add_f32_e32 v26, v22, v23
	v_sub_f32_e32 v30, v27, v29
	s_delay_alu instid0(VALU_DEP_1) | instskip(NEXT) | instid1(VALU_DEP_1)
	v_sub_f32_e32 v24, v24, v30
	v_dual_add_f32 v24, v25, v24 :: v_dual_sub_f32 v25, v26, v22
	s_delay_alu instid0(VALU_DEP_1) | instskip(SKIP_1) | instid1(VALU_DEP_2)
	v_dual_add_f32 v24, v26, v24 :: v_dual_sub_f32 v23, v23, v25
	v_sub_f32_e32 v26, v26, v25
	v_add_f32_e32 v28, v27, v24
	s_delay_alu instid0(VALU_DEP_1) | instskip(NEXT) | instid1(VALU_DEP_1)
	v_dual_sub_f32 v22, v22, v26 :: v_dual_sub_f32 v25, v28, v27
	v_dual_add_f32 v22, v23, v22 :: v_dual_sub_f32 v23, v24, v25
	s_delay_alu instid0(VALU_DEP_1) | instskip(NEXT) | instid1(VALU_DEP_1)
	v_add_f32_e32 v22, v22, v23
	v_add_f32_e32 v22, v28, v22
	s_wait_alu 0xf1ff
	s_delay_alu instid0(VALU_DEP_1) | instskip(SKIP_2) | instid1(VALU_DEP_1)
	v_cndmask_b32_e64 v22, 0x7f800000, v22, s1
	v_cmp_gt_f32_e64 s1, 0x33800000, |v20|
	s_wait_alu 0xf1ff
	v_cndmask_b32_e64 v20, v22, v20, s1
	s_delay_alu instid0(VALU_DEP_1) | instskip(NEXT) | instid1(VALU_DEP_1)
	v_add_f32_e32 v20, v21, v20
	v_cvt_f16_f32_e32 v22, v20
	s_delay_alu instid0(VALU_DEP_1)
	v_cvt_f32_f16_e32 v20, v22
.LBB430_51:
	s_or_b32 exec_lo, exec_lo, s28
	ds_load_u16 v21, v17 offset:6
	v_max_num_f32_e32 v23, v20, v20
	v_cmp_u_f16_e64 s1, v22, v22
	s_wait_dscnt 0x0
	v_cvt_f32_f16_e32 v24, v21
	s_delay_alu instid0(VALU_DEP_1) | instskip(SKIP_2) | instid1(VALU_DEP_2)
	v_min_num_f32_e32 v25, v23, v24
	v_max_num_f32_e32 v23, v23, v24
	s_wait_alu 0xf1ff
	v_cndmask_b32_e64 v25, v25, v20, s1
	s_delay_alu instid0(VALU_DEP_2) | instskip(SKIP_2) | instid1(VALU_DEP_1)
	v_cndmask_b32_e64 v26, v23, v20, s1
	v_cmp_u_f16_e64 s1, v21, v21
	s_wait_alu 0xf1ff
	v_cndmask_b32_e64 v23, v25, v24, s1
	s_delay_alu instid0(VALU_DEP_3) | instskip(NEXT) | instid1(VALU_DEP_2)
	v_cndmask_b32_e64 v21, v26, v24, s1
	v_cmp_class_f32_e64 s28, v23, 0x1f8
	s_delay_alu instid0(VALU_DEP_2)
	v_cmp_neq_f32_e64 s1, v23, v21
	s_or_b32 s1, s1, s28
	s_wait_alu 0xfffe
	s_and_saveexec_b32 s28, s1
	s_cbranch_execz .LBB430_53
; %bb.52:
	v_sub_f32_e32 v20, v23, v21
	s_delay_alu instid0(VALU_DEP_1) | instskip(SKIP_1) | instid1(VALU_DEP_2)
	v_mul_f32_e32 v22, 0x3fb8aa3b, v20
	v_cmp_ngt_f32_e64 s1, 0xc2ce8ed0, v20
	v_fma_f32 v23, 0x3fb8aa3b, v20, -v22
	v_rndne_f32_e32 v24, v22
	s_delay_alu instid0(VALU_DEP_1) | instskip(NEXT) | instid1(VALU_DEP_1)
	v_dual_fmamk_f32 v23, v20, 0x32a5705f, v23 :: v_dual_sub_f32 v22, v22, v24
	v_add_f32_e32 v22, v22, v23
	v_cvt_i32_f32_e32 v23, v24
	s_delay_alu instid0(VALU_DEP_2) | instskip(NEXT) | instid1(TRANS32_DEP_1)
	v_exp_f32_e32 v22, v22
	v_ldexp_f32 v22, v22, v23
	s_wait_alu 0xf1ff
	s_delay_alu instid0(VALU_DEP_1) | instskip(SKIP_2) | instid1(VALU_DEP_1)
	v_cndmask_b32_e64 v22, 0, v22, s1
	v_cmp_nlt_f32_e64 s1, 0x42b17218, v20
	s_wait_alu 0xf1ff
	v_cndmask_b32_e64 v20, 0x7f800000, v22, s1
	s_delay_alu instid0(VALU_DEP_1) | instskip(NEXT) | instid1(VALU_DEP_1)
	v_add_f32_e32 v24, 1.0, v20
	v_cvt_f64_f32_e32 v[22:23], v24
	s_delay_alu instid0(VALU_DEP_1) | instskip(SKIP_1) | instid1(VALU_DEP_1)
	v_frexp_exp_i32_f64_e32 v22, v[22:23]
	v_frexp_mant_f32_e32 v23, v24
	v_cmp_gt_f32_e64 s1, 0x3f2aaaab, v23
	v_add_f32_e32 v23, -1.0, v24
	s_delay_alu instid0(VALU_DEP_1) | instskip(NEXT) | instid1(VALU_DEP_1)
	v_dual_sub_f32 v26, v23, v24 :: v_dual_sub_f32 v23, v20, v23
	v_add_f32_e32 v26, 1.0, v26
	s_delay_alu instid0(VALU_DEP_1)
	v_add_f32_e32 v23, v23, v26
	s_wait_alu 0xf1ff
	v_subrev_co_ci_u32_e64 v22, null, 0, v22, s1
	s_mov_b32 s1, 0x3e9b6dac
	v_sub_nc_u32_e32 v25, 0, v22
	v_cvt_f32_i32_e32 v22, v22
	s_delay_alu instid0(VALU_DEP_2) | instskip(SKIP_1) | instid1(VALU_DEP_2)
	v_ldexp_f32 v24, v24, v25
	v_ldexp_f32 v23, v23, v25
	v_add_f32_e32 v27, 1.0, v24
	s_delay_alu instid0(VALU_DEP_1) | instskip(NEXT) | instid1(VALU_DEP_1)
	v_dual_add_f32 v25, -1.0, v24 :: v_dual_add_f32 v26, -1.0, v27
	v_add_f32_e32 v28, 1.0, v25
	s_delay_alu instid0(VALU_DEP_2) | instskip(NEXT) | instid1(VALU_DEP_2)
	v_sub_f32_e32 v26, v24, v26
	v_sub_f32_e32 v24, v24, v28
	s_delay_alu instid0(VALU_DEP_2) | instskip(NEXT) | instid1(VALU_DEP_2)
	v_add_f32_e32 v26, v23, v26
	v_add_f32_e32 v23, v23, v24
	s_delay_alu instid0(VALU_DEP_1) | instskip(NEXT) | instid1(VALU_DEP_1)
	v_dual_add_f32 v29, v25, v23 :: v_dual_add_f32 v28, v27, v26
	v_sub_f32_e32 v25, v25, v29
	s_delay_alu instid0(VALU_DEP_2) | instskip(SKIP_1) | instid1(VALU_DEP_1)
	v_rcp_f32_e32 v24, v28
	v_sub_f32_e32 v27, v27, v28
	v_dual_add_f32 v23, v23, v25 :: v_dual_add_f32 v26, v26, v27
	s_delay_alu instid0(TRANS32_DEP_1) | instskip(NEXT) | instid1(VALU_DEP_1)
	v_mul_f32_e32 v30, v29, v24
	v_mul_f32_e32 v31, v28, v30
	s_delay_alu instid0(VALU_DEP_1) | instskip(NEXT) | instid1(VALU_DEP_1)
	v_fma_f32 v27, v30, v28, -v31
	v_fmac_f32_e32 v27, v30, v26
	s_delay_alu instid0(VALU_DEP_1) | instskip(NEXT) | instid1(VALU_DEP_1)
	v_add_f32_e32 v32, v31, v27
	v_sub_f32_e32 v33, v29, v32
	v_sub_f32_e32 v25, v32, v31
	s_delay_alu instid0(VALU_DEP_2) | instskip(NEXT) | instid1(VALU_DEP_2)
	v_sub_f32_e32 v29, v29, v33
	v_sub_f32_e32 v25, v25, v27
	s_delay_alu instid0(VALU_DEP_2) | instskip(NEXT) | instid1(VALU_DEP_1)
	v_sub_f32_e32 v29, v29, v32
	v_add_f32_e32 v23, v23, v29
	s_delay_alu instid0(VALU_DEP_1) | instskip(NEXT) | instid1(VALU_DEP_1)
	v_add_f32_e32 v23, v25, v23
	v_add_f32_e32 v25, v33, v23
	s_delay_alu instid0(VALU_DEP_1) | instskip(NEXT) | instid1(VALU_DEP_1)
	v_mul_f32_e32 v27, v24, v25
	v_dual_sub_f32 v32, v33, v25 :: v_dual_mul_f32 v29, v28, v27
	s_delay_alu instid0(VALU_DEP_1) | instskip(NEXT) | instid1(VALU_DEP_2)
	v_add_f32_e32 v23, v23, v32
	v_fma_f32 v28, v27, v28, -v29
	s_delay_alu instid0(VALU_DEP_1) | instskip(NEXT) | instid1(VALU_DEP_1)
	v_fmac_f32_e32 v28, v27, v26
	v_add_f32_e32 v26, v29, v28
	s_delay_alu instid0(VALU_DEP_1) | instskip(NEXT) | instid1(VALU_DEP_1)
	v_sub_f32_e32 v31, v25, v26
	v_sub_f32_e32 v25, v25, v31
	s_delay_alu instid0(VALU_DEP_1) | instskip(NEXT) | instid1(VALU_DEP_1)
	v_sub_f32_e32 v25, v25, v26
	v_add_f32_e32 v23, v23, v25
	v_add_f32_e32 v25, v30, v27
	v_sub_f32_e32 v29, v26, v29
	s_delay_alu instid0(VALU_DEP_1) | instskip(NEXT) | instid1(VALU_DEP_1)
	v_sub_f32_e32 v26, v29, v28
	v_dual_add_f32 v23, v26, v23 :: v_dual_sub_f32 v26, v25, v30
	s_delay_alu instid0(VALU_DEP_1) | instskip(NEXT) | instid1(VALU_DEP_1)
	v_add_f32_e32 v23, v31, v23
	v_dual_sub_f32 v26, v27, v26 :: v_dual_mul_f32 v23, v24, v23
	s_delay_alu instid0(VALU_DEP_1) | instskip(NEXT) | instid1(VALU_DEP_1)
	v_add_f32_e32 v23, v26, v23
	v_add_f32_e32 v24, v25, v23
	s_delay_alu instid0(VALU_DEP_1) | instskip(SKIP_1) | instid1(VALU_DEP_1)
	v_mul_f32_e32 v26, v24, v24
	s_wait_alu 0xfffe
	v_fmaak_f32 v27, s1, v26, 0x3ecc95a3
	v_mul_f32_e32 v28, v24, v26
	v_cmp_neq_f32_e64 s1, 0x7f800000, v20
	s_delay_alu instid0(VALU_DEP_3) | instskip(SKIP_2) | instid1(VALU_DEP_3)
	v_fmaak_f32 v26, v26, v27, 0x3f2aaada
	v_ldexp_f32 v27, v24, 1
	v_sub_f32_e32 v24, v24, v25
	v_mul_f32_e32 v26, v28, v26
	s_delay_alu instid0(VALU_DEP_2) | instskip(NEXT) | instid1(VALU_DEP_2)
	v_dual_mul_f32 v28, 0x3f317218, v22 :: v_dual_sub_f32 v23, v23, v24
	v_add_f32_e32 v25, v27, v26
	s_delay_alu instid0(VALU_DEP_2) | instskip(NEXT) | instid1(VALU_DEP_2)
	v_ldexp_f32 v23, v23, 1
	v_sub_f32_e32 v24, v25, v27
	s_delay_alu instid0(VALU_DEP_4) | instskip(NEXT) | instid1(VALU_DEP_2)
	v_fma_f32 v27, 0x3f317218, v22, -v28
	v_sub_f32_e32 v24, v26, v24
	s_delay_alu instid0(VALU_DEP_1) | instskip(NEXT) | instid1(VALU_DEP_1)
	v_dual_fmamk_f32 v22, v22, 0xb102e308, v27 :: v_dual_add_f32 v23, v23, v24
	v_add_f32_e32 v24, v28, v22
	s_delay_alu instid0(VALU_DEP_1) | instskip(NEXT) | instid1(VALU_DEP_1)
	v_sub_f32_e32 v28, v24, v28
	v_sub_f32_e32 v22, v22, v28
	s_delay_alu instid0(VALU_DEP_4) | instskip(NEXT) | instid1(VALU_DEP_1)
	v_add_f32_e32 v26, v25, v23
	v_sub_f32_e32 v25, v26, v25
	s_delay_alu instid0(VALU_DEP_1) | instskip(SKIP_1) | instid1(VALU_DEP_1)
	v_sub_f32_e32 v23, v23, v25
	v_add_f32_e32 v27, v24, v26
	v_sub_f32_e32 v29, v27, v24
	s_delay_alu instid0(VALU_DEP_1) | instskip(NEXT) | instid1(VALU_DEP_4)
	v_sub_f32_e32 v25, v26, v29
	v_add_f32_e32 v26, v22, v23
	v_sub_f32_e32 v30, v27, v29
	s_delay_alu instid0(VALU_DEP_1) | instskip(NEXT) | instid1(VALU_DEP_1)
	v_sub_f32_e32 v24, v24, v30
	v_dual_add_f32 v24, v25, v24 :: v_dual_sub_f32 v25, v26, v22
	s_delay_alu instid0(VALU_DEP_1) | instskip(SKIP_1) | instid1(VALU_DEP_2)
	v_dual_add_f32 v24, v26, v24 :: v_dual_sub_f32 v23, v23, v25
	v_sub_f32_e32 v26, v26, v25
	v_add_f32_e32 v28, v27, v24
	s_delay_alu instid0(VALU_DEP_1) | instskip(NEXT) | instid1(VALU_DEP_1)
	v_dual_sub_f32 v22, v22, v26 :: v_dual_sub_f32 v25, v28, v27
	v_dual_add_f32 v22, v23, v22 :: v_dual_sub_f32 v23, v24, v25
	s_delay_alu instid0(VALU_DEP_1) | instskip(NEXT) | instid1(VALU_DEP_1)
	v_add_f32_e32 v22, v22, v23
	v_add_f32_e32 v22, v28, v22
	s_wait_alu 0xf1ff
	s_delay_alu instid0(VALU_DEP_1) | instskip(SKIP_2) | instid1(VALU_DEP_1)
	v_cndmask_b32_e64 v22, 0x7f800000, v22, s1
	v_cmp_gt_f32_e64 s1, 0x33800000, |v20|
	s_wait_alu 0xf1ff
	v_cndmask_b32_e64 v20, v22, v20, s1
	s_delay_alu instid0(VALU_DEP_1) | instskip(NEXT) | instid1(VALU_DEP_1)
	v_add_f32_e32 v20, v21, v20
	v_cvt_f16_f32_e32 v22, v20
	s_delay_alu instid0(VALU_DEP_1)
	v_cvt_f32_f16_e32 v20, v22
.LBB430_53:
	s_or_b32 exec_lo, exec_lo, s28
	ds_load_u16 v21, v17 offset:8
	v_max_num_f32_e32 v23, v20, v20
	v_cmp_u_f16_e64 s1, v22, v22
	s_wait_dscnt 0x0
	v_cvt_f32_f16_e32 v24, v21
	s_delay_alu instid0(VALU_DEP_1) | instskip(SKIP_2) | instid1(VALU_DEP_2)
	v_min_num_f32_e32 v25, v23, v24
	v_max_num_f32_e32 v23, v23, v24
	s_wait_alu 0xf1ff
	v_cndmask_b32_e64 v25, v25, v20, s1
	s_delay_alu instid0(VALU_DEP_2) | instskip(SKIP_2) | instid1(VALU_DEP_1)
	v_cndmask_b32_e64 v26, v23, v20, s1
	v_cmp_u_f16_e64 s1, v21, v21
	s_wait_alu 0xf1ff
	v_cndmask_b32_e64 v23, v25, v24, s1
	s_delay_alu instid0(VALU_DEP_3) | instskip(NEXT) | instid1(VALU_DEP_2)
	v_cndmask_b32_e64 v21, v26, v24, s1
	v_cmp_class_f32_e64 s28, v23, 0x1f8
	s_delay_alu instid0(VALU_DEP_2)
	v_cmp_neq_f32_e64 s1, v23, v21
	s_or_b32 s1, s1, s28
	s_wait_alu 0xfffe
	s_and_saveexec_b32 s28, s1
	s_cbranch_execz .LBB430_55
; %bb.54:
	v_sub_f32_e32 v20, v23, v21
	s_delay_alu instid0(VALU_DEP_1) | instskip(SKIP_1) | instid1(VALU_DEP_2)
	v_mul_f32_e32 v22, 0x3fb8aa3b, v20
	v_cmp_ngt_f32_e64 s1, 0xc2ce8ed0, v20
	v_fma_f32 v23, 0x3fb8aa3b, v20, -v22
	v_rndne_f32_e32 v24, v22
	s_delay_alu instid0(VALU_DEP_1) | instskip(NEXT) | instid1(VALU_DEP_1)
	v_dual_fmamk_f32 v23, v20, 0x32a5705f, v23 :: v_dual_sub_f32 v22, v22, v24
	v_add_f32_e32 v22, v22, v23
	v_cvt_i32_f32_e32 v23, v24
	s_delay_alu instid0(VALU_DEP_2) | instskip(NEXT) | instid1(TRANS32_DEP_1)
	v_exp_f32_e32 v22, v22
	v_ldexp_f32 v22, v22, v23
	s_wait_alu 0xf1ff
	s_delay_alu instid0(VALU_DEP_1) | instskip(SKIP_2) | instid1(VALU_DEP_1)
	v_cndmask_b32_e64 v22, 0, v22, s1
	v_cmp_nlt_f32_e64 s1, 0x42b17218, v20
	s_wait_alu 0xf1ff
	v_cndmask_b32_e64 v20, 0x7f800000, v22, s1
	s_delay_alu instid0(VALU_DEP_1) | instskip(NEXT) | instid1(VALU_DEP_1)
	v_add_f32_e32 v24, 1.0, v20
	v_cvt_f64_f32_e32 v[22:23], v24
	s_delay_alu instid0(VALU_DEP_1) | instskip(SKIP_1) | instid1(VALU_DEP_1)
	v_frexp_exp_i32_f64_e32 v22, v[22:23]
	v_frexp_mant_f32_e32 v23, v24
	v_cmp_gt_f32_e64 s1, 0x3f2aaaab, v23
	v_add_f32_e32 v23, -1.0, v24
	s_delay_alu instid0(VALU_DEP_1) | instskip(NEXT) | instid1(VALU_DEP_1)
	v_dual_sub_f32 v26, v23, v24 :: v_dual_sub_f32 v23, v20, v23
	v_add_f32_e32 v26, 1.0, v26
	s_delay_alu instid0(VALU_DEP_1)
	v_add_f32_e32 v23, v23, v26
	s_wait_alu 0xf1ff
	v_subrev_co_ci_u32_e64 v22, null, 0, v22, s1
	s_mov_b32 s1, 0x3e9b6dac
	v_sub_nc_u32_e32 v25, 0, v22
	v_cvt_f32_i32_e32 v22, v22
	s_delay_alu instid0(VALU_DEP_2) | instskip(SKIP_1) | instid1(VALU_DEP_2)
	v_ldexp_f32 v24, v24, v25
	v_ldexp_f32 v23, v23, v25
	v_add_f32_e32 v27, 1.0, v24
	s_delay_alu instid0(VALU_DEP_1) | instskip(NEXT) | instid1(VALU_DEP_1)
	v_dual_add_f32 v25, -1.0, v24 :: v_dual_add_f32 v26, -1.0, v27
	v_add_f32_e32 v28, 1.0, v25
	s_delay_alu instid0(VALU_DEP_2) | instskip(NEXT) | instid1(VALU_DEP_2)
	v_sub_f32_e32 v26, v24, v26
	v_sub_f32_e32 v24, v24, v28
	s_delay_alu instid0(VALU_DEP_2) | instskip(NEXT) | instid1(VALU_DEP_2)
	v_add_f32_e32 v26, v23, v26
	v_add_f32_e32 v23, v23, v24
	s_delay_alu instid0(VALU_DEP_1) | instskip(NEXT) | instid1(VALU_DEP_1)
	v_dual_add_f32 v29, v25, v23 :: v_dual_add_f32 v28, v27, v26
	v_sub_f32_e32 v25, v25, v29
	s_delay_alu instid0(VALU_DEP_2) | instskip(SKIP_1) | instid1(VALU_DEP_1)
	v_rcp_f32_e32 v24, v28
	v_sub_f32_e32 v27, v27, v28
	v_dual_add_f32 v23, v23, v25 :: v_dual_add_f32 v26, v26, v27
	s_delay_alu instid0(TRANS32_DEP_1) | instskip(NEXT) | instid1(VALU_DEP_1)
	v_mul_f32_e32 v30, v29, v24
	v_mul_f32_e32 v31, v28, v30
	s_delay_alu instid0(VALU_DEP_1) | instskip(NEXT) | instid1(VALU_DEP_1)
	v_fma_f32 v27, v30, v28, -v31
	v_fmac_f32_e32 v27, v30, v26
	s_delay_alu instid0(VALU_DEP_1) | instskip(NEXT) | instid1(VALU_DEP_1)
	v_add_f32_e32 v32, v31, v27
	v_sub_f32_e32 v33, v29, v32
	v_sub_f32_e32 v25, v32, v31
	s_delay_alu instid0(VALU_DEP_2) | instskip(NEXT) | instid1(VALU_DEP_2)
	v_sub_f32_e32 v29, v29, v33
	v_sub_f32_e32 v25, v25, v27
	s_delay_alu instid0(VALU_DEP_2) | instskip(NEXT) | instid1(VALU_DEP_1)
	v_sub_f32_e32 v29, v29, v32
	v_add_f32_e32 v23, v23, v29
	s_delay_alu instid0(VALU_DEP_1) | instskip(NEXT) | instid1(VALU_DEP_1)
	v_add_f32_e32 v23, v25, v23
	v_add_f32_e32 v25, v33, v23
	s_delay_alu instid0(VALU_DEP_1) | instskip(NEXT) | instid1(VALU_DEP_1)
	v_mul_f32_e32 v27, v24, v25
	v_dual_sub_f32 v32, v33, v25 :: v_dual_mul_f32 v29, v28, v27
	s_delay_alu instid0(VALU_DEP_1) | instskip(NEXT) | instid1(VALU_DEP_2)
	v_add_f32_e32 v23, v23, v32
	v_fma_f32 v28, v27, v28, -v29
	s_delay_alu instid0(VALU_DEP_1) | instskip(NEXT) | instid1(VALU_DEP_1)
	v_fmac_f32_e32 v28, v27, v26
	v_add_f32_e32 v26, v29, v28
	s_delay_alu instid0(VALU_DEP_1) | instskip(NEXT) | instid1(VALU_DEP_1)
	v_sub_f32_e32 v31, v25, v26
	v_sub_f32_e32 v25, v25, v31
	s_delay_alu instid0(VALU_DEP_1) | instskip(NEXT) | instid1(VALU_DEP_1)
	v_sub_f32_e32 v25, v25, v26
	v_add_f32_e32 v23, v23, v25
	v_add_f32_e32 v25, v30, v27
	v_sub_f32_e32 v29, v26, v29
	s_delay_alu instid0(VALU_DEP_1) | instskip(NEXT) | instid1(VALU_DEP_1)
	v_sub_f32_e32 v26, v29, v28
	v_dual_add_f32 v23, v26, v23 :: v_dual_sub_f32 v26, v25, v30
	s_delay_alu instid0(VALU_DEP_1) | instskip(NEXT) | instid1(VALU_DEP_1)
	v_add_f32_e32 v23, v31, v23
	v_dual_sub_f32 v26, v27, v26 :: v_dual_mul_f32 v23, v24, v23
	s_delay_alu instid0(VALU_DEP_1) | instskip(NEXT) | instid1(VALU_DEP_1)
	v_add_f32_e32 v23, v26, v23
	v_add_f32_e32 v24, v25, v23
	s_delay_alu instid0(VALU_DEP_1) | instskip(SKIP_1) | instid1(VALU_DEP_1)
	v_mul_f32_e32 v26, v24, v24
	s_wait_alu 0xfffe
	v_fmaak_f32 v27, s1, v26, 0x3ecc95a3
	v_mul_f32_e32 v28, v24, v26
	v_cmp_neq_f32_e64 s1, 0x7f800000, v20
	s_delay_alu instid0(VALU_DEP_3) | instskip(SKIP_2) | instid1(VALU_DEP_3)
	v_fmaak_f32 v26, v26, v27, 0x3f2aaada
	v_ldexp_f32 v27, v24, 1
	v_sub_f32_e32 v24, v24, v25
	v_mul_f32_e32 v26, v28, v26
	s_delay_alu instid0(VALU_DEP_2) | instskip(NEXT) | instid1(VALU_DEP_2)
	v_dual_mul_f32 v28, 0x3f317218, v22 :: v_dual_sub_f32 v23, v23, v24
	v_add_f32_e32 v25, v27, v26
	s_delay_alu instid0(VALU_DEP_2) | instskip(NEXT) | instid1(VALU_DEP_2)
	v_ldexp_f32 v23, v23, 1
	v_sub_f32_e32 v24, v25, v27
	s_delay_alu instid0(VALU_DEP_4) | instskip(NEXT) | instid1(VALU_DEP_2)
	v_fma_f32 v27, 0x3f317218, v22, -v28
	v_sub_f32_e32 v24, v26, v24
	s_delay_alu instid0(VALU_DEP_1) | instskip(NEXT) | instid1(VALU_DEP_1)
	v_dual_fmamk_f32 v22, v22, 0xb102e308, v27 :: v_dual_add_f32 v23, v23, v24
	v_add_f32_e32 v24, v28, v22
	s_delay_alu instid0(VALU_DEP_1) | instskip(NEXT) | instid1(VALU_DEP_1)
	v_sub_f32_e32 v28, v24, v28
	v_sub_f32_e32 v22, v22, v28
	s_delay_alu instid0(VALU_DEP_4) | instskip(NEXT) | instid1(VALU_DEP_1)
	v_add_f32_e32 v26, v25, v23
	v_sub_f32_e32 v25, v26, v25
	s_delay_alu instid0(VALU_DEP_1) | instskip(SKIP_1) | instid1(VALU_DEP_1)
	v_sub_f32_e32 v23, v23, v25
	v_add_f32_e32 v27, v24, v26
	v_sub_f32_e32 v29, v27, v24
	s_delay_alu instid0(VALU_DEP_1) | instskip(NEXT) | instid1(VALU_DEP_4)
	v_sub_f32_e32 v25, v26, v29
	v_add_f32_e32 v26, v22, v23
	v_sub_f32_e32 v30, v27, v29
	s_delay_alu instid0(VALU_DEP_1) | instskip(NEXT) | instid1(VALU_DEP_1)
	v_sub_f32_e32 v24, v24, v30
	v_dual_add_f32 v24, v25, v24 :: v_dual_sub_f32 v25, v26, v22
	s_delay_alu instid0(VALU_DEP_1) | instskip(SKIP_1) | instid1(VALU_DEP_2)
	v_dual_add_f32 v24, v26, v24 :: v_dual_sub_f32 v23, v23, v25
	v_sub_f32_e32 v26, v26, v25
	v_add_f32_e32 v28, v27, v24
	s_delay_alu instid0(VALU_DEP_1) | instskip(NEXT) | instid1(VALU_DEP_1)
	v_dual_sub_f32 v22, v22, v26 :: v_dual_sub_f32 v25, v28, v27
	v_dual_add_f32 v22, v23, v22 :: v_dual_sub_f32 v23, v24, v25
	s_delay_alu instid0(VALU_DEP_1) | instskip(NEXT) | instid1(VALU_DEP_1)
	v_add_f32_e32 v22, v22, v23
	v_add_f32_e32 v22, v28, v22
	s_wait_alu 0xf1ff
	s_delay_alu instid0(VALU_DEP_1) | instskip(SKIP_2) | instid1(VALU_DEP_1)
	v_cndmask_b32_e64 v22, 0x7f800000, v22, s1
	v_cmp_gt_f32_e64 s1, 0x33800000, |v20|
	s_wait_alu 0xf1ff
	v_cndmask_b32_e64 v20, v22, v20, s1
	s_delay_alu instid0(VALU_DEP_1) | instskip(NEXT) | instid1(VALU_DEP_1)
	v_add_f32_e32 v20, v21, v20
	v_cvt_f16_f32_e32 v22, v20
	s_delay_alu instid0(VALU_DEP_1)
	v_cvt_f32_f16_e32 v20, v22
.LBB430_55:
	s_or_b32 exec_lo, exec_lo, s28
	ds_load_u16 v21, v17 offset:10
	v_max_num_f32_e32 v23, v20, v20
	v_cmp_u_f16_e64 s1, v22, v22
	s_wait_dscnt 0x0
	v_cvt_f32_f16_e32 v24, v21
	s_delay_alu instid0(VALU_DEP_1) | instskip(SKIP_2) | instid1(VALU_DEP_2)
	v_min_num_f32_e32 v25, v23, v24
	v_max_num_f32_e32 v23, v23, v24
	s_wait_alu 0xf1ff
	v_cndmask_b32_e64 v25, v25, v20, s1
	s_delay_alu instid0(VALU_DEP_2) | instskip(SKIP_2) | instid1(VALU_DEP_1)
	v_cndmask_b32_e64 v26, v23, v20, s1
	v_cmp_u_f16_e64 s1, v21, v21
	s_wait_alu 0xf1ff
	v_cndmask_b32_e64 v23, v25, v24, s1
	s_delay_alu instid0(VALU_DEP_3) | instskip(NEXT) | instid1(VALU_DEP_2)
	v_cndmask_b32_e64 v21, v26, v24, s1
	v_cmp_class_f32_e64 s28, v23, 0x1f8
	s_delay_alu instid0(VALU_DEP_2)
	v_cmp_neq_f32_e64 s1, v23, v21
	s_or_b32 s1, s1, s28
	s_wait_alu 0xfffe
	s_and_saveexec_b32 s28, s1
	s_cbranch_execz .LBB430_57
; %bb.56:
	v_sub_f32_e32 v20, v23, v21
	s_delay_alu instid0(VALU_DEP_1) | instskip(SKIP_1) | instid1(VALU_DEP_2)
	v_mul_f32_e32 v22, 0x3fb8aa3b, v20
	v_cmp_ngt_f32_e64 s1, 0xc2ce8ed0, v20
	v_fma_f32 v23, 0x3fb8aa3b, v20, -v22
	v_rndne_f32_e32 v24, v22
	s_delay_alu instid0(VALU_DEP_1) | instskip(NEXT) | instid1(VALU_DEP_1)
	v_dual_fmamk_f32 v23, v20, 0x32a5705f, v23 :: v_dual_sub_f32 v22, v22, v24
	v_add_f32_e32 v22, v22, v23
	v_cvt_i32_f32_e32 v23, v24
	s_delay_alu instid0(VALU_DEP_2) | instskip(NEXT) | instid1(TRANS32_DEP_1)
	v_exp_f32_e32 v22, v22
	v_ldexp_f32 v22, v22, v23
	s_wait_alu 0xf1ff
	s_delay_alu instid0(VALU_DEP_1) | instskip(SKIP_2) | instid1(VALU_DEP_1)
	v_cndmask_b32_e64 v22, 0, v22, s1
	v_cmp_nlt_f32_e64 s1, 0x42b17218, v20
	s_wait_alu 0xf1ff
	v_cndmask_b32_e64 v20, 0x7f800000, v22, s1
	s_delay_alu instid0(VALU_DEP_1) | instskip(NEXT) | instid1(VALU_DEP_1)
	v_add_f32_e32 v24, 1.0, v20
	v_cvt_f64_f32_e32 v[22:23], v24
	s_delay_alu instid0(VALU_DEP_1) | instskip(SKIP_1) | instid1(VALU_DEP_1)
	v_frexp_exp_i32_f64_e32 v22, v[22:23]
	v_frexp_mant_f32_e32 v23, v24
	v_cmp_gt_f32_e64 s1, 0x3f2aaaab, v23
	v_add_f32_e32 v23, -1.0, v24
	s_delay_alu instid0(VALU_DEP_1) | instskip(NEXT) | instid1(VALU_DEP_1)
	v_dual_sub_f32 v26, v23, v24 :: v_dual_sub_f32 v23, v20, v23
	v_add_f32_e32 v26, 1.0, v26
	s_delay_alu instid0(VALU_DEP_1)
	v_add_f32_e32 v23, v23, v26
	s_wait_alu 0xf1ff
	v_subrev_co_ci_u32_e64 v22, null, 0, v22, s1
	s_mov_b32 s1, 0x3e9b6dac
	v_sub_nc_u32_e32 v25, 0, v22
	v_cvt_f32_i32_e32 v22, v22
	s_delay_alu instid0(VALU_DEP_2) | instskip(SKIP_1) | instid1(VALU_DEP_2)
	v_ldexp_f32 v24, v24, v25
	v_ldexp_f32 v23, v23, v25
	v_add_f32_e32 v27, 1.0, v24
	s_delay_alu instid0(VALU_DEP_1) | instskip(NEXT) | instid1(VALU_DEP_1)
	v_dual_add_f32 v25, -1.0, v24 :: v_dual_add_f32 v26, -1.0, v27
	v_add_f32_e32 v28, 1.0, v25
	s_delay_alu instid0(VALU_DEP_2) | instskip(NEXT) | instid1(VALU_DEP_2)
	v_sub_f32_e32 v26, v24, v26
	v_sub_f32_e32 v24, v24, v28
	s_delay_alu instid0(VALU_DEP_2) | instskip(NEXT) | instid1(VALU_DEP_2)
	v_add_f32_e32 v26, v23, v26
	v_add_f32_e32 v23, v23, v24
	s_delay_alu instid0(VALU_DEP_1) | instskip(NEXT) | instid1(VALU_DEP_1)
	v_dual_add_f32 v29, v25, v23 :: v_dual_add_f32 v28, v27, v26
	v_sub_f32_e32 v25, v25, v29
	s_delay_alu instid0(VALU_DEP_2) | instskip(SKIP_1) | instid1(VALU_DEP_1)
	v_rcp_f32_e32 v24, v28
	v_sub_f32_e32 v27, v27, v28
	v_dual_add_f32 v23, v23, v25 :: v_dual_add_f32 v26, v26, v27
	s_delay_alu instid0(TRANS32_DEP_1) | instskip(NEXT) | instid1(VALU_DEP_1)
	v_mul_f32_e32 v30, v29, v24
	v_mul_f32_e32 v31, v28, v30
	s_delay_alu instid0(VALU_DEP_1) | instskip(NEXT) | instid1(VALU_DEP_1)
	v_fma_f32 v27, v30, v28, -v31
	v_fmac_f32_e32 v27, v30, v26
	s_delay_alu instid0(VALU_DEP_1) | instskip(NEXT) | instid1(VALU_DEP_1)
	v_add_f32_e32 v32, v31, v27
	v_sub_f32_e32 v33, v29, v32
	v_sub_f32_e32 v25, v32, v31
	s_delay_alu instid0(VALU_DEP_2) | instskip(NEXT) | instid1(VALU_DEP_2)
	v_sub_f32_e32 v29, v29, v33
	v_sub_f32_e32 v25, v25, v27
	s_delay_alu instid0(VALU_DEP_2) | instskip(NEXT) | instid1(VALU_DEP_1)
	v_sub_f32_e32 v29, v29, v32
	v_add_f32_e32 v23, v23, v29
	s_delay_alu instid0(VALU_DEP_1) | instskip(NEXT) | instid1(VALU_DEP_1)
	v_add_f32_e32 v23, v25, v23
	v_add_f32_e32 v25, v33, v23
	s_delay_alu instid0(VALU_DEP_1) | instskip(NEXT) | instid1(VALU_DEP_1)
	v_mul_f32_e32 v27, v24, v25
	v_dual_sub_f32 v32, v33, v25 :: v_dual_mul_f32 v29, v28, v27
	s_delay_alu instid0(VALU_DEP_1) | instskip(NEXT) | instid1(VALU_DEP_2)
	v_add_f32_e32 v23, v23, v32
	v_fma_f32 v28, v27, v28, -v29
	s_delay_alu instid0(VALU_DEP_1) | instskip(NEXT) | instid1(VALU_DEP_1)
	v_fmac_f32_e32 v28, v27, v26
	v_add_f32_e32 v26, v29, v28
	s_delay_alu instid0(VALU_DEP_1) | instskip(NEXT) | instid1(VALU_DEP_1)
	v_sub_f32_e32 v31, v25, v26
	v_sub_f32_e32 v25, v25, v31
	s_delay_alu instid0(VALU_DEP_1) | instskip(NEXT) | instid1(VALU_DEP_1)
	v_sub_f32_e32 v25, v25, v26
	v_add_f32_e32 v23, v23, v25
	v_add_f32_e32 v25, v30, v27
	v_sub_f32_e32 v29, v26, v29
	s_delay_alu instid0(VALU_DEP_1) | instskip(NEXT) | instid1(VALU_DEP_1)
	v_sub_f32_e32 v26, v29, v28
	v_dual_add_f32 v23, v26, v23 :: v_dual_sub_f32 v26, v25, v30
	s_delay_alu instid0(VALU_DEP_1) | instskip(NEXT) | instid1(VALU_DEP_1)
	v_add_f32_e32 v23, v31, v23
	v_dual_sub_f32 v26, v27, v26 :: v_dual_mul_f32 v23, v24, v23
	s_delay_alu instid0(VALU_DEP_1) | instskip(NEXT) | instid1(VALU_DEP_1)
	v_add_f32_e32 v23, v26, v23
	v_add_f32_e32 v24, v25, v23
	s_delay_alu instid0(VALU_DEP_1) | instskip(SKIP_1) | instid1(VALU_DEP_1)
	v_mul_f32_e32 v26, v24, v24
	s_wait_alu 0xfffe
	v_fmaak_f32 v27, s1, v26, 0x3ecc95a3
	v_mul_f32_e32 v28, v24, v26
	v_cmp_neq_f32_e64 s1, 0x7f800000, v20
	s_delay_alu instid0(VALU_DEP_3) | instskip(SKIP_2) | instid1(VALU_DEP_3)
	v_fmaak_f32 v26, v26, v27, 0x3f2aaada
	v_ldexp_f32 v27, v24, 1
	v_sub_f32_e32 v24, v24, v25
	v_mul_f32_e32 v26, v28, v26
	s_delay_alu instid0(VALU_DEP_2) | instskip(NEXT) | instid1(VALU_DEP_2)
	v_dual_mul_f32 v28, 0x3f317218, v22 :: v_dual_sub_f32 v23, v23, v24
	v_add_f32_e32 v25, v27, v26
	s_delay_alu instid0(VALU_DEP_2) | instskip(NEXT) | instid1(VALU_DEP_2)
	v_ldexp_f32 v23, v23, 1
	v_sub_f32_e32 v24, v25, v27
	s_delay_alu instid0(VALU_DEP_4) | instskip(NEXT) | instid1(VALU_DEP_2)
	v_fma_f32 v27, 0x3f317218, v22, -v28
	v_sub_f32_e32 v24, v26, v24
	s_delay_alu instid0(VALU_DEP_1) | instskip(NEXT) | instid1(VALU_DEP_1)
	v_dual_fmamk_f32 v22, v22, 0xb102e308, v27 :: v_dual_add_f32 v23, v23, v24
	v_add_f32_e32 v24, v28, v22
	s_delay_alu instid0(VALU_DEP_1) | instskip(NEXT) | instid1(VALU_DEP_1)
	v_sub_f32_e32 v28, v24, v28
	v_sub_f32_e32 v22, v22, v28
	s_delay_alu instid0(VALU_DEP_4) | instskip(NEXT) | instid1(VALU_DEP_1)
	v_add_f32_e32 v26, v25, v23
	v_sub_f32_e32 v25, v26, v25
	s_delay_alu instid0(VALU_DEP_1) | instskip(SKIP_1) | instid1(VALU_DEP_1)
	v_sub_f32_e32 v23, v23, v25
	v_add_f32_e32 v27, v24, v26
	v_sub_f32_e32 v29, v27, v24
	s_delay_alu instid0(VALU_DEP_1) | instskip(NEXT) | instid1(VALU_DEP_4)
	v_sub_f32_e32 v25, v26, v29
	v_add_f32_e32 v26, v22, v23
	v_sub_f32_e32 v30, v27, v29
	s_delay_alu instid0(VALU_DEP_1) | instskip(NEXT) | instid1(VALU_DEP_1)
	v_sub_f32_e32 v24, v24, v30
	v_dual_add_f32 v24, v25, v24 :: v_dual_sub_f32 v25, v26, v22
	s_delay_alu instid0(VALU_DEP_1) | instskip(SKIP_1) | instid1(VALU_DEP_2)
	v_dual_add_f32 v24, v26, v24 :: v_dual_sub_f32 v23, v23, v25
	v_sub_f32_e32 v26, v26, v25
	v_add_f32_e32 v28, v27, v24
	s_delay_alu instid0(VALU_DEP_1) | instskip(NEXT) | instid1(VALU_DEP_1)
	v_dual_sub_f32 v22, v22, v26 :: v_dual_sub_f32 v25, v28, v27
	v_dual_add_f32 v22, v23, v22 :: v_dual_sub_f32 v23, v24, v25
	s_delay_alu instid0(VALU_DEP_1) | instskip(NEXT) | instid1(VALU_DEP_1)
	v_add_f32_e32 v22, v22, v23
	v_add_f32_e32 v22, v28, v22
	s_wait_alu 0xf1ff
	s_delay_alu instid0(VALU_DEP_1) | instskip(SKIP_2) | instid1(VALU_DEP_1)
	v_cndmask_b32_e64 v22, 0x7f800000, v22, s1
	v_cmp_gt_f32_e64 s1, 0x33800000, |v20|
	s_wait_alu 0xf1ff
	v_cndmask_b32_e64 v20, v22, v20, s1
	s_delay_alu instid0(VALU_DEP_1) | instskip(NEXT) | instid1(VALU_DEP_1)
	v_add_f32_e32 v20, v21, v20
	v_cvt_f16_f32_e32 v22, v20
	s_delay_alu instid0(VALU_DEP_1)
	v_cvt_f32_f16_e32 v20, v22
.LBB430_57:
	s_or_b32 exec_lo, exec_lo, s28
	ds_load_u16 v21, v17 offset:12
	v_max_num_f32_e32 v23, v20, v20
	v_cmp_u_f16_e64 s1, v22, v22
	s_wait_dscnt 0x0
	v_cvt_f32_f16_e32 v24, v21
	s_delay_alu instid0(VALU_DEP_1) | instskip(SKIP_2) | instid1(VALU_DEP_2)
	v_min_num_f32_e32 v25, v23, v24
	v_max_num_f32_e32 v23, v23, v24
	s_wait_alu 0xf1ff
	v_cndmask_b32_e64 v25, v25, v20, s1
	s_delay_alu instid0(VALU_DEP_2) | instskip(SKIP_2) | instid1(VALU_DEP_1)
	v_cndmask_b32_e64 v26, v23, v20, s1
	v_cmp_u_f16_e64 s1, v21, v21
	s_wait_alu 0xf1ff
	v_cndmask_b32_e64 v23, v25, v24, s1
	s_delay_alu instid0(VALU_DEP_3) | instskip(NEXT) | instid1(VALU_DEP_2)
	v_cndmask_b32_e64 v21, v26, v24, s1
	v_cmp_class_f32_e64 s28, v23, 0x1f8
	s_delay_alu instid0(VALU_DEP_2)
	v_cmp_neq_f32_e64 s1, v23, v21
	s_or_b32 s1, s1, s28
	s_wait_alu 0xfffe
	s_and_saveexec_b32 s28, s1
	s_cbranch_execz .LBB430_59
; %bb.58:
	v_sub_f32_e32 v20, v23, v21
	s_delay_alu instid0(VALU_DEP_1) | instskip(SKIP_1) | instid1(VALU_DEP_2)
	v_mul_f32_e32 v22, 0x3fb8aa3b, v20
	v_cmp_ngt_f32_e64 s1, 0xc2ce8ed0, v20
	v_fma_f32 v23, 0x3fb8aa3b, v20, -v22
	v_rndne_f32_e32 v24, v22
	s_delay_alu instid0(VALU_DEP_1) | instskip(NEXT) | instid1(VALU_DEP_1)
	v_dual_fmamk_f32 v23, v20, 0x32a5705f, v23 :: v_dual_sub_f32 v22, v22, v24
	v_add_f32_e32 v22, v22, v23
	v_cvt_i32_f32_e32 v23, v24
	s_delay_alu instid0(VALU_DEP_2) | instskip(NEXT) | instid1(TRANS32_DEP_1)
	v_exp_f32_e32 v22, v22
	v_ldexp_f32 v22, v22, v23
	s_wait_alu 0xf1ff
	s_delay_alu instid0(VALU_DEP_1) | instskip(SKIP_2) | instid1(VALU_DEP_1)
	v_cndmask_b32_e64 v22, 0, v22, s1
	v_cmp_nlt_f32_e64 s1, 0x42b17218, v20
	s_wait_alu 0xf1ff
	v_cndmask_b32_e64 v20, 0x7f800000, v22, s1
	s_delay_alu instid0(VALU_DEP_1) | instskip(NEXT) | instid1(VALU_DEP_1)
	v_add_f32_e32 v24, 1.0, v20
	v_cvt_f64_f32_e32 v[22:23], v24
	s_delay_alu instid0(VALU_DEP_1) | instskip(SKIP_1) | instid1(VALU_DEP_1)
	v_frexp_exp_i32_f64_e32 v22, v[22:23]
	v_frexp_mant_f32_e32 v23, v24
	v_cmp_gt_f32_e64 s1, 0x3f2aaaab, v23
	v_add_f32_e32 v23, -1.0, v24
	s_delay_alu instid0(VALU_DEP_1) | instskip(NEXT) | instid1(VALU_DEP_1)
	v_dual_sub_f32 v26, v23, v24 :: v_dual_sub_f32 v23, v20, v23
	v_add_f32_e32 v26, 1.0, v26
	s_delay_alu instid0(VALU_DEP_1)
	v_add_f32_e32 v23, v23, v26
	s_wait_alu 0xf1ff
	v_subrev_co_ci_u32_e64 v22, null, 0, v22, s1
	s_mov_b32 s1, 0x3e9b6dac
	v_sub_nc_u32_e32 v25, 0, v22
	v_cvt_f32_i32_e32 v22, v22
	s_delay_alu instid0(VALU_DEP_2) | instskip(SKIP_1) | instid1(VALU_DEP_2)
	v_ldexp_f32 v24, v24, v25
	v_ldexp_f32 v23, v23, v25
	v_add_f32_e32 v27, 1.0, v24
	s_delay_alu instid0(VALU_DEP_1) | instskip(NEXT) | instid1(VALU_DEP_1)
	v_dual_add_f32 v25, -1.0, v24 :: v_dual_add_f32 v26, -1.0, v27
	v_add_f32_e32 v28, 1.0, v25
	s_delay_alu instid0(VALU_DEP_2) | instskip(NEXT) | instid1(VALU_DEP_2)
	v_sub_f32_e32 v26, v24, v26
	v_sub_f32_e32 v24, v24, v28
	s_delay_alu instid0(VALU_DEP_2) | instskip(NEXT) | instid1(VALU_DEP_2)
	v_add_f32_e32 v26, v23, v26
	v_add_f32_e32 v23, v23, v24
	s_delay_alu instid0(VALU_DEP_1) | instskip(NEXT) | instid1(VALU_DEP_1)
	v_dual_add_f32 v29, v25, v23 :: v_dual_add_f32 v28, v27, v26
	v_sub_f32_e32 v25, v25, v29
	s_delay_alu instid0(VALU_DEP_2) | instskip(SKIP_1) | instid1(VALU_DEP_1)
	v_rcp_f32_e32 v24, v28
	v_sub_f32_e32 v27, v27, v28
	v_dual_add_f32 v23, v23, v25 :: v_dual_add_f32 v26, v26, v27
	s_delay_alu instid0(TRANS32_DEP_1) | instskip(NEXT) | instid1(VALU_DEP_1)
	v_mul_f32_e32 v30, v29, v24
	v_mul_f32_e32 v31, v28, v30
	s_delay_alu instid0(VALU_DEP_1) | instskip(NEXT) | instid1(VALU_DEP_1)
	v_fma_f32 v27, v30, v28, -v31
	v_fmac_f32_e32 v27, v30, v26
	s_delay_alu instid0(VALU_DEP_1) | instskip(NEXT) | instid1(VALU_DEP_1)
	v_add_f32_e32 v32, v31, v27
	v_sub_f32_e32 v33, v29, v32
	v_sub_f32_e32 v25, v32, v31
	s_delay_alu instid0(VALU_DEP_2) | instskip(NEXT) | instid1(VALU_DEP_2)
	v_sub_f32_e32 v29, v29, v33
	v_sub_f32_e32 v25, v25, v27
	s_delay_alu instid0(VALU_DEP_2) | instskip(NEXT) | instid1(VALU_DEP_1)
	v_sub_f32_e32 v29, v29, v32
	v_add_f32_e32 v23, v23, v29
	s_delay_alu instid0(VALU_DEP_1) | instskip(NEXT) | instid1(VALU_DEP_1)
	v_add_f32_e32 v23, v25, v23
	v_add_f32_e32 v25, v33, v23
	s_delay_alu instid0(VALU_DEP_1) | instskip(NEXT) | instid1(VALU_DEP_1)
	v_mul_f32_e32 v27, v24, v25
	v_dual_sub_f32 v32, v33, v25 :: v_dual_mul_f32 v29, v28, v27
	s_delay_alu instid0(VALU_DEP_1) | instskip(NEXT) | instid1(VALU_DEP_2)
	v_add_f32_e32 v23, v23, v32
	v_fma_f32 v28, v27, v28, -v29
	s_delay_alu instid0(VALU_DEP_1) | instskip(NEXT) | instid1(VALU_DEP_1)
	v_fmac_f32_e32 v28, v27, v26
	v_add_f32_e32 v26, v29, v28
	s_delay_alu instid0(VALU_DEP_1) | instskip(NEXT) | instid1(VALU_DEP_1)
	v_sub_f32_e32 v31, v25, v26
	v_sub_f32_e32 v25, v25, v31
	s_delay_alu instid0(VALU_DEP_1) | instskip(NEXT) | instid1(VALU_DEP_1)
	v_sub_f32_e32 v25, v25, v26
	v_add_f32_e32 v23, v23, v25
	v_add_f32_e32 v25, v30, v27
	v_sub_f32_e32 v29, v26, v29
	s_delay_alu instid0(VALU_DEP_1) | instskip(NEXT) | instid1(VALU_DEP_1)
	v_sub_f32_e32 v26, v29, v28
	v_dual_add_f32 v23, v26, v23 :: v_dual_sub_f32 v26, v25, v30
	s_delay_alu instid0(VALU_DEP_1) | instskip(NEXT) | instid1(VALU_DEP_1)
	v_add_f32_e32 v23, v31, v23
	v_dual_sub_f32 v26, v27, v26 :: v_dual_mul_f32 v23, v24, v23
	s_delay_alu instid0(VALU_DEP_1) | instskip(NEXT) | instid1(VALU_DEP_1)
	v_add_f32_e32 v23, v26, v23
	v_add_f32_e32 v24, v25, v23
	s_delay_alu instid0(VALU_DEP_1) | instskip(SKIP_1) | instid1(VALU_DEP_1)
	v_mul_f32_e32 v26, v24, v24
	s_wait_alu 0xfffe
	v_fmaak_f32 v27, s1, v26, 0x3ecc95a3
	v_mul_f32_e32 v28, v24, v26
	v_cmp_neq_f32_e64 s1, 0x7f800000, v20
	s_delay_alu instid0(VALU_DEP_3) | instskip(SKIP_2) | instid1(VALU_DEP_3)
	v_fmaak_f32 v26, v26, v27, 0x3f2aaada
	v_ldexp_f32 v27, v24, 1
	v_sub_f32_e32 v24, v24, v25
	v_mul_f32_e32 v26, v28, v26
	s_delay_alu instid0(VALU_DEP_2) | instskip(NEXT) | instid1(VALU_DEP_2)
	v_dual_mul_f32 v28, 0x3f317218, v22 :: v_dual_sub_f32 v23, v23, v24
	v_add_f32_e32 v25, v27, v26
	s_delay_alu instid0(VALU_DEP_2) | instskip(NEXT) | instid1(VALU_DEP_2)
	v_ldexp_f32 v23, v23, 1
	v_sub_f32_e32 v24, v25, v27
	s_delay_alu instid0(VALU_DEP_4) | instskip(NEXT) | instid1(VALU_DEP_2)
	v_fma_f32 v27, 0x3f317218, v22, -v28
	v_sub_f32_e32 v24, v26, v24
	s_delay_alu instid0(VALU_DEP_1) | instskip(NEXT) | instid1(VALU_DEP_1)
	v_dual_fmamk_f32 v22, v22, 0xb102e308, v27 :: v_dual_add_f32 v23, v23, v24
	v_add_f32_e32 v24, v28, v22
	s_delay_alu instid0(VALU_DEP_1) | instskip(NEXT) | instid1(VALU_DEP_1)
	v_sub_f32_e32 v28, v24, v28
	v_sub_f32_e32 v22, v22, v28
	s_delay_alu instid0(VALU_DEP_4) | instskip(NEXT) | instid1(VALU_DEP_1)
	v_add_f32_e32 v26, v25, v23
	v_sub_f32_e32 v25, v26, v25
	s_delay_alu instid0(VALU_DEP_1) | instskip(SKIP_1) | instid1(VALU_DEP_1)
	v_sub_f32_e32 v23, v23, v25
	v_add_f32_e32 v27, v24, v26
	v_sub_f32_e32 v29, v27, v24
	s_delay_alu instid0(VALU_DEP_1) | instskip(NEXT) | instid1(VALU_DEP_4)
	v_sub_f32_e32 v25, v26, v29
	v_add_f32_e32 v26, v22, v23
	v_sub_f32_e32 v30, v27, v29
	s_delay_alu instid0(VALU_DEP_1) | instskip(NEXT) | instid1(VALU_DEP_1)
	v_sub_f32_e32 v24, v24, v30
	v_dual_add_f32 v24, v25, v24 :: v_dual_sub_f32 v25, v26, v22
	s_delay_alu instid0(VALU_DEP_1) | instskip(SKIP_1) | instid1(VALU_DEP_2)
	v_dual_add_f32 v24, v26, v24 :: v_dual_sub_f32 v23, v23, v25
	v_sub_f32_e32 v26, v26, v25
	v_add_f32_e32 v28, v27, v24
	s_delay_alu instid0(VALU_DEP_1) | instskip(NEXT) | instid1(VALU_DEP_1)
	v_dual_sub_f32 v22, v22, v26 :: v_dual_sub_f32 v25, v28, v27
	v_dual_add_f32 v22, v23, v22 :: v_dual_sub_f32 v23, v24, v25
	s_delay_alu instid0(VALU_DEP_1) | instskip(NEXT) | instid1(VALU_DEP_1)
	v_add_f32_e32 v22, v22, v23
	v_add_f32_e32 v22, v28, v22
	s_wait_alu 0xf1ff
	s_delay_alu instid0(VALU_DEP_1) | instskip(SKIP_2) | instid1(VALU_DEP_1)
	v_cndmask_b32_e64 v22, 0x7f800000, v22, s1
	v_cmp_gt_f32_e64 s1, 0x33800000, |v20|
	s_wait_alu 0xf1ff
	v_cndmask_b32_e64 v20, v22, v20, s1
	s_delay_alu instid0(VALU_DEP_1) | instskip(NEXT) | instid1(VALU_DEP_1)
	v_add_f32_e32 v20, v21, v20
	v_cvt_f16_f32_e32 v22, v20
	s_delay_alu instid0(VALU_DEP_1)
	v_cvt_f32_f16_e32 v20, v22
.LBB430_59:
	s_or_b32 exec_lo, exec_lo, s28
	ds_load_u16 v21, v17 offset:14
	v_max_num_f32_e32 v23, v20, v20
	v_cmp_u_f16_e64 s1, v22, v22
	s_wait_dscnt 0x0
	v_cvt_f32_f16_e32 v24, v21
	s_delay_alu instid0(VALU_DEP_1) | instskip(SKIP_2) | instid1(VALU_DEP_2)
	v_min_num_f32_e32 v25, v23, v24
	v_max_num_f32_e32 v23, v23, v24
	s_wait_alu 0xf1ff
	v_cndmask_b32_e64 v25, v25, v20, s1
	s_delay_alu instid0(VALU_DEP_2) | instskip(SKIP_2) | instid1(VALU_DEP_1)
	v_cndmask_b32_e64 v20, v23, v20, s1
	v_cmp_u_f16_e64 s1, v21, v21
	s_wait_alu 0xf1ff
	v_cndmask_b32_e64 v21, v25, v24, s1
	s_delay_alu instid0(VALU_DEP_3) | instskip(NEXT) | instid1(VALU_DEP_2)
	v_cndmask_b32_e64 v20, v20, v24, s1
	v_cmp_class_f32_e64 s28, v21, 0x1f8
	s_delay_alu instid0(VALU_DEP_2)
	v_cmp_neq_f32_e64 s1, v21, v20
	s_or_b32 s1, s1, s28
	s_wait_alu 0xfffe
	s_and_saveexec_b32 s28, s1
	s_cbranch_execz .LBB430_61
; %bb.60:
	v_sub_f32_e32 v21, v21, v20
	s_delay_alu instid0(VALU_DEP_1) | instskip(NEXT) | instid1(VALU_DEP_1)
	v_mul_f32_e32 v22, 0x3fb8aa3b, v21
	v_fma_f32 v23, 0x3fb8aa3b, v21, -v22
	v_rndne_f32_e32 v24, v22
	s_delay_alu instid0(VALU_DEP_1) | instskip(NEXT) | instid1(VALU_DEP_1)
	v_dual_fmamk_f32 v23, v21, 0x32a5705f, v23 :: v_dual_sub_f32 v22, v22, v24
	v_add_f32_e32 v22, v22, v23
	v_cvt_i32_f32_e32 v23, v24
	v_cmp_ngt_f32_e64 s1, 0xc2ce8ed0, v21
	s_delay_alu instid0(VALU_DEP_3) | instskip(NEXT) | instid1(TRANS32_DEP_1)
	v_exp_f32_e32 v22, v22
	v_ldexp_f32 v22, v22, v23
	s_wait_alu 0xf1ff
	s_delay_alu instid0(VALU_DEP_1) | instskip(SKIP_2) | instid1(VALU_DEP_1)
	v_cndmask_b32_e64 v22, 0, v22, s1
	v_cmp_nlt_f32_e64 s1, 0x42b17218, v21
	s_wait_alu 0xf1ff
	v_cndmask_b32_e64 v23, 0x7f800000, v22, s1
	s_delay_alu instid0(VALU_DEP_1) | instskip(NEXT) | instid1(VALU_DEP_1)
	v_add_f32_e32 v24, 1.0, v23
	v_cvt_f64_f32_e32 v[21:22], v24
	s_delay_alu instid0(VALU_DEP_1) | instskip(SKIP_1) | instid1(VALU_DEP_1)
	v_frexp_exp_i32_f64_e32 v21, v[21:22]
	v_frexp_mant_f32_e32 v22, v24
	v_cmp_gt_f32_e64 s1, 0x3f2aaaab, v22
	v_add_f32_e32 v22, -1.0, v24
	s_delay_alu instid0(VALU_DEP_1) | instskip(SKIP_1) | instid1(VALU_DEP_3)
	v_sub_f32_e32 v26, v22, v24
	s_wait_alu 0xf1ff
	v_subrev_co_ci_u32_e64 v21, null, 0, v21, s1
	s_mov_b32 s1, 0x3e9b6dac
	v_sub_nc_u32_e32 v25, 0, v21
	v_cvt_f32_i32_e32 v21, v21
	s_delay_alu instid0(VALU_DEP_2) | instskip(NEXT) | instid1(VALU_DEP_1)
	v_ldexp_f32 v24, v24, v25
	v_dual_sub_f32 v22, v23, v22 :: v_dual_add_f32 v27, 1.0, v24
	v_add_f32_e32 v26, 1.0, v26
	s_delay_alu instid0(VALU_DEP_1) | instskip(NEXT) | instid1(VALU_DEP_3)
	v_add_f32_e32 v22, v22, v26
	v_add_f32_e32 v26, -1.0, v27
	s_delay_alu instid0(VALU_DEP_2) | instskip(NEXT) | instid1(VALU_DEP_2)
	v_ldexp_f32 v22, v22, v25
	v_dual_add_f32 v25, -1.0, v24 :: v_dual_sub_f32 v26, v24, v26
	s_delay_alu instid0(VALU_DEP_1) | instskip(NEXT) | instid1(VALU_DEP_2)
	v_add_f32_e32 v28, 1.0, v25
	v_add_f32_e32 v26, v22, v26
	s_delay_alu instid0(VALU_DEP_2) | instskip(NEXT) | instid1(VALU_DEP_2)
	v_sub_f32_e32 v24, v24, v28
	v_add_f32_e32 v28, v27, v26
	s_delay_alu instid0(VALU_DEP_2) | instskip(NEXT) | instid1(VALU_DEP_2)
	v_add_f32_e32 v22, v22, v24
	v_rcp_f32_e32 v24, v28
	v_sub_f32_e32 v27, v27, v28
	s_delay_alu instid0(VALU_DEP_1) | instskip(NEXT) | instid1(VALU_DEP_1)
	v_dual_add_f32 v29, v25, v22 :: v_dual_add_f32 v26, v26, v27
	v_sub_f32_e32 v25, v25, v29
	s_delay_alu instid0(TRANS32_DEP_1) | instskip(NEXT) | instid1(VALU_DEP_1)
	v_mul_f32_e32 v30, v29, v24
	v_dual_add_f32 v22, v22, v25 :: v_dual_mul_f32 v31, v28, v30
	s_delay_alu instid0(VALU_DEP_1) | instskip(NEXT) | instid1(VALU_DEP_1)
	v_fma_f32 v27, v30, v28, -v31
	v_fmac_f32_e32 v27, v30, v26
	s_delay_alu instid0(VALU_DEP_1) | instskip(NEXT) | instid1(VALU_DEP_1)
	v_add_f32_e32 v32, v31, v27
	v_sub_f32_e32 v33, v29, v32
	v_sub_f32_e32 v25, v32, v31
	s_delay_alu instid0(VALU_DEP_2) | instskip(NEXT) | instid1(VALU_DEP_2)
	v_sub_f32_e32 v29, v29, v33
	v_sub_f32_e32 v25, v25, v27
	s_delay_alu instid0(VALU_DEP_2) | instskip(NEXT) | instid1(VALU_DEP_1)
	v_sub_f32_e32 v29, v29, v32
	v_add_f32_e32 v22, v22, v29
	s_delay_alu instid0(VALU_DEP_1) | instskip(NEXT) | instid1(VALU_DEP_1)
	v_add_f32_e32 v22, v25, v22
	v_add_f32_e32 v25, v33, v22
	s_delay_alu instid0(VALU_DEP_1) | instskip(NEXT) | instid1(VALU_DEP_1)
	v_mul_f32_e32 v27, v24, v25
	v_dual_sub_f32 v32, v33, v25 :: v_dual_mul_f32 v29, v28, v27
	s_delay_alu instid0(VALU_DEP_1) | instskip(NEXT) | instid1(VALU_DEP_2)
	v_add_f32_e32 v22, v22, v32
	v_fma_f32 v28, v27, v28, -v29
	s_delay_alu instid0(VALU_DEP_1) | instskip(NEXT) | instid1(VALU_DEP_1)
	v_fmac_f32_e32 v28, v27, v26
	v_add_f32_e32 v26, v29, v28
	s_delay_alu instid0(VALU_DEP_1) | instskip(SKIP_1) | instid1(VALU_DEP_2)
	v_sub_f32_e32 v31, v25, v26
	v_sub_f32_e32 v29, v26, v29
	;; [unrolled: 1-line block ×3, first 2 shown]
	s_delay_alu instid0(VALU_DEP_1) | instskip(NEXT) | instid1(VALU_DEP_3)
	v_sub_f32_e32 v25, v25, v26
	v_sub_f32_e32 v26, v29, v28
	s_delay_alu instid0(VALU_DEP_2) | instskip(SKIP_1) | instid1(VALU_DEP_2)
	v_add_f32_e32 v22, v22, v25
	v_add_f32_e32 v25, v30, v27
	v_add_f32_e32 v22, v26, v22
	s_delay_alu instid0(VALU_DEP_2) | instskip(NEXT) | instid1(VALU_DEP_2)
	v_sub_f32_e32 v26, v25, v30
	v_add_f32_e32 v22, v31, v22
	s_delay_alu instid0(VALU_DEP_2) | instskip(NEXT) | instid1(VALU_DEP_2)
	v_sub_f32_e32 v26, v27, v26
	v_mul_f32_e32 v22, v24, v22
	s_delay_alu instid0(VALU_DEP_1) | instskip(NEXT) | instid1(VALU_DEP_1)
	v_add_f32_e32 v22, v26, v22
	v_add_f32_e32 v24, v25, v22
	s_delay_alu instid0(VALU_DEP_1) | instskip(SKIP_1) | instid1(VALU_DEP_1)
	v_mul_f32_e32 v26, v24, v24
	s_wait_alu 0xfffe
	v_fmaak_f32 v27, s1, v26, 0x3ecc95a3
	v_mul_f32_e32 v28, v24, v26
	v_cmp_neq_f32_e64 s1, 0x7f800000, v23
	s_delay_alu instid0(VALU_DEP_3) | instskip(SKIP_2) | instid1(VALU_DEP_3)
	v_fmaak_f32 v26, v26, v27, 0x3f2aaada
	v_ldexp_f32 v27, v24, 1
	v_sub_f32_e32 v24, v24, v25
	v_mul_f32_e32 v26, v28, v26
	v_mul_f32_e32 v28, 0x3f317218, v21
	s_delay_alu instid0(VALU_DEP_2) | instskip(NEXT) | instid1(VALU_DEP_1)
	v_dual_sub_f32 v22, v22, v24 :: v_dual_add_f32 v25, v27, v26
	v_ldexp_f32 v22, v22, 1
	s_delay_alu instid0(VALU_DEP_2) | instskip(NEXT) | instid1(VALU_DEP_4)
	v_sub_f32_e32 v24, v25, v27
	v_fma_f32 v27, 0x3f317218, v21, -v28
	s_delay_alu instid0(VALU_DEP_1) | instskip(NEXT) | instid1(VALU_DEP_1)
	v_dual_sub_f32 v24, v26, v24 :: v_dual_fmamk_f32 v21, v21, 0xb102e308, v27
	v_add_f32_e32 v22, v22, v24
	s_delay_alu instid0(VALU_DEP_2) | instskip(NEXT) | instid1(VALU_DEP_2)
	v_add_f32_e32 v24, v28, v21
	v_add_f32_e32 v26, v25, v22
	s_delay_alu instid0(VALU_DEP_2) | instskip(NEXT) | instid1(VALU_DEP_2)
	v_sub_f32_e32 v28, v24, v28
	v_add_f32_e32 v27, v24, v26
	v_sub_f32_e32 v25, v26, v25
	s_delay_alu instid0(VALU_DEP_3) | instskip(NEXT) | instid1(VALU_DEP_2)
	v_sub_f32_e32 v21, v21, v28
	v_dual_sub_f32 v29, v27, v24 :: v_dual_sub_f32 v22, v22, v25
	s_delay_alu instid0(VALU_DEP_1) | instskip(NEXT) | instid1(VALU_DEP_2)
	v_sub_f32_e32 v30, v27, v29
	v_dual_sub_f32 v25, v26, v29 :: v_dual_add_f32 v26, v21, v22
	s_delay_alu instid0(VALU_DEP_2) | instskip(NEXT) | instid1(VALU_DEP_1)
	v_sub_f32_e32 v24, v24, v30
	v_dual_add_f32 v24, v25, v24 :: v_dual_sub_f32 v25, v26, v21
	s_delay_alu instid0(VALU_DEP_1) | instskip(NEXT) | instid1(VALU_DEP_2)
	v_add_f32_e32 v24, v26, v24
	v_sub_f32_e32 v26, v26, v25
	v_sub_f32_e32 v22, v22, v25
	s_delay_alu instid0(VALU_DEP_2) | instskip(NEXT) | instid1(VALU_DEP_1)
	v_dual_add_f32 v28, v27, v24 :: v_dual_sub_f32 v21, v21, v26
	v_sub_f32_e32 v25, v28, v27
	s_delay_alu instid0(VALU_DEP_2) | instskip(NEXT) | instid1(VALU_DEP_2)
	v_add_f32_e32 v21, v22, v21
	v_sub_f32_e32 v22, v24, v25
	s_delay_alu instid0(VALU_DEP_1) | instskip(NEXT) | instid1(VALU_DEP_1)
	v_add_f32_e32 v21, v21, v22
	v_add_f32_e32 v21, v28, v21
	s_wait_alu 0xf1ff
	s_delay_alu instid0(VALU_DEP_1) | instskip(SKIP_2) | instid1(VALU_DEP_1)
	v_cndmask_b32_e64 v21, 0x7f800000, v21, s1
	v_cmp_gt_f32_e64 s1, 0x33800000, |v23|
	s_wait_alu 0xf1ff
	v_cndmask_b32_e64 v21, v21, v23, s1
	s_delay_alu instid0(VALU_DEP_1) | instskip(NEXT) | instid1(VALU_DEP_1)
	v_add_f32_e32 v20, v20, v21
	v_cvt_f16_f32_e32 v22, v20
.LBB430_61:
	s_or_b32 exec_lo, exec_lo, s28
	v_mbcnt_lo_u32_b32 v20, -1, 0
	s_delay_alu instid0(VALU_DEP_2) | instskip(SKIP_1) | instid1(VALU_DEP_2)
	v_and_b32_e32 v23, 0xffff, v22
	s_mov_b32 s28, exec_lo
	v_and_b32_e32 v21, 15, v20
	s_delay_alu instid0(VALU_DEP_2) | instskip(NEXT) | instid1(VALU_DEP_2)
	v_mov_b32_dpp v24, v23 row_shr:1 row_mask:0xf bank_mask:0xf
	v_cmpx_ne_u32_e32 0, v21
	s_xor_b32 s28, exec_lo, s28
	s_cbranch_execz .LBB430_65
; %bb.62:
	s_delay_alu instid0(VALU_DEP_2) | instskip(SKIP_2) | instid1(VALU_DEP_2)
	v_cvt_f32_f16_e32 v23, v24
	v_cvt_f32_f16_e32 v25, v22
	v_cmp_u_f16_e64 s1, v24, v24
	v_min_num_f32_e32 v26, v23, v25
	v_max_num_f32_e32 v27, v23, v25
	s_wait_alu 0xf1ff
	s_delay_alu instid0(VALU_DEP_2) | instskip(NEXT) | instid1(VALU_DEP_2)
	v_cndmask_b32_e64 v26, v26, v23, s1
	v_cndmask_b32_e64 v27, v27, v23, s1
	v_cmp_u_f16_e64 s1, v22, v22
	s_wait_alu 0xf1ff
	s_delay_alu instid0(VALU_DEP_1) | instskip(NEXT) | instid1(VALU_DEP_3)
	v_cndmask_b32_e64 v23, v26, v25, s1
	v_cndmask_b32_e64 v22, v27, v25, s1
	s_delay_alu instid0(VALU_DEP_2) | instskip(NEXT) | instid1(VALU_DEP_2)
	v_cmp_class_f32_e64 s29, v23, 0x1f8
	v_cmp_neq_f32_e64 s1, v23, v22
	s_or_b32 s1, s1, s29
	s_wait_alu 0xfffe
	s_and_saveexec_b32 s29, s1
	s_cbranch_execz .LBB430_64
; %bb.63:
	v_sub_f32_e32 v23, v23, v22
	s_delay_alu instid0(VALU_DEP_1) | instskip(NEXT) | instid1(VALU_DEP_1)
	v_mul_f32_e32 v24, 0x3fb8aa3b, v23
	v_fma_f32 v25, 0x3fb8aa3b, v23, -v24
	v_rndne_f32_e32 v26, v24
	s_delay_alu instid0(VALU_DEP_1) | instskip(NEXT) | instid1(VALU_DEP_1)
	v_dual_fmamk_f32 v25, v23, 0x32a5705f, v25 :: v_dual_sub_f32 v24, v24, v26
	v_add_f32_e32 v24, v24, v25
	v_cvt_i32_f32_e32 v25, v26
	v_cmp_ngt_f32_e64 s1, 0xc2ce8ed0, v23
	s_delay_alu instid0(VALU_DEP_3) | instskip(NEXT) | instid1(TRANS32_DEP_1)
	v_exp_f32_e32 v24, v24
	v_ldexp_f32 v24, v24, v25
	s_wait_alu 0xf1ff
	s_delay_alu instid0(VALU_DEP_1) | instskip(SKIP_2) | instid1(VALU_DEP_1)
	v_cndmask_b32_e64 v24, 0, v24, s1
	v_cmp_nlt_f32_e64 s1, 0x42b17218, v23
	s_wait_alu 0xf1ff
	v_cndmask_b32_e64 v25, 0x7f800000, v24, s1
	s_delay_alu instid0(VALU_DEP_1) | instskip(NEXT) | instid1(VALU_DEP_1)
	v_add_f32_e32 v26, 1.0, v25
	v_cvt_f64_f32_e32 v[23:24], v26
	s_delay_alu instid0(VALU_DEP_1) | instskip(SKIP_1) | instid1(VALU_DEP_1)
	v_frexp_exp_i32_f64_e32 v23, v[23:24]
	v_frexp_mant_f32_e32 v24, v26
	v_cmp_gt_f32_e64 s1, 0x3f2aaaab, v24
	v_add_f32_e32 v24, -1.0, v26
	s_delay_alu instid0(VALU_DEP_1) | instskip(SKIP_1) | instid1(VALU_DEP_3)
	v_sub_f32_e32 v28, v24, v26
	s_wait_alu 0xf1ff
	v_subrev_co_ci_u32_e64 v23, null, 0, v23, s1
	s_mov_b32 s1, 0x3e9b6dac
	v_sub_nc_u32_e32 v27, 0, v23
	v_cvt_f32_i32_e32 v23, v23
	s_delay_alu instid0(VALU_DEP_2) | instskip(NEXT) | instid1(VALU_DEP_1)
	v_ldexp_f32 v26, v26, v27
	v_dual_sub_f32 v24, v25, v24 :: v_dual_add_f32 v29, 1.0, v26
	v_add_f32_e32 v28, 1.0, v28
	s_delay_alu instid0(VALU_DEP_1) | instskip(NEXT) | instid1(VALU_DEP_3)
	v_add_f32_e32 v24, v24, v28
	v_add_f32_e32 v28, -1.0, v29
	s_delay_alu instid0(VALU_DEP_2) | instskip(NEXT) | instid1(VALU_DEP_2)
	v_ldexp_f32 v24, v24, v27
	v_dual_add_f32 v27, -1.0, v26 :: v_dual_sub_f32 v28, v26, v28
	s_delay_alu instid0(VALU_DEP_1) | instskip(NEXT) | instid1(VALU_DEP_2)
	v_add_f32_e32 v30, 1.0, v27
	v_add_f32_e32 v28, v24, v28
	s_delay_alu instid0(VALU_DEP_2) | instskip(NEXT) | instid1(VALU_DEP_2)
	v_sub_f32_e32 v26, v26, v30
	v_add_f32_e32 v30, v29, v28
	s_delay_alu instid0(VALU_DEP_2) | instskip(NEXT) | instid1(VALU_DEP_2)
	v_add_f32_e32 v24, v24, v26
	v_rcp_f32_e32 v26, v30
	v_sub_f32_e32 v29, v29, v30
	s_delay_alu instid0(VALU_DEP_1) | instskip(NEXT) | instid1(VALU_DEP_1)
	v_dual_add_f32 v31, v27, v24 :: v_dual_add_f32 v28, v28, v29
	v_sub_f32_e32 v27, v27, v31
	s_delay_alu instid0(TRANS32_DEP_1) | instskip(NEXT) | instid1(VALU_DEP_1)
	v_mul_f32_e32 v32, v31, v26
	v_dual_add_f32 v24, v24, v27 :: v_dual_mul_f32 v33, v30, v32
	s_delay_alu instid0(VALU_DEP_1) | instskip(NEXT) | instid1(VALU_DEP_1)
	v_fma_f32 v29, v32, v30, -v33
	v_fmac_f32_e32 v29, v32, v28
	s_delay_alu instid0(VALU_DEP_1) | instskip(NEXT) | instid1(VALU_DEP_1)
	v_add_f32_e32 v34, v33, v29
	v_sub_f32_e32 v35, v31, v34
	v_sub_f32_e32 v27, v34, v33
	s_delay_alu instid0(VALU_DEP_2) | instskip(NEXT) | instid1(VALU_DEP_2)
	v_sub_f32_e32 v31, v31, v35
	v_sub_f32_e32 v27, v27, v29
	s_delay_alu instid0(VALU_DEP_2) | instskip(NEXT) | instid1(VALU_DEP_1)
	v_sub_f32_e32 v31, v31, v34
	v_add_f32_e32 v24, v24, v31
	s_delay_alu instid0(VALU_DEP_1) | instskip(NEXT) | instid1(VALU_DEP_1)
	v_add_f32_e32 v24, v27, v24
	v_add_f32_e32 v27, v35, v24
	s_delay_alu instid0(VALU_DEP_1) | instskip(NEXT) | instid1(VALU_DEP_1)
	v_mul_f32_e32 v29, v26, v27
	v_dual_sub_f32 v34, v35, v27 :: v_dual_mul_f32 v31, v30, v29
	s_delay_alu instid0(VALU_DEP_1) | instskip(NEXT) | instid1(VALU_DEP_2)
	v_add_f32_e32 v24, v24, v34
	v_fma_f32 v30, v29, v30, -v31
	s_delay_alu instid0(VALU_DEP_1) | instskip(NEXT) | instid1(VALU_DEP_1)
	v_fmac_f32_e32 v30, v29, v28
	v_add_f32_e32 v28, v31, v30
	s_delay_alu instid0(VALU_DEP_1) | instskip(SKIP_1) | instid1(VALU_DEP_2)
	v_sub_f32_e32 v33, v27, v28
	v_sub_f32_e32 v31, v28, v31
	;; [unrolled: 1-line block ×3, first 2 shown]
	s_delay_alu instid0(VALU_DEP_1) | instskip(NEXT) | instid1(VALU_DEP_3)
	v_sub_f32_e32 v27, v27, v28
	v_sub_f32_e32 v28, v31, v30
	s_delay_alu instid0(VALU_DEP_2) | instskip(SKIP_1) | instid1(VALU_DEP_2)
	v_add_f32_e32 v24, v24, v27
	v_add_f32_e32 v27, v32, v29
	;; [unrolled: 1-line block ×3, first 2 shown]
	s_delay_alu instid0(VALU_DEP_2) | instskip(NEXT) | instid1(VALU_DEP_2)
	v_sub_f32_e32 v28, v27, v32
	v_add_f32_e32 v24, v33, v24
	s_delay_alu instid0(VALU_DEP_2) | instskip(NEXT) | instid1(VALU_DEP_2)
	v_sub_f32_e32 v28, v29, v28
	v_mul_f32_e32 v24, v26, v24
	s_delay_alu instid0(VALU_DEP_1) | instskip(NEXT) | instid1(VALU_DEP_1)
	v_add_f32_e32 v24, v28, v24
	v_add_f32_e32 v26, v27, v24
	s_delay_alu instid0(VALU_DEP_1) | instskip(SKIP_1) | instid1(VALU_DEP_1)
	v_mul_f32_e32 v28, v26, v26
	s_wait_alu 0xfffe
	v_fmaak_f32 v29, s1, v28, 0x3ecc95a3
	v_mul_f32_e32 v30, v26, v28
	v_cmp_neq_f32_e64 s1, 0x7f800000, v25
	s_delay_alu instid0(VALU_DEP_3) | instskip(SKIP_2) | instid1(VALU_DEP_3)
	v_fmaak_f32 v28, v28, v29, 0x3f2aaada
	v_ldexp_f32 v29, v26, 1
	v_sub_f32_e32 v26, v26, v27
	v_mul_f32_e32 v28, v30, v28
	v_mul_f32_e32 v30, 0x3f317218, v23
	s_delay_alu instid0(VALU_DEP_2) | instskip(NEXT) | instid1(VALU_DEP_1)
	v_dual_sub_f32 v24, v24, v26 :: v_dual_add_f32 v27, v29, v28
	v_ldexp_f32 v24, v24, 1
	s_delay_alu instid0(VALU_DEP_2) | instskip(NEXT) | instid1(VALU_DEP_4)
	v_sub_f32_e32 v26, v27, v29
	v_fma_f32 v29, 0x3f317218, v23, -v30
	s_delay_alu instid0(VALU_DEP_1) | instskip(NEXT) | instid1(VALU_DEP_1)
	v_dual_sub_f32 v26, v28, v26 :: v_dual_fmamk_f32 v23, v23, 0xb102e308, v29
	v_add_f32_e32 v24, v24, v26
	s_delay_alu instid0(VALU_DEP_2) | instskip(NEXT) | instid1(VALU_DEP_2)
	v_add_f32_e32 v26, v30, v23
	v_add_f32_e32 v28, v27, v24
	s_delay_alu instid0(VALU_DEP_2) | instskip(NEXT) | instid1(VALU_DEP_2)
	v_sub_f32_e32 v30, v26, v30
	v_add_f32_e32 v29, v26, v28
	v_sub_f32_e32 v27, v28, v27
	s_delay_alu instid0(VALU_DEP_3) | instskip(NEXT) | instid1(VALU_DEP_2)
	v_sub_f32_e32 v23, v23, v30
	v_dual_sub_f32 v31, v29, v26 :: v_dual_sub_f32 v24, v24, v27
	s_delay_alu instid0(VALU_DEP_1) | instskip(NEXT) | instid1(VALU_DEP_2)
	v_sub_f32_e32 v32, v29, v31
	v_dual_sub_f32 v27, v28, v31 :: v_dual_add_f32 v28, v23, v24
	s_delay_alu instid0(VALU_DEP_2) | instskip(NEXT) | instid1(VALU_DEP_1)
	v_sub_f32_e32 v26, v26, v32
	v_dual_add_f32 v26, v27, v26 :: v_dual_sub_f32 v27, v28, v23
	s_delay_alu instid0(VALU_DEP_1) | instskip(NEXT) | instid1(VALU_DEP_2)
	v_add_f32_e32 v26, v28, v26
	v_sub_f32_e32 v28, v28, v27
	v_sub_f32_e32 v24, v24, v27
	s_delay_alu instid0(VALU_DEP_2) | instskip(NEXT) | instid1(VALU_DEP_1)
	v_dual_add_f32 v30, v29, v26 :: v_dual_sub_f32 v23, v23, v28
	v_sub_f32_e32 v27, v30, v29
	s_delay_alu instid0(VALU_DEP_2) | instskip(NEXT) | instid1(VALU_DEP_2)
	v_add_f32_e32 v23, v24, v23
	v_sub_f32_e32 v24, v26, v27
	s_delay_alu instid0(VALU_DEP_1) | instskip(NEXT) | instid1(VALU_DEP_1)
	v_add_f32_e32 v23, v23, v24
	v_add_f32_e32 v23, v30, v23
	s_wait_alu 0xf1ff
	s_delay_alu instid0(VALU_DEP_1) | instskip(SKIP_2) | instid1(VALU_DEP_1)
	v_cndmask_b32_e64 v23, 0x7f800000, v23, s1
	v_cmp_gt_f32_e64 s1, 0x33800000, |v25|
	s_wait_alu 0xf1ff
	v_cndmask_b32_e64 v23, v23, v25, s1
	s_delay_alu instid0(VALU_DEP_1) | instskip(NEXT) | instid1(VALU_DEP_1)
	v_add_f32_e32 v22, v22, v23
	v_cvt_f16_f32_e32 v24, v22
.LBB430_64:
	s_or_b32 exec_lo, exec_lo, s29
	s_delay_alu instid0(VALU_DEP_1)
	v_dual_mov_b32 v22, v24 :: v_dual_and_b32 v23, 0xffff, v24
.LBB430_65:
	s_or_b32 exec_lo, exec_lo, s28
	s_delay_alu instid0(VALU_DEP_1)
	v_mov_b32_dpp v24, v23 row_shr:2 row_mask:0xf bank_mask:0xf
	s_mov_b32 s28, exec_lo
	v_cmpx_lt_u32_e32 1, v21
	s_cbranch_execz .LBB430_69
; %bb.66:
	s_delay_alu instid0(VALU_DEP_2) | instskip(SKIP_2) | instid1(VALU_DEP_2)
	v_cvt_f32_f16_e32 v23, v24
	v_cvt_f32_f16_e32 v25, v22
	v_cmp_u_f16_e64 s1, v24, v24
	v_min_num_f32_e32 v26, v23, v25
	v_max_num_f32_e32 v27, v23, v25
	s_wait_alu 0xf1ff
	s_delay_alu instid0(VALU_DEP_2) | instskip(NEXT) | instid1(VALU_DEP_2)
	v_cndmask_b32_e64 v26, v26, v23, s1
	v_cndmask_b32_e64 v27, v27, v23, s1
	v_cmp_u_f16_e64 s1, v22, v22
	s_wait_alu 0xf1ff
	s_delay_alu instid0(VALU_DEP_1) | instskip(NEXT) | instid1(VALU_DEP_3)
	v_cndmask_b32_e64 v23, v26, v25, s1
	v_cndmask_b32_e64 v22, v27, v25, s1
	s_delay_alu instid0(VALU_DEP_2) | instskip(NEXT) | instid1(VALU_DEP_2)
	v_cmp_class_f32_e64 s29, v23, 0x1f8
	v_cmp_neq_f32_e64 s1, v23, v22
	s_or_b32 s1, s1, s29
	s_wait_alu 0xfffe
	s_and_saveexec_b32 s29, s1
	s_cbranch_execz .LBB430_68
; %bb.67:
	v_sub_f32_e32 v23, v23, v22
	s_delay_alu instid0(VALU_DEP_1) | instskip(NEXT) | instid1(VALU_DEP_1)
	v_mul_f32_e32 v24, 0x3fb8aa3b, v23
	v_fma_f32 v25, 0x3fb8aa3b, v23, -v24
	v_rndne_f32_e32 v26, v24
	s_delay_alu instid0(VALU_DEP_1) | instskip(NEXT) | instid1(VALU_DEP_1)
	v_dual_fmamk_f32 v25, v23, 0x32a5705f, v25 :: v_dual_sub_f32 v24, v24, v26
	v_add_f32_e32 v24, v24, v25
	v_cvt_i32_f32_e32 v25, v26
	v_cmp_ngt_f32_e64 s1, 0xc2ce8ed0, v23
	s_delay_alu instid0(VALU_DEP_3) | instskip(NEXT) | instid1(TRANS32_DEP_1)
	v_exp_f32_e32 v24, v24
	v_ldexp_f32 v24, v24, v25
	s_wait_alu 0xf1ff
	s_delay_alu instid0(VALU_DEP_1) | instskip(SKIP_2) | instid1(VALU_DEP_1)
	v_cndmask_b32_e64 v24, 0, v24, s1
	v_cmp_nlt_f32_e64 s1, 0x42b17218, v23
	s_wait_alu 0xf1ff
	v_cndmask_b32_e64 v25, 0x7f800000, v24, s1
	s_delay_alu instid0(VALU_DEP_1) | instskip(NEXT) | instid1(VALU_DEP_1)
	v_add_f32_e32 v26, 1.0, v25
	v_cvt_f64_f32_e32 v[23:24], v26
	s_delay_alu instid0(VALU_DEP_1) | instskip(SKIP_1) | instid1(VALU_DEP_1)
	v_frexp_exp_i32_f64_e32 v23, v[23:24]
	v_frexp_mant_f32_e32 v24, v26
	v_cmp_gt_f32_e64 s1, 0x3f2aaaab, v24
	v_add_f32_e32 v24, -1.0, v26
	s_delay_alu instid0(VALU_DEP_1) | instskip(SKIP_1) | instid1(VALU_DEP_3)
	v_sub_f32_e32 v28, v24, v26
	s_wait_alu 0xf1ff
	v_subrev_co_ci_u32_e64 v23, null, 0, v23, s1
	s_mov_b32 s1, 0x3e9b6dac
	v_sub_nc_u32_e32 v27, 0, v23
	v_cvt_f32_i32_e32 v23, v23
	s_delay_alu instid0(VALU_DEP_2) | instskip(NEXT) | instid1(VALU_DEP_1)
	v_ldexp_f32 v26, v26, v27
	v_dual_sub_f32 v24, v25, v24 :: v_dual_add_f32 v29, 1.0, v26
	v_add_f32_e32 v28, 1.0, v28
	s_delay_alu instid0(VALU_DEP_1) | instskip(NEXT) | instid1(VALU_DEP_3)
	v_add_f32_e32 v24, v24, v28
	v_add_f32_e32 v28, -1.0, v29
	s_delay_alu instid0(VALU_DEP_2) | instskip(NEXT) | instid1(VALU_DEP_2)
	v_ldexp_f32 v24, v24, v27
	v_dual_add_f32 v27, -1.0, v26 :: v_dual_sub_f32 v28, v26, v28
	s_delay_alu instid0(VALU_DEP_1) | instskip(NEXT) | instid1(VALU_DEP_2)
	v_add_f32_e32 v30, 1.0, v27
	v_add_f32_e32 v28, v24, v28
	s_delay_alu instid0(VALU_DEP_2) | instskip(NEXT) | instid1(VALU_DEP_2)
	v_sub_f32_e32 v26, v26, v30
	v_add_f32_e32 v30, v29, v28
	s_delay_alu instid0(VALU_DEP_2) | instskip(NEXT) | instid1(VALU_DEP_2)
	v_add_f32_e32 v24, v24, v26
	v_rcp_f32_e32 v26, v30
	v_sub_f32_e32 v29, v29, v30
	s_delay_alu instid0(VALU_DEP_1) | instskip(NEXT) | instid1(VALU_DEP_1)
	v_dual_add_f32 v31, v27, v24 :: v_dual_add_f32 v28, v28, v29
	v_sub_f32_e32 v27, v27, v31
	s_delay_alu instid0(TRANS32_DEP_1) | instskip(NEXT) | instid1(VALU_DEP_1)
	v_mul_f32_e32 v32, v31, v26
	v_dual_add_f32 v24, v24, v27 :: v_dual_mul_f32 v33, v30, v32
	s_delay_alu instid0(VALU_DEP_1) | instskip(NEXT) | instid1(VALU_DEP_1)
	v_fma_f32 v29, v32, v30, -v33
	v_fmac_f32_e32 v29, v32, v28
	s_delay_alu instid0(VALU_DEP_1) | instskip(NEXT) | instid1(VALU_DEP_1)
	v_add_f32_e32 v34, v33, v29
	v_sub_f32_e32 v35, v31, v34
	v_sub_f32_e32 v27, v34, v33
	s_delay_alu instid0(VALU_DEP_2) | instskip(NEXT) | instid1(VALU_DEP_2)
	v_sub_f32_e32 v31, v31, v35
	v_sub_f32_e32 v27, v27, v29
	s_delay_alu instid0(VALU_DEP_2) | instskip(NEXT) | instid1(VALU_DEP_1)
	v_sub_f32_e32 v31, v31, v34
	v_add_f32_e32 v24, v24, v31
	s_delay_alu instid0(VALU_DEP_1) | instskip(NEXT) | instid1(VALU_DEP_1)
	v_add_f32_e32 v24, v27, v24
	v_add_f32_e32 v27, v35, v24
	s_delay_alu instid0(VALU_DEP_1) | instskip(NEXT) | instid1(VALU_DEP_1)
	v_mul_f32_e32 v29, v26, v27
	v_dual_sub_f32 v34, v35, v27 :: v_dual_mul_f32 v31, v30, v29
	s_delay_alu instid0(VALU_DEP_1) | instskip(NEXT) | instid1(VALU_DEP_2)
	v_add_f32_e32 v24, v24, v34
	v_fma_f32 v30, v29, v30, -v31
	s_delay_alu instid0(VALU_DEP_1) | instskip(NEXT) | instid1(VALU_DEP_1)
	v_fmac_f32_e32 v30, v29, v28
	v_add_f32_e32 v28, v31, v30
	s_delay_alu instid0(VALU_DEP_1) | instskip(SKIP_1) | instid1(VALU_DEP_2)
	v_sub_f32_e32 v33, v27, v28
	v_sub_f32_e32 v31, v28, v31
	v_sub_f32_e32 v27, v27, v33
	s_delay_alu instid0(VALU_DEP_1) | instskip(NEXT) | instid1(VALU_DEP_3)
	v_sub_f32_e32 v27, v27, v28
	v_sub_f32_e32 v28, v31, v30
	s_delay_alu instid0(VALU_DEP_2) | instskip(SKIP_1) | instid1(VALU_DEP_2)
	v_add_f32_e32 v24, v24, v27
	v_add_f32_e32 v27, v32, v29
	;; [unrolled: 1-line block ×3, first 2 shown]
	s_delay_alu instid0(VALU_DEP_2) | instskip(NEXT) | instid1(VALU_DEP_2)
	v_sub_f32_e32 v28, v27, v32
	v_add_f32_e32 v24, v33, v24
	s_delay_alu instid0(VALU_DEP_2) | instskip(NEXT) | instid1(VALU_DEP_2)
	v_sub_f32_e32 v28, v29, v28
	v_mul_f32_e32 v24, v26, v24
	s_delay_alu instid0(VALU_DEP_1) | instskip(NEXT) | instid1(VALU_DEP_1)
	v_add_f32_e32 v24, v28, v24
	v_add_f32_e32 v26, v27, v24
	s_delay_alu instid0(VALU_DEP_1) | instskip(SKIP_1) | instid1(VALU_DEP_1)
	v_mul_f32_e32 v28, v26, v26
	s_wait_alu 0xfffe
	v_fmaak_f32 v29, s1, v28, 0x3ecc95a3
	v_mul_f32_e32 v30, v26, v28
	v_cmp_neq_f32_e64 s1, 0x7f800000, v25
	s_delay_alu instid0(VALU_DEP_3) | instskip(SKIP_2) | instid1(VALU_DEP_3)
	v_fmaak_f32 v28, v28, v29, 0x3f2aaada
	v_ldexp_f32 v29, v26, 1
	v_sub_f32_e32 v26, v26, v27
	v_mul_f32_e32 v28, v30, v28
	v_mul_f32_e32 v30, 0x3f317218, v23
	s_delay_alu instid0(VALU_DEP_2) | instskip(NEXT) | instid1(VALU_DEP_1)
	v_dual_sub_f32 v24, v24, v26 :: v_dual_add_f32 v27, v29, v28
	v_ldexp_f32 v24, v24, 1
	s_delay_alu instid0(VALU_DEP_2) | instskip(NEXT) | instid1(VALU_DEP_4)
	v_sub_f32_e32 v26, v27, v29
	v_fma_f32 v29, 0x3f317218, v23, -v30
	s_delay_alu instid0(VALU_DEP_1) | instskip(NEXT) | instid1(VALU_DEP_1)
	v_dual_sub_f32 v26, v28, v26 :: v_dual_fmamk_f32 v23, v23, 0xb102e308, v29
	v_add_f32_e32 v24, v24, v26
	s_delay_alu instid0(VALU_DEP_2) | instskip(NEXT) | instid1(VALU_DEP_2)
	v_add_f32_e32 v26, v30, v23
	v_add_f32_e32 v28, v27, v24
	s_delay_alu instid0(VALU_DEP_2) | instskip(NEXT) | instid1(VALU_DEP_2)
	v_sub_f32_e32 v30, v26, v30
	v_add_f32_e32 v29, v26, v28
	v_sub_f32_e32 v27, v28, v27
	s_delay_alu instid0(VALU_DEP_3) | instskip(NEXT) | instid1(VALU_DEP_2)
	v_sub_f32_e32 v23, v23, v30
	v_dual_sub_f32 v31, v29, v26 :: v_dual_sub_f32 v24, v24, v27
	s_delay_alu instid0(VALU_DEP_1) | instskip(NEXT) | instid1(VALU_DEP_2)
	v_sub_f32_e32 v32, v29, v31
	v_dual_sub_f32 v27, v28, v31 :: v_dual_add_f32 v28, v23, v24
	s_delay_alu instid0(VALU_DEP_2) | instskip(NEXT) | instid1(VALU_DEP_1)
	v_sub_f32_e32 v26, v26, v32
	v_dual_add_f32 v26, v27, v26 :: v_dual_sub_f32 v27, v28, v23
	s_delay_alu instid0(VALU_DEP_1) | instskip(NEXT) | instid1(VALU_DEP_2)
	v_add_f32_e32 v26, v28, v26
	v_sub_f32_e32 v28, v28, v27
	v_sub_f32_e32 v24, v24, v27
	s_delay_alu instid0(VALU_DEP_2) | instskip(NEXT) | instid1(VALU_DEP_1)
	v_dual_add_f32 v30, v29, v26 :: v_dual_sub_f32 v23, v23, v28
	v_sub_f32_e32 v27, v30, v29
	s_delay_alu instid0(VALU_DEP_2) | instskip(NEXT) | instid1(VALU_DEP_2)
	v_add_f32_e32 v23, v24, v23
	v_sub_f32_e32 v24, v26, v27
	s_delay_alu instid0(VALU_DEP_1) | instskip(NEXT) | instid1(VALU_DEP_1)
	v_add_f32_e32 v23, v23, v24
	v_add_f32_e32 v23, v30, v23
	s_wait_alu 0xf1ff
	s_delay_alu instid0(VALU_DEP_1) | instskip(SKIP_2) | instid1(VALU_DEP_1)
	v_cndmask_b32_e64 v23, 0x7f800000, v23, s1
	v_cmp_gt_f32_e64 s1, 0x33800000, |v25|
	s_wait_alu 0xf1ff
	v_cndmask_b32_e64 v23, v23, v25, s1
	s_delay_alu instid0(VALU_DEP_1) | instskip(NEXT) | instid1(VALU_DEP_1)
	v_add_f32_e32 v22, v22, v23
	v_cvt_f16_f32_e32 v24, v22
.LBB430_68:
	s_or_b32 exec_lo, exec_lo, s29
	s_delay_alu instid0(VALU_DEP_1)
	v_dual_mov_b32 v22, v24 :: v_dual_and_b32 v23, 0xffff, v24
.LBB430_69:
	s_or_b32 exec_lo, exec_lo, s28
	s_delay_alu instid0(VALU_DEP_1)
	v_mov_b32_dpp v24, v23 row_shr:4 row_mask:0xf bank_mask:0xf
	s_mov_b32 s28, exec_lo
	v_cmpx_lt_u32_e32 3, v21
	s_cbranch_execz .LBB430_73
; %bb.70:
	s_delay_alu instid0(VALU_DEP_2) | instskip(SKIP_2) | instid1(VALU_DEP_2)
	v_cvt_f32_f16_e32 v23, v24
	v_cvt_f32_f16_e32 v25, v22
	v_cmp_u_f16_e64 s1, v24, v24
	v_min_num_f32_e32 v26, v23, v25
	v_max_num_f32_e32 v27, v23, v25
	s_wait_alu 0xf1ff
	s_delay_alu instid0(VALU_DEP_2) | instskip(NEXT) | instid1(VALU_DEP_2)
	v_cndmask_b32_e64 v26, v26, v23, s1
	v_cndmask_b32_e64 v27, v27, v23, s1
	v_cmp_u_f16_e64 s1, v22, v22
	s_wait_alu 0xf1ff
	s_delay_alu instid0(VALU_DEP_1) | instskip(NEXT) | instid1(VALU_DEP_3)
	v_cndmask_b32_e64 v23, v26, v25, s1
	v_cndmask_b32_e64 v22, v27, v25, s1
	s_delay_alu instid0(VALU_DEP_2) | instskip(NEXT) | instid1(VALU_DEP_2)
	v_cmp_class_f32_e64 s29, v23, 0x1f8
	v_cmp_neq_f32_e64 s1, v23, v22
	s_or_b32 s1, s1, s29
	s_wait_alu 0xfffe
	s_and_saveexec_b32 s29, s1
	s_cbranch_execz .LBB430_72
; %bb.71:
	v_sub_f32_e32 v23, v23, v22
	s_delay_alu instid0(VALU_DEP_1) | instskip(NEXT) | instid1(VALU_DEP_1)
	v_mul_f32_e32 v24, 0x3fb8aa3b, v23
	v_fma_f32 v25, 0x3fb8aa3b, v23, -v24
	v_rndne_f32_e32 v26, v24
	s_delay_alu instid0(VALU_DEP_1) | instskip(NEXT) | instid1(VALU_DEP_1)
	v_dual_fmamk_f32 v25, v23, 0x32a5705f, v25 :: v_dual_sub_f32 v24, v24, v26
	v_add_f32_e32 v24, v24, v25
	v_cvt_i32_f32_e32 v25, v26
	v_cmp_ngt_f32_e64 s1, 0xc2ce8ed0, v23
	s_delay_alu instid0(VALU_DEP_3) | instskip(NEXT) | instid1(TRANS32_DEP_1)
	v_exp_f32_e32 v24, v24
	v_ldexp_f32 v24, v24, v25
	s_wait_alu 0xf1ff
	s_delay_alu instid0(VALU_DEP_1) | instskip(SKIP_2) | instid1(VALU_DEP_1)
	v_cndmask_b32_e64 v24, 0, v24, s1
	v_cmp_nlt_f32_e64 s1, 0x42b17218, v23
	s_wait_alu 0xf1ff
	v_cndmask_b32_e64 v25, 0x7f800000, v24, s1
	s_delay_alu instid0(VALU_DEP_1) | instskip(NEXT) | instid1(VALU_DEP_1)
	v_add_f32_e32 v26, 1.0, v25
	v_cvt_f64_f32_e32 v[23:24], v26
	s_delay_alu instid0(VALU_DEP_1) | instskip(SKIP_1) | instid1(VALU_DEP_1)
	v_frexp_exp_i32_f64_e32 v23, v[23:24]
	v_frexp_mant_f32_e32 v24, v26
	v_cmp_gt_f32_e64 s1, 0x3f2aaaab, v24
	v_add_f32_e32 v24, -1.0, v26
	s_delay_alu instid0(VALU_DEP_1) | instskip(SKIP_1) | instid1(VALU_DEP_3)
	v_sub_f32_e32 v28, v24, v26
	s_wait_alu 0xf1ff
	v_subrev_co_ci_u32_e64 v23, null, 0, v23, s1
	s_mov_b32 s1, 0x3e9b6dac
	v_sub_nc_u32_e32 v27, 0, v23
	v_cvt_f32_i32_e32 v23, v23
	s_delay_alu instid0(VALU_DEP_2) | instskip(NEXT) | instid1(VALU_DEP_1)
	v_ldexp_f32 v26, v26, v27
	v_dual_sub_f32 v24, v25, v24 :: v_dual_add_f32 v29, 1.0, v26
	v_add_f32_e32 v28, 1.0, v28
	s_delay_alu instid0(VALU_DEP_1) | instskip(NEXT) | instid1(VALU_DEP_3)
	v_add_f32_e32 v24, v24, v28
	v_add_f32_e32 v28, -1.0, v29
	s_delay_alu instid0(VALU_DEP_2) | instskip(NEXT) | instid1(VALU_DEP_2)
	v_ldexp_f32 v24, v24, v27
	v_dual_add_f32 v27, -1.0, v26 :: v_dual_sub_f32 v28, v26, v28
	s_delay_alu instid0(VALU_DEP_1) | instskip(NEXT) | instid1(VALU_DEP_2)
	v_add_f32_e32 v30, 1.0, v27
	v_add_f32_e32 v28, v24, v28
	s_delay_alu instid0(VALU_DEP_2) | instskip(NEXT) | instid1(VALU_DEP_2)
	v_sub_f32_e32 v26, v26, v30
	v_add_f32_e32 v30, v29, v28
	s_delay_alu instid0(VALU_DEP_2) | instskip(NEXT) | instid1(VALU_DEP_2)
	v_add_f32_e32 v24, v24, v26
	v_rcp_f32_e32 v26, v30
	v_sub_f32_e32 v29, v29, v30
	s_delay_alu instid0(VALU_DEP_1) | instskip(NEXT) | instid1(VALU_DEP_1)
	v_dual_add_f32 v31, v27, v24 :: v_dual_add_f32 v28, v28, v29
	v_sub_f32_e32 v27, v27, v31
	s_delay_alu instid0(TRANS32_DEP_1) | instskip(NEXT) | instid1(VALU_DEP_1)
	v_mul_f32_e32 v32, v31, v26
	v_dual_add_f32 v24, v24, v27 :: v_dual_mul_f32 v33, v30, v32
	s_delay_alu instid0(VALU_DEP_1) | instskip(NEXT) | instid1(VALU_DEP_1)
	v_fma_f32 v29, v32, v30, -v33
	v_fmac_f32_e32 v29, v32, v28
	s_delay_alu instid0(VALU_DEP_1) | instskip(NEXT) | instid1(VALU_DEP_1)
	v_add_f32_e32 v34, v33, v29
	v_sub_f32_e32 v35, v31, v34
	v_sub_f32_e32 v27, v34, v33
	s_delay_alu instid0(VALU_DEP_2) | instskip(NEXT) | instid1(VALU_DEP_2)
	v_sub_f32_e32 v31, v31, v35
	v_sub_f32_e32 v27, v27, v29
	s_delay_alu instid0(VALU_DEP_2) | instskip(NEXT) | instid1(VALU_DEP_1)
	v_sub_f32_e32 v31, v31, v34
	v_add_f32_e32 v24, v24, v31
	s_delay_alu instid0(VALU_DEP_1) | instskip(NEXT) | instid1(VALU_DEP_1)
	v_add_f32_e32 v24, v27, v24
	v_add_f32_e32 v27, v35, v24
	s_delay_alu instid0(VALU_DEP_1) | instskip(NEXT) | instid1(VALU_DEP_1)
	v_mul_f32_e32 v29, v26, v27
	v_dual_sub_f32 v34, v35, v27 :: v_dual_mul_f32 v31, v30, v29
	s_delay_alu instid0(VALU_DEP_1) | instskip(NEXT) | instid1(VALU_DEP_2)
	v_add_f32_e32 v24, v24, v34
	v_fma_f32 v30, v29, v30, -v31
	s_delay_alu instid0(VALU_DEP_1) | instskip(NEXT) | instid1(VALU_DEP_1)
	v_fmac_f32_e32 v30, v29, v28
	v_add_f32_e32 v28, v31, v30
	s_delay_alu instid0(VALU_DEP_1) | instskip(SKIP_1) | instid1(VALU_DEP_2)
	v_sub_f32_e32 v33, v27, v28
	v_sub_f32_e32 v31, v28, v31
	;; [unrolled: 1-line block ×3, first 2 shown]
	s_delay_alu instid0(VALU_DEP_1) | instskip(NEXT) | instid1(VALU_DEP_3)
	v_sub_f32_e32 v27, v27, v28
	v_sub_f32_e32 v28, v31, v30
	s_delay_alu instid0(VALU_DEP_2) | instskip(SKIP_1) | instid1(VALU_DEP_2)
	v_add_f32_e32 v24, v24, v27
	v_add_f32_e32 v27, v32, v29
	;; [unrolled: 1-line block ×3, first 2 shown]
	s_delay_alu instid0(VALU_DEP_2) | instskip(NEXT) | instid1(VALU_DEP_2)
	v_sub_f32_e32 v28, v27, v32
	v_add_f32_e32 v24, v33, v24
	s_delay_alu instid0(VALU_DEP_2) | instskip(NEXT) | instid1(VALU_DEP_2)
	v_sub_f32_e32 v28, v29, v28
	v_mul_f32_e32 v24, v26, v24
	s_delay_alu instid0(VALU_DEP_1) | instskip(NEXT) | instid1(VALU_DEP_1)
	v_add_f32_e32 v24, v28, v24
	v_add_f32_e32 v26, v27, v24
	s_delay_alu instid0(VALU_DEP_1) | instskip(SKIP_1) | instid1(VALU_DEP_1)
	v_mul_f32_e32 v28, v26, v26
	s_wait_alu 0xfffe
	v_fmaak_f32 v29, s1, v28, 0x3ecc95a3
	v_mul_f32_e32 v30, v26, v28
	v_cmp_neq_f32_e64 s1, 0x7f800000, v25
	s_delay_alu instid0(VALU_DEP_3) | instskip(SKIP_2) | instid1(VALU_DEP_3)
	v_fmaak_f32 v28, v28, v29, 0x3f2aaada
	v_ldexp_f32 v29, v26, 1
	v_sub_f32_e32 v26, v26, v27
	v_mul_f32_e32 v28, v30, v28
	v_mul_f32_e32 v30, 0x3f317218, v23
	s_delay_alu instid0(VALU_DEP_2) | instskip(NEXT) | instid1(VALU_DEP_1)
	v_dual_sub_f32 v24, v24, v26 :: v_dual_add_f32 v27, v29, v28
	v_ldexp_f32 v24, v24, 1
	s_delay_alu instid0(VALU_DEP_2) | instskip(NEXT) | instid1(VALU_DEP_4)
	v_sub_f32_e32 v26, v27, v29
	v_fma_f32 v29, 0x3f317218, v23, -v30
	s_delay_alu instid0(VALU_DEP_1) | instskip(NEXT) | instid1(VALU_DEP_1)
	v_dual_sub_f32 v26, v28, v26 :: v_dual_fmamk_f32 v23, v23, 0xb102e308, v29
	v_add_f32_e32 v24, v24, v26
	s_delay_alu instid0(VALU_DEP_2) | instskip(NEXT) | instid1(VALU_DEP_2)
	v_add_f32_e32 v26, v30, v23
	v_add_f32_e32 v28, v27, v24
	s_delay_alu instid0(VALU_DEP_2) | instskip(NEXT) | instid1(VALU_DEP_2)
	v_sub_f32_e32 v30, v26, v30
	v_add_f32_e32 v29, v26, v28
	v_sub_f32_e32 v27, v28, v27
	s_delay_alu instid0(VALU_DEP_3) | instskip(NEXT) | instid1(VALU_DEP_2)
	v_sub_f32_e32 v23, v23, v30
	v_dual_sub_f32 v31, v29, v26 :: v_dual_sub_f32 v24, v24, v27
	s_delay_alu instid0(VALU_DEP_1) | instskip(NEXT) | instid1(VALU_DEP_2)
	v_sub_f32_e32 v32, v29, v31
	v_dual_sub_f32 v27, v28, v31 :: v_dual_add_f32 v28, v23, v24
	s_delay_alu instid0(VALU_DEP_2) | instskip(NEXT) | instid1(VALU_DEP_1)
	v_sub_f32_e32 v26, v26, v32
	v_dual_add_f32 v26, v27, v26 :: v_dual_sub_f32 v27, v28, v23
	s_delay_alu instid0(VALU_DEP_1) | instskip(NEXT) | instid1(VALU_DEP_2)
	v_add_f32_e32 v26, v28, v26
	v_sub_f32_e32 v28, v28, v27
	v_sub_f32_e32 v24, v24, v27
	s_delay_alu instid0(VALU_DEP_2) | instskip(NEXT) | instid1(VALU_DEP_1)
	v_dual_add_f32 v30, v29, v26 :: v_dual_sub_f32 v23, v23, v28
	v_sub_f32_e32 v27, v30, v29
	s_delay_alu instid0(VALU_DEP_2) | instskip(NEXT) | instid1(VALU_DEP_2)
	v_add_f32_e32 v23, v24, v23
	v_sub_f32_e32 v24, v26, v27
	s_delay_alu instid0(VALU_DEP_1) | instskip(NEXT) | instid1(VALU_DEP_1)
	v_add_f32_e32 v23, v23, v24
	v_add_f32_e32 v23, v30, v23
	s_wait_alu 0xf1ff
	s_delay_alu instid0(VALU_DEP_1) | instskip(SKIP_2) | instid1(VALU_DEP_1)
	v_cndmask_b32_e64 v23, 0x7f800000, v23, s1
	v_cmp_gt_f32_e64 s1, 0x33800000, |v25|
	s_wait_alu 0xf1ff
	v_cndmask_b32_e64 v23, v23, v25, s1
	s_delay_alu instid0(VALU_DEP_1) | instskip(NEXT) | instid1(VALU_DEP_1)
	v_add_f32_e32 v22, v22, v23
	v_cvt_f16_f32_e32 v24, v22
.LBB430_72:
	s_or_b32 exec_lo, exec_lo, s29
	s_delay_alu instid0(VALU_DEP_1)
	v_dual_mov_b32 v22, v24 :: v_dual_and_b32 v23, 0xffff, v24
.LBB430_73:
	s_or_b32 exec_lo, exec_lo, s28
	s_delay_alu instid0(VALU_DEP_1)
	v_mov_b32_dpp v24, v23 row_shr:8 row_mask:0xf bank_mask:0xf
	s_mov_b32 s28, exec_lo
	v_cmpx_lt_u32_e32 7, v21
	s_cbranch_execz .LBB430_77
; %bb.74:
	s_delay_alu instid0(VALU_DEP_2) | instskip(SKIP_2) | instid1(VALU_DEP_2)
	v_cvt_f32_f16_e32 v21, v24
	v_cvt_f32_f16_e32 v23, v22
	v_cmp_u_f16_e64 s1, v24, v24
	v_min_num_f32_e32 v25, v21, v23
	v_max_num_f32_e32 v26, v21, v23
	s_wait_alu 0xf1ff
	s_delay_alu instid0(VALU_DEP_2) | instskip(NEXT) | instid1(VALU_DEP_2)
	v_cndmask_b32_e64 v25, v25, v21, s1
	v_cndmask_b32_e64 v21, v26, v21, s1
	v_cmp_u_f16_e64 s1, v22, v22
	s_wait_alu 0xf1ff
	s_delay_alu instid0(VALU_DEP_1) | instskip(NEXT) | instid1(VALU_DEP_3)
	v_cndmask_b32_e64 v22, v25, v23, s1
	v_cndmask_b32_e64 v21, v21, v23, s1
	s_delay_alu instid0(VALU_DEP_2) | instskip(NEXT) | instid1(VALU_DEP_2)
	v_cmp_class_f32_e64 s29, v22, 0x1f8
	v_cmp_neq_f32_e64 s1, v22, v21
	s_or_b32 s1, s1, s29
	s_wait_alu 0xfffe
	s_and_saveexec_b32 s29, s1
	s_cbranch_execz .LBB430_76
; %bb.75:
	v_sub_f32_e32 v22, v22, v21
	s_delay_alu instid0(VALU_DEP_1) | instskip(NEXT) | instid1(VALU_DEP_1)
	v_mul_f32_e32 v23, 0x3fb8aa3b, v22
	v_fma_f32 v24, 0x3fb8aa3b, v22, -v23
	v_rndne_f32_e32 v25, v23
	s_delay_alu instid0(VALU_DEP_1) | instskip(NEXT) | instid1(VALU_DEP_1)
	v_dual_fmamk_f32 v24, v22, 0x32a5705f, v24 :: v_dual_sub_f32 v23, v23, v25
	v_add_f32_e32 v23, v23, v24
	v_cvt_i32_f32_e32 v24, v25
	v_cmp_ngt_f32_e64 s1, 0xc2ce8ed0, v22
	s_delay_alu instid0(VALU_DEP_3) | instskip(NEXT) | instid1(TRANS32_DEP_1)
	v_exp_f32_e32 v23, v23
	v_ldexp_f32 v23, v23, v24
	s_wait_alu 0xf1ff
	s_delay_alu instid0(VALU_DEP_1) | instskip(SKIP_2) | instid1(VALU_DEP_1)
	v_cndmask_b32_e64 v23, 0, v23, s1
	v_cmp_nlt_f32_e64 s1, 0x42b17218, v22
	s_wait_alu 0xf1ff
	v_cndmask_b32_e64 v24, 0x7f800000, v23, s1
	s_delay_alu instid0(VALU_DEP_1) | instskip(NEXT) | instid1(VALU_DEP_1)
	v_add_f32_e32 v25, 1.0, v24
	v_cvt_f64_f32_e32 v[22:23], v25
	s_delay_alu instid0(VALU_DEP_1) | instskip(SKIP_1) | instid1(VALU_DEP_1)
	v_frexp_exp_i32_f64_e32 v22, v[22:23]
	v_frexp_mant_f32_e32 v23, v25
	v_cmp_gt_f32_e64 s1, 0x3f2aaaab, v23
	v_add_f32_e32 v23, -1.0, v25
	s_delay_alu instid0(VALU_DEP_1) | instskip(SKIP_1) | instid1(VALU_DEP_3)
	v_sub_f32_e32 v27, v23, v25
	s_wait_alu 0xf1ff
	v_subrev_co_ci_u32_e64 v22, null, 0, v22, s1
	s_mov_b32 s1, 0x3e9b6dac
	v_sub_nc_u32_e32 v26, 0, v22
	v_cvt_f32_i32_e32 v22, v22
	s_delay_alu instid0(VALU_DEP_2) | instskip(NEXT) | instid1(VALU_DEP_1)
	v_ldexp_f32 v25, v25, v26
	v_dual_sub_f32 v23, v24, v23 :: v_dual_add_f32 v28, 1.0, v25
	v_add_f32_e32 v27, 1.0, v27
	s_delay_alu instid0(VALU_DEP_1) | instskip(NEXT) | instid1(VALU_DEP_3)
	v_add_f32_e32 v23, v23, v27
	v_add_f32_e32 v27, -1.0, v28
	s_delay_alu instid0(VALU_DEP_2) | instskip(NEXT) | instid1(VALU_DEP_2)
	v_ldexp_f32 v23, v23, v26
	v_dual_add_f32 v26, -1.0, v25 :: v_dual_sub_f32 v27, v25, v27
	s_delay_alu instid0(VALU_DEP_1) | instskip(NEXT) | instid1(VALU_DEP_2)
	v_add_f32_e32 v29, 1.0, v26
	v_add_f32_e32 v27, v23, v27
	s_delay_alu instid0(VALU_DEP_2) | instskip(NEXT) | instid1(VALU_DEP_2)
	v_sub_f32_e32 v25, v25, v29
	v_add_f32_e32 v29, v28, v27
	s_delay_alu instid0(VALU_DEP_2) | instskip(NEXT) | instid1(VALU_DEP_2)
	v_add_f32_e32 v23, v23, v25
	v_rcp_f32_e32 v25, v29
	v_sub_f32_e32 v28, v28, v29
	s_delay_alu instid0(VALU_DEP_1) | instskip(NEXT) | instid1(VALU_DEP_1)
	v_dual_add_f32 v30, v26, v23 :: v_dual_add_f32 v27, v27, v28
	v_sub_f32_e32 v26, v26, v30
	s_delay_alu instid0(TRANS32_DEP_1) | instskip(NEXT) | instid1(VALU_DEP_1)
	v_mul_f32_e32 v31, v30, v25
	v_dual_add_f32 v23, v23, v26 :: v_dual_mul_f32 v32, v29, v31
	s_delay_alu instid0(VALU_DEP_1) | instskip(NEXT) | instid1(VALU_DEP_1)
	v_fma_f32 v28, v31, v29, -v32
	v_fmac_f32_e32 v28, v31, v27
	s_delay_alu instid0(VALU_DEP_1) | instskip(NEXT) | instid1(VALU_DEP_1)
	v_add_f32_e32 v33, v32, v28
	v_sub_f32_e32 v34, v30, v33
	v_sub_f32_e32 v26, v33, v32
	s_delay_alu instid0(VALU_DEP_2) | instskip(NEXT) | instid1(VALU_DEP_2)
	v_sub_f32_e32 v30, v30, v34
	v_sub_f32_e32 v26, v26, v28
	s_delay_alu instid0(VALU_DEP_2) | instskip(NEXT) | instid1(VALU_DEP_1)
	v_sub_f32_e32 v30, v30, v33
	v_add_f32_e32 v23, v23, v30
	s_delay_alu instid0(VALU_DEP_1) | instskip(NEXT) | instid1(VALU_DEP_1)
	v_add_f32_e32 v23, v26, v23
	v_add_f32_e32 v26, v34, v23
	s_delay_alu instid0(VALU_DEP_1) | instskip(NEXT) | instid1(VALU_DEP_1)
	v_mul_f32_e32 v28, v25, v26
	v_dual_sub_f32 v33, v34, v26 :: v_dual_mul_f32 v30, v29, v28
	s_delay_alu instid0(VALU_DEP_1) | instskip(NEXT) | instid1(VALU_DEP_2)
	v_add_f32_e32 v23, v23, v33
	v_fma_f32 v29, v28, v29, -v30
	s_delay_alu instid0(VALU_DEP_1) | instskip(NEXT) | instid1(VALU_DEP_1)
	v_fmac_f32_e32 v29, v28, v27
	v_add_f32_e32 v27, v30, v29
	s_delay_alu instid0(VALU_DEP_1) | instskip(SKIP_1) | instid1(VALU_DEP_2)
	v_sub_f32_e32 v32, v26, v27
	v_sub_f32_e32 v30, v27, v30
	;; [unrolled: 1-line block ×3, first 2 shown]
	s_delay_alu instid0(VALU_DEP_1) | instskip(NEXT) | instid1(VALU_DEP_3)
	v_sub_f32_e32 v26, v26, v27
	v_sub_f32_e32 v27, v30, v29
	s_delay_alu instid0(VALU_DEP_2) | instskip(SKIP_1) | instid1(VALU_DEP_2)
	v_add_f32_e32 v23, v23, v26
	v_add_f32_e32 v26, v31, v28
	;; [unrolled: 1-line block ×3, first 2 shown]
	s_delay_alu instid0(VALU_DEP_2) | instskip(NEXT) | instid1(VALU_DEP_2)
	v_sub_f32_e32 v27, v26, v31
	v_add_f32_e32 v23, v32, v23
	s_delay_alu instid0(VALU_DEP_2) | instskip(NEXT) | instid1(VALU_DEP_2)
	v_sub_f32_e32 v27, v28, v27
	v_mul_f32_e32 v23, v25, v23
	s_delay_alu instid0(VALU_DEP_1) | instskip(NEXT) | instid1(VALU_DEP_1)
	v_add_f32_e32 v23, v27, v23
	v_add_f32_e32 v25, v26, v23
	s_delay_alu instid0(VALU_DEP_1) | instskip(SKIP_1) | instid1(VALU_DEP_1)
	v_mul_f32_e32 v27, v25, v25
	s_wait_alu 0xfffe
	v_fmaak_f32 v28, s1, v27, 0x3ecc95a3
	v_mul_f32_e32 v29, v25, v27
	v_cmp_neq_f32_e64 s1, 0x7f800000, v24
	s_delay_alu instid0(VALU_DEP_3) | instskip(SKIP_2) | instid1(VALU_DEP_3)
	v_fmaak_f32 v27, v27, v28, 0x3f2aaada
	v_ldexp_f32 v28, v25, 1
	v_sub_f32_e32 v25, v25, v26
	v_mul_f32_e32 v27, v29, v27
	v_mul_f32_e32 v29, 0x3f317218, v22
	s_delay_alu instid0(VALU_DEP_2) | instskip(NEXT) | instid1(VALU_DEP_1)
	v_dual_sub_f32 v23, v23, v25 :: v_dual_add_f32 v26, v28, v27
	v_ldexp_f32 v23, v23, 1
	s_delay_alu instid0(VALU_DEP_2) | instskip(NEXT) | instid1(VALU_DEP_4)
	v_sub_f32_e32 v25, v26, v28
	v_fma_f32 v28, 0x3f317218, v22, -v29
	s_delay_alu instid0(VALU_DEP_1) | instskip(NEXT) | instid1(VALU_DEP_1)
	v_dual_sub_f32 v25, v27, v25 :: v_dual_fmamk_f32 v22, v22, 0xb102e308, v28
	v_add_f32_e32 v23, v23, v25
	s_delay_alu instid0(VALU_DEP_2) | instskip(NEXT) | instid1(VALU_DEP_2)
	v_add_f32_e32 v25, v29, v22
	v_add_f32_e32 v27, v26, v23
	s_delay_alu instid0(VALU_DEP_2) | instskip(NEXT) | instid1(VALU_DEP_2)
	v_sub_f32_e32 v29, v25, v29
	v_add_f32_e32 v28, v25, v27
	v_sub_f32_e32 v26, v27, v26
	s_delay_alu instid0(VALU_DEP_3) | instskip(NEXT) | instid1(VALU_DEP_2)
	v_sub_f32_e32 v22, v22, v29
	v_dual_sub_f32 v30, v28, v25 :: v_dual_sub_f32 v23, v23, v26
	s_delay_alu instid0(VALU_DEP_1) | instskip(NEXT) | instid1(VALU_DEP_2)
	v_sub_f32_e32 v31, v28, v30
	v_dual_sub_f32 v26, v27, v30 :: v_dual_add_f32 v27, v22, v23
	s_delay_alu instid0(VALU_DEP_2) | instskip(NEXT) | instid1(VALU_DEP_1)
	v_sub_f32_e32 v25, v25, v31
	v_dual_add_f32 v25, v26, v25 :: v_dual_sub_f32 v26, v27, v22
	s_delay_alu instid0(VALU_DEP_1) | instskip(NEXT) | instid1(VALU_DEP_2)
	v_add_f32_e32 v25, v27, v25
	v_sub_f32_e32 v27, v27, v26
	v_sub_f32_e32 v23, v23, v26
	s_delay_alu instid0(VALU_DEP_2) | instskip(NEXT) | instid1(VALU_DEP_1)
	v_dual_add_f32 v29, v28, v25 :: v_dual_sub_f32 v22, v22, v27
	v_sub_f32_e32 v26, v29, v28
	s_delay_alu instid0(VALU_DEP_2) | instskip(NEXT) | instid1(VALU_DEP_2)
	v_add_f32_e32 v22, v23, v22
	v_sub_f32_e32 v23, v25, v26
	s_delay_alu instid0(VALU_DEP_1) | instskip(NEXT) | instid1(VALU_DEP_1)
	v_add_f32_e32 v22, v22, v23
	v_add_f32_e32 v22, v29, v22
	s_wait_alu 0xf1ff
	s_delay_alu instid0(VALU_DEP_1) | instskip(SKIP_2) | instid1(VALU_DEP_1)
	v_cndmask_b32_e64 v22, 0x7f800000, v22, s1
	v_cmp_gt_f32_e64 s1, 0x33800000, |v24|
	s_wait_alu 0xf1ff
	v_cndmask_b32_e64 v22, v22, v24, s1
	s_delay_alu instid0(VALU_DEP_1) | instskip(NEXT) | instid1(VALU_DEP_1)
	v_add_f32_e32 v21, v21, v22
	v_cvt_f16_f32_e32 v24, v21
.LBB430_76:
	s_or_b32 exec_lo, exec_lo, s29
	s_delay_alu instid0(VALU_DEP_1)
	v_dual_mov_b32 v22, v24 :: v_dual_and_b32 v23, 0xffff, v24
.LBB430_77:
	s_or_b32 exec_lo, exec_lo, s28
	ds_swizzle_b32 v23, v23 offset:swizzle(BROADCAST,32,15)
	v_and_b32_e32 v21, 16, v20
	s_mov_b32 s28, exec_lo
	s_delay_alu instid0(VALU_DEP_1)
	v_cmpx_ne_u32_e32 0, v21
	s_cbranch_execz .LBB430_81
; %bb.78:
	s_wait_dscnt 0x0
	v_cvt_f32_f16_e32 v21, v23
	v_cvt_f32_f16_e32 v24, v22
	v_cmp_u_f16_e64 s1, v23, v23
	s_delay_alu instid0(VALU_DEP_2) | instskip(SKIP_2) | instid1(VALU_DEP_2)
	v_min_num_f32_e32 v25, v21, v24
	v_max_num_f32_e32 v26, v21, v24
	s_wait_alu 0xf1ff
	v_cndmask_b32_e64 v25, v25, v21, s1
	s_delay_alu instid0(VALU_DEP_2) | instskip(SKIP_2) | instid1(VALU_DEP_1)
	v_cndmask_b32_e64 v21, v26, v21, s1
	v_cmp_u_f16_e64 s1, v22, v22
	s_wait_alu 0xf1ff
	v_cndmask_b32_e64 v22, v25, v24, s1
	s_delay_alu instid0(VALU_DEP_3) | instskip(NEXT) | instid1(VALU_DEP_2)
	v_cndmask_b32_e64 v21, v21, v24, s1
	v_cmp_class_f32_e64 s29, v22, 0x1f8
	s_delay_alu instid0(VALU_DEP_2)
	v_cmp_neq_f32_e64 s1, v22, v21
	s_or_b32 s1, s1, s29
	s_wait_alu 0xfffe
	s_and_saveexec_b32 s29, s1
	s_cbranch_execz .LBB430_80
; %bb.79:
	v_sub_f32_e32 v22, v22, v21
	s_delay_alu instid0(VALU_DEP_1) | instskip(NEXT) | instid1(VALU_DEP_1)
	v_mul_f32_e32 v23, 0x3fb8aa3b, v22
	v_fma_f32 v24, 0x3fb8aa3b, v22, -v23
	v_rndne_f32_e32 v25, v23
	s_delay_alu instid0(VALU_DEP_1) | instskip(NEXT) | instid1(VALU_DEP_1)
	v_dual_fmamk_f32 v24, v22, 0x32a5705f, v24 :: v_dual_sub_f32 v23, v23, v25
	v_add_f32_e32 v23, v23, v24
	v_cvt_i32_f32_e32 v24, v25
	v_cmp_ngt_f32_e64 s1, 0xc2ce8ed0, v22
	s_delay_alu instid0(VALU_DEP_3) | instskip(NEXT) | instid1(TRANS32_DEP_1)
	v_exp_f32_e32 v23, v23
	v_ldexp_f32 v23, v23, v24
	s_wait_alu 0xf1ff
	s_delay_alu instid0(VALU_DEP_1) | instskip(SKIP_2) | instid1(VALU_DEP_1)
	v_cndmask_b32_e64 v23, 0, v23, s1
	v_cmp_nlt_f32_e64 s1, 0x42b17218, v22
	s_wait_alu 0xf1ff
	v_cndmask_b32_e64 v24, 0x7f800000, v23, s1
	s_delay_alu instid0(VALU_DEP_1) | instskip(NEXT) | instid1(VALU_DEP_1)
	v_add_f32_e32 v25, 1.0, v24
	v_cvt_f64_f32_e32 v[22:23], v25
	s_delay_alu instid0(VALU_DEP_1) | instskip(SKIP_1) | instid1(VALU_DEP_1)
	v_frexp_exp_i32_f64_e32 v22, v[22:23]
	v_frexp_mant_f32_e32 v23, v25
	v_cmp_gt_f32_e64 s1, 0x3f2aaaab, v23
	v_add_f32_e32 v23, -1.0, v25
	s_delay_alu instid0(VALU_DEP_1) | instskip(SKIP_1) | instid1(VALU_DEP_3)
	v_sub_f32_e32 v27, v23, v25
	s_wait_alu 0xf1ff
	v_subrev_co_ci_u32_e64 v22, null, 0, v22, s1
	s_mov_b32 s1, 0x3e9b6dac
	v_sub_nc_u32_e32 v26, 0, v22
	v_cvt_f32_i32_e32 v22, v22
	s_delay_alu instid0(VALU_DEP_2) | instskip(NEXT) | instid1(VALU_DEP_1)
	v_ldexp_f32 v25, v25, v26
	v_dual_sub_f32 v23, v24, v23 :: v_dual_add_f32 v28, 1.0, v25
	v_add_f32_e32 v27, 1.0, v27
	s_delay_alu instid0(VALU_DEP_1) | instskip(NEXT) | instid1(VALU_DEP_3)
	v_add_f32_e32 v23, v23, v27
	v_add_f32_e32 v27, -1.0, v28
	s_delay_alu instid0(VALU_DEP_2) | instskip(NEXT) | instid1(VALU_DEP_2)
	v_ldexp_f32 v23, v23, v26
	v_dual_add_f32 v26, -1.0, v25 :: v_dual_sub_f32 v27, v25, v27
	s_delay_alu instid0(VALU_DEP_1) | instskip(NEXT) | instid1(VALU_DEP_2)
	v_add_f32_e32 v29, 1.0, v26
	v_add_f32_e32 v27, v23, v27
	s_delay_alu instid0(VALU_DEP_2) | instskip(NEXT) | instid1(VALU_DEP_2)
	v_sub_f32_e32 v25, v25, v29
	v_add_f32_e32 v29, v28, v27
	s_delay_alu instid0(VALU_DEP_2) | instskip(NEXT) | instid1(VALU_DEP_2)
	v_add_f32_e32 v23, v23, v25
	v_rcp_f32_e32 v25, v29
	v_sub_f32_e32 v28, v28, v29
	s_delay_alu instid0(VALU_DEP_1) | instskip(NEXT) | instid1(VALU_DEP_1)
	v_dual_add_f32 v30, v26, v23 :: v_dual_add_f32 v27, v27, v28
	v_sub_f32_e32 v26, v26, v30
	s_delay_alu instid0(TRANS32_DEP_1) | instskip(NEXT) | instid1(VALU_DEP_1)
	v_mul_f32_e32 v31, v30, v25
	v_dual_add_f32 v23, v23, v26 :: v_dual_mul_f32 v32, v29, v31
	s_delay_alu instid0(VALU_DEP_1) | instskip(NEXT) | instid1(VALU_DEP_1)
	v_fma_f32 v28, v31, v29, -v32
	v_fmac_f32_e32 v28, v31, v27
	s_delay_alu instid0(VALU_DEP_1) | instskip(NEXT) | instid1(VALU_DEP_1)
	v_add_f32_e32 v33, v32, v28
	v_sub_f32_e32 v34, v30, v33
	v_sub_f32_e32 v26, v33, v32
	s_delay_alu instid0(VALU_DEP_2) | instskip(NEXT) | instid1(VALU_DEP_2)
	v_sub_f32_e32 v30, v30, v34
	v_sub_f32_e32 v26, v26, v28
	s_delay_alu instid0(VALU_DEP_2) | instskip(NEXT) | instid1(VALU_DEP_1)
	v_sub_f32_e32 v30, v30, v33
	v_add_f32_e32 v23, v23, v30
	s_delay_alu instid0(VALU_DEP_1) | instskip(NEXT) | instid1(VALU_DEP_1)
	v_add_f32_e32 v23, v26, v23
	v_add_f32_e32 v26, v34, v23
	s_delay_alu instid0(VALU_DEP_1) | instskip(NEXT) | instid1(VALU_DEP_1)
	v_mul_f32_e32 v28, v25, v26
	v_dual_sub_f32 v33, v34, v26 :: v_dual_mul_f32 v30, v29, v28
	s_delay_alu instid0(VALU_DEP_1) | instskip(NEXT) | instid1(VALU_DEP_2)
	v_add_f32_e32 v23, v23, v33
	v_fma_f32 v29, v28, v29, -v30
	s_delay_alu instid0(VALU_DEP_1) | instskip(NEXT) | instid1(VALU_DEP_1)
	v_fmac_f32_e32 v29, v28, v27
	v_add_f32_e32 v27, v30, v29
	s_delay_alu instid0(VALU_DEP_1) | instskip(SKIP_1) | instid1(VALU_DEP_2)
	v_sub_f32_e32 v32, v26, v27
	v_sub_f32_e32 v30, v27, v30
	;; [unrolled: 1-line block ×3, first 2 shown]
	s_delay_alu instid0(VALU_DEP_1) | instskip(NEXT) | instid1(VALU_DEP_3)
	v_sub_f32_e32 v26, v26, v27
	v_sub_f32_e32 v27, v30, v29
	s_delay_alu instid0(VALU_DEP_2) | instskip(SKIP_1) | instid1(VALU_DEP_2)
	v_add_f32_e32 v23, v23, v26
	v_add_f32_e32 v26, v31, v28
	;; [unrolled: 1-line block ×3, first 2 shown]
	s_delay_alu instid0(VALU_DEP_2) | instskip(NEXT) | instid1(VALU_DEP_2)
	v_sub_f32_e32 v27, v26, v31
	v_add_f32_e32 v23, v32, v23
	s_delay_alu instid0(VALU_DEP_2) | instskip(NEXT) | instid1(VALU_DEP_2)
	v_sub_f32_e32 v27, v28, v27
	v_mul_f32_e32 v23, v25, v23
	s_delay_alu instid0(VALU_DEP_1) | instskip(NEXT) | instid1(VALU_DEP_1)
	v_add_f32_e32 v23, v27, v23
	v_add_f32_e32 v25, v26, v23
	s_delay_alu instid0(VALU_DEP_1) | instskip(SKIP_1) | instid1(VALU_DEP_1)
	v_mul_f32_e32 v27, v25, v25
	s_wait_alu 0xfffe
	v_fmaak_f32 v28, s1, v27, 0x3ecc95a3
	v_mul_f32_e32 v29, v25, v27
	v_cmp_neq_f32_e64 s1, 0x7f800000, v24
	s_delay_alu instid0(VALU_DEP_3) | instskip(SKIP_2) | instid1(VALU_DEP_3)
	v_fmaak_f32 v27, v27, v28, 0x3f2aaada
	v_ldexp_f32 v28, v25, 1
	v_sub_f32_e32 v25, v25, v26
	v_mul_f32_e32 v27, v29, v27
	v_mul_f32_e32 v29, 0x3f317218, v22
	s_delay_alu instid0(VALU_DEP_2) | instskip(NEXT) | instid1(VALU_DEP_1)
	v_dual_sub_f32 v23, v23, v25 :: v_dual_add_f32 v26, v28, v27
	v_ldexp_f32 v23, v23, 1
	s_delay_alu instid0(VALU_DEP_2) | instskip(NEXT) | instid1(VALU_DEP_4)
	v_sub_f32_e32 v25, v26, v28
	v_fma_f32 v28, 0x3f317218, v22, -v29
	s_delay_alu instid0(VALU_DEP_1) | instskip(NEXT) | instid1(VALU_DEP_1)
	v_dual_sub_f32 v25, v27, v25 :: v_dual_fmamk_f32 v22, v22, 0xb102e308, v28
	v_add_f32_e32 v23, v23, v25
	s_delay_alu instid0(VALU_DEP_2) | instskip(NEXT) | instid1(VALU_DEP_2)
	v_add_f32_e32 v25, v29, v22
	v_add_f32_e32 v27, v26, v23
	s_delay_alu instid0(VALU_DEP_2) | instskip(NEXT) | instid1(VALU_DEP_2)
	v_sub_f32_e32 v29, v25, v29
	v_add_f32_e32 v28, v25, v27
	v_sub_f32_e32 v26, v27, v26
	s_delay_alu instid0(VALU_DEP_3) | instskip(NEXT) | instid1(VALU_DEP_2)
	v_sub_f32_e32 v22, v22, v29
	v_dual_sub_f32 v30, v28, v25 :: v_dual_sub_f32 v23, v23, v26
	s_delay_alu instid0(VALU_DEP_1) | instskip(NEXT) | instid1(VALU_DEP_2)
	v_sub_f32_e32 v31, v28, v30
	v_dual_sub_f32 v26, v27, v30 :: v_dual_add_f32 v27, v22, v23
	s_delay_alu instid0(VALU_DEP_2) | instskip(NEXT) | instid1(VALU_DEP_1)
	v_sub_f32_e32 v25, v25, v31
	v_dual_add_f32 v25, v26, v25 :: v_dual_sub_f32 v26, v27, v22
	s_delay_alu instid0(VALU_DEP_1) | instskip(NEXT) | instid1(VALU_DEP_2)
	v_add_f32_e32 v25, v27, v25
	v_sub_f32_e32 v27, v27, v26
	v_sub_f32_e32 v23, v23, v26
	s_delay_alu instid0(VALU_DEP_2) | instskip(NEXT) | instid1(VALU_DEP_1)
	v_dual_add_f32 v29, v28, v25 :: v_dual_sub_f32 v22, v22, v27
	v_sub_f32_e32 v26, v29, v28
	s_delay_alu instid0(VALU_DEP_2) | instskip(NEXT) | instid1(VALU_DEP_2)
	v_add_f32_e32 v22, v23, v22
	v_sub_f32_e32 v23, v25, v26
	s_delay_alu instid0(VALU_DEP_1) | instskip(NEXT) | instid1(VALU_DEP_1)
	v_add_f32_e32 v22, v22, v23
	v_add_f32_e32 v22, v29, v22
	s_wait_alu 0xf1ff
	s_delay_alu instid0(VALU_DEP_1) | instskip(SKIP_2) | instid1(VALU_DEP_1)
	v_cndmask_b32_e64 v22, 0x7f800000, v22, s1
	v_cmp_gt_f32_e64 s1, 0x33800000, |v24|
	s_wait_alu 0xf1ff
	v_cndmask_b32_e64 v22, v22, v24, s1
	s_delay_alu instid0(VALU_DEP_1) | instskip(NEXT) | instid1(VALU_DEP_1)
	v_add_f32_e32 v21, v21, v22
	v_cvt_f16_f32_e32 v23, v21
.LBB430_80:
	s_or_b32 exec_lo, exec_lo, s29
	s_delay_alu instid0(VALU_DEP_1)
	v_mov_b32_e32 v22, v23
.LBB430_81:
	s_or_b32 exec_lo, exec_lo, s28
	v_add_nc_u32_e32 v21, -1, v20
	s_delay_alu instid0(VALU_DEP_1) | instskip(SKIP_1) | instid1(VALU_DEP_1)
	v_cmp_gt_i32_e64 s1, 0, v21
	s_wait_alu 0xf1ff
	v_cndmask_b32_e64 v20, v21, v20, s1
	v_and_b32_e32 v21, 0xffff, v22
	s_delay_alu instid0(VALU_DEP_2)
	v_lshlrev_b32_e32 v20, 2, v20
	ds_bpermute_b32 v20, v20, v21
	v_max_num_f32_e32 v21, v19, v19
	s_wait_dscnt 0x0
	v_cvt_f32_f16_e32 v22, v20
	v_cmp_u_f16_e64 s1, v20, v20
	s_delay_alu instid0(VALU_DEP_2) | instskip(SKIP_2) | instid1(VALU_DEP_2)
	v_min_num_f32_e32 v23, v22, v21
	v_max_num_f32_e32 v21, v22, v21
	s_wait_alu 0xf1ff
	v_cndmask_b32_e64 v23, v23, v22, s1
	s_delay_alu instid0(VALU_DEP_2) | instskip(NEXT) | instid1(VALU_DEP_2)
	v_cndmask_b32_e64 v22, v21, v22, s1
	v_cndmask_b32_e64 v21, v23, v19, s0
	s_delay_alu instid0(VALU_DEP_2) | instskip(NEXT) | instid1(VALU_DEP_2)
	v_cndmask_b32_e64 v19, v22, v19, s0
	v_cmp_class_f32_e64 s1, v21, 0x1f8
	s_delay_alu instid0(VALU_DEP_2)
	v_cmp_neq_f32_e64 s0, v21, v19
	s_or_b32 s0, s0, s1
	s_wait_alu 0xfffe
	s_and_saveexec_b32 s1, s0
	s_cbranch_execz .LBB430_83
; %bb.82:
	v_sub_f32_e32 v20, v21, v19
	s_delay_alu instid0(VALU_DEP_1) | instskip(SKIP_1) | instid1(VALU_DEP_2)
	v_mul_f32_e32 v21, 0x3fb8aa3b, v20
	v_cmp_ngt_f32_e64 s0, 0xc2ce8ed0, v20
	v_fma_f32 v22, 0x3fb8aa3b, v20, -v21
	v_rndne_f32_e32 v23, v21
	s_delay_alu instid0(VALU_DEP_1) | instskip(NEXT) | instid1(VALU_DEP_1)
	v_dual_fmamk_f32 v22, v20, 0x32a5705f, v22 :: v_dual_sub_f32 v21, v21, v23
	v_add_f32_e32 v21, v21, v22
	v_cvt_i32_f32_e32 v22, v23
	s_delay_alu instid0(VALU_DEP_2) | instskip(NEXT) | instid1(TRANS32_DEP_1)
	v_exp_f32_e32 v21, v21
	v_ldexp_f32 v21, v21, v22
	s_wait_alu 0xf1ff
	s_delay_alu instid0(VALU_DEP_1) | instskip(SKIP_2) | instid1(VALU_DEP_1)
	v_cndmask_b32_e64 v21, 0, v21, s0
	v_cmp_nlt_f32_e64 s0, 0x42b17218, v20
	s_wait_alu 0xf1ff
	v_cndmask_b32_e64 v22, 0x7f800000, v21, s0
	s_delay_alu instid0(VALU_DEP_1) | instskip(NEXT) | instid1(VALU_DEP_1)
	v_add_f32_e32 v23, 1.0, v22
	v_cvt_f64_f32_e32 v[20:21], v23
	s_delay_alu instid0(VALU_DEP_1) | instskip(SKIP_1) | instid1(VALU_DEP_1)
	v_frexp_exp_i32_f64_e32 v20, v[20:21]
	v_frexp_mant_f32_e32 v21, v23
	v_cmp_gt_f32_e64 s0, 0x3f2aaaab, v21
	v_add_f32_e32 v21, -1.0, v23
	s_delay_alu instid0(VALU_DEP_1)
	v_sub_f32_e32 v25, v21, v23
	v_sub_f32_e32 v21, v22, v21
	s_wait_alu 0xf1ff
	v_subrev_co_ci_u32_e64 v20, null, 0, v20, s0
	s_mov_b32 s0, 0x3e9b6dac
	v_sub_nc_u32_e32 v24, 0, v20
	v_cvt_f32_i32_e32 v20, v20
	s_delay_alu instid0(VALU_DEP_2) | instskip(NEXT) | instid1(VALU_DEP_1)
	v_ldexp_f32 v23, v23, v24
	v_dual_add_f32 v26, 1.0, v23 :: v_dual_add_f32 v25, 1.0, v25
	s_delay_alu instid0(VALU_DEP_1) | instskip(NEXT) | instid1(VALU_DEP_2)
	v_add_f32_e32 v21, v21, v25
	v_add_f32_e32 v25, -1.0, v26
	s_delay_alu instid0(VALU_DEP_2) | instskip(NEXT) | instid1(VALU_DEP_2)
	v_ldexp_f32 v21, v21, v24
	v_dual_add_f32 v24, -1.0, v23 :: v_dual_sub_f32 v25, v23, v25
	s_delay_alu instid0(VALU_DEP_1) | instskip(NEXT) | instid1(VALU_DEP_2)
	v_add_f32_e32 v27, 1.0, v24
	v_add_f32_e32 v25, v21, v25
	s_delay_alu instid0(VALU_DEP_2) | instskip(NEXT) | instid1(VALU_DEP_2)
	v_sub_f32_e32 v23, v23, v27
	v_add_f32_e32 v27, v26, v25
	s_delay_alu instid0(VALU_DEP_2) | instskip(NEXT) | instid1(VALU_DEP_2)
	v_add_f32_e32 v21, v21, v23
	v_rcp_f32_e32 v23, v27
	v_sub_f32_e32 v26, v26, v27
	s_delay_alu instid0(VALU_DEP_1) | instskip(NEXT) | instid1(VALU_DEP_1)
	v_dual_add_f32 v28, v24, v21 :: v_dual_add_f32 v25, v25, v26
	v_sub_f32_e32 v24, v24, v28
	s_delay_alu instid0(TRANS32_DEP_1) | instskip(NEXT) | instid1(VALU_DEP_1)
	v_mul_f32_e32 v29, v28, v23
	v_dual_add_f32 v21, v21, v24 :: v_dual_mul_f32 v30, v27, v29
	s_delay_alu instid0(VALU_DEP_1) | instskip(NEXT) | instid1(VALU_DEP_1)
	v_fma_f32 v26, v29, v27, -v30
	v_fmac_f32_e32 v26, v29, v25
	s_delay_alu instid0(VALU_DEP_1) | instskip(NEXT) | instid1(VALU_DEP_1)
	v_add_f32_e32 v31, v30, v26
	v_sub_f32_e32 v32, v28, v31
	v_sub_f32_e32 v24, v31, v30
	s_delay_alu instid0(VALU_DEP_2) | instskip(NEXT) | instid1(VALU_DEP_2)
	v_sub_f32_e32 v28, v28, v32
	v_sub_f32_e32 v24, v24, v26
	s_delay_alu instid0(VALU_DEP_2) | instskip(NEXT) | instid1(VALU_DEP_1)
	v_sub_f32_e32 v28, v28, v31
	v_add_f32_e32 v21, v21, v28
	s_delay_alu instid0(VALU_DEP_1) | instskip(NEXT) | instid1(VALU_DEP_1)
	v_add_f32_e32 v21, v24, v21
	v_add_f32_e32 v24, v32, v21
	s_delay_alu instid0(VALU_DEP_1) | instskip(NEXT) | instid1(VALU_DEP_1)
	v_mul_f32_e32 v26, v23, v24
	v_dual_sub_f32 v31, v32, v24 :: v_dual_mul_f32 v28, v27, v26
	s_delay_alu instid0(VALU_DEP_1) | instskip(NEXT) | instid1(VALU_DEP_2)
	v_add_f32_e32 v21, v21, v31
	v_fma_f32 v27, v26, v27, -v28
	s_delay_alu instid0(VALU_DEP_1) | instskip(NEXT) | instid1(VALU_DEP_1)
	v_fmac_f32_e32 v27, v26, v25
	v_add_f32_e32 v25, v28, v27
	s_delay_alu instid0(VALU_DEP_1) | instskip(SKIP_1) | instid1(VALU_DEP_2)
	v_sub_f32_e32 v30, v24, v25
	v_sub_f32_e32 v28, v25, v28
	;; [unrolled: 1-line block ×3, first 2 shown]
	s_delay_alu instid0(VALU_DEP_1) | instskip(NEXT) | instid1(VALU_DEP_3)
	v_sub_f32_e32 v24, v24, v25
	v_sub_f32_e32 v25, v28, v27
	s_delay_alu instid0(VALU_DEP_2) | instskip(SKIP_1) | instid1(VALU_DEP_2)
	v_add_f32_e32 v21, v21, v24
	v_add_f32_e32 v24, v29, v26
	;; [unrolled: 1-line block ×3, first 2 shown]
	s_delay_alu instid0(VALU_DEP_2) | instskip(NEXT) | instid1(VALU_DEP_2)
	v_sub_f32_e32 v25, v24, v29
	v_add_f32_e32 v21, v30, v21
	s_delay_alu instid0(VALU_DEP_2) | instskip(NEXT) | instid1(VALU_DEP_2)
	v_sub_f32_e32 v25, v26, v25
	v_mul_f32_e32 v21, v23, v21
	s_delay_alu instid0(VALU_DEP_1) | instskip(NEXT) | instid1(VALU_DEP_1)
	v_add_f32_e32 v21, v25, v21
	v_add_f32_e32 v23, v24, v21
	s_delay_alu instid0(VALU_DEP_1) | instskip(SKIP_1) | instid1(VALU_DEP_1)
	v_mul_f32_e32 v25, v23, v23
	s_wait_alu 0xfffe
	v_fmaak_f32 v26, s0, v25, 0x3ecc95a3
	v_mul_f32_e32 v27, v23, v25
	v_cmp_neq_f32_e64 s0, 0x7f800000, v22
	s_delay_alu instid0(VALU_DEP_3) | instskip(SKIP_2) | instid1(VALU_DEP_3)
	v_fmaak_f32 v25, v25, v26, 0x3f2aaada
	v_ldexp_f32 v26, v23, 1
	v_sub_f32_e32 v23, v23, v24
	v_mul_f32_e32 v25, v27, v25
	v_mul_f32_e32 v27, 0x3f317218, v20
	s_delay_alu instid0(VALU_DEP_2) | instskip(NEXT) | instid1(VALU_DEP_1)
	v_dual_sub_f32 v21, v21, v23 :: v_dual_add_f32 v24, v26, v25
	v_ldexp_f32 v21, v21, 1
	s_delay_alu instid0(VALU_DEP_2) | instskip(NEXT) | instid1(VALU_DEP_4)
	v_sub_f32_e32 v23, v24, v26
	v_fma_f32 v26, 0x3f317218, v20, -v27
	s_delay_alu instid0(VALU_DEP_1) | instskip(NEXT) | instid1(VALU_DEP_1)
	v_dual_sub_f32 v23, v25, v23 :: v_dual_fmamk_f32 v20, v20, 0xb102e308, v26
	v_add_f32_e32 v21, v21, v23
	s_delay_alu instid0(VALU_DEP_2) | instskip(NEXT) | instid1(VALU_DEP_2)
	v_add_f32_e32 v23, v27, v20
	v_add_f32_e32 v25, v24, v21
	s_delay_alu instid0(VALU_DEP_2) | instskip(NEXT) | instid1(VALU_DEP_2)
	v_sub_f32_e32 v27, v23, v27
	v_add_f32_e32 v26, v23, v25
	v_sub_f32_e32 v24, v25, v24
	s_delay_alu instid0(VALU_DEP_3) | instskip(NEXT) | instid1(VALU_DEP_2)
	v_sub_f32_e32 v20, v20, v27
	v_dual_sub_f32 v28, v26, v23 :: v_dual_sub_f32 v21, v21, v24
	s_delay_alu instid0(VALU_DEP_1) | instskip(NEXT) | instid1(VALU_DEP_2)
	v_sub_f32_e32 v29, v26, v28
	v_dual_sub_f32 v24, v25, v28 :: v_dual_add_f32 v25, v20, v21
	s_delay_alu instid0(VALU_DEP_2) | instskip(NEXT) | instid1(VALU_DEP_1)
	v_sub_f32_e32 v23, v23, v29
	v_dual_add_f32 v23, v24, v23 :: v_dual_sub_f32 v24, v25, v20
	s_delay_alu instid0(VALU_DEP_1) | instskip(NEXT) | instid1(VALU_DEP_2)
	v_add_f32_e32 v23, v25, v23
	v_sub_f32_e32 v25, v25, v24
	v_sub_f32_e32 v21, v21, v24
	s_delay_alu instid0(VALU_DEP_2) | instskip(NEXT) | instid1(VALU_DEP_1)
	v_dual_add_f32 v27, v26, v23 :: v_dual_sub_f32 v20, v20, v25
	v_sub_f32_e32 v24, v27, v26
	s_delay_alu instid0(VALU_DEP_2) | instskip(NEXT) | instid1(VALU_DEP_2)
	v_add_f32_e32 v20, v21, v20
	v_sub_f32_e32 v21, v23, v24
	s_delay_alu instid0(VALU_DEP_1) | instskip(NEXT) | instid1(VALU_DEP_1)
	v_add_f32_e32 v20, v20, v21
	v_add_f32_e32 v20, v27, v20
	s_wait_alu 0xf1ff
	s_delay_alu instid0(VALU_DEP_1) | instskip(SKIP_2) | instid1(VALU_DEP_1)
	v_cndmask_b32_e64 v20, 0x7f800000, v20, s0
	v_cmp_gt_f32_e64 s0, 0x33800000, |v22|
	s_wait_alu 0xf1ff
	v_cndmask_b32_e64 v20, v20, v22, s0
	s_delay_alu instid0(VALU_DEP_1) | instskip(NEXT) | instid1(VALU_DEP_1)
	v_add_f32_e32 v19, v19, v20
	v_cvt_f16_f32_e32 v20, v19
.LBB430_83:
	s_wait_alu 0xfffe
	s_or_b32 exec_lo, exec_lo, s1
	v_cmp_eq_u32_e64 s0, 0, v0
	; wave barrier
	s_wait_alu 0xf1ff
	s_delay_alu instid0(VALU_DEP_1)
	v_cndmask_b32_e64 v18, v20, v18, s0
	ds_store_b16 v17, v18
	; wave barrier
	ds_load_u16 v20, v17 offset:2
	v_cvt_f32_f16_e32 v19, v18
	v_cmp_u_f16_e64 s0, v18, v18
	s_wait_dscnt 0x0
	v_cvt_f32_f16_e32 v22, v20
	s_delay_alu instid0(VALU_DEP_1) | instskip(SKIP_2) | instid1(VALU_DEP_2)
	v_min_num_f32_e32 v21, v19, v22
	v_max_num_f32_e32 v23, v19, v22
	s_wait_alu 0xf1ff
	v_cndmask_b32_e64 v21, v21, v19, s0
	s_delay_alu instid0(VALU_DEP_2) | instskip(SKIP_2) | instid1(VALU_DEP_1)
	v_cndmask_b32_e64 v23, v23, v19, s0
	v_cmp_u_f16_e64 s0, v20, v20
	s_wait_alu 0xf1ff
	v_cndmask_b32_e64 v21, v21, v22, s0
	s_delay_alu instid0(VALU_DEP_3) | instskip(NEXT) | instid1(VALU_DEP_2)
	v_cndmask_b32_e64 v20, v23, v22, s0
	v_cmp_class_f32_e64 s1, v21, 0x1f8
	s_delay_alu instid0(VALU_DEP_2)
	v_cmp_neq_f32_e64 s0, v21, v20
	s_or_b32 s0, s0, s1
	s_wait_alu 0xfffe
	s_and_saveexec_b32 s1, s0
	s_cbranch_execz .LBB430_85
; %bb.84:
	v_sub_f32_e32 v18, v21, v20
	s_delay_alu instid0(VALU_DEP_1) | instskip(NEXT) | instid1(VALU_DEP_1)
	v_mul_f32_e32 v19, 0x3fb8aa3b, v18
	v_fma_f32 v21, 0x3fb8aa3b, v18, -v19
	v_rndne_f32_e32 v22, v19
	s_delay_alu instid0(VALU_DEP_1) | instskip(NEXT) | instid1(VALU_DEP_3)
	v_sub_f32_e32 v19, v19, v22
	v_fmamk_f32 v21, v18, 0x32a5705f, v21
	v_cmp_ngt_f32_e64 s0, 0xc2ce8ed0, v18
	s_delay_alu instid0(VALU_DEP_2) | instskip(SKIP_1) | instid1(VALU_DEP_2)
	v_add_f32_e32 v19, v19, v21
	v_cvt_i32_f32_e32 v21, v22
	v_exp_f32_e32 v19, v19
	s_delay_alu instid0(TRANS32_DEP_1) | instskip(SKIP_1) | instid1(VALU_DEP_1)
	v_ldexp_f32 v19, v19, v21
	s_wait_alu 0xf1ff
	v_cndmask_b32_e64 v19, 0, v19, s0
	v_cmp_nlt_f32_e64 s0, 0x42b17218, v18
	s_wait_alu 0xf1ff
	s_delay_alu instid0(VALU_DEP_1) | instskip(NEXT) | instid1(VALU_DEP_1)
	v_cndmask_b32_e64 v21, 0x7f800000, v19, s0
	v_add_f32_e32 v22, 1.0, v21
	s_delay_alu instid0(VALU_DEP_1) | instskip(NEXT) | instid1(VALU_DEP_1)
	v_cvt_f64_f32_e32 v[18:19], v22
	v_frexp_exp_i32_f64_e32 v18, v[18:19]
	v_frexp_mant_f32_e32 v19, v22
	s_delay_alu instid0(VALU_DEP_1) | instskip(SKIP_1) | instid1(VALU_DEP_1)
	v_cmp_gt_f32_e64 s0, 0x3f2aaaab, v19
	v_add_f32_e32 v19, -1.0, v22
	v_sub_f32_e32 v24, v19, v22
	s_delay_alu instid0(VALU_DEP_1)
	v_add_f32_e32 v24, 1.0, v24
	s_wait_alu 0xf1ff
	v_subrev_co_ci_u32_e64 v18, null, 0, v18, s0
	s_mov_b32 s0, 0x3e9b6dac
	v_sub_nc_u32_e32 v23, 0, v18
	v_cvt_f32_i32_e32 v18, v18
	s_delay_alu instid0(VALU_DEP_2) | instskip(SKIP_1) | instid1(VALU_DEP_1)
	v_ldexp_f32 v22, v22, v23
	v_sub_f32_e32 v19, v21, v19
	v_add_f32_e32 v19, v19, v24
	s_delay_alu instid0(VALU_DEP_1) | instskip(NEXT) | instid1(VALU_DEP_4)
	v_ldexp_f32 v19, v19, v23
	v_add_f32_e32 v23, -1.0, v22
	s_delay_alu instid0(VALU_DEP_1) | instskip(NEXT) | instid1(VALU_DEP_1)
	v_dual_add_f32 v25, 1.0, v22 :: v_dual_add_f32 v26, 1.0, v23
	v_add_f32_e32 v24, -1.0, v25
	s_delay_alu instid0(VALU_DEP_1) | instskip(NEXT) | instid1(VALU_DEP_3)
	v_sub_f32_e32 v24, v22, v24
	v_sub_f32_e32 v22, v22, v26
	s_delay_alu instid0(VALU_DEP_2) | instskip(NEXT) | instid1(VALU_DEP_1)
	v_add_f32_e32 v24, v19, v24
	v_dual_add_f32 v19, v19, v22 :: v_dual_add_f32 v26, v25, v24
	s_delay_alu instid0(VALU_DEP_1) | instskip(SKIP_1) | instid1(VALU_DEP_1)
	v_rcp_f32_e32 v22, v26
	v_sub_f32_e32 v25, v25, v26
	v_dual_add_f32 v27, v23, v19 :: v_dual_add_f32 v24, v24, v25
	s_delay_alu instid0(VALU_DEP_1) | instskip(NEXT) | instid1(TRANS32_DEP_1)
	v_sub_f32_e32 v23, v23, v27
	v_mul_f32_e32 v28, v27, v22
	s_delay_alu instid0(VALU_DEP_2) | instskip(NEXT) | instid1(VALU_DEP_2)
	v_add_f32_e32 v19, v19, v23
	v_mul_f32_e32 v29, v26, v28
	s_delay_alu instid0(VALU_DEP_1) | instskip(NEXT) | instid1(VALU_DEP_1)
	v_fma_f32 v25, v28, v26, -v29
	v_fmac_f32_e32 v25, v28, v24
	s_delay_alu instid0(VALU_DEP_1) | instskip(NEXT) | instid1(VALU_DEP_1)
	v_add_f32_e32 v30, v29, v25
	v_sub_f32_e32 v31, v27, v30
	v_sub_f32_e32 v23, v30, v29
	s_delay_alu instid0(VALU_DEP_2) | instskip(NEXT) | instid1(VALU_DEP_2)
	v_sub_f32_e32 v27, v27, v31
	v_sub_f32_e32 v23, v23, v25
	s_delay_alu instid0(VALU_DEP_2) | instskip(NEXT) | instid1(VALU_DEP_1)
	v_sub_f32_e32 v27, v27, v30
	v_add_f32_e32 v19, v19, v27
	s_delay_alu instid0(VALU_DEP_1) | instskip(NEXT) | instid1(VALU_DEP_1)
	v_add_f32_e32 v19, v23, v19
	v_add_f32_e32 v23, v31, v19
	s_delay_alu instid0(VALU_DEP_1) | instskip(NEXT) | instid1(VALU_DEP_1)
	v_mul_f32_e32 v25, v22, v23
	v_mul_f32_e32 v27, v26, v25
	s_delay_alu instid0(VALU_DEP_1) | instskip(NEXT) | instid1(VALU_DEP_1)
	v_fma_f32 v26, v25, v26, -v27
	v_fmac_f32_e32 v26, v25, v24
	v_sub_f32_e32 v30, v31, v23
	s_delay_alu instid0(VALU_DEP_2) | instskip(NEXT) | instid1(VALU_DEP_2)
	v_add_f32_e32 v24, v27, v26
	v_add_f32_e32 v19, v19, v30
	s_delay_alu instid0(VALU_DEP_2) | instskip(SKIP_1) | instid1(VALU_DEP_2)
	v_sub_f32_e32 v29, v23, v24
	v_sub_f32_e32 v27, v24, v27
	;; [unrolled: 1-line block ×3, first 2 shown]
	s_delay_alu instid0(VALU_DEP_1) | instskip(NEXT) | instid1(VALU_DEP_3)
	v_sub_f32_e32 v23, v23, v24
	v_sub_f32_e32 v24, v27, v26
	s_delay_alu instid0(VALU_DEP_2) | instskip(SKIP_1) | instid1(VALU_DEP_1)
	v_add_f32_e32 v19, v19, v23
	v_add_f32_e32 v23, v28, v25
	v_dual_add_f32 v19, v24, v19 :: v_dual_sub_f32 v24, v23, v28
	s_delay_alu instid0(VALU_DEP_1) | instskip(NEXT) | instid1(VALU_DEP_1)
	v_add_f32_e32 v19, v29, v19
	v_dual_sub_f32 v24, v25, v24 :: v_dual_mul_f32 v19, v22, v19
	s_delay_alu instid0(VALU_DEP_1) | instskip(NEXT) | instid1(VALU_DEP_1)
	v_add_f32_e32 v19, v24, v19
	v_add_f32_e32 v22, v23, v19
	s_delay_alu instid0(VALU_DEP_1) | instskip(SKIP_1) | instid1(VALU_DEP_1)
	v_mul_f32_e32 v24, v22, v22
	s_wait_alu 0xfffe
	v_fmaak_f32 v25, s0, v24, 0x3ecc95a3
	v_mul_f32_e32 v26, v22, v24
	v_cmp_neq_f32_e64 s0, 0x7f800000, v21
	s_delay_alu instid0(VALU_DEP_3) | instskip(SKIP_2) | instid1(VALU_DEP_3)
	v_fmaak_f32 v24, v24, v25, 0x3f2aaada
	v_ldexp_f32 v25, v22, 1
	v_sub_f32_e32 v22, v22, v23
	v_mul_f32_e32 v24, v26, v24
	v_mul_f32_e32 v26, 0x3f317218, v18
	s_delay_alu instid0(VALU_DEP_3) | instskip(NEXT) | instid1(VALU_DEP_3)
	v_sub_f32_e32 v19, v19, v22
	v_add_f32_e32 v23, v25, v24
	s_delay_alu instid0(VALU_DEP_2) | instskip(NEXT) | instid1(VALU_DEP_2)
	v_ldexp_f32 v19, v19, 1
	v_sub_f32_e32 v22, v23, v25
	v_fma_f32 v25, 0x3f317218, v18, -v26
	s_delay_alu instid0(VALU_DEP_2) | instskip(NEXT) | instid1(VALU_DEP_1)
	v_sub_f32_e32 v22, v24, v22
	v_dual_fmamk_f32 v18, v18, 0xb102e308, v25 :: v_dual_add_f32 v19, v19, v22
	s_delay_alu instid0(VALU_DEP_1) | instskip(NEXT) | instid1(VALU_DEP_2)
	v_add_f32_e32 v22, v26, v18
	v_add_f32_e32 v24, v23, v19
	s_delay_alu instid0(VALU_DEP_2) | instskip(NEXT) | instid1(VALU_DEP_2)
	v_sub_f32_e32 v26, v22, v26
	v_add_f32_e32 v25, v22, v24
	s_delay_alu instid0(VALU_DEP_2) | instskip(NEXT) | instid1(VALU_DEP_2)
	v_dual_sub_f32 v23, v24, v23 :: v_dual_sub_f32 v18, v18, v26
	v_sub_f32_e32 v27, v25, v22
	s_delay_alu instid0(VALU_DEP_2) | instskip(NEXT) | instid1(VALU_DEP_2)
	v_sub_f32_e32 v19, v19, v23
	v_sub_f32_e32 v28, v25, v27
	;; [unrolled: 1-line block ×3, first 2 shown]
	s_delay_alu instid0(VALU_DEP_3) | instskip(NEXT) | instid1(VALU_DEP_3)
	v_add_f32_e32 v24, v18, v19
	v_sub_f32_e32 v22, v22, v28
	s_delay_alu instid0(VALU_DEP_1) | instskip(NEXT) | instid1(VALU_DEP_3)
	v_add_f32_e32 v22, v23, v22
	v_sub_f32_e32 v23, v24, v18
	s_delay_alu instid0(VALU_DEP_2) | instskip(NEXT) | instid1(VALU_DEP_2)
	v_add_f32_e32 v22, v24, v22
	v_sub_f32_e32 v24, v24, v23
	s_delay_alu instid0(VALU_DEP_1) | instskip(NEXT) | instid1(VALU_DEP_1)
	v_dual_sub_f32 v19, v19, v23 :: v_dual_sub_f32 v18, v18, v24
	v_add_f32_e32 v18, v19, v18
	s_delay_alu instid0(VALU_DEP_4) | instskip(NEXT) | instid1(VALU_DEP_1)
	v_add_f32_e32 v26, v25, v22
	v_sub_f32_e32 v23, v26, v25
	s_delay_alu instid0(VALU_DEP_1) | instskip(NEXT) | instid1(VALU_DEP_1)
	v_sub_f32_e32 v19, v22, v23
	v_add_f32_e32 v18, v18, v19
	s_delay_alu instid0(VALU_DEP_1) | instskip(SKIP_1) | instid1(VALU_DEP_1)
	v_add_f32_e32 v18, v26, v18
	s_wait_alu 0xf1ff
	v_cndmask_b32_e64 v18, 0x7f800000, v18, s0
	v_cmp_gt_f32_e64 s0, 0x33800000, |v21|
	s_wait_alu 0xf1ff
	s_delay_alu instid0(VALU_DEP_1) | instskip(NEXT) | instid1(VALU_DEP_1)
	v_cndmask_b32_e64 v18, v18, v21, s0
	v_add_f32_e32 v18, v20, v18
	s_delay_alu instid0(VALU_DEP_1) | instskip(NEXT) | instid1(VALU_DEP_1)
	v_cvt_f16_f32_e32 v18, v18
	v_cvt_f32_f16_e32 v19, v18
.LBB430_85:
	s_wait_alu 0xfffe
	s_or_b32 exec_lo, exec_lo, s1
	ds_load_u16 v20, v17 offset:4
	v_max_num_f32_e32 v21, v19, v19
	v_cmp_u_f16_e64 s0, v18, v18
	ds_store_b16 v17, v18 offset:2
	s_wait_dscnt 0x1
	v_cvt_f32_f16_e32 v22, v20
	s_delay_alu instid0(VALU_DEP_1) | instskip(SKIP_2) | instid1(VALU_DEP_2)
	v_min_num_f32_e32 v23, v21, v22
	v_max_num_f32_e32 v21, v21, v22
	s_wait_alu 0xf1ff
	v_cndmask_b32_e64 v23, v23, v19, s0
	s_delay_alu instid0(VALU_DEP_2) | instskip(SKIP_2) | instid1(VALU_DEP_1)
	v_cndmask_b32_e64 v24, v21, v19, s0
	v_cmp_u_f16_e64 s0, v20, v20
	s_wait_alu 0xf1ff
	v_cndmask_b32_e64 v21, v23, v22, s0
	s_delay_alu instid0(VALU_DEP_3) | instskip(NEXT) | instid1(VALU_DEP_2)
	v_cndmask_b32_e64 v20, v24, v22, s0
	v_cmp_class_f32_e64 s1, v21, 0x1f8
	s_delay_alu instid0(VALU_DEP_2)
	v_cmp_neq_f32_e64 s0, v21, v20
	s_or_b32 s0, s0, s1
	s_wait_alu 0xfffe
	s_and_saveexec_b32 s1, s0
	s_cbranch_execz .LBB430_87
; %bb.86:
	v_sub_f32_e32 v18, v21, v20
	s_delay_alu instid0(VALU_DEP_1) | instskip(NEXT) | instid1(VALU_DEP_1)
	v_mul_f32_e32 v19, 0x3fb8aa3b, v18
	v_fma_f32 v21, 0x3fb8aa3b, v18, -v19
	v_rndne_f32_e32 v22, v19
	s_delay_alu instid0(VALU_DEP_1) | instskip(NEXT) | instid1(VALU_DEP_3)
	v_sub_f32_e32 v19, v19, v22
	v_fmamk_f32 v21, v18, 0x32a5705f, v21
	v_cmp_ngt_f32_e64 s0, 0xc2ce8ed0, v18
	s_delay_alu instid0(VALU_DEP_2) | instskip(SKIP_1) | instid1(VALU_DEP_2)
	v_add_f32_e32 v19, v19, v21
	v_cvt_i32_f32_e32 v21, v22
	v_exp_f32_e32 v19, v19
	s_delay_alu instid0(TRANS32_DEP_1) | instskip(SKIP_1) | instid1(VALU_DEP_1)
	v_ldexp_f32 v19, v19, v21
	s_wait_alu 0xf1ff
	v_cndmask_b32_e64 v19, 0, v19, s0
	v_cmp_nlt_f32_e64 s0, 0x42b17218, v18
	s_wait_alu 0xf1ff
	s_delay_alu instid0(VALU_DEP_1) | instskip(NEXT) | instid1(VALU_DEP_1)
	v_cndmask_b32_e64 v21, 0x7f800000, v19, s0
	v_add_f32_e32 v22, 1.0, v21
	s_delay_alu instid0(VALU_DEP_1) | instskip(NEXT) | instid1(VALU_DEP_1)
	v_cvt_f64_f32_e32 v[18:19], v22
	v_frexp_exp_i32_f64_e32 v18, v[18:19]
	v_frexp_mant_f32_e32 v19, v22
	s_delay_alu instid0(VALU_DEP_1) | instskip(SKIP_1) | instid1(VALU_DEP_1)
	v_cmp_gt_f32_e64 s0, 0x3f2aaaab, v19
	v_add_f32_e32 v19, -1.0, v22
	v_sub_f32_e32 v24, v19, v22
	s_delay_alu instid0(VALU_DEP_1)
	v_add_f32_e32 v24, 1.0, v24
	s_wait_alu 0xf1ff
	v_subrev_co_ci_u32_e64 v18, null, 0, v18, s0
	s_mov_b32 s0, 0x3e9b6dac
	v_sub_nc_u32_e32 v23, 0, v18
	v_cvt_f32_i32_e32 v18, v18
	s_delay_alu instid0(VALU_DEP_2) | instskip(SKIP_1) | instid1(VALU_DEP_1)
	v_ldexp_f32 v22, v22, v23
	v_sub_f32_e32 v19, v21, v19
	v_add_f32_e32 v19, v19, v24
	s_delay_alu instid0(VALU_DEP_1) | instskip(NEXT) | instid1(VALU_DEP_4)
	v_ldexp_f32 v19, v19, v23
	v_add_f32_e32 v23, -1.0, v22
	s_delay_alu instid0(VALU_DEP_1) | instskip(NEXT) | instid1(VALU_DEP_1)
	v_dual_add_f32 v25, 1.0, v22 :: v_dual_add_f32 v26, 1.0, v23
	v_add_f32_e32 v24, -1.0, v25
	s_delay_alu instid0(VALU_DEP_1) | instskip(NEXT) | instid1(VALU_DEP_3)
	v_sub_f32_e32 v24, v22, v24
	v_sub_f32_e32 v22, v22, v26
	s_delay_alu instid0(VALU_DEP_2) | instskip(NEXT) | instid1(VALU_DEP_1)
	v_add_f32_e32 v24, v19, v24
	v_dual_add_f32 v19, v19, v22 :: v_dual_add_f32 v26, v25, v24
	s_delay_alu instid0(VALU_DEP_1) | instskip(SKIP_1) | instid1(VALU_DEP_1)
	v_rcp_f32_e32 v22, v26
	v_sub_f32_e32 v25, v25, v26
	v_dual_add_f32 v27, v23, v19 :: v_dual_add_f32 v24, v24, v25
	s_delay_alu instid0(VALU_DEP_1) | instskip(NEXT) | instid1(TRANS32_DEP_1)
	v_sub_f32_e32 v23, v23, v27
	v_mul_f32_e32 v28, v27, v22
	s_delay_alu instid0(VALU_DEP_2) | instskip(NEXT) | instid1(VALU_DEP_2)
	v_add_f32_e32 v19, v19, v23
	v_mul_f32_e32 v29, v26, v28
	s_delay_alu instid0(VALU_DEP_1) | instskip(NEXT) | instid1(VALU_DEP_1)
	v_fma_f32 v25, v28, v26, -v29
	v_fmac_f32_e32 v25, v28, v24
	s_delay_alu instid0(VALU_DEP_1) | instskip(NEXT) | instid1(VALU_DEP_1)
	v_add_f32_e32 v30, v29, v25
	v_sub_f32_e32 v31, v27, v30
	v_sub_f32_e32 v23, v30, v29
	s_delay_alu instid0(VALU_DEP_2) | instskip(NEXT) | instid1(VALU_DEP_2)
	v_sub_f32_e32 v27, v27, v31
	v_sub_f32_e32 v23, v23, v25
	s_delay_alu instid0(VALU_DEP_2) | instskip(NEXT) | instid1(VALU_DEP_1)
	v_sub_f32_e32 v27, v27, v30
	v_add_f32_e32 v19, v19, v27
	s_delay_alu instid0(VALU_DEP_1) | instskip(NEXT) | instid1(VALU_DEP_1)
	v_add_f32_e32 v19, v23, v19
	v_add_f32_e32 v23, v31, v19
	s_delay_alu instid0(VALU_DEP_1) | instskip(NEXT) | instid1(VALU_DEP_1)
	v_mul_f32_e32 v25, v22, v23
	v_mul_f32_e32 v27, v26, v25
	s_delay_alu instid0(VALU_DEP_1) | instskip(NEXT) | instid1(VALU_DEP_1)
	v_fma_f32 v26, v25, v26, -v27
	v_fmac_f32_e32 v26, v25, v24
	v_sub_f32_e32 v30, v31, v23
	s_delay_alu instid0(VALU_DEP_2) | instskip(NEXT) | instid1(VALU_DEP_2)
	v_add_f32_e32 v24, v27, v26
	v_add_f32_e32 v19, v19, v30
	s_delay_alu instid0(VALU_DEP_2) | instskip(SKIP_1) | instid1(VALU_DEP_2)
	v_sub_f32_e32 v29, v23, v24
	v_sub_f32_e32 v27, v24, v27
	v_sub_f32_e32 v23, v23, v29
	s_delay_alu instid0(VALU_DEP_1) | instskip(NEXT) | instid1(VALU_DEP_3)
	v_sub_f32_e32 v23, v23, v24
	v_sub_f32_e32 v24, v27, v26
	s_delay_alu instid0(VALU_DEP_2) | instskip(SKIP_1) | instid1(VALU_DEP_1)
	v_add_f32_e32 v19, v19, v23
	v_add_f32_e32 v23, v28, v25
	v_dual_add_f32 v19, v24, v19 :: v_dual_sub_f32 v24, v23, v28
	s_delay_alu instid0(VALU_DEP_1) | instskip(NEXT) | instid1(VALU_DEP_1)
	v_add_f32_e32 v19, v29, v19
	v_dual_sub_f32 v24, v25, v24 :: v_dual_mul_f32 v19, v22, v19
	s_delay_alu instid0(VALU_DEP_1) | instskip(NEXT) | instid1(VALU_DEP_1)
	v_add_f32_e32 v19, v24, v19
	v_add_f32_e32 v22, v23, v19
	s_delay_alu instid0(VALU_DEP_1) | instskip(SKIP_1) | instid1(VALU_DEP_1)
	v_mul_f32_e32 v24, v22, v22
	s_wait_alu 0xfffe
	v_fmaak_f32 v25, s0, v24, 0x3ecc95a3
	v_mul_f32_e32 v26, v22, v24
	v_cmp_neq_f32_e64 s0, 0x7f800000, v21
	s_delay_alu instid0(VALU_DEP_3) | instskip(SKIP_2) | instid1(VALU_DEP_3)
	v_fmaak_f32 v24, v24, v25, 0x3f2aaada
	v_ldexp_f32 v25, v22, 1
	v_sub_f32_e32 v22, v22, v23
	v_mul_f32_e32 v24, v26, v24
	v_mul_f32_e32 v26, 0x3f317218, v18
	s_delay_alu instid0(VALU_DEP_3) | instskip(NEXT) | instid1(VALU_DEP_3)
	v_sub_f32_e32 v19, v19, v22
	v_add_f32_e32 v23, v25, v24
	s_delay_alu instid0(VALU_DEP_2) | instskip(NEXT) | instid1(VALU_DEP_2)
	v_ldexp_f32 v19, v19, 1
	v_sub_f32_e32 v22, v23, v25
	v_fma_f32 v25, 0x3f317218, v18, -v26
	s_delay_alu instid0(VALU_DEP_2) | instskip(NEXT) | instid1(VALU_DEP_1)
	v_sub_f32_e32 v22, v24, v22
	v_dual_fmamk_f32 v18, v18, 0xb102e308, v25 :: v_dual_add_f32 v19, v19, v22
	s_delay_alu instid0(VALU_DEP_1) | instskip(NEXT) | instid1(VALU_DEP_2)
	v_add_f32_e32 v22, v26, v18
	v_add_f32_e32 v24, v23, v19
	s_delay_alu instid0(VALU_DEP_2) | instskip(NEXT) | instid1(VALU_DEP_2)
	v_sub_f32_e32 v26, v22, v26
	v_add_f32_e32 v25, v22, v24
	s_delay_alu instid0(VALU_DEP_2) | instskip(NEXT) | instid1(VALU_DEP_2)
	v_dual_sub_f32 v23, v24, v23 :: v_dual_sub_f32 v18, v18, v26
	v_sub_f32_e32 v27, v25, v22
	s_delay_alu instid0(VALU_DEP_2) | instskip(NEXT) | instid1(VALU_DEP_2)
	v_sub_f32_e32 v19, v19, v23
	v_sub_f32_e32 v28, v25, v27
	;; [unrolled: 1-line block ×3, first 2 shown]
	s_delay_alu instid0(VALU_DEP_3) | instskip(NEXT) | instid1(VALU_DEP_3)
	v_add_f32_e32 v24, v18, v19
	v_sub_f32_e32 v22, v22, v28
	s_delay_alu instid0(VALU_DEP_1) | instskip(NEXT) | instid1(VALU_DEP_3)
	v_add_f32_e32 v22, v23, v22
	v_sub_f32_e32 v23, v24, v18
	s_delay_alu instid0(VALU_DEP_2) | instskip(NEXT) | instid1(VALU_DEP_2)
	v_add_f32_e32 v22, v24, v22
	v_sub_f32_e32 v24, v24, v23
	s_delay_alu instid0(VALU_DEP_1) | instskip(NEXT) | instid1(VALU_DEP_1)
	v_dual_sub_f32 v19, v19, v23 :: v_dual_sub_f32 v18, v18, v24
	v_add_f32_e32 v18, v19, v18
	s_delay_alu instid0(VALU_DEP_4) | instskip(NEXT) | instid1(VALU_DEP_1)
	v_add_f32_e32 v26, v25, v22
	v_sub_f32_e32 v23, v26, v25
	s_delay_alu instid0(VALU_DEP_1) | instskip(NEXT) | instid1(VALU_DEP_1)
	v_sub_f32_e32 v19, v22, v23
	v_add_f32_e32 v18, v18, v19
	s_delay_alu instid0(VALU_DEP_1) | instskip(SKIP_1) | instid1(VALU_DEP_1)
	v_add_f32_e32 v18, v26, v18
	s_wait_alu 0xf1ff
	v_cndmask_b32_e64 v18, 0x7f800000, v18, s0
	v_cmp_gt_f32_e64 s0, 0x33800000, |v21|
	s_wait_alu 0xf1ff
	s_delay_alu instid0(VALU_DEP_1) | instskip(NEXT) | instid1(VALU_DEP_1)
	v_cndmask_b32_e64 v18, v18, v21, s0
	v_add_f32_e32 v18, v20, v18
	s_delay_alu instid0(VALU_DEP_1) | instskip(NEXT) | instid1(VALU_DEP_1)
	v_cvt_f16_f32_e32 v18, v18
	v_cvt_f32_f16_e32 v19, v18
.LBB430_87:
	s_wait_alu 0xfffe
	s_or_b32 exec_lo, exec_lo, s1
	ds_load_u16 v20, v17 offset:6
	v_max_num_f32_e32 v21, v19, v19
	v_cmp_u_f16_e64 s0, v18, v18
	ds_store_b16 v17, v18 offset:4
	s_wait_dscnt 0x1
	v_cvt_f32_f16_e32 v22, v20
	s_delay_alu instid0(VALU_DEP_1) | instskip(SKIP_2) | instid1(VALU_DEP_2)
	v_min_num_f32_e32 v23, v21, v22
	v_max_num_f32_e32 v21, v21, v22
	s_wait_alu 0xf1ff
	v_cndmask_b32_e64 v23, v23, v19, s0
	s_delay_alu instid0(VALU_DEP_2) | instskip(SKIP_2) | instid1(VALU_DEP_1)
	v_cndmask_b32_e64 v24, v21, v19, s0
	v_cmp_u_f16_e64 s0, v20, v20
	s_wait_alu 0xf1ff
	v_cndmask_b32_e64 v21, v23, v22, s0
	s_delay_alu instid0(VALU_DEP_3) | instskip(NEXT) | instid1(VALU_DEP_2)
	v_cndmask_b32_e64 v20, v24, v22, s0
	v_cmp_class_f32_e64 s1, v21, 0x1f8
	s_delay_alu instid0(VALU_DEP_2)
	v_cmp_neq_f32_e64 s0, v21, v20
	s_or_b32 s0, s0, s1
	s_wait_alu 0xfffe
	s_and_saveexec_b32 s1, s0
	s_cbranch_execz .LBB430_89
; %bb.88:
	v_sub_f32_e32 v18, v21, v20
	s_delay_alu instid0(VALU_DEP_1) | instskip(NEXT) | instid1(VALU_DEP_1)
	v_mul_f32_e32 v19, 0x3fb8aa3b, v18
	v_fma_f32 v21, 0x3fb8aa3b, v18, -v19
	v_rndne_f32_e32 v22, v19
	s_delay_alu instid0(VALU_DEP_1) | instskip(NEXT) | instid1(VALU_DEP_3)
	v_sub_f32_e32 v19, v19, v22
	v_fmamk_f32 v21, v18, 0x32a5705f, v21
	v_cmp_ngt_f32_e64 s0, 0xc2ce8ed0, v18
	s_delay_alu instid0(VALU_DEP_2) | instskip(SKIP_1) | instid1(VALU_DEP_2)
	v_add_f32_e32 v19, v19, v21
	v_cvt_i32_f32_e32 v21, v22
	v_exp_f32_e32 v19, v19
	s_delay_alu instid0(TRANS32_DEP_1) | instskip(SKIP_1) | instid1(VALU_DEP_1)
	v_ldexp_f32 v19, v19, v21
	s_wait_alu 0xf1ff
	v_cndmask_b32_e64 v19, 0, v19, s0
	v_cmp_nlt_f32_e64 s0, 0x42b17218, v18
	s_wait_alu 0xf1ff
	s_delay_alu instid0(VALU_DEP_1) | instskip(NEXT) | instid1(VALU_DEP_1)
	v_cndmask_b32_e64 v21, 0x7f800000, v19, s0
	v_add_f32_e32 v22, 1.0, v21
	s_delay_alu instid0(VALU_DEP_1) | instskip(NEXT) | instid1(VALU_DEP_1)
	v_cvt_f64_f32_e32 v[18:19], v22
	v_frexp_exp_i32_f64_e32 v18, v[18:19]
	v_frexp_mant_f32_e32 v19, v22
	s_delay_alu instid0(VALU_DEP_1) | instskip(SKIP_1) | instid1(VALU_DEP_1)
	v_cmp_gt_f32_e64 s0, 0x3f2aaaab, v19
	v_add_f32_e32 v19, -1.0, v22
	v_sub_f32_e32 v24, v19, v22
	s_delay_alu instid0(VALU_DEP_1)
	v_add_f32_e32 v24, 1.0, v24
	s_wait_alu 0xf1ff
	v_subrev_co_ci_u32_e64 v18, null, 0, v18, s0
	s_mov_b32 s0, 0x3e9b6dac
	v_sub_nc_u32_e32 v23, 0, v18
	v_cvt_f32_i32_e32 v18, v18
	s_delay_alu instid0(VALU_DEP_2) | instskip(SKIP_1) | instid1(VALU_DEP_1)
	v_ldexp_f32 v22, v22, v23
	v_sub_f32_e32 v19, v21, v19
	v_add_f32_e32 v19, v19, v24
	s_delay_alu instid0(VALU_DEP_1) | instskip(NEXT) | instid1(VALU_DEP_4)
	v_ldexp_f32 v19, v19, v23
	v_add_f32_e32 v23, -1.0, v22
	s_delay_alu instid0(VALU_DEP_1) | instskip(NEXT) | instid1(VALU_DEP_1)
	v_dual_add_f32 v25, 1.0, v22 :: v_dual_add_f32 v26, 1.0, v23
	v_add_f32_e32 v24, -1.0, v25
	s_delay_alu instid0(VALU_DEP_1) | instskip(NEXT) | instid1(VALU_DEP_3)
	v_sub_f32_e32 v24, v22, v24
	v_sub_f32_e32 v22, v22, v26
	s_delay_alu instid0(VALU_DEP_2) | instskip(NEXT) | instid1(VALU_DEP_1)
	v_add_f32_e32 v24, v19, v24
	v_dual_add_f32 v19, v19, v22 :: v_dual_add_f32 v26, v25, v24
	s_delay_alu instid0(VALU_DEP_1) | instskip(SKIP_1) | instid1(VALU_DEP_1)
	v_rcp_f32_e32 v22, v26
	v_sub_f32_e32 v25, v25, v26
	v_dual_add_f32 v27, v23, v19 :: v_dual_add_f32 v24, v24, v25
	s_delay_alu instid0(VALU_DEP_1) | instskip(NEXT) | instid1(TRANS32_DEP_1)
	v_sub_f32_e32 v23, v23, v27
	v_mul_f32_e32 v28, v27, v22
	s_delay_alu instid0(VALU_DEP_2) | instskip(NEXT) | instid1(VALU_DEP_2)
	v_add_f32_e32 v19, v19, v23
	v_mul_f32_e32 v29, v26, v28
	s_delay_alu instid0(VALU_DEP_1) | instskip(NEXT) | instid1(VALU_DEP_1)
	v_fma_f32 v25, v28, v26, -v29
	v_fmac_f32_e32 v25, v28, v24
	s_delay_alu instid0(VALU_DEP_1) | instskip(NEXT) | instid1(VALU_DEP_1)
	v_add_f32_e32 v30, v29, v25
	v_sub_f32_e32 v31, v27, v30
	v_sub_f32_e32 v23, v30, v29
	s_delay_alu instid0(VALU_DEP_2) | instskip(NEXT) | instid1(VALU_DEP_2)
	v_sub_f32_e32 v27, v27, v31
	v_sub_f32_e32 v23, v23, v25
	s_delay_alu instid0(VALU_DEP_2) | instskip(NEXT) | instid1(VALU_DEP_1)
	v_sub_f32_e32 v27, v27, v30
	v_add_f32_e32 v19, v19, v27
	s_delay_alu instid0(VALU_DEP_1) | instskip(NEXT) | instid1(VALU_DEP_1)
	v_add_f32_e32 v19, v23, v19
	v_add_f32_e32 v23, v31, v19
	s_delay_alu instid0(VALU_DEP_1) | instskip(NEXT) | instid1(VALU_DEP_1)
	v_mul_f32_e32 v25, v22, v23
	v_mul_f32_e32 v27, v26, v25
	s_delay_alu instid0(VALU_DEP_1) | instskip(NEXT) | instid1(VALU_DEP_1)
	v_fma_f32 v26, v25, v26, -v27
	v_fmac_f32_e32 v26, v25, v24
	v_sub_f32_e32 v30, v31, v23
	s_delay_alu instid0(VALU_DEP_2) | instskip(NEXT) | instid1(VALU_DEP_2)
	v_add_f32_e32 v24, v27, v26
	v_add_f32_e32 v19, v19, v30
	s_delay_alu instid0(VALU_DEP_2) | instskip(SKIP_1) | instid1(VALU_DEP_2)
	v_sub_f32_e32 v29, v23, v24
	v_sub_f32_e32 v27, v24, v27
	;; [unrolled: 1-line block ×3, first 2 shown]
	s_delay_alu instid0(VALU_DEP_1) | instskip(NEXT) | instid1(VALU_DEP_3)
	v_sub_f32_e32 v23, v23, v24
	v_sub_f32_e32 v24, v27, v26
	s_delay_alu instid0(VALU_DEP_2) | instskip(SKIP_1) | instid1(VALU_DEP_1)
	v_add_f32_e32 v19, v19, v23
	v_add_f32_e32 v23, v28, v25
	v_dual_add_f32 v19, v24, v19 :: v_dual_sub_f32 v24, v23, v28
	s_delay_alu instid0(VALU_DEP_1) | instskip(NEXT) | instid1(VALU_DEP_1)
	v_add_f32_e32 v19, v29, v19
	v_dual_sub_f32 v24, v25, v24 :: v_dual_mul_f32 v19, v22, v19
	s_delay_alu instid0(VALU_DEP_1) | instskip(NEXT) | instid1(VALU_DEP_1)
	v_add_f32_e32 v19, v24, v19
	v_add_f32_e32 v22, v23, v19
	s_delay_alu instid0(VALU_DEP_1) | instskip(SKIP_1) | instid1(VALU_DEP_1)
	v_mul_f32_e32 v24, v22, v22
	s_wait_alu 0xfffe
	v_fmaak_f32 v25, s0, v24, 0x3ecc95a3
	v_mul_f32_e32 v26, v22, v24
	v_cmp_neq_f32_e64 s0, 0x7f800000, v21
	s_delay_alu instid0(VALU_DEP_3) | instskip(SKIP_2) | instid1(VALU_DEP_3)
	v_fmaak_f32 v24, v24, v25, 0x3f2aaada
	v_ldexp_f32 v25, v22, 1
	v_sub_f32_e32 v22, v22, v23
	v_mul_f32_e32 v24, v26, v24
	v_mul_f32_e32 v26, 0x3f317218, v18
	s_delay_alu instid0(VALU_DEP_3) | instskip(NEXT) | instid1(VALU_DEP_3)
	v_sub_f32_e32 v19, v19, v22
	v_add_f32_e32 v23, v25, v24
	s_delay_alu instid0(VALU_DEP_2) | instskip(NEXT) | instid1(VALU_DEP_2)
	v_ldexp_f32 v19, v19, 1
	v_sub_f32_e32 v22, v23, v25
	v_fma_f32 v25, 0x3f317218, v18, -v26
	s_delay_alu instid0(VALU_DEP_2) | instskip(NEXT) | instid1(VALU_DEP_1)
	v_sub_f32_e32 v22, v24, v22
	v_dual_fmamk_f32 v18, v18, 0xb102e308, v25 :: v_dual_add_f32 v19, v19, v22
	s_delay_alu instid0(VALU_DEP_1) | instskip(NEXT) | instid1(VALU_DEP_2)
	v_add_f32_e32 v22, v26, v18
	v_add_f32_e32 v24, v23, v19
	s_delay_alu instid0(VALU_DEP_2) | instskip(NEXT) | instid1(VALU_DEP_2)
	v_sub_f32_e32 v26, v22, v26
	v_add_f32_e32 v25, v22, v24
	s_delay_alu instid0(VALU_DEP_2) | instskip(NEXT) | instid1(VALU_DEP_2)
	v_dual_sub_f32 v23, v24, v23 :: v_dual_sub_f32 v18, v18, v26
	v_sub_f32_e32 v27, v25, v22
	s_delay_alu instid0(VALU_DEP_2) | instskip(NEXT) | instid1(VALU_DEP_2)
	v_sub_f32_e32 v19, v19, v23
	v_sub_f32_e32 v28, v25, v27
	;; [unrolled: 1-line block ×3, first 2 shown]
	s_delay_alu instid0(VALU_DEP_3) | instskip(NEXT) | instid1(VALU_DEP_3)
	v_add_f32_e32 v24, v18, v19
	v_sub_f32_e32 v22, v22, v28
	s_delay_alu instid0(VALU_DEP_1) | instskip(NEXT) | instid1(VALU_DEP_3)
	v_add_f32_e32 v22, v23, v22
	v_sub_f32_e32 v23, v24, v18
	s_delay_alu instid0(VALU_DEP_2) | instskip(NEXT) | instid1(VALU_DEP_2)
	v_add_f32_e32 v22, v24, v22
	v_sub_f32_e32 v24, v24, v23
	s_delay_alu instid0(VALU_DEP_1) | instskip(NEXT) | instid1(VALU_DEP_1)
	v_dual_sub_f32 v19, v19, v23 :: v_dual_sub_f32 v18, v18, v24
	v_add_f32_e32 v18, v19, v18
	s_delay_alu instid0(VALU_DEP_4) | instskip(NEXT) | instid1(VALU_DEP_1)
	v_add_f32_e32 v26, v25, v22
	v_sub_f32_e32 v23, v26, v25
	s_delay_alu instid0(VALU_DEP_1) | instskip(NEXT) | instid1(VALU_DEP_1)
	v_sub_f32_e32 v19, v22, v23
	v_add_f32_e32 v18, v18, v19
	s_delay_alu instid0(VALU_DEP_1) | instskip(SKIP_1) | instid1(VALU_DEP_1)
	v_add_f32_e32 v18, v26, v18
	s_wait_alu 0xf1ff
	v_cndmask_b32_e64 v18, 0x7f800000, v18, s0
	v_cmp_gt_f32_e64 s0, 0x33800000, |v21|
	s_wait_alu 0xf1ff
	s_delay_alu instid0(VALU_DEP_1) | instskip(NEXT) | instid1(VALU_DEP_1)
	v_cndmask_b32_e64 v18, v18, v21, s0
	v_add_f32_e32 v18, v20, v18
	s_delay_alu instid0(VALU_DEP_1) | instskip(NEXT) | instid1(VALU_DEP_1)
	v_cvt_f16_f32_e32 v18, v18
	v_cvt_f32_f16_e32 v19, v18
.LBB430_89:
	s_wait_alu 0xfffe
	s_or_b32 exec_lo, exec_lo, s1
	ds_load_u16 v20, v17 offset:8
	v_max_num_f32_e32 v21, v19, v19
	v_cmp_u_f16_e64 s0, v18, v18
	ds_store_b16 v17, v18 offset:6
	s_wait_dscnt 0x1
	v_cvt_f32_f16_e32 v22, v20
	s_delay_alu instid0(VALU_DEP_1) | instskip(SKIP_2) | instid1(VALU_DEP_2)
	v_min_num_f32_e32 v23, v21, v22
	v_max_num_f32_e32 v21, v21, v22
	s_wait_alu 0xf1ff
	v_cndmask_b32_e64 v23, v23, v19, s0
	s_delay_alu instid0(VALU_DEP_2) | instskip(SKIP_2) | instid1(VALU_DEP_1)
	v_cndmask_b32_e64 v24, v21, v19, s0
	v_cmp_u_f16_e64 s0, v20, v20
	s_wait_alu 0xf1ff
	v_cndmask_b32_e64 v21, v23, v22, s0
	s_delay_alu instid0(VALU_DEP_3) | instskip(NEXT) | instid1(VALU_DEP_2)
	v_cndmask_b32_e64 v20, v24, v22, s0
	v_cmp_class_f32_e64 s1, v21, 0x1f8
	s_delay_alu instid0(VALU_DEP_2)
	v_cmp_neq_f32_e64 s0, v21, v20
	s_or_b32 s0, s0, s1
	s_wait_alu 0xfffe
	s_and_saveexec_b32 s1, s0
	s_cbranch_execz .LBB430_91
; %bb.90:
	v_sub_f32_e32 v18, v21, v20
	s_delay_alu instid0(VALU_DEP_1) | instskip(NEXT) | instid1(VALU_DEP_1)
	v_mul_f32_e32 v19, 0x3fb8aa3b, v18
	v_fma_f32 v21, 0x3fb8aa3b, v18, -v19
	v_rndne_f32_e32 v22, v19
	s_delay_alu instid0(VALU_DEP_1) | instskip(NEXT) | instid1(VALU_DEP_3)
	v_sub_f32_e32 v19, v19, v22
	v_fmamk_f32 v21, v18, 0x32a5705f, v21
	v_cmp_ngt_f32_e64 s0, 0xc2ce8ed0, v18
	s_delay_alu instid0(VALU_DEP_2) | instskip(SKIP_1) | instid1(VALU_DEP_2)
	v_add_f32_e32 v19, v19, v21
	v_cvt_i32_f32_e32 v21, v22
	v_exp_f32_e32 v19, v19
	s_delay_alu instid0(TRANS32_DEP_1) | instskip(SKIP_1) | instid1(VALU_DEP_1)
	v_ldexp_f32 v19, v19, v21
	s_wait_alu 0xf1ff
	v_cndmask_b32_e64 v19, 0, v19, s0
	v_cmp_nlt_f32_e64 s0, 0x42b17218, v18
	s_wait_alu 0xf1ff
	s_delay_alu instid0(VALU_DEP_1) | instskip(NEXT) | instid1(VALU_DEP_1)
	v_cndmask_b32_e64 v21, 0x7f800000, v19, s0
	v_add_f32_e32 v22, 1.0, v21
	s_delay_alu instid0(VALU_DEP_1) | instskip(NEXT) | instid1(VALU_DEP_1)
	v_cvt_f64_f32_e32 v[18:19], v22
	v_frexp_exp_i32_f64_e32 v18, v[18:19]
	v_frexp_mant_f32_e32 v19, v22
	s_delay_alu instid0(VALU_DEP_1) | instskip(SKIP_1) | instid1(VALU_DEP_1)
	v_cmp_gt_f32_e64 s0, 0x3f2aaaab, v19
	v_add_f32_e32 v19, -1.0, v22
	v_sub_f32_e32 v24, v19, v22
	s_delay_alu instid0(VALU_DEP_1)
	v_add_f32_e32 v24, 1.0, v24
	s_wait_alu 0xf1ff
	v_subrev_co_ci_u32_e64 v18, null, 0, v18, s0
	s_mov_b32 s0, 0x3e9b6dac
	v_sub_nc_u32_e32 v23, 0, v18
	v_cvt_f32_i32_e32 v18, v18
	s_delay_alu instid0(VALU_DEP_2) | instskip(SKIP_1) | instid1(VALU_DEP_1)
	v_ldexp_f32 v22, v22, v23
	v_sub_f32_e32 v19, v21, v19
	v_add_f32_e32 v19, v19, v24
	s_delay_alu instid0(VALU_DEP_1) | instskip(NEXT) | instid1(VALU_DEP_4)
	v_ldexp_f32 v19, v19, v23
	v_add_f32_e32 v23, -1.0, v22
	s_delay_alu instid0(VALU_DEP_1) | instskip(NEXT) | instid1(VALU_DEP_1)
	v_dual_add_f32 v25, 1.0, v22 :: v_dual_add_f32 v26, 1.0, v23
	v_add_f32_e32 v24, -1.0, v25
	s_delay_alu instid0(VALU_DEP_1) | instskip(NEXT) | instid1(VALU_DEP_3)
	v_sub_f32_e32 v24, v22, v24
	v_sub_f32_e32 v22, v22, v26
	s_delay_alu instid0(VALU_DEP_2) | instskip(NEXT) | instid1(VALU_DEP_1)
	v_add_f32_e32 v24, v19, v24
	v_dual_add_f32 v19, v19, v22 :: v_dual_add_f32 v26, v25, v24
	s_delay_alu instid0(VALU_DEP_1) | instskip(SKIP_1) | instid1(VALU_DEP_1)
	v_rcp_f32_e32 v22, v26
	v_sub_f32_e32 v25, v25, v26
	v_dual_add_f32 v27, v23, v19 :: v_dual_add_f32 v24, v24, v25
	s_delay_alu instid0(VALU_DEP_1) | instskip(NEXT) | instid1(TRANS32_DEP_1)
	v_sub_f32_e32 v23, v23, v27
	v_mul_f32_e32 v28, v27, v22
	s_delay_alu instid0(VALU_DEP_2) | instskip(NEXT) | instid1(VALU_DEP_2)
	v_add_f32_e32 v19, v19, v23
	v_mul_f32_e32 v29, v26, v28
	s_delay_alu instid0(VALU_DEP_1) | instskip(NEXT) | instid1(VALU_DEP_1)
	v_fma_f32 v25, v28, v26, -v29
	v_fmac_f32_e32 v25, v28, v24
	s_delay_alu instid0(VALU_DEP_1) | instskip(NEXT) | instid1(VALU_DEP_1)
	v_add_f32_e32 v30, v29, v25
	v_sub_f32_e32 v31, v27, v30
	v_sub_f32_e32 v23, v30, v29
	s_delay_alu instid0(VALU_DEP_2) | instskip(NEXT) | instid1(VALU_DEP_2)
	v_sub_f32_e32 v27, v27, v31
	v_sub_f32_e32 v23, v23, v25
	s_delay_alu instid0(VALU_DEP_2) | instskip(NEXT) | instid1(VALU_DEP_1)
	v_sub_f32_e32 v27, v27, v30
	v_add_f32_e32 v19, v19, v27
	s_delay_alu instid0(VALU_DEP_1) | instskip(NEXT) | instid1(VALU_DEP_1)
	v_add_f32_e32 v19, v23, v19
	v_add_f32_e32 v23, v31, v19
	s_delay_alu instid0(VALU_DEP_1) | instskip(NEXT) | instid1(VALU_DEP_1)
	v_mul_f32_e32 v25, v22, v23
	v_mul_f32_e32 v27, v26, v25
	s_delay_alu instid0(VALU_DEP_1) | instskip(NEXT) | instid1(VALU_DEP_1)
	v_fma_f32 v26, v25, v26, -v27
	v_fmac_f32_e32 v26, v25, v24
	v_sub_f32_e32 v30, v31, v23
	s_delay_alu instid0(VALU_DEP_2) | instskip(NEXT) | instid1(VALU_DEP_2)
	v_add_f32_e32 v24, v27, v26
	v_add_f32_e32 v19, v19, v30
	s_delay_alu instid0(VALU_DEP_2) | instskip(SKIP_1) | instid1(VALU_DEP_2)
	v_sub_f32_e32 v29, v23, v24
	v_sub_f32_e32 v27, v24, v27
	;; [unrolled: 1-line block ×3, first 2 shown]
	s_delay_alu instid0(VALU_DEP_1) | instskip(NEXT) | instid1(VALU_DEP_3)
	v_sub_f32_e32 v23, v23, v24
	v_sub_f32_e32 v24, v27, v26
	s_delay_alu instid0(VALU_DEP_2) | instskip(SKIP_1) | instid1(VALU_DEP_1)
	v_add_f32_e32 v19, v19, v23
	v_add_f32_e32 v23, v28, v25
	v_dual_add_f32 v19, v24, v19 :: v_dual_sub_f32 v24, v23, v28
	s_delay_alu instid0(VALU_DEP_1) | instskip(NEXT) | instid1(VALU_DEP_1)
	v_add_f32_e32 v19, v29, v19
	v_dual_sub_f32 v24, v25, v24 :: v_dual_mul_f32 v19, v22, v19
	s_delay_alu instid0(VALU_DEP_1) | instskip(NEXT) | instid1(VALU_DEP_1)
	v_add_f32_e32 v19, v24, v19
	v_add_f32_e32 v22, v23, v19
	s_delay_alu instid0(VALU_DEP_1) | instskip(SKIP_1) | instid1(VALU_DEP_1)
	v_mul_f32_e32 v24, v22, v22
	s_wait_alu 0xfffe
	v_fmaak_f32 v25, s0, v24, 0x3ecc95a3
	v_mul_f32_e32 v26, v22, v24
	v_cmp_neq_f32_e64 s0, 0x7f800000, v21
	s_delay_alu instid0(VALU_DEP_3) | instskip(SKIP_2) | instid1(VALU_DEP_3)
	v_fmaak_f32 v24, v24, v25, 0x3f2aaada
	v_ldexp_f32 v25, v22, 1
	v_sub_f32_e32 v22, v22, v23
	v_mul_f32_e32 v24, v26, v24
	v_mul_f32_e32 v26, 0x3f317218, v18
	s_delay_alu instid0(VALU_DEP_3) | instskip(NEXT) | instid1(VALU_DEP_3)
	v_sub_f32_e32 v19, v19, v22
	v_add_f32_e32 v23, v25, v24
	s_delay_alu instid0(VALU_DEP_2) | instskip(NEXT) | instid1(VALU_DEP_2)
	v_ldexp_f32 v19, v19, 1
	v_sub_f32_e32 v22, v23, v25
	v_fma_f32 v25, 0x3f317218, v18, -v26
	s_delay_alu instid0(VALU_DEP_2) | instskip(NEXT) | instid1(VALU_DEP_1)
	v_sub_f32_e32 v22, v24, v22
	v_dual_fmamk_f32 v18, v18, 0xb102e308, v25 :: v_dual_add_f32 v19, v19, v22
	s_delay_alu instid0(VALU_DEP_1) | instskip(NEXT) | instid1(VALU_DEP_2)
	v_add_f32_e32 v22, v26, v18
	v_add_f32_e32 v24, v23, v19
	s_delay_alu instid0(VALU_DEP_2) | instskip(NEXT) | instid1(VALU_DEP_2)
	v_sub_f32_e32 v26, v22, v26
	v_add_f32_e32 v25, v22, v24
	s_delay_alu instid0(VALU_DEP_2) | instskip(NEXT) | instid1(VALU_DEP_2)
	v_dual_sub_f32 v23, v24, v23 :: v_dual_sub_f32 v18, v18, v26
	v_sub_f32_e32 v27, v25, v22
	s_delay_alu instid0(VALU_DEP_2) | instskip(NEXT) | instid1(VALU_DEP_2)
	v_sub_f32_e32 v19, v19, v23
	v_sub_f32_e32 v28, v25, v27
	v_sub_f32_e32 v23, v24, v27
	s_delay_alu instid0(VALU_DEP_3) | instskip(NEXT) | instid1(VALU_DEP_3)
	v_add_f32_e32 v24, v18, v19
	v_sub_f32_e32 v22, v22, v28
	s_delay_alu instid0(VALU_DEP_1) | instskip(NEXT) | instid1(VALU_DEP_3)
	v_add_f32_e32 v22, v23, v22
	v_sub_f32_e32 v23, v24, v18
	s_delay_alu instid0(VALU_DEP_2) | instskip(NEXT) | instid1(VALU_DEP_2)
	v_add_f32_e32 v22, v24, v22
	v_sub_f32_e32 v24, v24, v23
	s_delay_alu instid0(VALU_DEP_1) | instskip(NEXT) | instid1(VALU_DEP_1)
	v_dual_sub_f32 v19, v19, v23 :: v_dual_sub_f32 v18, v18, v24
	v_add_f32_e32 v18, v19, v18
	s_delay_alu instid0(VALU_DEP_4) | instskip(NEXT) | instid1(VALU_DEP_1)
	v_add_f32_e32 v26, v25, v22
	v_sub_f32_e32 v23, v26, v25
	s_delay_alu instid0(VALU_DEP_1) | instskip(NEXT) | instid1(VALU_DEP_1)
	v_sub_f32_e32 v19, v22, v23
	v_add_f32_e32 v18, v18, v19
	s_delay_alu instid0(VALU_DEP_1) | instskip(SKIP_1) | instid1(VALU_DEP_1)
	v_add_f32_e32 v18, v26, v18
	s_wait_alu 0xf1ff
	v_cndmask_b32_e64 v18, 0x7f800000, v18, s0
	v_cmp_gt_f32_e64 s0, 0x33800000, |v21|
	s_wait_alu 0xf1ff
	s_delay_alu instid0(VALU_DEP_1) | instskip(NEXT) | instid1(VALU_DEP_1)
	v_cndmask_b32_e64 v18, v18, v21, s0
	v_add_f32_e32 v18, v20, v18
	s_delay_alu instid0(VALU_DEP_1) | instskip(NEXT) | instid1(VALU_DEP_1)
	v_cvt_f16_f32_e32 v18, v18
	v_cvt_f32_f16_e32 v19, v18
.LBB430_91:
	s_wait_alu 0xfffe
	s_or_b32 exec_lo, exec_lo, s1
	ds_load_u16 v20, v17 offset:10
	v_max_num_f32_e32 v21, v19, v19
	v_cmp_u_f16_e64 s0, v18, v18
	ds_store_b16 v17, v18 offset:8
	s_wait_dscnt 0x1
	v_cvt_f32_f16_e32 v22, v20
	s_delay_alu instid0(VALU_DEP_1) | instskip(SKIP_2) | instid1(VALU_DEP_2)
	v_min_num_f32_e32 v23, v21, v22
	v_max_num_f32_e32 v21, v21, v22
	s_wait_alu 0xf1ff
	v_cndmask_b32_e64 v23, v23, v19, s0
	s_delay_alu instid0(VALU_DEP_2) | instskip(SKIP_2) | instid1(VALU_DEP_1)
	v_cndmask_b32_e64 v24, v21, v19, s0
	v_cmp_u_f16_e64 s0, v20, v20
	s_wait_alu 0xf1ff
	v_cndmask_b32_e64 v21, v23, v22, s0
	s_delay_alu instid0(VALU_DEP_3) | instskip(NEXT) | instid1(VALU_DEP_2)
	v_cndmask_b32_e64 v20, v24, v22, s0
	v_cmp_class_f32_e64 s1, v21, 0x1f8
	s_delay_alu instid0(VALU_DEP_2)
	v_cmp_neq_f32_e64 s0, v21, v20
	s_or_b32 s0, s0, s1
	s_wait_alu 0xfffe
	s_and_saveexec_b32 s1, s0
	s_cbranch_execz .LBB430_93
; %bb.92:
	v_sub_f32_e32 v18, v21, v20
	s_delay_alu instid0(VALU_DEP_1) | instskip(NEXT) | instid1(VALU_DEP_1)
	v_mul_f32_e32 v19, 0x3fb8aa3b, v18
	v_fma_f32 v21, 0x3fb8aa3b, v18, -v19
	v_rndne_f32_e32 v22, v19
	s_delay_alu instid0(VALU_DEP_1) | instskip(NEXT) | instid1(VALU_DEP_3)
	v_sub_f32_e32 v19, v19, v22
	v_fmamk_f32 v21, v18, 0x32a5705f, v21
	v_cmp_ngt_f32_e64 s0, 0xc2ce8ed0, v18
	s_delay_alu instid0(VALU_DEP_2) | instskip(SKIP_1) | instid1(VALU_DEP_2)
	v_add_f32_e32 v19, v19, v21
	v_cvt_i32_f32_e32 v21, v22
	v_exp_f32_e32 v19, v19
	s_delay_alu instid0(TRANS32_DEP_1) | instskip(SKIP_1) | instid1(VALU_DEP_1)
	v_ldexp_f32 v19, v19, v21
	s_wait_alu 0xf1ff
	v_cndmask_b32_e64 v19, 0, v19, s0
	v_cmp_nlt_f32_e64 s0, 0x42b17218, v18
	s_wait_alu 0xf1ff
	s_delay_alu instid0(VALU_DEP_1) | instskip(NEXT) | instid1(VALU_DEP_1)
	v_cndmask_b32_e64 v21, 0x7f800000, v19, s0
	v_add_f32_e32 v22, 1.0, v21
	s_delay_alu instid0(VALU_DEP_1) | instskip(NEXT) | instid1(VALU_DEP_1)
	v_cvt_f64_f32_e32 v[18:19], v22
	v_frexp_exp_i32_f64_e32 v18, v[18:19]
	v_frexp_mant_f32_e32 v19, v22
	s_delay_alu instid0(VALU_DEP_1) | instskip(SKIP_1) | instid1(VALU_DEP_1)
	v_cmp_gt_f32_e64 s0, 0x3f2aaaab, v19
	v_add_f32_e32 v19, -1.0, v22
	v_sub_f32_e32 v24, v19, v22
	s_delay_alu instid0(VALU_DEP_1)
	v_add_f32_e32 v24, 1.0, v24
	s_wait_alu 0xf1ff
	v_subrev_co_ci_u32_e64 v18, null, 0, v18, s0
	s_mov_b32 s0, 0x3e9b6dac
	v_sub_nc_u32_e32 v23, 0, v18
	v_cvt_f32_i32_e32 v18, v18
	s_delay_alu instid0(VALU_DEP_2) | instskip(SKIP_1) | instid1(VALU_DEP_1)
	v_ldexp_f32 v22, v22, v23
	v_sub_f32_e32 v19, v21, v19
	v_add_f32_e32 v19, v19, v24
	s_delay_alu instid0(VALU_DEP_1) | instskip(NEXT) | instid1(VALU_DEP_4)
	v_ldexp_f32 v19, v19, v23
	v_add_f32_e32 v23, -1.0, v22
	s_delay_alu instid0(VALU_DEP_1) | instskip(NEXT) | instid1(VALU_DEP_1)
	v_dual_add_f32 v25, 1.0, v22 :: v_dual_add_f32 v26, 1.0, v23
	v_add_f32_e32 v24, -1.0, v25
	s_delay_alu instid0(VALU_DEP_1) | instskip(NEXT) | instid1(VALU_DEP_3)
	v_sub_f32_e32 v24, v22, v24
	v_sub_f32_e32 v22, v22, v26
	s_delay_alu instid0(VALU_DEP_2) | instskip(NEXT) | instid1(VALU_DEP_1)
	v_add_f32_e32 v24, v19, v24
	v_dual_add_f32 v19, v19, v22 :: v_dual_add_f32 v26, v25, v24
	s_delay_alu instid0(VALU_DEP_1) | instskip(SKIP_1) | instid1(VALU_DEP_1)
	v_rcp_f32_e32 v22, v26
	v_sub_f32_e32 v25, v25, v26
	v_dual_add_f32 v27, v23, v19 :: v_dual_add_f32 v24, v24, v25
	s_delay_alu instid0(VALU_DEP_1) | instskip(NEXT) | instid1(TRANS32_DEP_1)
	v_sub_f32_e32 v23, v23, v27
	v_mul_f32_e32 v28, v27, v22
	s_delay_alu instid0(VALU_DEP_2) | instskip(NEXT) | instid1(VALU_DEP_2)
	v_add_f32_e32 v19, v19, v23
	v_mul_f32_e32 v29, v26, v28
	s_delay_alu instid0(VALU_DEP_1) | instskip(NEXT) | instid1(VALU_DEP_1)
	v_fma_f32 v25, v28, v26, -v29
	v_fmac_f32_e32 v25, v28, v24
	s_delay_alu instid0(VALU_DEP_1) | instskip(NEXT) | instid1(VALU_DEP_1)
	v_add_f32_e32 v30, v29, v25
	v_sub_f32_e32 v31, v27, v30
	v_sub_f32_e32 v23, v30, v29
	s_delay_alu instid0(VALU_DEP_2) | instskip(NEXT) | instid1(VALU_DEP_2)
	v_sub_f32_e32 v27, v27, v31
	v_sub_f32_e32 v23, v23, v25
	s_delay_alu instid0(VALU_DEP_2) | instskip(NEXT) | instid1(VALU_DEP_1)
	v_sub_f32_e32 v27, v27, v30
	v_add_f32_e32 v19, v19, v27
	s_delay_alu instid0(VALU_DEP_1) | instskip(NEXT) | instid1(VALU_DEP_1)
	v_add_f32_e32 v19, v23, v19
	v_add_f32_e32 v23, v31, v19
	s_delay_alu instid0(VALU_DEP_1) | instskip(NEXT) | instid1(VALU_DEP_1)
	v_mul_f32_e32 v25, v22, v23
	v_mul_f32_e32 v27, v26, v25
	s_delay_alu instid0(VALU_DEP_1) | instskip(NEXT) | instid1(VALU_DEP_1)
	v_fma_f32 v26, v25, v26, -v27
	v_fmac_f32_e32 v26, v25, v24
	v_sub_f32_e32 v30, v31, v23
	s_delay_alu instid0(VALU_DEP_2) | instskip(NEXT) | instid1(VALU_DEP_2)
	v_add_f32_e32 v24, v27, v26
	v_add_f32_e32 v19, v19, v30
	s_delay_alu instid0(VALU_DEP_2) | instskip(SKIP_1) | instid1(VALU_DEP_2)
	v_sub_f32_e32 v29, v23, v24
	v_sub_f32_e32 v27, v24, v27
	;; [unrolled: 1-line block ×3, first 2 shown]
	s_delay_alu instid0(VALU_DEP_1) | instskip(NEXT) | instid1(VALU_DEP_3)
	v_sub_f32_e32 v23, v23, v24
	v_sub_f32_e32 v24, v27, v26
	s_delay_alu instid0(VALU_DEP_2) | instskip(SKIP_1) | instid1(VALU_DEP_1)
	v_add_f32_e32 v19, v19, v23
	v_add_f32_e32 v23, v28, v25
	v_dual_add_f32 v19, v24, v19 :: v_dual_sub_f32 v24, v23, v28
	s_delay_alu instid0(VALU_DEP_1) | instskip(NEXT) | instid1(VALU_DEP_1)
	v_add_f32_e32 v19, v29, v19
	v_dual_sub_f32 v24, v25, v24 :: v_dual_mul_f32 v19, v22, v19
	s_delay_alu instid0(VALU_DEP_1) | instskip(NEXT) | instid1(VALU_DEP_1)
	v_add_f32_e32 v19, v24, v19
	v_add_f32_e32 v22, v23, v19
	s_delay_alu instid0(VALU_DEP_1) | instskip(SKIP_1) | instid1(VALU_DEP_1)
	v_mul_f32_e32 v24, v22, v22
	s_wait_alu 0xfffe
	v_fmaak_f32 v25, s0, v24, 0x3ecc95a3
	v_mul_f32_e32 v26, v22, v24
	v_cmp_neq_f32_e64 s0, 0x7f800000, v21
	s_delay_alu instid0(VALU_DEP_3) | instskip(SKIP_2) | instid1(VALU_DEP_3)
	v_fmaak_f32 v24, v24, v25, 0x3f2aaada
	v_ldexp_f32 v25, v22, 1
	v_sub_f32_e32 v22, v22, v23
	v_mul_f32_e32 v24, v26, v24
	v_mul_f32_e32 v26, 0x3f317218, v18
	s_delay_alu instid0(VALU_DEP_3) | instskip(NEXT) | instid1(VALU_DEP_3)
	v_sub_f32_e32 v19, v19, v22
	v_add_f32_e32 v23, v25, v24
	s_delay_alu instid0(VALU_DEP_2) | instskip(NEXT) | instid1(VALU_DEP_2)
	v_ldexp_f32 v19, v19, 1
	v_sub_f32_e32 v22, v23, v25
	v_fma_f32 v25, 0x3f317218, v18, -v26
	s_delay_alu instid0(VALU_DEP_2) | instskip(NEXT) | instid1(VALU_DEP_1)
	v_sub_f32_e32 v22, v24, v22
	v_dual_fmamk_f32 v18, v18, 0xb102e308, v25 :: v_dual_add_f32 v19, v19, v22
	s_delay_alu instid0(VALU_DEP_1) | instskip(NEXT) | instid1(VALU_DEP_2)
	v_add_f32_e32 v22, v26, v18
	v_add_f32_e32 v24, v23, v19
	s_delay_alu instid0(VALU_DEP_2) | instskip(NEXT) | instid1(VALU_DEP_2)
	v_sub_f32_e32 v26, v22, v26
	v_add_f32_e32 v25, v22, v24
	s_delay_alu instid0(VALU_DEP_2) | instskip(NEXT) | instid1(VALU_DEP_2)
	v_dual_sub_f32 v23, v24, v23 :: v_dual_sub_f32 v18, v18, v26
	v_sub_f32_e32 v27, v25, v22
	s_delay_alu instid0(VALU_DEP_2) | instskip(NEXT) | instid1(VALU_DEP_2)
	v_sub_f32_e32 v19, v19, v23
	v_sub_f32_e32 v28, v25, v27
	;; [unrolled: 1-line block ×3, first 2 shown]
	s_delay_alu instid0(VALU_DEP_3) | instskip(NEXT) | instid1(VALU_DEP_3)
	v_add_f32_e32 v24, v18, v19
	v_sub_f32_e32 v22, v22, v28
	s_delay_alu instid0(VALU_DEP_1) | instskip(NEXT) | instid1(VALU_DEP_3)
	v_add_f32_e32 v22, v23, v22
	v_sub_f32_e32 v23, v24, v18
	s_delay_alu instid0(VALU_DEP_2) | instskip(NEXT) | instid1(VALU_DEP_2)
	v_add_f32_e32 v22, v24, v22
	v_sub_f32_e32 v24, v24, v23
	s_delay_alu instid0(VALU_DEP_1) | instskip(NEXT) | instid1(VALU_DEP_1)
	v_dual_sub_f32 v19, v19, v23 :: v_dual_sub_f32 v18, v18, v24
	v_add_f32_e32 v18, v19, v18
	s_delay_alu instid0(VALU_DEP_4) | instskip(NEXT) | instid1(VALU_DEP_1)
	v_add_f32_e32 v26, v25, v22
	v_sub_f32_e32 v23, v26, v25
	s_delay_alu instid0(VALU_DEP_1) | instskip(NEXT) | instid1(VALU_DEP_1)
	v_sub_f32_e32 v19, v22, v23
	v_add_f32_e32 v18, v18, v19
	s_delay_alu instid0(VALU_DEP_1) | instskip(SKIP_1) | instid1(VALU_DEP_1)
	v_add_f32_e32 v18, v26, v18
	s_wait_alu 0xf1ff
	v_cndmask_b32_e64 v18, 0x7f800000, v18, s0
	v_cmp_gt_f32_e64 s0, 0x33800000, |v21|
	s_wait_alu 0xf1ff
	s_delay_alu instid0(VALU_DEP_1) | instskip(NEXT) | instid1(VALU_DEP_1)
	v_cndmask_b32_e64 v18, v18, v21, s0
	v_add_f32_e32 v18, v20, v18
	s_delay_alu instid0(VALU_DEP_1) | instskip(NEXT) | instid1(VALU_DEP_1)
	v_cvt_f16_f32_e32 v18, v18
	v_cvt_f32_f16_e32 v19, v18
.LBB430_93:
	s_wait_alu 0xfffe
	s_or_b32 exec_lo, exec_lo, s1
	ds_load_u16 v20, v17 offset:12
	v_max_num_f32_e32 v21, v19, v19
	v_cmp_u_f16_e64 s0, v18, v18
	ds_store_b16 v17, v18 offset:10
	s_wait_dscnt 0x1
	v_cvt_f32_f16_e32 v22, v20
	s_delay_alu instid0(VALU_DEP_1) | instskip(SKIP_2) | instid1(VALU_DEP_2)
	v_min_num_f32_e32 v23, v21, v22
	v_max_num_f32_e32 v21, v21, v22
	s_wait_alu 0xf1ff
	v_cndmask_b32_e64 v23, v23, v19, s0
	s_delay_alu instid0(VALU_DEP_2) | instskip(SKIP_2) | instid1(VALU_DEP_1)
	v_cndmask_b32_e64 v24, v21, v19, s0
	v_cmp_u_f16_e64 s0, v20, v20
	s_wait_alu 0xf1ff
	v_cndmask_b32_e64 v21, v23, v22, s0
	s_delay_alu instid0(VALU_DEP_3) | instskip(NEXT) | instid1(VALU_DEP_2)
	v_cndmask_b32_e64 v20, v24, v22, s0
	v_cmp_class_f32_e64 s1, v21, 0x1f8
	s_delay_alu instid0(VALU_DEP_2)
	v_cmp_neq_f32_e64 s0, v21, v20
	s_or_b32 s0, s0, s1
	s_wait_alu 0xfffe
	s_and_saveexec_b32 s1, s0
	s_cbranch_execz .LBB430_95
; %bb.94:
	v_sub_f32_e32 v18, v21, v20
	s_delay_alu instid0(VALU_DEP_1) | instskip(NEXT) | instid1(VALU_DEP_1)
	v_mul_f32_e32 v19, 0x3fb8aa3b, v18
	v_fma_f32 v21, 0x3fb8aa3b, v18, -v19
	v_rndne_f32_e32 v22, v19
	s_delay_alu instid0(VALU_DEP_1) | instskip(NEXT) | instid1(VALU_DEP_3)
	v_sub_f32_e32 v19, v19, v22
	v_fmamk_f32 v21, v18, 0x32a5705f, v21
	v_cmp_ngt_f32_e64 s0, 0xc2ce8ed0, v18
	s_delay_alu instid0(VALU_DEP_2) | instskip(SKIP_1) | instid1(VALU_DEP_2)
	v_add_f32_e32 v19, v19, v21
	v_cvt_i32_f32_e32 v21, v22
	v_exp_f32_e32 v19, v19
	s_delay_alu instid0(TRANS32_DEP_1) | instskip(SKIP_1) | instid1(VALU_DEP_1)
	v_ldexp_f32 v19, v19, v21
	s_wait_alu 0xf1ff
	v_cndmask_b32_e64 v19, 0, v19, s0
	v_cmp_nlt_f32_e64 s0, 0x42b17218, v18
	s_wait_alu 0xf1ff
	s_delay_alu instid0(VALU_DEP_1) | instskip(NEXT) | instid1(VALU_DEP_1)
	v_cndmask_b32_e64 v21, 0x7f800000, v19, s0
	v_add_f32_e32 v22, 1.0, v21
	s_delay_alu instid0(VALU_DEP_1) | instskip(NEXT) | instid1(VALU_DEP_1)
	v_cvt_f64_f32_e32 v[18:19], v22
	v_frexp_exp_i32_f64_e32 v18, v[18:19]
	v_frexp_mant_f32_e32 v19, v22
	s_delay_alu instid0(VALU_DEP_1) | instskip(SKIP_1) | instid1(VALU_DEP_1)
	v_cmp_gt_f32_e64 s0, 0x3f2aaaab, v19
	v_add_f32_e32 v19, -1.0, v22
	v_sub_f32_e32 v24, v19, v22
	s_delay_alu instid0(VALU_DEP_1)
	v_add_f32_e32 v24, 1.0, v24
	s_wait_alu 0xf1ff
	v_subrev_co_ci_u32_e64 v18, null, 0, v18, s0
	s_mov_b32 s0, 0x3e9b6dac
	v_sub_nc_u32_e32 v23, 0, v18
	v_cvt_f32_i32_e32 v18, v18
	s_delay_alu instid0(VALU_DEP_2) | instskip(SKIP_1) | instid1(VALU_DEP_1)
	v_ldexp_f32 v22, v22, v23
	v_sub_f32_e32 v19, v21, v19
	v_add_f32_e32 v19, v19, v24
	s_delay_alu instid0(VALU_DEP_1) | instskip(NEXT) | instid1(VALU_DEP_4)
	v_ldexp_f32 v19, v19, v23
	v_add_f32_e32 v23, -1.0, v22
	s_delay_alu instid0(VALU_DEP_1) | instskip(NEXT) | instid1(VALU_DEP_1)
	v_dual_add_f32 v25, 1.0, v22 :: v_dual_add_f32 v26, 1.0, v23
	v_add_f32_e32 v24, -1.0, v25
	s_delay_alu instid0(VALU_DEP_1) | instskip(NEXT) | instid1(VALU_DEP_3)
	v_sub_f32_e32 v24, v22, v24
	v_sub_f32_e32 v22, v22, v26
	s_delay_alu instid0(VALU_DEP_2) | instskip(NEXT) | instid1(VALU_DEP_1)
	v_add_f32_e32 v24, v19, v24
	v_dual_add_f32 v19, v19, v22 :: v_dual_add_f32 v26, v25, v24
	s_delay_alu instid0(VALU_DEP_1) | instskip(SKIP_1) | instid1(VALU_DEP_1)
	v_rcp_f32_e32 v22, v26
	v_sub_f32_e32 v25, v25, v26
	v_dual_add_f32 v27, v23, v19 :: v_dual_add_f32 v24, v24, v25
	s_delay_alu instid0(VALU_DEP_1) | instskip(NEXT) | instid1(TRANS32_DEP_1)
	v_sub_f32_e32 v23, v23, v27
	v_mul_f32_e32 v28, v27, v22
	s_delay_alu instid0(VALU_DEP_2) | instskip(NEXT) | instid1(VALU_DEP_2)
	v_add_f32_e32 v19, v19, v23
	v_mul_f32_e32 v29, v26, v28
	s_delay_alu instid0(VALU_DEP_1) | instskip(NEXT) | instid1(VALU_DEP_1)
	v_fma_f32 v25, v28, v26, -v29
	v_fmac_f32_e32 v25, v28, v24
	s_delay_alu instid0(VALU_DEP_1) | instskip(NEXT) | instid1(VALU_DEP_1)
	v_add_f32_e32 v30, v29, v25
	v_sub_f32_e32 v31, v27, v30
	v_sub_f32_e32 v23, v30, v29
	s_delay_alu instid0(VALU_DEP_2) | instskip(NEXT) | instid1(VALU_DEP_2)
	v_sub_f32_e32 v27, v27, v31
	v_sub_f32_e32 v23, v23, v25
	s_delay_alu instid0(VALU_DEP_2) | instskip(NEXT) | instid1(VALU_DEP_1)
	v_sub_f32_e32 v27, v27, v30
	v_add_f32_e32 v19, v19, v27
	s_delay_alu instid0(VALU_DEP_1) | instskip(NEXT) | instid1(VALU_DEP_1)
	v_add_f32_e32 v19, v23, v19
	v_add_f32_e32 v23, v31, v19
	s_delay_alu instid0(VALU_DEP_1) | instskip(NEXT) | instid1(VALU_DEP_1)
	v_mul_f32_e32 v25, v22, v23
	v_mul_f32_e32 v27, v26, v25
	s_delay_alu instid0(VALU_DEP_1) | instskip(NEXT) | instid1(VALU_DEP_1)
	v_fma_f32 v26, v25, v26, -v27
	v_fmac_f32_e32 v26, v25, v24
	v_sub_f32_e32 v30, v31, v23
	s_delay_alu instid0(VALU_DEP_2) | instskip(NEXT) | instid1(VALU_DEP_2)
	v_add_f32_e32 v24, v27, v26
	v_add_f32_e32 v19, v19, v30
	s_delay_alu instid0(VALU_DEP_2) | instskip(SKIP_1) | instid1(VALU_DEP_2)
	v_sub_f32_e32 v29, v23, v24
	v_sub_f32_e32 v27, v24, v27
	;; [unrolled: 1-line block ×3, first 2 shown]
	s_delay_alu instid0(VALU_DEP_1) | instskip(NEXT) | instid1(VALU_DEP_3)
	v_sub_f32_e32 v23, v23, v24
	v_sub_f32_e32 v24, v27, v26
	s_delay_alu instid0(VALU_DEP_2) | instskip(SKIP_1) | instid1(VALU_DEP_1)
	v_add_f32_e32 v19, v19, v23
	v_add_f32_e32 v23, v28, v25
	v_dual_add_f32 v19, v24, v19 :: v_dual_sub_f32 v24, v23, v28
	s_delay_alu instid0(VALU_DEP_1) | instskip(NEXT) | instid1(VALU_DEP_1)
	v_add_f32_e32 v19, v29, v19
	v_dual_sub_f32 v24, v25, v24 :: v_dual_mul_f32 v19, v22, v19
	s_delay_alu instid0(VALU_DEP_1) | instskip(NEXT) | instid1(VALU_DEP_1)
	v_add_f32_e32 v19, v24, v19
	v_add_f32_e32 v22, v23, v19
	s_delay_alu instid0(VALU_DEP_1) | instskip(SKIP_1) | instid1(VALU_DEP_1)
	v_mul_f32_e32 v24, v22, v22
	s_wait_alu 0xfffe
	v_fmaak_f32 v25, s0, v24, 0x3ecc95a3
	v_mul_f32_e32 v26, v22, v24
	v_cmp_neq_f32_e64 s0, 0x7f800000, v21
	s_delay_alu instid0(VALU_DEP_3) | instskip(SKIP_2) | instid1(VALU_DEP_3)
	v_fmaak_f32 v24, v24, v25, 0x3f2aaada
	v_ldexp_f32 v25, v22, 1
	v_sub_f32_e32 v22, v22, v23
	v_mul_f32_e32 v24, v26, v24
	v_mul_f32_e32 v26, 0x3f317218, v18
	s_delay_alu instid0(VALU_DEP_3) | instskip(NEXT) | instid1(VALU_DEP_3)
	v_sub_f32_e32 v19, v19, v22
	v_add_f32_e32 v23, v25, v24
	s_delay_alu instid0(VALU_DEP_2) | instskip(NEXT) | instid1(VALU_DEP_2)
	v_ldexp_f32 v19, v19, 1
	v_sub_f32_e32 v22, v23, v25
	v_fma_f32 v25, 0x3f317218, v18, -v26
	s_delay_alu instid0(VALU_DEP_2) | instskip(NEXT) | instid1(VALU_DEP_1)
	v_sub_f32_e32 v22, v24, v22
	v_dual_fmamk_f32 v18, v18, 0xb102e308, v25 :: v_dual_add_f32 v19, v19, v22
	s_delay_alu instid0(VALU_DEP_1) | instskip(NEXT) | instid1(VALU_DEP_2)
	v_add_f32_e32 v22, v26, v18
	v_add_f32_e32 v24, v23, v19
	s_delay_alu instid0(VALU_DEP_2) | instskip(NEXT) | instid1(VALU_DEP_2)
	v_sub_f32_e32 v26, v22, v26
	v_add_f32_e32 v25, v22, v24
	s_delay_alu instid0(VALU_DEP_2) | instskip(NEXT) | instid1(VALU_DEP_2)
	v_dual_sub_f32 v23, v24, v23 :: v_dual_sub_f32 v18, v18, v26
	v_sub_f32_e32 v27, v25, v22
	s_delay_alu instid0(VALU_DEP_2) | instskip(NEXT) | instid1(VALU_DEP_2)
	v_sub_f32_e32 v19, v19, v23
	v_sub_f32_e32 v28, v25, v27
	;; [unrolled: 1-line block ×3, first 2 shown]
	s_delay_alu instid0(VALU_DEP_3) | instskip(NEXT) | instid1(VALU_DEP_3)
	v_add_f32_e32 v24, v18, v19
	v_sub_f32_e32 v22, v22, v28
	s_delay_alu instid0(VALU_DEP_1) | instskip(NEXT) | instid1(VALU_DEP_3)
	v_add_f32_e32 v22, v23, v22
	v_sub_f32_e32 v23, v24, v18
	s_delay_alu instid0(VALU_DEP_2) | instskip(NEXT) | instid1(VALU_DEP_2)
	v_add_f32_e32 v22, v24, v22
	v_sub_f32_e32 v24, v24, v23
	s_delay_alu instid0(VALU_DEP_1) | instskip(NEXT) | instid1(VALU_DEP_1)
	v_dual_sub_f32 v19, v19, v23 :: v_dual_sub_f32 v18, v18, v24
	v_add_f32_e32 v18, v19, v18
	s_delay_alu instid0(VALU_DEP_4) | instskip(NEXT) | instid1(VALU_DEP_1)
	v_add_f32_e32 v26, v25, v22
	v_sub_f32_e32 v23, v26, v25
	s_delay_alu instid0(VALU_DEP_1) | instskip(NEXT) | instid1(VALU_DEP_1)
	v_sub_f32_e32 v19, v22, v23
	v_add_f32_e32 v18, v18, v19
	s_delay_alu instid0(VALU_DEP_1) | instskip(SKIP_1) | instid1(VALU_DEP_1)
	v_add_f32_e32 v18, v26, v18
	s_wait_alu 0xf1ff
	v_cndmask_b32_e64 v18, 0x7f800000, v18, s0
	v_cmp_gt_f32_e64 s0, 0x33800000, |v21|
	s_wait_alu 0xf1ff
	s_delay_alu instid0(VALU_DEP_1) | instskip(NEXT) | instid1(VALU_DEP_1)
	v_cndmask_b32_e64 v18, v18, v21, s0
	v_add_f32_e32 v18, v20, v18
	s_delay_alu instid0(VALU_DEP_1) | instskip(NEXT) | instid1(VALU_DEP_1)
	v_cvt_f16_f32_e32 v18, v18
	v_cvt_f32_f16_e32 v19, v18
.LBB430_95:
	s_wait_alu 0xfffe
	s_or_b32 exec_lo, exec_lo, s1
	ds_load_u16 v20, v17 offset:14
	v_max_num_f32_e32 v21, v19, v19
	v_cmp_u_f16_e64 s0, v18, v18
	ds_store_b16 v17, v18 offset:12
	s_wait_dscnt 0x1
	v_cvt_f32_f16_e32 v22, v20
	s_delay_alu instid0(VALU_DEP_1) | instskip(SKIP_2) | instid1(VALU_DEP_2)
	v_min_num_f32_e32 v23, v21, v22
	v_max_num_f32_e32 v21, v21, v22
	s_wait_alu 0xf1ff
	v_cndmask_b32_e64 v23, v23, v19, s0
	s_delay_alu instid0(VALU_DEP_2) | instskip(SKIP_2) | instid1(VALU_DEP_1)
	v_cndmask_b32_e64 v19, v21, v19, s0
	v_cmp_u_f16_e64 s0, v20, v20
	s_wait_alu 0xf1ff
	v_cndmask_b32_e64 v20, v23, v22, s0
	s_delay_alu instid0(VALU_DEP_3) | instskip(NEXT) | instid1(VALU_DEP_2)
	v_cndmask_b32_e64 v19, v19, v22, s0
	v_cmp_class_f32_e64 s1, v20, 0x1f8
	s_delay_alu instid0(VALU_DEP_2)
	v_cmp_neq_f32_e64 s0, v20, v19
	s_or_b32 s0, s0, s1
	s_wait_alu 0xfffe
	s_and_saveexec_b32 s1, s0
	s_cbranch_execz .LBB430_97
; %bb.96:
	v_sub_f32_e32 v18, v20, v19
	s_delay_alu instid0(VALU_DEP_1) | instskip(SKIP_1) | instid1(VALU_DEP_2)
	v_mul_f32_e32 v20, 0x3fb8aa3b, v18
	v_cmp_ngt_f32_e64 s0, 0xc2ce8ed0, v18
	v_fma_f32 v21, 0x3fb8aa3b, v18, -v20
	v_rndne_f32_e32 v22, v20
	s_delay_alu instid0(VALU_DEP_1) | instskip(NEXT) | instid1(VALU_DEP_1)
	v_dual_fmamk_f32 v21, v18, 0x32a5705f, v21 :: v_dual_sub_f32 v20, v20, v22
	v_add_f32_e32 v20, v20, v21
	v_cvt_i32_f32_e32 v21, v22
	s_delay_alu instid0(VALU_DEP_2) | instskip(NEXT) | instid1(TRANS32_DEP_1)
	v_exp_f32_e32 v20, v20
	v_ldexp_f32 v20, v20, v21
	s_wait_alu 0xf1ff
	s_delay_alu instid0(VALU_DEP_1) | instskip(SKIP_2) | instid1(VALU_DEP_1)
	v_cndmask_b32_e64 v20, 0, v20, s0
	v_cmp_nlt_f32_e64 s0, 0x42b17218, v18
	s_wait_alu 0xf1ff
	v_cndmask_b32_e64 v18, 0x7f800000, v20, s0
	s_delay_alu instid0(VALU_DEP_1) | instskip(NEXT) | instid1(VALU_DEP_1)
	v_add_f32_e32 v22, 1.0, v18
	v_cvt_f64_f32_e32 v[20:21], v22
	s_delay_alu instid0(VALU_DEP_1) | instskip(SKIP_1) | instid1(VALU_DEP_1)
	v_frexp_exp_i32_f64_e32 v20, v[20:21]
	v_frexp_mant_f32_e32 v21, v22
	v_cmp_gt_f32_e64 s0, 0x3f2aaaab, v21
	v_add_f32_e32 v21, -1.0, v22
	s_delay_alu instid0(VALU_DEP_1) | instskip(NEXT) | instid1(VALU_DEP_1)
	v_dual_sub_f32 v24, v21, v22 :: v_dual_sub_f32 v21, v18, v21
	v_add_f32_e32 v24, 1.0, v24
	s_delay_alu instid0(VALU_DEP_1)
	v_add_f32_e32 v21, v21, v24
	s_wait_alu 0xf1ff
	v_subrev_co_ci_u32_e64 v20, null, 0, v20, s0
	s_mov_b32 s0, 0x3e9b6dac
	v_sub_nc_u32_e32 v23, 0, v20
	v_cvt_f32_i32_e32 v20, v20
	s_delay_alu instid0(VALU_DEP_2) | instskip(SKIP_1) | instid1(VALU_DEP_2)
	v_ldexp_f32 v22, v22, v23
	v_ldexp_f32 v21, v21, v23
	v_add_f32_e32 v25, 1.0, v22
	s_delay_alu instid0(VALU_DEP_1) | instskip(NEXT) | instid1(VALU_DEP_1)
	v_dual_add_f32 v23, -1.0, v22 :: v_dual_add_f32 v24, -1.0, v25
	v_add_f32_e32 v26, 1.0, v23
	s_delay_alu instid0(VALU_DEP_2) | instskip(NEXT) | instid1(VALU_DEP_2)
	v_sub_f32_e32 v24, v22, v24
	v_sub_f32_e32 v22, v22, v26
	s_delay_alu instid0(VALU_DEP_2) | instskip(NEXT) | instid1(VALU_DEP_2)
	v_add_f32_e32 v24, v21, v24
	v_add_f32_e32 v21, v21, v22
	s_delay_alu instid0(VALU_DEP_1) | instskip(NEXT) | instid1(VALU_DEP_1)
	v_dual_add_f32 v27, v23, v21 :: v_dual_add_f32 v26, v25, v24
	v_sub_f32_e32 v23, v23, v27
	s_delay_alu instid0(VALU_DEP_2) | instskip(SKIP_1) | instid1(VALU_DEP_1)
	v_rcp_f32_e32 v22, v26
	v_sub_f32_e32 v25, v25, v26
	v_dual_add_f32 v21, v21, v23 :: v_dual_add_f32 v24, v24, v25
	s_delay_alu instid0(TRANS32_DEP_1) | instskip(NEXT) | instid1(VALU_DEP_1)
	v_mul_f32_e32 v28, v27, v22
	v_mul_f32_e32 v29, v26, v28
	s_delay_alu instid0(VALU_DEP_1) | instskip(NEXT) | instid1(VALU_DEP_1)
	v_fma_f32 v25, v28, v26, -v29
	v_fmac_f32_e32 v25, v28, v24
	s_delay_alu instid0(VALU_DEP_1) | instskip(NEXT) | instid1(VALU_DEP_1)
	v_add_f32_e32 v30, v29, v25
	v_sub_f32_e32 v31, v27, v30
	v_sub_f32_e32 v23, v30, v29
	s_delay_alu instid0(VALU_DEP_2) | instskip(NEXT) | instid1(VALU_DEP_2)
	v_sub_f32_e32 v27, v27, v31
	v_sub_f32_e32 v23, v23, v25
	s_delay_alu instid0(VALU_DEP_2) | instskip(NEXT) | instid1(VALU_DEP_1)
	v_sub_f32_e32 v27, v27, v30
	v_add_f32_e32 v21, v21, v27
	s_delay_alu instid0(VALU_DEP_1) | instskip(NEXT) | instid1(VALU_DEP_1)
	v_add_f32_e32 v21, v23, v21
	v_add_f32_e32 v23, v31, v21
	s_delay_alu instid0(VALU_DEP_1) | instskip(NEXT) | instid1(VALU_DEP_1)
	v_mul_f32_e32 v25, v22, v23
	v_dual_sub_f32 v30, v31, v23 :: v_dual_mul_f32 v27, v26, v25
	s_delay_alu instid0(VALU_DEP_1) | instskip(NEXT) | instid1(VALU_DEP_2)
	v_add_f32_e32 v21, v21, v30
	v_fma_f32 v26, v25, v26, -v27
	s_delay_alu instid0(VALU_DEP_1) | instskip(NEXT) | instid1(VALU_DEP_1)
	v_fmac_f32_e32 v26, v25, v24
	v_add_f32_e32 v24, v27, v26
	s_delay_alu instid0(VALU_DEP_1) | instskip(NEXT) | instid1(VALU_DEP_1)
	v_sub_f32_e32 v29, v23, v24
	v_sub_f32_e32 v23, v23, v29
	s_delay_alu instid0(VALU_DEP_1) | instskip(NEXT) | instid1(VALU_DEP_1)
	v_sub_f32_e32 v23, v23, v24
	v_add_f32_e32 v21, v21, v23
	v_add_f32_e32 v23, v28, v25
	v_sub_f32_e32 v27, v24, v27
	s_delay_alu instid0(VALU_DEP_1) | instskip(NEXT) | instid1(VALU_DEP_1)
	v_sub_f32_e32 v24, v27, v26
	v_dual_add_f32 v21, v24, v21 :: v_dual_sub_f32 v24, v23, v28
	s_delay_alu instid0(VALU_DEP_1) | instskip(NEXT) | instid1(VALU_DEP_1)
	v_add_f32_e32 v21, v29, v21
	v_dual_sub_f32 v24, v25, v24 :: v_dual_mul_f32 v21, v22, v21
	s_delay_alu instid0(VALU_DEP_1) | instskip(NEXT) | instid1(VALU_DEP_1)
	v_add_f32_e32 v21, v24, v21
	v_add_f32_e32 v22, v23, v21
	s_delay_alu instid0(VALU_DEP_1) | instskip(SKIP_1) | instid1(VALU_DEP_1)
	v_mul_f32_e32 v24, v22, v22
	s_wait_alu 0xfffe
	v_fmaak_f32 v25, s0, v24, 0x3ecc95a3
	v_mul_f32_e32 v26, v22, v24
	v_cmp_neq_f32_e64 s0, 0x7f800000, v18
	s_delay_alu instid0(VALU_DEP_3) | instskip(SKIP_2) | instid1(VALU_DEP_3)
	v_fmaak_f32 v24, v24, v25, 0x3f2aaada
	v_ldexp_f32 v25, v22, 1
	v_sub_f32_e32 v22, v22, v23
	v_mul_f32_e32 v24, v26, v24
	s_delay_alu instid0(VALU_DEP_2) | instskip(NEXT) | instid1(VALU_DEP_2)
	v_dual_mul_f32 v26, 0x3f317218, v20 :: v_dual_sub_f32 v21, v21, v22
	v_add_f32_e32 v23, v25, v24
	s_delay_alu instid0(VALU_DEP_2) | instskip(NEXT) | instid1(VALU_DEP_2)
	v_ldexp_f32 v21, v21, 1
	v_sub_f32_e32 v22, v23, v25
	s_delay_alu instid0(VALU_DEP_4) | instskip(NEXT) | instid1(VALU_DEP_2)
	v_fma_f32 v25, 0x3f317218, v20, -v26
	v_sub_f32_e32 v22, v24, v22
	s_delay_alu instid0(VALU_DEP_1) | instskip(NEXT) | instid1(VALU_DEP_1)
	v_dual_fmamk_f32 v20, v20, 0xb102e308, v25 :: v_dual_add_f32 v21, v21, v22
	v_add_f32_e32 v22, v26, v20
	s_delay_alu instid0(VALU_DEP_1) | instskip(NEXT) | instid1(VALU_DEP_1)
	v_sub_f32_e32 v26, v22, v26
	v_sub_f32_e32 v20, v20, v26
	s_delay_alu instid0(VALU_DEP_4) | instskip(NEXT) | instid1(VALU_DEP_1)
	v_add_f32_e32 v24, v23, v21
	v_sub_f32_e32 v23, v24, v23
	s_delay_alu instid0(VALU_DEP_1) | instskip(SKIP_1) | instid1(VALU_DEP_1)
	v_sub_f32_e32 v21, v21, v23
	v_add_f32_e32 v25, v22, v24
	v_sub_f32_e32 v27, v25, v22
	s_delay_alu instid0(VALU_DEP_1) | instskip(NEXT) | instid1(VALU_DEP_4)
	v_sub_f32_e32 v23, v24, v27
	v_add_f32_e32 v24, v20, v21
	v_sub_f32_e32 v28, v25, v27
	s_delay_alu instid0(VALU_DEP_1) | instskip(NEXT) | instid1(VALU_DEP_1)
	v_sub_f32_e32 v22, v22, v28
	v_dual_add_f32 v22, v23, v22 :: v_dual_sub_f32 v23, v24, v20
	s_delay_alu instid0(VALU_DEP_1) | instskip(SKIP_1) | instid1(VALU_DEP_2)
	v_dual_add_f32 v22, v24, v22 :: v_dual_sub_f32 v21, v21, v23
	v_sub_f32_e32 v24, v24, v23
	v_add_f32_e32 v26, v25, v22
	s_delay_alu instid0(VALU_DEP_1) | instskip(NEXT) | instid1(VALU_DEP_1)
	v_dual_sub_f32 v20, v20, v24 :: v_dual_sub_f32 v23, v26, v25
	v_dual_add_f32 v20, v21, v20 :: v_dual_sub_f32 v21, v22, v23
	s_delay_alu instid0(VALU_DEP_1) | instskip(NEXT) | instid1(VALU_DEP_1)
	v_add_f32_e32 v20, v20, v21
	v_add_f32_e32 v20, v26, v20
	s_wait_alu 0xf1ff
	s_delay_alu instid0(VALU_DEP_1) | instskip(SKIP_2) | instid1(VALU_DEP_1)
	v_cndmask_b32_e64 v20, 0x7f800000, v20, s0
	v_cmp_gt_f32_e64 s0, 0x33800000, |v18|
	s_wait_alu 0xf1ff
	v_cndmask_b32_e64 v18, v20, v18, s0
	s_delay_alu instid0(VALU_DEP_1) | instskip(NEXT) | instid1(VALU_DEP_1)
	v_add_f32_e32 v18, v19, v18
	v_cvt_f16_f32_e32 v18, v18
.LBB430_97:
	s_wait_alu 0xfffe
	s_or_b32 exec_lo, exec_lo, s1
	ds_store_b16 v17, v18 offset:14
.LBB430_98:
	s_wait_alu 0xfffe
	s_or_b32 exec_lo, exec_lo, s25
	v_mul_u32_u24_e32 v17, 22, v0
	v_mov_b32_e32 v18, v1
	s_mov_b32 s1, exec_lo
	s_wait_loadcnt_dscnt 0x0
	s_barrier_signal -1
	s_barrier_wait -1
	global_inv scope:SCOPE_SE
	v_cmpx_ne_u32_e32 0, v0
	s_cbranch_execz .LBB430_102
; %bb.99:
	v_add_nc_u32_e32 v1, -1, v0
	s_delay_alu instid0(VALU_DEP_1) | instskip(NEXT) | instid1(VALU_DEP_1)
	v_lshrrev_b32_e32 v15, 4, v1
	v_and_b32_e32 v15, 0xffffffe, v15
	s_delay_alu instid0(VALU_DEP_1)
	v_lshl_add_u32 v1, v1, 1, v15
	v_max_num_f32_e32 v15, v8, v8
	ds_load_u16 v1, v1
	s_wait_dscnt 0x0
	v_cvt_f32_f16_e32 v19, v1
	v_cmp_u_f16_e64 s0, v1, v1
	s_delay_alu instid0(VALU_DEP_2) | instskip(SKIP_2) | instid1(VALU_DEP_2)
	v_min_num_f32_e32 v16, v19, v15
	v_max_num_f32_e32 v15, v19, v15
	s_wait_alu 0xf1ff
	v_cndmask_b32_e64 v16, v16, v19, s0
	s_delay_alu instid0(VALU_DEP_2) | instskip(NEXT) | instid1(VALU_DEP_2)
	v_cndmask_b32_e64 v18, v15, v19, s0
	v_cndmask_b32_e64 v15, v16, v8, s24
	s_delay_alu instid0(VALU_DEP_2) | instskip(NEXT) | instid1(VALU_DEP_2)
	v_cndmask_b32_e64 v8, v18, v8, s24
	v_cmp_class_f32_e64 s24, v15, 0x1f8
	s_delay_alu instid0(VALU_DEP_2)
	v_cmp_neq_f32_e64 s0, v15, v8
	s_or_b32 s0, s0, s24
	s_wait_alu 0xfffe
	s_and_saveexec_b32 s24, s0
	s_cbranch_execz .LBB430_101
; %bb.100:
	v_sub_f32_e32 v1, v15, v8
	s_delay_alu instid0(VALU_DEP_1) | instskip(SKIP_1) | instid1(VALU_DEP_2)
	v_mul_f32_e32 v15, 0x3fb8aa3b, v1
	v_cmp_ngt_f32_e64 s0, 0xc2ce8ed0, v1
	v_fma_f32 v16, 0x3fb8aa3b, v1, -v15
	v_rndne_f32_e32 v18, v15
	s_delay_alu instid0(VALU_DEP_1) | instskip(NEXT) | instid1(VALU_DEP_1)
	v_dual_fmamk_f32 v16, v1, 0x32a5705f, v16 :: v_dual_sub_f32 v15, v15, v18
	v_add_f32_e32 v15, v15, v16
	v_cvt_i32_f32_e32 v16, v18
	s_delay_alu instid0(VALU_DEP_2) | instskip(NEXT) | instid1(TRANS32_DEP_1)
	v_exp_f32_e32 v15, v15
	v_ldexp_f32 v15, v15, v16
	s_wait_alu 0xf1ff
	s_delay_alu instid0(VALU_DEP_1) | instskip(SKIP_2) | instid1(VALU_DEP_1)
	v_cndmask_b32_e64 v15, 0, v15, s0
	v_cmp_nlt_f32_e64 s0, 0x42b17218, v1
	s_wait_alu 0xf1ff
	v_cndmask_b32_e64 v1, 0x7f800000, v15, s0
	s_delay_alu instid0(VALU_DEP_1) | instskip(NEXT) | instid1(VALU_DEP_1)
	v_add_f32_e32 v18, 1.0, v1
	v_cvt_f64_f32_e32 v[15:16], v18
	s_delay_alu instid0(VALU_DEP_1) | instskip(SKIP_1) | instid1(VALU_DEP_1)
	v_frexp_exp_i32_f64_e32 v15, v[15:16]
	v_frexp_mant_f32_e32 v16, v18
	v_cmp_gt_f32_e64 s0, 0x3f2aaaab, v16
	v_add_f32_e32 v16, -1.0, v18
	s_delay_alu instid0(VALU_DEP_1) | instskip(SKIP_1) | instid1(VALU_DEP_3)
	v_sub_f32_e32 v20, v16, v18
	s_wait_alu 0xf1ff
	v_subrev_co_ci_u32_e64 v15, null, 0, v15, s0
	s_mov_b32 s0, 0x3e9b6dac
	v_sub_nc_u32_e32 v19, 0, v15
	v_cvt_f32_i32_e32 v15, v15
	s_delay_alu instid0(VALU_DEP_2) | instskip(SKIP_1) | instid1(VALU_DEP_2)
	v_ldexp_f32 v18, v18, v19
	v_sub_f32_e32 v16, v1, v16
	v_dual_add_f32 v20, 1.0, v20 :: v_dual_add_f32 v21, 1.0, v18
	s_delay_alu instid0(VALU_DEP_1) | instskip(NEXT) | instid1(VALU_DEP_1)
	v_add_f32_e32 v16, v16, v20
	v_ldexp_f32 v16, v16, v19
	s_delay_alu instid0(VALU_DEP_3) | instskip(NEXT) | instid1(VALU_DEP_1)
	v_dual_add_f32 v19, -1.0, v18 :: v_dual_add_f32 v20, -1.0, v21
	v_add_f32_e32 v22, 1.0, v19
	s_delay_alu instid0(VALU_DEP_2) | instskip(NEXT) | instid1(VALU_DEP_2)
	v_sub_f32_e32 v20, v18, v20
	v_sub_f32_e32 v18, v18, v22
	s_delay_alu instid0(VALU_DEP_2) | instskip(NEXT) | instid1(VALU_DEP_2)
	v_add_f32_e32 v20, v16, v20
	v_add_f32_e32 v16, v16, v18
	s_delay_alu instid0(VALU_DEP_1) | instskip(NEXT) | instid1(VALU_DEP_1)
	v_add_f32_e32 v23, v19, v16
	v_dual_sub_f32 v19, v19, v23 :: v_dual_add_f32 v22, v21, v20
	s_delay_alu instid0(VALU_DEP_1) | instskip(SKIP_1) | instid1(VALU_DEP_1)
	v_rcp_f32_e32 v18, v22
	v_sub_f32_e32 v21, v21, v22
	v_add_f32_e32 v20, v20, v21
	s_delay_alu instid0(TRANS32_DEP_1) | instskip(NEXT) | instid1(VALU_DEP_1)
	v_mul_f32_e32 v24, v23, v18
	v_mul_f32_e32 v25, v22, v24
	s_delay_alu instid0(VALU_DEP_1) | instskip(NEXT) | instid1(VALU_DEP_1)
	v_fma_f32 v21, v24, v22, -v25
	v_fmac_f32_e32 v21, v24, v20
	v_add_f32_e32 v16, v16, v19
	s_delay_alu instid0(VALU_DEP_2) | instskip(NEXT) | instid1(VALU_DEP_1)
	v_add_f32_e32 v26, v25, v21
	v_sub_f32_e32 v27, v23, v26
	v_sub_f32_e32 v19, v26, v25
	s_delay_alu instid0(VALU_DEP_2) | instskip(NEXT) | instid1(VALU_DEP_2)
	v_sub_f32_e32 v23, v23, v27
	v_sub_f32_e32 v19, v19, v21
	s_delay_alu instid0(VALU_DEP_2) | instskip(NEXT) | instid1(VALU_DEP_1)
	v_sub_f32_e32 v23, v23, v26
	v_add_f32_e32 v16, v16, v23
	s_delay_alu instid0(VALU_DEP_1) | instskip(NEXT) | instid1(VALU_DEP_1)
	v_add_f32_e32 v16, v19, v16
	v_add_f32_e32 v19, v27, v16
	s_delay_alu instid0(VALU_DEP_1) | instskip(NEXT) | instid1(VALU_DEP_1)
	v_mul_f32_e32 v21, v18, v19
	v_dual_sub_f32 v26, v27, v19 :: v_dual_mul_f32 v23, v22, v21
	s_delay_alu instid0(VALU_DEP_1) | instskip(NEXT) | instid1(VALU_DEP_1)
	v_fma_f32 v22, v21, v22, -v23
	v_fmac_f32_e32 v22, v21, v20
	s_delay_alu instid0(VALU_DEP_1) | instskip(NEXT) | instid1(VALU_DEP_1)
	v_add_f32_e32 v20, v23, v22
	v_sub_f32_e32 v23, v20, v23
	v_dual_sub_f32 v25, v19, v20 :: v_dual_add_f32 v16, v16, v26
	s_delay_alu instid0(VALU_DEP_1) | instskip(NEXT) | instid1(VALU_DEP_1)
	v_sub_f32_e32 v19, v19, v25
	v_sub_f32_e32 v19, v19, v20
	s_delay_alu instid0(VALU_DEP_4) | instskip(NEXT) | instid1(VALU_DEP_2)
	v_sub_f32_e32 v20, v23, v22
	v_add_f32_e32 v16, v16, v19
	v_add_f32_e32 v19, v24, v21
	s_delay_alu instid0(VALU_DEP_2) | instskip(NEXT) | instid1(VALU_DEP_2)
	v_add_f32_e32 v16, v20, v16
	v_sub_f32_e32 v20, v19, v24
	s_delay_alu instid0(VALU_DEP_2) | instskip(NEXT) | instid1(VALU_DEP_2)
	v_add_f32_e32 v16, v25, v16
	v_sub_f32_e32 v20, v21, v20
	s_delay_alu instid0(VALU_DEP_2) | instskip(NEXT) | instid1(VALU_DEP_1)
	v_mul_f32_e32 v16, v18, v16
	v_add_f32_e32 v16, v20, v16
	s_delay_alu instid0(VALU_DEP_1) | instskip(NEXT) | instid1(VALU_DEP_1)
	v_add_f32_e32 v18, v19, v16
	v_mul_f32_e32 v20, v18, v18
	s_wait_alu 0xfffe
	s_delay_alu instid0(VALU_DEP_1) | instskip(SKIP_2) | instid1(VALU_DEP_3)
	v_fmaak_f32 v21, s0, v20, 0x3ecc95a3
	v_mul_f32_e32 v22, v18, v20
	v_cmp_neq_f32_e64 s0, 0x7f800000, v1
	v_fmaak_f32 v20, v20, v21, 0x3f2aaada
	v_ldexp_f32 v21, v18, 1
	v_sub_f32_e32 v18, v18, v19
	s_delay_alu instid0(VALU_DEP_3) | instskip(NEXT) | instid1(VALU_DEP_1)
	v_mul_f32_e32 v20, v22, v20
	v_dual_sub_f32 v16, v16, v18 :: v_dual_add_f32 v19, v21, v20
	s_delay_alu instid0(VALU_DEP_1) | instskip(NEXT) | instid1(VALU_DEP_2)
	v_ldexp_f32 v16, v16, 1
	v_sub_f32_e32 v18, v19, v21
	s_delay_alu instid0(VALU_DEP_1) | instskip(NEXT) | instid1(VALU_DEP_1)
	v_sub_f32_e32 v18, v20, v18
	v_add_f32_e32 v16, v16, v18
	s_delay_alu instid0(VALU_DEP_1) | instskip(SKIP_1) | instid1(VALU_DEP_2)
	v_add_f32_e32 v20, v19, v16
	v_mul_f32_e32 v22, 0x3f317218, v15
	v_sub_f32_e32 v19, v20, v19
	s_delay_alu instid0(VALU_DEP_2) | instskip(NEXT) | instid1(VALU_DEP_1)
	v_fma_f32 v21, 0x3f317218, v15, -v22
	v_dual_sub_f32 v16, v16, v19 :: v_dual_fmamk_f32 v15, v15, 0xb102e308, v21
	s_delay_alu instid0(VALU_DEP_1) | instskip(NEXT) | instid1(VALU_DEP_1)
	v_add_f32_e32 v18, v22, v15
	v_add_f32_e32 v21, v18, v20
	v_sub_f32_e32 v22, v18, v22
	s_delay_alu instid0(VALU_DEP_2) | instskip(NEXT) | instid1(VALU_DEP_1)
	v_sub_f32_e32 v23, v21, v18
	v_dual_sub_f32 v15, v15, v22 :: v_dual_sub_f32 v24, v21, v23
	s_delay_alu instid0(VALU_DEP_1) | instskip(NEXT) | instid1(VALU_DEP_2)
	v_dual_sub_f32 v19, v20, v23 :: v_dual_add_f32 v20, v15, v16
	v_sub_f32_e32 v18, v18, v24
	s_delay_alu instid0(VALU_DEP_1) | instskip(NEXT) | instid1(VALU_DEP_1)
	v_dual_add_f32 v18, v19, v18 :: v_dual_sub_f32 v19, v20, v15
	v_add_f32_e32 v18, v20, v18
	s_delay_alu instid0(VALU_DEP_2) | instskip(SKIP_1) | instid1(VALU_DEP_2)
	v_sub_f32_e32 v20, v20, v19
	v_sub_f32_e32 v16, v16, v19
	v_dual_add_f32 v22, v21, v18 :: v_dual_sub_f32 v15, v15, v20
	s_delay_alu instid0(VALU_DEP_1) | instskip(NEXT) | instid1(VALU_DEP_2)
	v_sub_f32_e32 v19, v22, v21
	v_add_f32_e32 v15, v16, v15
	s_delay_alu instid0(VALU_DEP_2) | instskip(NEXT) | instid1(VALU_DEP_1)
	v_sub_f32_e32 v16, v18, v19
	v_add_f32_e32 v15, v15, v16
	s_delay_alu instid0(VALU_DEP_1) | instskip(SKIP_1) | instid1(VALU_DEP_1)
	v_add_f32_e32 v15, v22, v15
	s_wait_alu 0xf1ff
	v_cndmask_b32_e64 v15, 0x7f800000, v15, s0
	v_cmp_gt_f32_e64 s0, 0x33800000, |v1|
	s_wait_alu 0xf1ff
	s_delay_alu instid0(VALU_DEP_1) | instskip(NEXT) | instid1(VALU_DEP_1)
	v_cndmask_b32_e64 v1, v15, v1, s0
	v_add_f32_e32 v1, v8, v1
	s_delay_alu instid0(VALU_DEP_1) | instskip(NEXT) | instid1(VALU_DEP_1)
	v_cvt_f16_f32_e32 v1, v1
	v_cvt_f32_f16_e32 v19, v1
.LBB430_101:
	s_wait_alu 0xfffe
	s_or_b32 exec_lo, exec_lo, s24
	v_max_num_f32_e32 v8, v9, v9
	s_delay_alu instid0(VALU_DEP_2) | instskip(SKIP_2) | instid1(VALU_DEP_2)
	v_max_num_f32_e32 v16, v19, v19
	v_mov_b32_e32 v18, v1
	;;#ASMSTART
	;;#ASMEND
	v_min_num_f32_e32 v15, v16, v8
	v_max_num_f32_e32 v16, v16, v8
	v_mov_b32_e32 v8, v19
.LBB430_102:
	s_wait_alu 0xfffe
	s_or_b32 exec_lo, exec_lo, s1
	v_cmp_u_f16_e64 s0, v18, v18
	s_wait_alu 0xf1ff
	s_delay_alu instid0(VALU_DEP_1) | instskip(SKIP_1) | instid1(VALU_DEP_2)
	v_cndmask_b32_e64 v15, v15, v8, s0
	v_cndmask_b32_e64 v19, v16, v8, s0
	v_cndmask_b32_e64 v16, v15, v9, s13
	s_delay_alu instid0(VALU_DEP_2) | instskip(SKIP_1) | instid1(VALU_DEP_3)
	v_cndmask_b32_e64 v15, v19, v9, s13
	v_mov_b32_e32 v9, v1
	v_cmp_class_f32_e64 s1, v16, 0x1f8
	s_delay_alu instid0(VALU_DEP_3)
	v_cmp_neq_f32_e64 s0, v16, v15
	s_or_b32 s0, s0, s1
	s_wait_alu 0xfffe
	s_and_saveexec_b32 s1, s0
	s_cbranch_execz .LBB430_104
; %bb.103:
	v_sub_f32_e32 v8, v16, v15
	s_delay_alu instid0(VALU_DEP_1) | instskip(NEXT) | instid1(VALU_DEP_1)
	v_mul_f32_e32 v9, 0x3fb8aa3b, v8
	v_fma_f32 v16, 0x3fb8aa3b, v8, -v9
	v_rndne_f32_e32 v18, v9
	s_delay_alu instid0(VALU_DEP_1) | instskip(SKIP_1) | instid1(VALU_DEP_2)
	v_dual_sub_f32 v9, v9, v18 :: v_dual_fmamk_f32 v16, v8, 0x32a5705f, v16
	v_cmp_ngt_f32_e64 s0, 0xc2ce8ed0, v8
	v_add_f32_e32 v9, v9, v16
	v_cvt_i32_f32_e32 v16, v18
	s_delay_alu instid0(VALU_DEP_2) | instskip(NEXT) | instid1(TRANS32_DEP_1)
	v_exp_f32_e32 v9, v9
	v_ldexp_f32 v9, v9, v16
	s_wait_alu 0xf1ff
	s_delay_alu instid0(VALU_DEP_1) | instskip(SKIP_2) | instid1(VALU_DEP_1)
	v_cndmask_b32_e64 v9, 0, v9, s0
	v_cmp_nlt_f32_e64 s0, 0x42b17218, v8
	s_wait_alu 0xf1ff
	v_cndmask_b32_e64 v16, 0x7f800000, v9, s0
	s_delay_alu instid0(VALU_DEP_1) | instskip(NEXT) | instid1(VALU_DEP_1)
	v_add_f32_e32 v18, 1.0, v16
	v_cvt_f64_f32_e32 v[8:9], v18
	s_delay_alu instid0(VALU_DEP_1) | instskip(SKIP_1) | instid1(VALU_DEP_1)
	v_frexp_exp_i32_f64_e32 v8, v[8:9]
	v_frexp_mant_f32_e32 v9, v18
	v_cmp_gt_f32_e64 s0, 0x3f2aaaab, v9
	v_add_f32_e32 v9, -1.0, v18
	s_delay_alu instid0(VALU_DEP_1) | instskip(SKIP_1) | instid1(VALU_DEP_3)
	v_dual_sub_f32 v20, v9, v18 :: v_dual_sub_f32 v9, v16, v9
	s_wait_alu 0xf1ff
	v_subrev_co_ci_u32_e64 v8, null, 0, v8, s0
	s_mov_b32 s0, 0x3e9b6dac
	v_sub_nc_u32_e32 v19, 0, v8
	v_cvt_f32_i32_e32 v8, v8
	s_delay_alu instid0(VALU_DEP_2) | instskip(NEXT) | instid1(VALU_DEP_1)
	v_ldexp_f32 v18, v18, v19
	v_dual_add_f32 v20, 1.0, v20 :: v_dual_add_f32 v21, 1.0, v18
	s_delay_alu instid0(VALU_DEP_1) | instskip(NEXT) | instid1(VALU_DEP_1)
	v_dual_add_f32 v9, v9, v20 :: v_dual_add_f32 v20, -1.0, v21
	v_ldexp_f32 v9, v9, v19
	s_delay_alu instid0(VALU_DEP_2) | instskip(NEXT) | instid1(VALU_DEP_1)
	v_dual_add_f32 v19, -1.0, v18 :: v_dual_sub_f32 v20, v18, v20
	v_add_f32_e32 v22, 1.0, v19
	s_delay_alu instid0(VALU_DEP_2) | instskip(NEXT) | instid1(VALU_DEP_2)
	v_add_f32_e32 v20, v9, v20
	v_sub_f32_e32 v18, v18, v22
	s_delay_alu instid0(VALU_DEP_1) | instskip(NEXT) | instid1(VALU_DEP_1)
	v_add_f32_e32 v9, v9, v18
	v_dual_add_f32 v23, v19, v9 :: v_dual_add_f32 v22, v21, v20
	s_delay_alu instid0(VALU_DEP_1) | instskip(NEXT) | instid1(VALU_DEP_2)
	v_sub_f32_e32 v19, v19, v23
	v_rcp_f32_e32 v18, v22
	v_sub_f32_e32 v21, v21, v22
	s_delay_alu instid0(VALU_DEP_1) | instskip(NEXT) | instid1(TRANS32_DEP_1)
	v_dual_add_f32 v20, v20, v21 :: v_dual_add_f32 v9, v9, v19
	v_mul_f32_e32 v24, v23, v18
	s_delay_alu instid0(VALU_DEP_1) | instskip(NEXT) | instid1(VALU_DEP_1)
	v_mul_f32_e32 v25, v22, v24
	v_fma_f32 v21, v24, v22, -v25
	s_delay_alu instid0(VALU_DEP_1) | instskip(NEXT) | instid1(VALU_DEP_1)
	v_fmac_f32_e32 v21, v24, v20
	v_add_f32_e32 v26, v25, v21
	s_delay_alu instid0(VALU_DEP_1) | instskip(NEXT) | instid1(VALU_DEP_1)
	v_sub_f32_e32 v27, v23, v26
	v_sub_f32_e32 v23, v23, v27
	;; [unrolled: 1-line block ×3, first 2 shown]
	s_delay_alu instid0(VALU_DEP_2) | instskip(NEXT) | instid1(VALU_DEP_2)
	v_sub_f32_e32 v23, v23, v26
	v_sub_f32_e32 v19, v19, v21
	s_delay_alu instid0(VALU_DEP_2) | instskip(NEXT) | instid1(VALU_DEP_1)
	v_add_f32_e32 v9, v9, v23
	v_add_f32_e32 v9, v19, v9
	s_delay_alu instid0(VALU_DEP_1) | instskip(NEXT) | instid1(VALU_DEP_1)
	v_add_f32_e32 v19, v27, v9
	v_mul_f32_e32 v21, v18, v19
	s_delay_alu instid0(VALU_DEP_1) | instskip(NEXT) | instid1(VALU_DEP_1)
	v_dual_sub_f32 v26, v27, v19 :: v_dual_mul_f32 v23, v22, v21
	v_add_f32_e32 v9, v9, v26
	s_delay_alu instid0(VALU_DEP_2) | instskip(NEXT) | instid1(VALU_DEP_1)
	v_fma_f32 v22, v21, v22, -v23
	v_fmac_f32_e32 v22, v21, v20
	s_delay_alu instid0(VALU_DEP_1) | instskip(NEXT) | instid1(VALU_DEP_1)
	v_add_f32_e32 v20, v23, v22
	v_sub_f32_e32 v25, v19, v20
	v_sub_f32_e32 v23, v20, v23
	s_delay_alu instid0(VALU_DEP_2) | instskip(NEXT) | instid1(VALU_DEP_1)
	v_sub_f32_e32 v19, v19, v25
	v_sub_f32_e32 v19, v19, v20
	s_delay_alu instid0(VALU_DEP_1) | instskip(SKIP_1) | instid1(VALU_DEP_1)
	v_dual_sub_f32 v20, v23, v22 :: v_dual_add_f32 v9, v9, v19
	v_add_f32_e32 v19, v24, v21
	v_dual_add_f32 v9, v20, v9 :: v_dual_sub_f32 v20, v19, v24
	s_delay_alu instid0(VALU_DEP_1) | instskip(NEXT) | instid1(VALU_DEP_1)
	v_add_f32_e32 v9, v25, v9
	v_dual_sub_f32 v20, v21, v20 :: v_dual_mul_f32 v9, v18, v9
	s_delay_alu instid0(VALU_DEP_1) | instskip(NEXT) | instid1(VALU_DEP_1)
	v_add_f32_e32 v9, v20, v9
	v_add_f32_e32 v18, v19, v9
	s_delay_alu instid0(VALU_DEP_1) | instskip(SKIP_1) | instid1(VALU_DEP_1)
	v_mul_f32_e32 v20, v18, v18
	s_wait_alu 0xfffe
	v_fmaak_f32 v21, s0, v20, 0x3ecc95a3
	v_mul_f32_e32 v22, v18, v20
	v_cmp_neq_f32_e64 s0, 0x7f800000, v16
	s_delay_alu instid0(VALU_DEP_3) | instskip(SKIP_2) | instid1(VALU_DEP_3)
	v_fmaak_f32 v20, v20, v21, 0x3f2aaada
	v_ldexp_f32 v21, v18, 1
	v_sub_f32_e32 v18, v18, v19
	v_mul_f32_e32 v20, v22, v20
	s_delay_alu instid0(VALU_DEP_2) | instskip(NEXT) | instid1(VALU_DEP_2)
	v_dual_mul_f32 v22, 0x3f317218, v8 :: v_dual_sub_f32 v9, v9, v18
	v_add_f32_e32 v19, v21, v20
	s_delay_alu instid0(VALU_DEP_2) | instskip(NEXT) | instid1(VALU_DEP_2)
	v_ldexp_f32 v9, v9, 1
	v_sub_f32_e32 v18, v19, v21
	s_delay_alu instid0(VALU_DEP_4) | instskip(NEXT) | instid1(VALU_DEP_2)
	v_fma_f32 v21, 0x3f317218, v8, -v22
	v_sub_f32_e32 v18, v20, v18
	s_delay_alu instid0(VALU_DEP_1) | instskip(NEXT) | instid1(VALU_DEP_1)
	v_dual_fmamk_f32 v8, v8, 0xb102e308, v21 :: v_dual_add_f32 v9, v9, v18
	v_add_f32_e32 v18, v22, v8
	s_delay_alu instid0(VALU_DEP_2) | instskip(NEXT) | instid1(VALU_DEP_2)
	v_add_f32_e32 v20, v19, v9
	v_sub_f32_e32 v22, v18, v22
	s_delay_alu instid0(VALU_DEP_2) | instskip(SKIP_1) | instid1(VALU_DEP_3)
	v_add_f32_e32 v21, v18, v20
	v_sub_f32_e32 v19, v20, v19
	v_sub_f32_e32 v8, v8, v22
	s_delay_alu instid0(VALU_DEP_3) | instskip(NEXT) | instid1(VALU_DEP_3)
	v_sub_f32_e32 v23, v21, v18
	v_sub_f32_e32 v9, v9, v19
	s_delay_alu instid0(VALU_DEP_2) | instskip(SKIP_1) | instid1(VALU_DEP_3)
	v_sub_f32_e32 v24, v21, v23
	v_sub_f32_e32 v19, v20, v23
	v_add_f32_e32 v20, v8, v9
	s_delay_alu instid0(VALU_DEP_3) | instskip(NEXT) | instid1(VALU_DEP_1)
	v_sub_f32_e32 v18, v18, v24
	v_dual_add_f32 v18, v19, v18 :: v_dual_sub_f32 v19, v20, v8
	s_delay_alu instid0(VALU_DEP_1) | instskip(NEXT) | instid1(VALU_DEP_2)
	v_add_f32_e32 v18, v20, v18
	v_sub_f32_e32 v20, v20, v19
	v_sub_f32_e32 v9, v9, v19
	s_delay_alu instid0(VALU_DEP_3) | instskip(NEXT) | instid1(VALU_DEP_1)
	v_add_f32_e32 v22, v21, v18
	v_dual_sub_f32 v8, v8, v20 :: v_dual_sub_f32 v19, v22, v21
	s_delay_alu instid0(VALU_DEP_1) | instskip(NEXT) | instid1(VALU_DEP_1)
	v_dual_add_f32 v8, v9, v8 :: v_dual_sub_f32 v9, v18, v19
	v_add_f32_e32 v8, v8, v9
	s_delay_alu instid0(VALU_DEP_1) | instskip(SKIP_1) | instid1(VALU_DEP_1)
	v_add_f32_e32 v8, v22, v8
	s_wait_alu 0xf1ff
	v_cndmask_b32_e64 v8, 0x7f800000, v8, s0
	v_cmp_gt_f32_e64 s0, 0x33800000, |v16|
	s_wait_alu 0xf1ff
	s_delay_alu instid0(VALU_DEP_1) | instskip(NEXT) | instid1(VALU_DEP_1)
	v_cndmask_b32_e64 v8, v8, v16, s0
	v_add_f32_e32 v8, v15, v8
	s_delay_alu instid0(VALU_DEP_1) | instskip(NEXT) | instid1(VALU_DEP_1)
	v_cvt_f16_f32_e32 v18, v8
	v_cvt_f32_f16_e32 v8, v18
	v_mov_b32_e32 v9, v18
.LBB430_104:
	s_wait_alu 0xfffe
	s_or_b32 exec_lo, exec_lo, s1
	s_delay_alu instid0(VALU_DEP_2) | instskip(SKIP_1) | instid1(VALU_DEP_2)
	v_dual_max_num_f32 v15, v10, v10 :: v_dual_max_num_f32 v16, v8, v8
	v_cmp_u_f16_e64 s0, v18, v18
	v_min_num_f32_e32 v19, v16, v15
	v_max_num_f32_e32 v15, v16, v15
	s_wait_alu 0xf1ff
	s_delay_alu instid0(VALU_DEP_2) | instskip(NEXT) | instid1(VALU_DEP_2)
	v_cndmask_b32_e64 v16, v19, v8, s0
	v_cndmask_b32_e64 v15, v15, v8, s0
	s_delay_alu instid0(VALU_DEP_2) | instskip(NEXT) | instid1(VALU_DEP_2)
	v_cndmask_b32_e64 v16, v16, v10, s14
	v_cndmask_b32_e64 v15, v15, v10, s14
	v_mov_b32_e32 v10, v9
	s_delay_alu instid0(VALU_DEP_3) | instskip(NEXT) | instid1(VALU_DEP_3)
	v_cmp_class_f32_e64 s1, v16, 0x1f8
	v_cmp_neq_f32_e64 s0, v16, v15
	s_or_b32 s0, s0, s1
	s_wait_alu 0xfffe
	s_and_saveexec_b32 s1, s0
	s_cbranch_execz .LBB430_106
; %bb.105:
	v_sub_f32_e32 v8, v16, v15
	s_delay_alu instid0(VALU_DEP_1) | instskip(SKIP_1) | instid1(VALU_DEP_2)
	v_mul_f32_e32 v10, 0x3fb8aa3b, v8
	v_cmp_ngt_f32_e64 s0, 0xc2ce8ed0, v8
	v_fma_f32 v16, 0x3fb8aa3b, v8, -v10
	v_rndne_f32_e32 v18, v10
	s_delay_alu instid0(VALU_DEP_2) | instskip(NEXT) | instid1(VALU_DEP_2)
	v_fmamk_f32 v16, v8, 0x32a5705f, v16
	v_sub_f32_e32 v10, v10, v18
	s_delay_alu instid0(VALU_DEP_1) | instskip(SKIP_1) | instid1(VALU_DEP_2)
	v_add_f32_e32 v10, v10, v16
	v_cvt_i32_f32_e32 v16, v18
	v_exp_f32_e32 v10, v10
	s_delay_alu instid0(TRANS32_DEP_1) | instskip(SKIP_1) | instid1(VALU_DEP_1)
	v_ldexp_f32 v10, v10, v16
	s_wait_alu 0xf1ff
	v_cndmask_b32_e64 v10, 0, v10, s0
	v_cmp_nlt_f32_e64 s0, 0x42b17218, v8
	s_wait_alu 0xf1ff
	s_delay_alu instid0(VALU_DEP_1) | instskip(NEXT) | instid1(VALU_DEP_1)
	v_cndmask_b32_e64 v8, 0x7f800000, v10, s0
	v_add_f32_e32 v10, 1.0, v8
	s_delay_alu instid0(VALU_DEP_1) | instskip(NEXT) | instid1(VALU_DEP_1)
	v_cvt_f64_f32_e32 v[18:19], v10
	v_frexp_exp_i32_f64_e32 v16, v[18:19]
	v_frexp_mant_f32_e32 v18, v10
	s_delay_alu instid0(VALU_DEP_1) | instskip(SKIP_1) | instid1(VALU_DEP_1)
	v_cmp_gt_f32_e64 s0, 0x3f2aaaab, v18
	v_add_f32_e32 v18, -1.0, v10
	v_sub_f32_e32 v20, v18, v10
	v_sub_f32_e32 v18, v8, v18
	s_delay_alu instid0(VALU_DEP_2) | instskip(NEXT) | instid1(VALU_DEP_1)
	v_add_f32_e32 v20, 1.0, v20
	v_add_f32_e32 v18, v18, v20
	s_wait_alu 0xf1ff
	v_subrev_co_ci_u32_e64 v16, null, 0, v16, s0
	s_mov_b32 s0, 0x3e9b6dac
	v_sub_nc_u32_e32 v19, 0, v16
	v_cvt_f32_i32_e32 v16, v16
	s_delay_alu instid0(VALU_DEP_2) | instskip(SKIP_1) | instid1(VALU_DEP_2)
	v_ldexp_f32 v10, v10, v19
	v_ldexp_f32 v18, v18, v19
	v_add_f32_e32 v21, 1.0, v10
	s_delay_alu instid0(VALU_DEP_1) | instskip(NEXT) | instid1(VALU_DEP_1)
	v_dual_add_f32 v19, -1.0, v10 :: v_dual_add_f32 v20, -1.0, v21
	v_add_f32_e32 v22, 1.0, v19
	s_delay_alu instid0(VALU_DEP_2) | instskip(NEXT) | instid1(VALU_DEP_2)
	v_sub_f32_e32 v20, v10, v20
	v_sub_f32_e32 v10, v10, v22
	s_delay_alu instid0(VALU_DEP_2) | instskip(NEXT) | instid1(VALU_DEP_2)
	v_add_f32_e32 v20, v18, v20
	v_add_f32_e32 v10, v18, v10
	s_delay_alu instid0(VALU_DEP_1) | instskip(NEXT) | instid1(VALU_DEP_1)
	v_dual_add_f32 v22, v21, v20 :: v_dual_add_f32 v23, v19, v10
	v_rcp_f32_e32 v18, v22
	v_sub_f32_e32 v21, v21, v22
	s_delay_alu instid0(VALU_DEP_1) | instskip(NEXT) | instid1(TRANS32_DEP_1)
	v_dual_sub_f32 v19, v19, v23 :: v_dual_add_f32 v20, v20, v21
	v_mul_f32_e32 v24, v23, v18
	s_delay_alu instid0(VALU_DEP_2) | instskip(NEXT) | instid1(VALU_DEP_2)
	v_add_f32_e32 v10, v10, v19
	v_mul_f32_e32 v25, v22, v24
	s_delay_alu instid0(VALU_DEP_1) | instskip(NEXT) | instid1(VALU_DEP_1)
	v_fma_f32 v21, v24, v22, -v25
	v_fmac_f32_e32 v21, v24, v20
	s_delay_alu instid0(VALU_DEP_1) | instskip(NEXT) | instid1(VALU_DEP_1)
	v_add_f32_e32 v26, v25, v21
	v_sub_f32_e32 v27, v23, v26
	v_sub_f32_e32 v19, v26, v25
	s_delay_alu instid0(VALU_DEP_2) | instskip(NEXT) | instid1(VALU_DEP_2)
	v_sub_f32_e32 v23, v23, v27
	v_sub_f32_e32 v19, v19, v21
	s_delay_alu instid0(VALU_DEP_2) | instskip(NEXT) | instid1(VALU_DEP_1)
	v_sub_f32_e32 v23, v23, v26
	v_add_f32_e32 v10, v10, v23
	s_delay_alu instid0(VALU_DEP_1) | instskip(NEXT) | instid1(VALU_DEP_1)
	v_add_f32_e32 v10, v19, v10
	v_add_f32_e32 v19, v27, v10
	s_delay_alu instid0(VALU_DEP_1) | instskip(NEXT) | instid1(VALU_DEP_1)
	v_mul_f32_e32 v21, v18, v19
	v_dual_sub_f32 v26, v27, v19 :: v_dual_mul_f32 v23, v22, v21
	s_delay_alu instid0(VALU_DEP_1) | instskip(NEXT) | instid1(VALU_DEP_2)
	v_add_f32_e32 v10, v10, v26
	v_fma_f32 v22, v21, v22, -v23
	s_delay_alu instid0(VALU_DEP_1) | instskip(NEXT) | instid1(VALU_DEP_1)
	v_fmac_f32_e32 v22, v21, v20
	v_add_f32_e32 v20, v23, v22
	s_delay_alu instid0(VALU_DEP_1) | instskip(SKIP_1) | instid1(VALU_DEP_2)
	v_sub_f32_e32 v25, v19, v20
	v_sub_f32_e32 v23, v20, v23
	;; [unrolled: 1-line block ×3, first 2 shown]
	s_delay_alu instid0(VALU_DEP_1) | instskip(NEXT) | instid1(VALU_DEP_3)
	v_sub_f32_e32 v19, v19, v20
	v_sub_f32_e32 v20, v23, v22
	s_delay_alu instid0(VALU_DEP_2) | instskip(NEXT) | instid1(VALU_DEP_1)
	v_dual_add_f32 v10, v10, v19 :: v_dual_add_f32 v19, v24, v21
	v_add_f32_e32 v10, v20, v10
	s_delay_alu instid0(VALU_DEP_2) | instskip(NEXT) | instid1(VALU_DEP_2)
	v_sub_f32_e32 v20, v19, v24
	v_add_f32_e32 v10, v25, v10
	s_delay_alu instid0(VALU_DEP_2) | instskip(NEXT) | instid1(VALU_DEP_2)
	v_sub_f32_e32 v20, v21, v20
	v_mul_f32_e32 v10, v18, v10
	s_delay_alu instid0(VALU_DEP_1) | instskip(NEXT) | instid1(VALU_DEP_1)
	v_add_f32_e32 v10, v20, v10
	v_add_f32_e32 v18, v19, v10
	s_delay_alu instid0(VALU_DEP_1) | instskip(SKIP_1) | instid1(VALU_DEP_1)
	v_mul_f32_e32 v20, v18, v18
	s_wait_alu 0xfffe
	v_fmaak_f32 v21, s0, v20, 0x3ecc95a3
	v_mul_f32_e32 v22, v18, v20
	v_cmp_neq_f32_e64 s0, 0x7f800000, v8
	s_delay_alu instid0(VALU_DEP_3) | instskip(SKIP_2) | instid1(VALU_DEP_3)
	v_fmaak_f32 v20, v20, v21, 0x3f2aaada
	v_ldexp_f32 v21, v18, 1
	v_sub_f32_e32 v18, v18, v19
	v_mul_f32_e32 v20, v22, v20
	v_mul_f32_e32 v22, 0x3f317218, v16
	s_delay_alu instid0(VALU_DEP_2) | instskip(NEXT) | instid1(VALU_DEP_1)
	v_dual_sub_f32 v10, v10, v18 :: v_dual_add_f32 v19, v21, v20
	v_ldexp_f32 v10, v10, 1
	s_delay_alu instid0(VALU_DEP_2) | instskip(NEXT) | instid1(VALU_DEP_4)
	v_sub_f32_e32 v18, v19, v21
	v_fma_f32 v21, 0x3f317218, v16, -v22
	s_delay_alu instid0(VALU_DEP_2) | instskip(NEXT) | instid1(VALU_DEP_2)
	v_sub_f32_e32 v18, v20, v18
	v_fmamk_f32 v16, v16, 0xb102e308, v21
	s_delay_alu instid0(VALU_DEP_2) | instskip(NEXT) | instid1(VALU_DEP_2)
	v_add_f32_e32 v10, v10, v18
	v_add_f32_e32 v18, v22, v16
	s_delay_alu instid0(VALU_DEP_2) | instskip(NEXT) | instid1(VALU_DEP_2)
	v_add_f32_e32 v20, v19, v10
	v_sub_f32_e32 v22, v18, v22
	s_delay_alu instid0(VALU_DEP_2) | instskip(SKIP_1) | instid1(VALU_DEP_3)
	v_add_f32_e32 v21, v18, v20
	v_sub_f32_e32 v19, v20, v19
	v_sub_f32_e32 v16, v16, v22
	s_delay_alu instid0(VALU_DEP_2) | instskip(NEXT) | instid1(VALU_DEP_1)
	v_dual_sub_f32 v23, v21, v18 :: v_dual_sub_f32 v10, v10, v19
	v_sub_f32_e32 v24, v21, v23
	v_sub_f32_e32 v19, v20, v23
	s_delay_alu instid0(VALU_DEP_3) | instskip(NEXT) | instid1(VALU_DEP_3)
	v_add_f32_e32 v20, v16, v10
	v_sub_f32_e32 v18, v18, v24
	s_delay_alu instid0(VALU_DEP_1) | instskip(NEXT) | instid1(VALU_DEP_1)
	v_dual_add_f32 v18, v19, v18 :: v_dual_sub_f32 v19, v20, v16
	v_add_f32_e32 v18, v20, v18
	s_delay_alu instid0(VALU_DEP_2) | instskip(SKIP_1) | instid1(VALU_DEP_3)
	v_sub_f32_e32 v20, v20, v19
	v_sub_f32_e32 v10, v10, v19
	v_add_f32_e32 v22, v21, v18
	s_delay_alu instid0(VALU_DEP_1) | instskip(NEXT) | instid1(VALU_DEP_1)
	v_dual_sub_f32 v16, v16, v20 :: v_dual_sub_f32 v19, v22, v21
	v_add_f32_e32 v10, v10, v16
	s_delay_alu instid0(VALU_DEP_2) | instskip(NEXT) | instid1(VALU_DEP_1)
	v_sub_f32_e32 v16, v18, v19
	v_add_f32_e32 v10, v10, v16
	s_delay_alu instid0(VALU_DEP_1) | instskip(SKIP_1) | instid1(VALU_DEP_1)
	v_add_f32_e32 v10, v22, v10
	s_wait_alu 0xf1ff
	v_cndmask_b32_e64 v10, 0x7f800000, v10, s0
	v_cmp_gt_f32_e64 s0, 0x33800000, |v8|
	s_wait_alu 0xf1ff
	s_delay_alu instid0(VALU_DEP_1) | instskip(NEXT) | instid1(VALU_DEP_1)
	v_cndmask_b32_e64 v8, v10, v8, s0
	v_add_f32_e32 v8, v15, v8
	s_delay_alu instid0(VALU_DEP_1) | instskip(NEXT) | instid1(VALU_DEP_1)
	v_cvt_f16_f32_e32 v18, v8
	v_cvt_f32_f16_e32 v8, v18
	v_mov_b32_e32 v10, v18
.LBB430_106:
	s_wait_alu 0xfffe
	s_or_b32 exec_lo, exec_lo, s1
	s_delay_alu instid0(VALU_DEP_2) | instskip(SKIP_1) | instid1(VALU_DEP_2)
	v_dual_max_num_f32 v15, v11, v11 :: v_dual_max_num_f32 v16, v8, v8
	v_cmp_u_f16_e64 s0, v18, v18
	v_min_num_f32_e32 v19, v16, v15
	v_max_num_f32_e32 v15, v16, v15
	s_wait_alu 0xf1ff
	s_delay_alu instid0(VALU_DEP_2) | instskip(NEXT) | instid1(VALU_DEP_2)
	v_cndmask_b32_e64 v16, v19, v8, s0
	v_cndmask_b32_e64 v15, v15, v8, s0
	s_delay_alu instid0(VALU_DEP_2) | instskip(NEXT) | instid1(VALU_DEP_2)
	v_cndmask_b32_e64 v16, v16, v11, s15
	v_cndmask_b32_e64 v15, v15, v11, s15
	v_mov_b32_e32 v11, v10
	s_delay_alu instid0(VALU_DEP_3) | instskip(NEXT) | instid1(VALU_DEP_3)
	v_cmp_class_f32_e64 s1, v16, 0x1f8
	v_cmp_neq_f32_e64 s0, v16, v15
	s_or_b32 s0, s0, s1
	s_wait_alu 0xfffe
	s_and_saveexec_b32 s1, s0
	s_cbranch_execz .LBB430_108
; %bb.107:
	v_sub_f32_e32 v8, v16, v15
	s_delay_alu instid0(VALU_DEP_1) | instskip(NEXT) | instid1(VALU_DEP_1)
	v_mul_f32_e32 v11, 0x3fb8aa3b, v8
	v_fma_f32 v16, 0x3fb8aa3b, v8, -v11
	v_rndne_f32_e32 v18, v11
	s_delay_alu instid0(VALU_DEP_1) | instskip(SKIP_1) | instid1(VALU_DEP_2)
	v_dual_sub_f32 v11, v11, v18 :: v_dual_fmamk_f32 v16, v8, 0x32a5705f, v16
	v_cmp_ngt_f32_e64 s0, 0xc2ce8ed0, v8
	v_add_f32_e32 v11, v11, v16
	v_cvt_i32_f32_e32 v16, v18
	s_delay_alu instid0(VALU_DEP_2) | instskip(NEXT) | instid1(TRANS32_DEP_1)
	v_exp_f32_e32 v11, v11
	v_ldexp_f32 v11, v11, v16
	s_wait_alu 0xf1ff
	s_delay_alu instid0(VALU_DEP_1) | instskip(SKIP_2) | instid1(VALU_DEP_1)
	v_cndmask_b32_e64 v11, 0, v11, s0
	v_cmp_nlt_f32_e64 s0, 0x42b17218, v8
	s_wait_alu 0xf1ff
	v_cndmask_b32_e64 v8, 0x7f800000, v11, s0
	s_delay_alu instid0(VALU_DEP_1) | instskip(NEXT) | instid1(VALU_DEP_1)
	v_add_f32_e32 v11, 1.0, v8
	v_cvt_f64_f32_e32 v[18:19], v11
	s_delay_alu instid0(VALU_DEP_1) | instskip(SKIP_1) | instid1(VALU_DEP_1)
	v_frexp_exp_i32_f64_e32 v16, v[18:19]
	v_frexp_mant_f32_e32 v18, v11
	v_cmp_gt_f32_e64 s0, 0x3f2aaaab, v18
	v_add_f32_e32 v18, -1.0, v11
	s_delay_alu instid0(VALU_DEP_1)
	v_sub_f32_e32 v20, v18, v11
	v_sub_f32_e32 v18, v8, v18
	s_wait_alu 0xf1ff
	v_subrev_co_ci_u32_e64 v16, null, 0, v16, s0
	s_mov_b32 s0, 0x3e9b6dac
	v_sub_nc_u32_e32 v19, 0, v16
	v_cvt_f32_i32_e32 v16, v16
	s_delay_alu instid0(VALU_DEP_2) | instskip(NEXT) | instid1(VALU_DEP_1)
	v_ldexp_f32 v11, v11, v19
	v_dual_add_f32 v20, 1.0, v20 :: v_dual_add_f32 v21, 1.0, v11
	s_delay_alu instid0(VALU_DEP_1) | instskip(NEXT) | instid1(VALU_DEP_2)
	v_add_f32_e32 v18, v18, v20
	v_add_f32_e32 v20, -1.0, v21
	s_delay_alu instid0(VALU_DEP_2) | instskip(NEXT) | instid1(VALU_DEP_2)
	v_ldexp_f32 v18, v18, v19
	v_dual_add_f32 v19, -1.0, v11 :: v_dual_sub_f32 v20, v11, v20
	s_delay_alu instid0(VALU_DEP_1) | instskip(NEXT) | instid1(VALU_DEP_1)
	v_add_f32_e32 v22, 1.0, v19
	v_sub_f32_e32 v11, v11, v22
	s_delay_alu instid0(VALU_DEP_1) | instskip(NEXT) | instid1(VALU_DEP_1)
	v_add_f32_e32 v11, v18, v11
	v_dual_add_f32 v20, v18, v20 :: v_dual_add_f32 v23, v19, v11
	s_delay_alu instid0(VALU_DEP_1) | instskip(NEXT) | instid1(VALU_DEP_1)
	v_dual_add_f32 v22, v21, v20 :: v_dual_sub_f32 v19, v19, v23
	v_rcp_f32_e32 v18, v22
	v_sub_f32_e32 v21, v21, v22
	s_delay_alu instid0(VALU_DEP_1) | instskip(NEXT) | instid1(TRANS32_DEP_1)
	v_dual_add_f32 v11, v11, v19 :: v_dual_add_f32 v20, v20, v21
	v_mul_f32_e32 v24, v23, v18
	s_delay_alu instid0(VALU_DEP_1) | instskip(NEXT) | instid1(VALU_DEP_1)
	v_mul_f32_e32 v25, v22, v24
	v_fma_f32 v21, v24, v22, -v25
	s_delay_alu instid0(VALU_DEP_1) | instskip(NEXT) | instid1(VALU_DEP_1)
	v_fmac_f32_e32 v21, v24, v20
	v_add_f32_e32 v26, v25, v21
	s_delay_alu instid0(VALU_DEP_1) | instskip(SKIP_1) | instid1(VALU_DEP_2)
	v_sub_f32_e32 v27, v23, v26
	v_sub_f32_e32 v19, v26, v25
	;; [unrolled: 1-line block ×3, first 2 shown]
	s_delay_alu instid0(VALU_DEP_2) | instskip(NEXT) | instid1(VALU_DEP_2)
	v_sub_f32_e32 v19, v19, v21
	v_sub_f32_e32 v23, v23, v26
	s_delay_alu instid0(VALU_DEP_1) | instskip(NEXT) | instid1(VALU_DEP_1)
	v_add_f32_e32 v11, v11, v23
	v_add_f32_e32 v11, v19, v11
	s_delay_alu instid0(VALU_DEP_1) | instskip(NEXT) | instid1(VALU_DEP_1)
	v_add_f32_e32 v19, v27, v11
	v_mul_f32_e32 v21, v18, v19
	s_delay_alu instid0(VALU_DEP_1) | instskip(NEXT) | instid1(VALU_DEP_1)
	v_dual_sub_f32 v26, v27, v19 :: v_dual_mul_f32 v23, v22, v21
	v_add_f32_e32 v11, v11, v26
	s_delay_alu instid0(VALU_DEP_2) | instskip(NEXT) | instid1(VALU_DEP_1)
	v_fma_f32 v22, v21, v22, -v23
	v_fmac_f32_e32 v22, v21, v20
	s_delay_alu instid0(VALU_DEP_1) | instskip(NEXT) | instid1(VALU_DEP_1)
	v_add_f32_e32 v20, v23, v22
	v_sub_f32_e32 v25, v19, v20
	s_delay_alu instid0(VALU_DEP_1) | instskip(NEXT) | instid1(VALU_DEP_1)
	v_sub_f32_e32 v19, v19, v25
	v_sub_f32_e32 v19, v19, v20
	s_delay_alu instid0(VALU_DEP_1) | instskip(SKIP_2) | instid1(VALU_DEP_1)
	v_add_f32_e32 v11, v11, v19
	v_add_f32_e32 v19, v24, v21
	v_sub_f32_e32 v23, v20, v23
	v_sub_f32_e32 v20, v23, v22
	s_delay_alu instid0(VALU_DEP_1) | instskip(NEXT) | instid1(VALU_DEP_1)
	v_dual_add_f32 v11, v20, v11 :: v_dual_sub_f32 v20, v19, v24
	v_add_f32_e32 v11, v25, v11
	s_delay_alu instid0(VALU_DEP_1) | instskip(NEXT) | instid1(VALU_DEP_1)
	v_dual_sub_f32 v20, v21, v20 :: v_dual_mul_f32 v11, v18, v11
	v_add_f32_e32 v11, v20, v11
	s_delay_alu instid0(VALU_DEP_1) | instskip(NEXT) | instid1(VALU_DEP_1)
	v_add_f32_e32 v18, v19, v11
	v_mul_f32_e32 v20, v18, v18
	s_wait_alu 0xfffe
	s_delay_alu instid0(VALU_DEP_1) | instskip(SKIP_2) | instid1(VALU_DEP_3)
	v_fmaak_f32 v21, s0, v20, 0x3ecc95a3
	v_mul_f32_e32 v22, v18, v20
	v_cmp_neq_f32_e64 s0, 0x7f800000, v8
	v_fmaak_f32 v20, v20, v21, 0x3f2aaada
	v_ldexp_f32 v21, v18, 1
	v_sub_f32_e32 v18, v18, v19
	s_delay_alu instid0(VALU_DEP_3) | instskip(NEXT) | instid1(VALU_DEP_2)
	v_mul_f32_e32 v20, v22, v20
	v_dual_mul_f32 v22, 0x3f317218, v16 :: v_dual_sub_f32 v11, v11, v18
	s_delay_alu instid0(VALU_DEP_2) | instskip(NEXT) | instid1(VALU_DEP_2)
	v_add_f32_e32 v19, v21, v20
	v_ldexp_f32 v11, v11, 1
	s_delay_alu instid0(VALU_DEP_2) | instskip(NEXT) | instid1(VALU_DEP_4)
	v_sub_f32_e32 v18, v19, v21
	v_fma_f32 v21, 0x3f317218, v16, -v22
	s_delay_alu instid0(VALU_DEP_2) | instskip(NEXT) | instid1(VALU_DEP_1)
	v_sub_f32_e32 v18, v20, v18
	v_dual_fmamk_f32 v16, v16, 0xb102e308, v21 :: v_dual_add_f32 v11, v11, v18
	s_delay_alu instid0(VALU_DEP_1) | instskip(NEXT) | instid1(VALU_DEP_2)
	v_add_f32_e32 v18, v22, v16
	v_add_f32_e32 v20, v19, v11
	s_delay_alu instid0(VALU_DEP_2) | instskip(NEXT) | instid1(VALU_DEP_1)
	v_sub_f32_e32 v22, v18, v22
	v_dual_add_f32 v21, v18, v20 :: v_dual_sub_f32 v16, v16, v22
	s_delay_alu instid0(VALU_DEP_1) | instskip(SKIP_1) | instid1(VALU_DEP_2)
	v_sub_f32_e32 v23, v21, v18
	v_sub_f32_e32 v19, v20, v19
	;; [unrolled: 1-line block ×3, first 2 shown]
	s_delay_alu instid0(VALU_DEP_2) | instskip(NEXT) | instid1(VALU_DEP_2)
	v_sub_f32_e32 v11, v11, v19
	v_dual_sub_f32 v19, v20, v23 :: v_dual_sub_f32 v18, v18, v24
	s_delay_alu instid0(VALU_DEP_2) | instskip(NEXT) | instid1(VALU_DEP_1)
	v_add_f32_e32 v20, v16, v11
	v_dual_add_f32 v18, v19, v18 :: v_dual_sub_f32 v19, v20, v16
	s_delay_alu instid0(VALU_DEP_1) | instskip(NEXT) | instid1(VALU_DEP_2)
	v_add_f32_e32 v18, v20, v18
	v_sub_f32_e32 v20, v20, v19
	s_delay_alu instid0(VALU_DEP_2) | instskip(NEXT) | instid1(VALU_DEP_1)
	v_dual_sub_f32 v11, v11, v19 :: v_dual_add_f32 v22, v21, v18
	v_dual_sub_f32 v16, v16, v20 :: v_dual_sub_f32 v19, v22, v21
	s_delay_alu instid0(VALU_DEP_1) | instskip(NEXT) | instid1(VALU_DEP_1)
	v_dual_add_f32 v11, v11, v16 :: v_dual_sub_f32 v16, v18, v19
	v_add_f32_e32 v11, v11, v16
	s_delay_alu instid0(VALU_DEP_1) | instskip(SKIP_1) | instid1(VALU_DEP_1)
	v_add_f32_e32 v11, v22, v11
	s_wait_alu 0xf1ff
	v_cndmask_b32_e64 v11, 0x7f800000, v11, s0
	v_cmp_gt_f32_e64 s0, 0x33800000, |v8|
	s_wait_alu 0xf1ff
	s_delay_alu instid0(VALU_DEP_1) | instskip(NEXT) | instid1(VALU_DEP_1)
	v_cndmask_b32_e64 v8, v11, v8, s0
	v_add_f32_e32 v8, v15, v8
	s_delay_alu instid0(VALU_DEP_1) | instskip(NEXT) | instid1(VALU_DEP_1)
	v_cvt_f16_f32_e32 v18, v8
	v_cvt_f32_f16_e32 v8, v18
	v_mov_b32_e32 v11, v18
.LBB430_108:
	s_wait_alu 0xfffe
	s_or_b32 exec_lo, exec_lo, s1
	s_delay_alu instid0(VALU_DEP_2) | instskip(SKIP_1) | instid1(VALU_DEP_2)
	v_dual_max_num_f32 v15, v2, v2 :: v_dual_max_num_f32 v16, v8, v8
	v_cmp_u_f16_e64 s0, v18, v18
	v_min_num_f32_e32 v19, v16, v15
	v_max_num_f32_e32 v15, v16, v15
	s_wait_alu 0xf1ff
	s_delay_alu instid0(VALU_DEP_2) | instskip(NEXT) | instid1(VALU_DEP_2)
	v_cndmask_b32_e64 v16, v19, v8, s0
	v_cndmask_b32_e64 v15, v15, v8, s0
	s_delay_alu instid0(VALU_DEP_2) | instskip(NEXT) | instid1(VALU_DEP_2)
	v_cndmask_b32_e64 v16, v16, v2, s16
	v_cndmask_b32_e64 v15, v15, v2, s16
	v_mov_b32_e32 v2, v11
	s_delay_alu instid0(VALU_DEP_3) | instskip(NEXT) | instid1(VALU_DEP_3)
	v_cmp_class_f32_e64 s1, v16, 0x1f8
	v_cmp_neq_f32_e64 s0, v16, v15
	s_or_b32 s0, s0, s1
	s_wait_alu 0xfffe
	s_and_saveexec_b32 s1, s0
	s_cbranch_execz .LBB430_110
; %bb.109:
	v_sub_f32_e32 v2, v16, v15
	s_delay_alu instid0(VALU_DEP_1) | instskip(SKIP_1) | instid1(VALU_DEP_2)
	v_mul_f32_e32 v8, 0x3fb8aa3b, v2
	v_cmp_ngt_f32_e64 s0, 0xc2ce8ed0, v2
	v_fma_f32 v16, 0x3fb8aa3b, v2, -v8
	v_rndne_f32_e32 v18, v8
	s_delay_alu instid0(VALU_DEP_2) | instskip(NEXT) | instid1(VALU_DEP_2)
	v_fmamk_f32 v16, v2, 0x32a5705f, v16
	v_sub_f32_e32 v8, v8, v18
	s_delay_alu instid0(VALU_DEP_1) | instskip(SKIP_1) | instid1(VALU_DEP_2)
	v_add_f32_e32 v8, v8, v16
	v_cvt_i32_f32_e32 v16, v18
	v_exp_f32_e32 v8, v8
	s_delay_alu instid0(TRANS32_DEP_1) | instskip(SKIP_1) | instid1(VALU_DEP_1)
	v_ldexp_f32 v8, v8, v16
	s_wait_alu 0xf1ff
	v_cndmask_b32_e64 v8, 0, v8, s0
	v_cmp_nlt_f32_e64 s0, 0x42b17218, v2
	s_wait_alu 0xf1ff
	s_delay_alu instid0(VALU_DEP_1) | instskip(NEXT) | instid1(VALU_DEP_1)
	v_cndmask_b32_e64 v2, 0x7f800000, v8, s0
	v_add_f32_e32 v8, 1.0, v2
	s_delay_alu instid0(VALU_DEP_1) | instskip(NEXT) | instid1(VALU_DEP_1)
	v_cvt_f64_f32_e32 v[18:19], v8
	v_frexp_exp_i32_f64_e32 v16, v[18:19]
	v_frexp_mant_f32_e32 v18, v8
	s_delay_alu instid0(VALU_DEP_1) | instskip(SKIP_1) | instid1(VALU_DEP_1)
	v_cmp_gt_f32_e64 s0, 0x3f2aaaab, v18
	v_add_f32_e32 v18, -1.0, v8
	v_sub_f32_e32 v20, v18, v8
	v_sub_f32_e32 v18, v2, v18
	s_delay_alu instid0(VALU_DEP_2) | instskip(NEXT) | instid1(VALU_DEP_1)
	v_add_f32_e32 v20, 1.0, v20
	v_add_f32_e32 v18, v18, v20
	s_wait_alu 0xf1ff
	v_subrev_co_ci_u32_e64 v16, null, 0, v16, s0
	s_mov_b32 s0, 0x3e9b6dac
	v_sub_nc_u32_e32 v19, 0, v16
	v_cvt_f32_i32_e32 v16, v16
	s_delay_alu instid0(VALU_DEP_2) | instskip(SKIP_1) | instid1(VALU_DEP_2)
	v_ldexp_f32 v8, v8, v19
	v_ldexp_f32 v18, v18, v19
	v_add_f32_e32 v21, 1.0, v8
	s_delay_alu instid0(VALU_DEP_1) | instskip(NEXT) | instid1(VALU_DEP_1)
	v_dual_add_f32 v19, -1.0, v8 :: v_dual_add_f32 v20, -1.0, v21
	v_add_f32_e32 v22, 1.0, v19
	s_delay_alu instid0(VALU_DEP_2) | instskip(NEXT) | instid1(VALU_DEP_2)
	v_sub_f32_e32 v20, v8, v20
	v_sub_f32_e32 v8, v8, v22
	s_delay_alu instid0(VALU_DEP_2) | instskip(NEXT) | instid1(VALU_DEP_2)
	v_add_f32_e32 v20, v18, v20
	v_add_f32_e32 v8, v18, v8
	s_delay_alu instid0(VALU_DEP_2) | instskip(NEXT) | instid1(VALU_DEP_2)
	v_add_f32_e32 v22, v21, v20
	v_add_f32_e32 v23, v19, v8
	s_delay_alu instid0(VALU_DEP_2) | instskip(SKIP_1) | instid1(VALU_DEP_1)
	v_rcp_f32_e32 v18, v22
	v_sub_f32_e32 v21, v21, v22
	v_dual_sub_f32 v19, v19, v23 :: v_dual_add_f32 v20, v20, v21
	s_delay_alu instid0(VALU_DEP_1) | instskip(NEXT) | instid1(TRANS32_DEP_1)
	v_add_f32_e32 v8, v8, v19
	v_mul_f32_e32 v24, v23, v18
	s_delay_alu instid0(VALU_DEP_1) | instskip(NEXT) | instid1(VALU_DEP_1)
	v_mul_f32_e32 v25, v22, v24
	v_fma_f32 v21, v24, v22, -v25
	s_delay_alu instid0(VALU_DEP_1) | instskip(NEXT) | instid1(VALU_DEP_1)
	v_fmac_f32_e32 v21, v24, v20
	v_add_f32_e32 v26, v25, v21
	s_delay_alu instid0(VALU_DEP_1) | instskip(SKIP_1) | instid1(VALU_DEP_2)
	v_sub_f32_e32 v27, v23, v26
	v_sub_f32_e32 v19, v26, v25
	;; [unrolled: 1-line block ×3, first 2 shown]
	s_delay_alu instid0(VALU_DEP_2) | instskip(NEXT) | instid1(VALU_DEP_2)
	v_sub_f32_e32 v19, v19, v21
	v_sub_f32_e32 v23, v23, v26
	s_delay_alu instid0(VALU_DEP_1) | instskip(NEXT) | instid1(VALU_DEP_1)
	v_add_f32_e32 v8, v8, v23
	v_add_f32_e32 v8, v19, v8
	s_delay_alu instid0(VALU_DEP_1) | instskip(NEXT) | instid1(VALU_DEP_1)
	v_add_f32_e32 v19, v27, v8
	v_mul_f32_e32 v21, v18, v19
	s_delay_alu instid0(VALU_DEP_1) | instskip(NEXT) | instid1(VALU_DEP_1)
	v_dual_sub_f32 v26, v27, v19 :: v_dual_mul_f32 v23, v22, v21
	v_add_f32_e32 v8, v8, v26
	s_delay_alu instid0(VALU_DEP_2) | instskip(NEXT) | instid1(VALU_DEP_1)
	v_fma_f32 v22, v21, v22, -v23
	v_fmac_f32_e32 v22, v21, v20
	s_delay_alu instid0(VALU_DEP_1) | instskip(NEXT) | instid1(VALU_DEP_1)
	v_add_f32_e32 v20, v23, v22
	v_sub_f32_e32 v25, v19, v20
	v_sub_f32_e32 v23, v20, v23
	s_delay_alu instid0(VALU_DEP_2) | instskip(NEXT) | instid1(VALU_DEP_1)
	v_sub_f32_e32 v19, v19, v25
	v_sub_f32_e32 v19, v19, v20
	s_delay_alu instid0(VALU_DEP_3) | instskip(NEXT) | instid1(VALU_DEP_2)
	v_sub_f32_e32 v20, v23, v22
	v_add_f32_e32 v8, v8, v19
	v_add_f32_e32 v19, v24, v21
	s_delay_alu instid0(VALU_DEP_2) | instskip(NEXT) | instid1(VALU_DEP_2)
	v_add_f32_e32 v8, v20, v8
	v_sub_f32_e32 v20, v19, v24
	s_delay_alu instid0(VALU_DEP_2) | instskip(NEXT) | instid1(VALU_DEP_2)
	v_add_f32_e32 v8, v25, v8
	v_sub_f32_e32 v20, v21, v20
	s_delay_alu instid0(VALU_DEP_2) | instskip(NEXT) | instid1(VALU_DEP_1)
	v_mul_f32_e32 v8, v18, v8
	v_add_f32_e32 v8, v20, v8
	s_delay_alu instid0(VALU_DEP_1) | instskip(NEXT) | instid1(VALU_DEP_1)
	v_add_f32_e32 v18, v19, v8
	v_mul_f32_e32 v20, v18, v18
	s_wait_alu 0xfffe
	s_delay_alu instid0(VALU_DEP_1) | instskip(SKIP_2) | instid1(VALU_DEP_3)
	v_fmaak_f32 v21, s0, v20, 0x3ecc95a3
	v_mul_f32_e32 v22, v18, v20
	v_cmp_neq_f32_e64 s0, 0x7f800000, v2
	v_fmaak_f32 v20, v20, v21, 0x3f2aaada
	v_ldexp_f32 v21, v18, 1
	v_sub_f32_e32 v18, v18, v19
	s_delay_alu instid0(VALU_DEP_3) | instskip(SKIP_1) | instid1(VALU_DEP_2)
	v_mul_f32_e32 v20, v22, v20
	v_mul_f32_e32 v22, 0x3f317218, v16
	v_dual_sub_f32 v8, v8, v18 :: v_dual_add_f32 v19, v21, v20
	s_delay_alu instid0(VALU_DEP_1) | instskip(NEXT) | instid1(VALU_DEP_2)
	v_ldexp_f32 v8, v8, 1
	v_sub_f32_e32 v18, v19, v21
	s_delay_alu instid0(VALU_DEP_4) | instskip(NEXT) | instid1(VALU_DEP_2)
	v_fma_f32 v21, 0x3f317218, v16, -v22
	v_sub_f32_e32 v18, v20, v18
	s_delay_alu instid0(VALU_DEP_2) | instskip(NEXT) | instid1(VALU_DEP_2)
	v_fmamk_f32 v16, v16, 0xb102e308, v21
	v_add_f32_e32 v8, v8, v18
	s_delay_alu instid0(VALU_DEP_2) | instskip(NEXT) | instid1(VALU_DEP_2)
	v_add_f32_e32 v18, v22, v16
	v_add_f32_e32 v20, v19, v8
	s_delay_alu instid0(VALU_DEP_2) | instskip(NEXT) | instid1(VALU_DEP_2)
	v_sub_f32_e32 v22, v18, v22
	v_add_f32_e32 v21, v18, v20
	v_sub_f32_e32 v19, v20, v19
	s_delay_alu instid0(VALU_DEP_3) | instskip(NEXT) | instid1(VALU_DEP_2)
	v_sub_f32_e32 v16, v16, v22
	v_dual_sub_f32 v23, v21, v18 :: v_dual_sub_f32 v8, v8, v19
	s_delay_alu instid0(VALU_DEP_1) | instskip(SKIP_1) | instid1(VALU_DEP_3)
	v_sub_f32_e32 v24, v21, v23
	v_sub_f32_e32 v19, v20, v23
	v_add_f32_e32 v20, v16, v8
	s_delay_alu instid0(VALU_DEP_3) | instskip(NEXT) | instid1(VALU_DEP_1)
	v_sub_f32_e32 v18, v18, v24
	v_dual_add_f32 v18, v19, v18 :: v_dual_sub_f32 v19, v20, v16
	s_delay_alu instid0(VALU_DEP_1) | instskip(NEXT) | instid1(VALU_DEP_2)
	v_add_f32_e32 v18, v20, v18
	v_sub_f32_e32 v20, v20, v19
	v_sub_f32_e32 v8, v8, v19
	s_delay_alu instid0(VALU_DEP_3) | instskip(NEXT) | instid1(VALU_DEP_1)
	v_add_f32_e32 v22, v21, v18
	v_dual_sub_f32 v16, v16, v20 :: v_dual_sub_f32 v19, v22, v21
	s_delay_alu instid0(VALU_DEP_1) | instskip(NEXT) | instid1(VALU_DEP_2)
	v_add_f32_e32 v8, v8, v16
	v_sub_f32_e32 v16, v18, v19
	s_delay_alu instid0(VALU_DEP_1) | instskip(NEXT) | instid1(VALU_DEP_1)
	v_add_f32_e32 v8, v8, v16
	v_add_f32_e32 v8, v22, v8
	s_wait_alu 0xf1ff
	s_delay_alu instid0(VALU_DEP_1) | instskip(SKIP_2) | instid1(VALU_DEP_1)
	v_cndmask_b32_e64 v8, 0x7f800000, v8, s0
	v_cmp_gt_f32_e64 s0, 0x33800000, |v2|
	s_wait_alu 0xf1ff
	v_cndmask_b32_e64 v2, v8, v2, s0
	s_delay_alu instid0(VALU_DEP_1) | instskip(NEXT) | instid1(VALU_DEP_1)
	v_add_f32_e32 v2, v15, v2
	v_cvt_f16_f32_e32 v18, v2
	s_delay_alu instid0(VALU_DEP_1)
	v_cvt_f32_f16_e32 v8, v18
	v_mov_b32_e32 v2, v18
.LBB430_110:
	s_wait_alu 0xfffe
	s_or_b32 exec_lo, exec_lo, s1
	v_max_num_f32_e32 v15, v12, v12
	v_max_num_f32_e32 v16, v8, v8
	v_cmp_u_f16_e64 s0, v18, v18
	s_delay_alu instid0(VALU_DEP_2) | instskip(SKIP_2) | instid1(VALU_DEP_2)
	v_min_num_f32_e32 v19, v16, v15
	v_max_num_f32_e32 v15, v16, v15
	s_wait_alu 0xf1ff
	v_cndmask_b32_e64 v16, v19, v8, s0
	s_delay_alu instid0(VALU_DEP_2) | instskip(NEXT) | instid1(VALU_DEP_2)
	v_cndmask_b32_e64 v15, v15, v8, s0
	v_cndmask_b32_e64 v16, v16, v12, s17
	s_delay_alu instid0(VALU_DEP_2) | instskip(SKIP_1) | instid1(VALU_DEP_3)
	v_cndmask_b32_e64 v15, v15, v12, s17
	v_mov_b32_e32 v12, v2
	v_cmp_class_f32_e64 s1, v16, 0x1f8
	s_delay_alu instid0(VALU_DEP_3)
	v_cmp_neq_f32_e64 s0, v16, v15
	s_or_b32 s0, s0, s1
	s_wait_alu 0xfffe
	s_and_saveexec_b32 s1, s0
	s_cbranch_execz .LBB430_112
; %bb.111:
	v_sub_f32_e32 v8, v16, v15
	s_delay_alu instid0(VALU_DEP_1) | instskip(SKIP_1) | instid1(VALU_DEP_2)
	v_mul_f32_e32 v12, 0x3fb8aa3b, v8
	v_cmp_ngt_f32_e64 s0, 0xc2ce8ed0, v8
	v_fma_f32 v16, 0x3fb8aa3b, v8, -v12
	v_rndne_f32_e32 v18, v12
	s_delay_alu instid0(VALU_DEP_2) | instskip(NEXT) | instid1(VALU_DEP_2)
	v_fmamk_f32 v16, v8, 0x32a5705f, v16
	v_sub_f32_e32 v12, v12, v18
	s_delay_alu instid0(VALU_DEP_1) | instskip(SKIP_1) | instid1(VALU_DEP_2)
	v_add_f32_e32 v12, v12, v16
	v_cvt_i32_f32_e32 v16, v18
	v_exp_f32_e32 v12, v12
	s_delay_alu instid0(TRANS32_DEP_1) | instskip(SKIP_1) | instid1(VALU_DEP_1)
	v_ldexp_f32 v12, v12, v16
	s_wait_alu 0xf1ff
	v_cndmask_b32_e64 v12, 0, v12, s0
	v_cmp_nlt_f32_e64 s0, 0x42b17218, v8
	s_wait_alu 0xf1ff
	s_delay_alu instid0(VALU_DEP_1) | instskip(NEXT) | instid1(VALU_DEP_1)
	v_cndmask_b32_e64 v8, 0x7f800000, v12, s0
	v_add_f32_e32 v12, 1.0, v8
	s_delay_alu instid0(VALU_DEP_1) | instskip(NEXT) | instid1(VALU_DEP_1)
	v_cvt_f64_f32_e32 v[18:19], v12
	v_frexp_exp_i32_f64_e32 v16, v[18:19]
	v_frexp_mant_f32_e32 v18, v12
	s_delay_alu instid0(VALU_DEP_1) | instskip(SKIP_1) | instid1(VALU_DEP_1)
	v_cmp_gt_f32_e64 s0, 0x3f2aaaab, v18
	v_add_f32_e32 v18, -1.0, v12
	v_sub_f32_e32 v20, v18, v12
	v_sub_f32_e32 v18, v8, v18
	s_delay_alu instid0(VALU_DEP_2) | instskip(NEXT) | instid1(VALU_DEP_1)
	v_add_f32_e32 v20, 1.0, v20
	v_add_f32_e32 v18, v18, v20
	s_wait_alu 0xf1ff
	v_subrev_co_ci_u32_e64 v16, null, 0, v16, s0
	s_mov_b32 s0, 0x3e9b6dac
	v_sub_nc_u32_e32 v19, 0, v16
	v_cvt_f32_i32_e32 v16, v16
	s_delay_alu instid0(VALU_DEP_2) | instskip(SKIP_1) | instid1(VALU_DEP_2)
	v_ldexp_f32 v12, v12, v19
	v_ldexp_f32 v18, v18, v19
	v_add_f32_e32 v21, 1.0, v12
	s_delay_alu instid0(VALU_DEP_1) | instskip(NEXT) | instid1(VALU_DEP_1)
	v_dual_add_f32 v19, -1.0, v12 :: v_dual_add_f32 v20, -1.0, v21
	v_add_f32_e32 v22, 1.0, v19
	s_delay_alu instid0(VALU_DEP_2) | instskip(NEXT) | instid1(VALU_DEP_2)
	v_sub_f32_e32 v20, v12, v20
	v_sub_f32_e32 v12, v12, v22
	s_delay_alu instid0(VALU_DEP_2) | instskip(NEXT) | instid1(VALU_DEP_2)
	v_add_f32_e32 v20, v18, v20
	v_add_f32_e32 v12, v18, v12
	s_delay_alu instid0(VALU_DEP_2) | instskip(NEXT) | instid1(VALU_DEP_2)
	v_add_f32_e32 v22, v21, v20
	v_add_f32_e32 v23, v19, v12
	s_delay_alu instid0(VALU_DEP_2) | instskip(SKIP_1) | instid1(VALU_DEP_1)
	v_rcp_f32_e32 v18, v22
	v_sub_f32_e32 v21, v21, v22
	v_dual_sub_f32 v19, v19, v23 :: v_dual_add_f32 v20, v20, v21
	s_delay_alu instid0(VALU_DEP_1) | instskip(NEXT) | instid1(TRANS32_DEP_1)
	v_add_f32_e32 v12, v12, v19
	v_mul_f32_e32 v24, v23, v18
	s_delay_alu instid0(VALU_DEP_1) | instskip(NEXT) | instid1(VALU_DEP_1)
	v_mul_f32_e32 v25, v22, v24
	v_fma_f32 v21, v24, v22, -v25
	s_delay_alu instid0(VALU_DEP_1) | instskip(NEXT) | instid1(VALU_DEP_1)
	v_fmac_f32_e32 v21, v24, v20
	v_add_f32_e32 v26, v25, v21
	s_delay_alu instid0(VALU_DEP_1) | instskip(SKIP_1) | instid1(VALU_DEP_2)
	v_sub_f32_e32 v27, v23, v26
	v_sub_f32_e32 v19, v26, v25
	;; [unrolled: 1-line block ×3, first 2 shown]
	s_delay_alu instid0(VALU_DEP_2) | instskip(NEXT) | instid1(VALU_DEP_2)
	v_sub_f32_e32 v19, v19, v21
	v_sub_f32_e32 v23, v23, v26
	s_delay_alu instid0(VALU_DEP_1) | instskip(NEXT) | instid1(VALU_DEP_1)
	v_add_f32_e32 v12, v12, v23
	v_add_f32_e32 v12, v19, v12
	s_delay_alu instid0(VALU_DEP_1) | instskip(NEXT) | instid1(VALU_DEP_1)
	v_add_f32_e32 v19, v27, v12
	v_mul_f32_e32 v21, v18, v19
	s_delay_alu instid0(VALU_DEP_1) | instskip(NEXT) | instid1(VALU_DEP_1)
	v_dual_sub_f32 v26, v27, v19 :: v_dual_mul_f32 v23, v22, v21
	v_add_f32_e32 v12, v12, v26
	s_delay_alu instid0(VALU_DEP_2) | instskip(NEXT) | instid1(VALU_DEP_1)
	v_fma_f32 v22, v21, v22, -v23
	v_fmac_f32_e32 v22, v21, v20
	s_delay_alu instid0(VALU_DEP_1) | instskip(NEXT) | instid1(VALU_DEP_1)
	v_add_f32_e32 v20, v23, v22
	v_sub_f32_e32 v25, v19, v20
	v_sub_f32_e32 v23, v20, v23
	s_delay_alu instid0(VALU_DEP_2) | instskip(NEXT) | instid1(VALU_DEP_1)
	v_sub_f32_e32 v19, v19, v25
	v_sub_f32_e32 v19, v19, v20
	s_delay_alu instid0(VALU_DEP_3) | instskip(NEXT) | instid1(VALU_DEP_2)
	v_sub_f32_e32 v20, v23, v22
	v_add_f32_e32 v12, v12, v19
	v_add_f32_e32 v19, v24, v21
	s_delay_alu instid0(VALU_DEP_2) | instskip(NEXT) | instid1(VALU_DEP_2)
	v_add_f32_e32 v12, v20, v12
	v_sub_f32_e32 v20, v19, v24
	s_delay_alu instid0(VALU_DEP_2) | instskip(NEXT) | instid1(VALU_DEP_2)
	v_add_f32_e32 v12, v25, v12
	v_sub_f32_e32 v20, v21, v20
	s_delay_alu instid0(VALU_DEP_2) | instskip(NEXT) | instid1(VALU_DEP_1)
	v_mul_f32_e32 v12, v18, v12
	v_add_f32_e32 v12, v20, v12
	s_delay_alu instid0(VALU_DEP_1) | instskip(NEXT) | instid1(VALU_DEP_1)
	v_add_f32_e32 v18, v19, v12
	v_mul_f32_e32 v20, v18, v18
	s_wait_alu 0xfffe
	s_delay_alu instid0(VALU_DEP_1) | instskip(SKIP_2) | instid1(VALU_DEP_3)
	v_fmaak_f32 v21, s0, v20, 0x3ecc95a3
	v_mul_f32_e32 v22, v18, v20
	v_cmp_neq_f32_e64 s0, 0x7f800000, v8
	v_fmaak_f32 v20, v20, v21, 0x3f2aaada
	v_ldexp_f32 v21, v18, 1
	v_sub_f32_e32 v18, v18, v19
	s_delay_alu instid0(VALU_DEP_3) | instskip(SKIP_1) | instid1(VALU_DEP_2)
	v_mul_f32_e32 v20, v22, v20
	v_mul_f32_e32 v22, 0x3f317218, v16
	v_dual_sub_f32 v12, v12, v18 :: v_dual_add_f32 v19, v21, v20
	s_delay_alu instid0(VALU_DEP_1) | instskip(NEXT) | instid1(VALU_DEP_2)
	v_ldexp_f32 v12, v12, 1
	v_sub_f32_e32 v18, v19, v21
	s_delay_alu instid0(VALU_DEP_4) | instskip(NEXT) | instid1(VALU_DEP_2)
	v_fma_f32 v21, 0x3f317218, v16, -v22
	v_sub_f32_e32 v18, v20, v18
	s_delay_alu instid0(VALU_DEP_2) | instskip(NEXT) | instid1(VALU_DEP_2)
	v_fmamk_f32 v16, v16, 0xb102e308, v21
	v_add_f32_e32 v12, v12, v18
	s_delay_alu instid0(VALU_DEP_2) | instskip(NEXT) | instid1(VALU_DEP_2)
	v_add_f32_e32 v18, v22, v16
	v_add_f32_e32 v20, v19, v12
	s_delay_alu instid0(VALU_DEP_2) | instskip(NEXT) | instid1(VALU_DEP_2)
	v_sub_f32_e32 v22, v18, v22
	v_add_f32_e32 v21, v18, v20
	v_sub_f32_e32 v19, v20, v19
	s_delay_alu instid0(VALU_DEP_3) | instskip(NEXT) | instid1(VALU_DEP_2)
	v_sub_f32_e32 v16, v16, v22
	v_dual_sub_f32 v23, v21, v18 :: v_dual_sub_f32 v12, v12, v19
	s_delay_alu instid0(VALU_DEP_1) | instskip(SKIP_1) | instid1(VALU_DEP_3)
	v_sub_f32_e32 v24, v21, v23
	v_sub_f32_e32 v19, v20, v23
	v_add_f32_e32 v20, v16, v12
	s_delay_alu instid0(VALU_DEP_3) | instskip(NEXT) | instid1(VALU_DEP_1)
	v_sub_f32_e32 v18, v18, v24
	v_dual_add_f32 v18, v19, v18 :: v_dual_sub_f32 v19, v20, v16
	s_delay_alu instid0(VALU_DEP_1) | instskip(NEXT) | instid1(VALU_DEP_2)
	v_add_f32_e32 v18, v20, v18
	v_sub_f32_e32 v20, v20, v19
	v_sub_f32_e32 v12, v12, v19
	s_delay_alu instid0(VALU_DEP_3) | instskip(NEXT) | instid1(VALU_DEP_1)
	v_add_f32_e32 v22, v21, v18
	v_dual_sub_f32 v16, v16, v20 :: v_dual_sub_f32 v19, v22, v21
	s_delay_alu instid0(VALU_DEP_1) | instskip(NEXT) | instid1(VALU_DEP_2)
	v_add_f32_e32 v12, v12, v16
	v_sub_f32_e32 v16, v18, v19
	s_delay_alu instid0(VALU_DEP_1) | instskip(NEXT) | instid1(VALU_DEP_1)
	v_add_f32_e32 v12, v12, v16
	v_add_f32_e32 v12, v22, v12
	s_wait_alu 0xf1ff
	s_delay_alu instid0(VALU_DEP_1) | instskip(SKIP_2) | instid1(VALU_DEP_1)
	v_cndmask_b32_e64 v12, 0x7f800000, v12, s0
	v_cmp_gt_f32_e64 s0, 0x33800000, |v8|
	s_wait_alu 0xf1ff
	v_cndmask_b32_e64 v8, v12, v8, s0
	s_delay_alu instid0(VALU_DEP_1) | instskip(NEXT) | instid1(VALU_DEP_1)
	v_add_f32_e32 v8, v15, v8
	v_cvt_f16_f32_e32 v18, v8
	s_delay_alu instid0(VALU_DEP_1)
	v_cvt_f32_f16_e32 v8, v18
	v_mov_b32_e32 v12, v18
.LBB430_112:
	s_wait_alu 0xfffe
	s_or_b32 exec_lo, exec_lo, s1
	s_delay_alu instid0(VALU_DEP_2) | instskip(SKIP_1) | instid1(VALU_DEP_2)
	v_dual_max_num_f32 v15, v3, v3 :: v_dual_max_num_f32 v16, v8, v8
	v_cmp_u_f16_e64 s0, v18, v18
	v_min_num_f32_e32 v19, v16, v15
	v_max_num_f32_e32 v15, v16, v15
	s_wait_alu 0xf1ff
	s_delay_alu instid0(VALU_DEP_2) | instskip(NEXT) | instid1(VALU_DEP_2)
	v_cndmask_b32_e64 v16, v19, v8, s0
	v_cndmask_b32_e64 v15, v15, v8, s0
	s_delay_alu instid0(VALU_DEP_2) | instskip(NEXT) | instid1(VALU_DEP_2)
	v_cndmask_b32_e64 v16, v16, v3, s18
	v_cndmask_b32_e64 v15, v15, v3, s18
	v_mov_b32_e32 v3, v12
	s_delay_alu instid0(VALU_DEP_3) | instskip(NEXT) | instid1(VALU_DEP_3)
	v_cmp_class_f32_e64 s1, v16, 0x1f8
	v_cmp_neq_f32_e64 s0, v16, v15
	s_or_b32 s0, s0, s1
	s_wait_alu 0xfffe
	s_and_saveexec_b32 s1, s0
	s_cbranch_execz .LBB430_114
; %bb.113:
	v_sub_f32_e32 v3, v16, v15
	s_delay_alu instid0(VALU_DEP_1) | instskip(SKIP_1) | instid1(VALU_DEP_2)
	v_mul_f32_e32 v8, 0x3fb8aa3b, v3
	v_cmp_ngt_f32_e64 s0, 0xc2ce8ed0, v3
	v_fma_f32 v16, 0x3fb8aa3b, v3, -v8
	v_rndne_f32_e32 v18, v8
	s_delay_alu instid0(VALU_DEP_2) | instskip(NEXT) | instid1(VALU_DEP_2)
	v_fmamk_f32 v16, v3, 0x32a5705f, v16
	v_sub_f32_e32 v8, v8, v18
	s_delay_alu instid0(VALU_DEP_1) | instskip(SKIP_1) | instid1(VALU_DEP_2)
	v_add_f32_e32 v8, v8, v16
	v_cvt_i32_f32_e32 v16, v18
	v_exp_f32_e32 v8, v8
	s_delay_alu instid0(TRANS32_DEP_1) | instskip(SKIP_1) | instid1(VALU_DEP_1)
	v_ldexp_f32 v8, v8, v16
	s_wait_alu 0xf1ff
	v_cndmask_b32_e64 v8, 0, v8, s0
	v_cmp_nlt_f32_e64 s0, 0x42b17218, v3
	s_wait_alu 0xf1ff
	s_delay_alu instid0(VALU_DEP_1) | instskip(NEXT) | instid1(VALU_DEP_1)
	v_cndmask_b32_e64 v3, 0x7f800000, v8, s0
	v_add_f32_e32 v8, 1.0, v3
	s_delay_alu instid0(VALU_DEP_1) | instskip(NEXT) | instid1(VALU_DEP_1)
	v_cvt_f64_f32_e32 v[18:19], v8
	v_frexp_exp_i32_f64_e32 v16, v[18:19]
	v_frexp_mant_f32_e32 v18, v8
	s_delay_alu instid0(VALU_DEP_1) | instskip(SKIP_1) | instid1(VALU_DEP_1)
	v_cmp_gt_f32_e64 s0, 0x3f2aaaab, v18
	v_add_f32_e32 v18, -1.0, v8
	v_sub_f32_e32 v20, v18, v8
	s_delay_alu instid0(VALU_DEP_1)
	v_add_f32_e32 v20, 1.0, v20
	s_wait_alu 0xf1ff
	v_subrev_co_ci_u32_e64 v16, null, 0, v16, s0
	s_mov_b32 s0, 0x3e9b6dac
	v_sub_nc_u32_e32 v19, 0, v16
	v_cvt_f32_i32_e32 v16, v16
	s_delay_alu instid0(VALU_DEP_2) | instskip(NEXT) | instid1(VALU_DEP_1)
	v_ldexp_f32 v8, v8, v19
	v_dual_sub_f32 v18, v3, v18 :: v_dual_add_f32 v21, 1.0, v8
	s_delay_alu instid0(VALU_DEP_1) | instskip(NEXT) | instid1(VALU_DEP_1)
	v_add_f32_e32 v18, v18, v20
	v_ldexp_f32 v18, v18, v19
	s_delay_alu instid0(VALU_DEP_3) | instskip(NEXT) | instid1(VALU_DEP_1)
	v_dual_add_f32 v19, -1.0, v8 :: v_dual_add_f32 v20, -1.0, v21
	v_add_f32_e32 v22, 1.0, v19
	s_delay_alu instid0(VALU_DEP_2) | instskip(NEXT) | instid1(VALU_DEP_2)
	v_sub_f32_e32 v20, v8, v20
	v_sub_f32_e32 v8, v8, v22
	s_delay_alu instid0(VALU_DEP_2) | instskip(NEXT) | instid1(VALU_DEP_2)
	v_add_f32_e32 v20, v18, v20
	v_add_f32_e32 v8, v18, v8
	s_delay_alu instid0(VALU_DEP_2) | instskip(NEXT) | instid1(VALU_DEP_2)
	v_add_f32_e32 v22, v21, v20
	v_add_f32_e32 v23, v19, v8
	s_delay_alu instid0(VALU_DEP_2) | instskip(SKIP_1) | instid1(VALU_DEP_1)
	v_rcp_f32_e32 v18, v22
	v_sub_f32_e32 v21, v21, v22
	v_dual_sub_f32 v19, v19, v23 :: v_dual_add_f32 v20, v20, v21
	s_delay_alu instid0(VALU_DEP_1) | instskip(NEXT) | instid1(TRANS32_DEP_1)
	v_add_f32_e32 v8, v8, v19
	v_mul_f32_e32 v24, v23, v18
	s_delay_alu instid0(VALU_DEP_1) | instskip(NEXT) | instid1(VALU_DEP_1)
	v_mul_f32_e32 v25, v22, v24
	v_fma_f32 v21, v24, v22, -v25
	s_delay_alu instid0(VALU_DEP_1) | instskip(NEXT) | instid1(VALU_DEP_1)
	v_fmac_f32_e32 v21, v24, v20
	v_add_f32_e32 v26, v25, v21
	s_delay_alu instid0(VALU_DEP_1) | instskip(SKIP_1) | instid1(VALU_DEP_2)
	v_sub_f32_e32 v27, v23, v26
	v_sub_f32_e32 v19, v26, v25
	;; [unrolled: 1-line block ×3, first 2 shown]
	s_delay_alu instid0(VALU_DEP_2) | instskip(NEXT) | instid1(VALU_DEP_2)
	v_sub_f32_e32 v19, v19, v21
	v_sub_f32_e32 v23, v23, v26
	s_delay_alu instid0(VALU_DEP_1) | instskip(NEXT) | instid1(VALU_DEP_1)
	v_add_f32_e32 v8, v8, v23
	v_add_f32_e32 v8, v19, v8
	s_delay_alu instid0(VALU_DEP_1) | instskip(NEXT) | instid1(VALU_DEP_1)
	v_add_f32_e32 v19, v27, v8
	v_mul_f32_e32 v21, v18, v19
	s_delay_alu instid0(VALU_DEP_1) | instskip(NEXT) | instid1(VALU_DEP_1)
	v_dual_sub_f32 v26, v27, v19 :: v_dual_mul_f32 v23, v22, v21
	v_add_f32_e32 v8, v8, v26
	s_delay_alu instid0(VALU_DEP_2) | instskip(NEXT) | instid1(VALU_DEP_1)
	v_fma_f32 v22, v21, v22, -v23
	v_fmac_f32_e32 v22, v21, v20
	s_delay_alu instid0(VALU_DEP_1) | instskip(NEXT) | instid1(VALU_DEP_1)
	v_add_f32_e32 v20, v23, v22
	v_sub_f32_e32 v25, v19, v20
	v_sub_f32_e32 v23, v20, v23
	s_delay_alu instid0(VALU_DEP_2) | instskip(NEXT) | instid1(VALU_DEP_1)
	v_sub_f32_e32 v19, v19, v25
	v_sub_f32_e32 v19, v19, v20
	s_delay_alu instid0(VALU_DEP_3) | instskip(NEXT) | instid1(VALU_DEP_2)
	v_sub_f32_e32 v20, v23, v22
	v_add_f32_e32 v8, v8, v19
	v_add_f32_e32 v19, v24, v21
	s_delay_alu instid0(VALU_DEP_2) | instskip(NEXT) | instid1(VALU_DEP_2)
	v_add_f32_e32 v8, v20, v8
	v_sub_f32_e32 v20, v19, v24
	s_delay_alu instid0(VALU_DEP_2) | instskip(NEXT) | instid1(VALU_DEP_2)
	v_add_f32_e32 v8, v25, v8
	v_sub_f32_e32 v20, v21, v20
	s_delay_alu instid0(VALU_DEP_2) | instskip(NEXT) | instid1(VALU_DEP_1)
	v_mul_f32_e32 v8, v18, v8
	v_add_f32_e32 v8, v20, v8
	s_delay_alu instid0(VALU_DEP_1) | instskip(NEXT) | instid1(VALU_DEP_1)
	v_add_f32_e32 v18, v19, v8
	v_mul_f32_e32 v20, v18, v18
	s_wait_alu 0xfffe
	s_delay_alu instid0(VALU_DEP_1) | instskip(SKIP_2) | instid1(VALU_DEP_3)
	v_fmaak_f32 v21, s0, v20, 0x3ecc95a3
	v_mul_f32_e32 v22, v18, v20
	v_cmp_neq_f32_e64 s0, 0x7f800000, v3
	v_fmaak_f32 v20, v20, v21, 0x3f2aaada
	v_ldexp_f32 v21, v18, 1
	v_sub_f32_e32 v18, v18, v19
	s_delay_alu instid0(VALU_DEP_3) | instskip(SKIP_1) | instid1(VALU_DEP_2)
	v_mul_f32_e32 v20, v22, v20
	v_mul_f32_e32 v22, 0x3f317218, v16
	v_dual_sub_f32 v8, v8, v18 :: v_dual_add_f32 v19, v21, v20
	s_delay_alu instid0(VALU_DEP_1) | instskip(NEXT) | instid1(VALU_DEP_2)
	v_ldexp_f32 v8, v8, 1
	v_sub_f32_e32 v18, v19, v21
	s_delay_alu instid0(VALU_DEP_4) | instskip(NEXT) | instid1(VALU_DEP_2)
	v_fma_f32 v21, 0x3f317218, v16, -v22
	v_sub_f32_e32 v18, v20, v18
	s_delay_alu instid0(VALU_DEP_2) | instskip(NEXT) | instid1(VALU_DEP_2)
	v_fmamk_f32 v16, v16, 0xb102e308, v21
	v_add_f32_e32 v8, v8, v18
	s_delay_alu instid0(VALU_DEP_2) | instskip(NEXT) | instid1(VALU_DEP_2)
	v_add_f32_e32 v18, v22, v16
	v_add_f32_e32 v20, v19, v8
	s_delay_alu instid0(VALU_DEP_2) | instskip(NEXT) | instid1(VALU_DEP_2)
	v_sub_f32_e32 v22, v18, v22
	v_add_f32_e32 v21, v18, v20
	v_sub_f32_e32 v19, v20, v19
	s_delay_alu instid0(VALU_DEP_3) | instskip(NEXT) | instid1(VALU_DEP_2)
	v_sub_f32_e32 v16, v16, v22
	v_dual_sub_f32 v23, v21, v18 :: v_dual_sub_f32 v8, v8, v19
	s_delay_alu instid0(VALU_DEP_1) | instskip(SKIP_1) | instid1(VALU_DEP_3)
	v_sub_f32_e32 v24, v21, v23
	v_sub_f32_e32 v19, v20, v23
	v_add_f32_e32 v20, v16, v8
	s_delay_alu instid0(VALU_DEP_3) | instskip(NEXT) | instid1(VALU_DEP_1)
	v_sub_f32_e32 v18, v18, v24
	v_dual_add_f32 v18, v19, v18 :: v_dual_sub_f32 v19, v20, v16
	s_delay_alu instid0(VALU_DEP_1) | instskip(NEXT) | instid1(VALU_DEP_2)
	v_add_f32_e32 v18, v20, v18
	v_sub_f32_e32 v20, v20, v19
	v_sub_f32_e32 v8, v8, v19
	s_delay_alu instid0(VALU_DEP_3) | instskip(NEXT) | instid1(VALU_DEP_1)
	v_add_f32_e32 v22, v21, v18
	v_dual_sub_f32 v16, v16, v20 :: v_dual_sub_f32 v19, v22, v21
	s_delay_alu instid0(VALU_DEP_1) | instskip(NEXT) | instid1(VALU_DEP_2)
	v_add_f32_e32 v8, v8, v16
	v_sub_f32_e32 v16, v18, v19
	s_delay_alu instid0(VALU_DEP_1) | instskip(NEXT) | instid1(VALU_DEP_1)
	v_add_f32_e32 v8, v8, v16
	v_add_f32_e32 v8, v22, v8
	s_wait_alu 0xf1ff
	s_delay_alu instid0(VALU_DEP_1) | instskip(SKIP_2) | instid1(VALU_DEP_1)
	v_cndmask_b32_e64 v8, 0x7f800000, v8, s0
	v_cmp_gt_f32_e64 s0, 0x33800000, |v3|
	s_wait_alu 0xf1ff
	v_cndmask_b32_e64 v3, v8, v3, s0
	s_delay_alu instid0(VALU_DEP_1) | instskip(NEXT) | instid1(VALU_DEP_1)
	v_add_f32_e32 v3, v15, v3
	v_cvt_f16_f32_e32 v18, v3
	s_delay_alu instid0(VALU_DEP_1)
	v_cvt_f32_f16_e32 v8, v18
	v_mov_b32_e32 v3, v18
.LBB430_114:
	s_wait_alu 0xfffe
	s_or_b32 exec_lo, exec_lo, s1
	s_delay_alu instid0(VALU_DEP_2) | instskip(SKIP_1) | instid1(VALU_DEP_2)
	v_dual_max_num_f32 v15, v13, v13 :: v_dual_max_num_f32 v16, v8, v8
	v_cmp_u_f16_e64 s0, v18, v18
	v_min_num_f32_e32 v19, v16, v15
	v_max_num_f32_e32 v15, v16, v15
	s_wait_alu 0xf1ff
	s_delay_alu instid0(VALU_DEP_2) | instskip(NEXT) | instid1(VALU_DEP_2)
	v_cndmask_b32_e64 v16, v19, v8, s0
	v_cndmask_b32_e64 v15, v15, v8, s0
	s_delay_alu instid0(VALU_DEP_2) | instskip(NEXT) | instid1(VALU_DEP_2)
	v_cndmask_b32_e64 v16, v16, v13, s19
	v_cndmask_b32_e64 v15, v15, v13, s19
	v_mov_b32_e32 v13, v3
	s_delay_alu instid0(VALU_DEP_3) | instskip(NEXT) | instid1(VALU_DEP_3)
	v_cmp_class_f32_e64 s1, v16, 0x1f8
	v_cmp_neq_f32_e64 s0, v16, v15
	s_or_b32 s0, s0, s1
	s_wait_alu 0xfffe
	s_and_saveexec_b32 s1, s0
	s_cbranch_execz .LBB430_116
; %bb.115:
	v_sub_f32_e32 v8, v16, v15
	s_delay_alu instid0(VALU_DEP_1) | instskip(NEXT) | instid1(VALU_DEP_1)
	v_mul_f32_e32 v13, 0x3fb8aa3b, v8
	v_fma_f32 v16, 0x3fb8aa3b, v8, -v13
	v_rndne_f32_e32 v18, v13
	s_delay_alu instid0(VALU_DEP_1) | instskip(SKIP_1) | instid1(VALU_DEP_2)
	v_dual_sub_f32 v13, v13, v18 :: v_dual_fmamk_f32 v16, v8, 0x32a5705f, v16
	v_cmp_ngt_f32_e64 s0, 0xc2ce8ed0, v8
	v_add_f32_e32 v13, v13, v16
	v_cvt_i32_f32_e32 v16, v18
	s_delay_alu instid0(VALU_DEP_2) | instskip(NEXT) | instid1(TRANS32_DEP_1)
	v_exp_f32_e32 v13, v13
	v_ldexp_f32 v13, v13, v16
	s_wait_alu 0xf1ff
	s_delay_alu instid0(VALU_DEP_1) | instskip(SKIP_2) | instid1(VALU_DEP_1)
	v_cndmask_b32_e64 v13, 0, v13, s0
	v_cmp_nlt_f32_e64 s0, 0x42b17218, v8
	s_wait_alu 0xf1ff
	v_cndmask_b32_e64 v8, 0x7f800000, v13, s0
	s_delay_alu instid0(VALU_DEP_1) | instskip(NEXT) | instid1(VALU_DEP_1)
	v_add_f32_e32 v13, 1.0, v8
	v_cvt_f64_f32_e32 v[18:19], v13
	s_delay_alu instid0(VALU_DEP_1) | instskip(SKIP_1) | instid1(VALU_DEP_1)
	v_frexp_exp_i32_f64_e32 v16, v[18:19]
	v_frexp_mant_f32_e32 v18, v13
	v_cmp_gt_f32_e64 s0, 0x3f2aaaab, v18
	v_add_f32_e32 v18, -1.0, v13
	s_delay_alu instid0(VALU_DEP_1)
	v_sub_f32_e32 v20, v18, v13
	v_sub_f32_e32 v18, v8, v18
	s_wait_alu 0xf1ff
	v_subrev_co_ci_u32_e64 v16, null, 0, v16, s0
	s_mov_b32 s0, 0x3e9b6dac
	v_sub_nc_u32_e32 v19, 0, v16
	v_cvt_f32_i32_e32 v16, v16
	s_delay_alu instid0(VALU_DEP_2) | instskip(NEXT) | instid1(VALU_DEP_1)
	v_ldexp_f32 v13, v13, v19
	v_dual_add_f32 v20, 1.0, v20 :: v_dual_add_f32 v21, 1.0, v13
	s_delay_alu instid0(VALU_DEP_1) | instskip(NEXT) | instid1(VALU_DEP_2)
	v_add_f32_e32 v18, v18, v20
	v_add_f32_e32 v20, -1.0, v21
	s_delay_alu instid0(VALU_DEP_2) | instskip(NEXT) | instid1(VALU_DEP_2)
	v_ldexp_f32 v18, v18, v19
	v_dual_add_f32 v19, -1.0, v13 :: v_dual_sub_f32 v20, v13, v20
	s_delay_alu instid0(VALU_DEP_1) | instskip(NEXT) | instid1(VALU_DEP_1)
	v_add_f32_e32 v22, 1.0, v19
	v_sub_f32_e32 v13, v13, v22
	s_delay_alu instid0(VALU_DEP_1) | instskip(NEXT) | instid1(VALU_DEP_1)
	v_add_f32_e32 v13, v18, v13
	v_dual_add_f32 v23, v19, v13 :: v_dual_add_f32 v20, v18, v20
	s_delay_alu instid0(VALU_DEP_1) | instskip(NEXT) | instid1(VALU_DEP_1)
	v_dual_sub_f32 v19, v19, v23 :: v_dual_add_f32 v22, v21, v20
	v_add_f32_e32 v13, v13, v19
	s_delay_alu instid0(VALU_DEP_2) | instskip(SKIP_1) | instid1(VALU_DEP_1)
	v_rcp_f32_e32 v18, v22
	v_sub_f32_e32 v21, v21, v22
	v_add_f32_e32 v20, v20, v21
	s_delay_alu instid0(TRANS32_DEP_1) | instskip(NEXT) | instid1(VALU_DEP_1)
	v_mul_f32_e32 v24, v23, v18
	v_mul_f32_e32 v25, v22, v24
	s_delay_alu instid0(VALU_DEP_1) | instskip(NEXT) | instid1(VALU_DEP_1)
	v_fma_f32 v21, v24, v22, -v25
	v_fmac_f32_e32 v21, v24, v20
	s_delay_alu instid0(VALU_DEP_1) | instskip(NEXT) | instid1(VALU_DEP_1)
	v_add_f32_e32 v26, v25, v21
	v_sub_f32_e32 v27, v23, v26
	s_delay_alu instid0(VALU_DEP_1) | instskip(SKIP_1) | instid1(VALU_DEP_2)
	v_sub_f32_e32 v23, v23, v27
	v_sub_f32_e32 v19, v26, v25
	;; [unrolled: 1-line block ×3, first 2 shown]
	s_delay_alu instid0(VALU_DEP_2) | instskip(NEXT) | instid1(VALU_DEP_2)
	v_sub_f32_e32 v19, v19, v21
	v_add_f32_e32 v13, v13, v23
	s_delay_alu instid0(VALU_DEP_1) | instskip(NEXT) | instid1(VALU_DEP_1)
	v_add_f32_e32 v13, v19, v13
	v_add_f32_e32 v19, v27, v13
	s_delay_alu instid0(VALU_DEP_1) | instskip(NEXT) | instid1(VALU_DEP_1)
	v_mul_f32_e32 v21, v18, v19
	v_dual_sub_f32 v26, v27, v19 :: v_dual_mul_f32 v23, v22, v21
	s_delay_alu instid0(VALU_DEP_1) | instskip(NEXT) | instid1(VALU_DEP_2)
	v_add_f32_e32 v13, v13, v26
	v_fma_f32 v22, v21, v22, -v23
	s_delay_alu instid0(VALU_DEP_1) | instskip(NEXT) | instid1(VALU_DEP_1)
	v_fmac_f32_e32 v22, v21, v20
	v_add_f32_e32 v20, v23, v22
	s_delay_alu instid0(VALU_DEP_1) | instskip(NEXT) | instid1(VALU_DEP_1)
	v_sub_f32_e32 v25, v19, v20
	v_sub_f32_e32 v19, v19, v25
	s_delay_alu instid0(VALU_DEP_1) | instskip(NEXT) | instid1(VALU_DEP_1)
	v_sub_f32_e32 v19, v19, v20
	v_add_f32_e32 v13, v13, v19
	v_add_f32_e32 v19, v24, v21
	v_sub_f32_e32 v23, v20, v23
	s_delay_alu instid0(VALU_DEP_1) | instskip(NEXT) | instid1(VALU_DEP_1)
	v_sub_f32_e32 v20, v23, v22
	v_dual_add_f32 v13, v20, v13 :: v_dual_sub_f32 v20, v19, v24
	s_delay_alu instid0(VALU_DEP_1) | instskip(NEXT) | instid1(VALU_DEP_1)
	v_add_f32_e32 v13, v25, v13
	v_dual_sub_f32 v20, v21, v20 :: v_dual_mul_f32 v13, v18, v13
	s_delay_alu instid0(VALU_DEP_1) | instskip(NEXT) | instid1(VALU_DEP_1)
	v_add_f32_e32 v13, v20, v13
	v_add_f32_e32 v18, v19, v13
	s_delay_alu instid0(VALU_DEP_1) | instskip(SKIP_1) | instid1(VALU_DEP_1)
	v_mul_f32_e32 v20, v18, v18
	s_wait_alu 0xfffe
	v_fmaak_f32 v21, s0, v20, 0x3ecc95a3
	v_mul_f32_e32 v22, v18, v20
	v_cmp_neq_f32_e64 s0, 0x7f800000, v8
	s_delay_alu instid0(VALU_DEP_3) | instskip(SKIP_2) | instid1(VALU_DEP_3)
	v_fmaak_f32 v20, v20, v21, 0x3f2aaada
	v_ldexp_f32 v21, v18, 1
	v_sub_f32_e32 v18, v18, v19
	v_mul_f32_e32 v20, v22, v20
	s_delay_alu instid0(VALU_DEP_2) | instskip(NEXT) | instid1(VALU_DEP_2)
	v_dual_mul_f32 v22, 0x3f317218, v16 :: v_dual_sub_f32 v13, v13, v18
	v_add_f32_e32 v19, v21, v20
	s_delay_alu instid0(VALU_DEP_2) | instskip(NEXT) | instid1(VALU_DEP_2)
	v_ldexp_f32 v13, v13, 1
	v_sub_f32_e32 v18, v19, v21
	s_delay_alu instid0(VALU_DEP_4) | instskip(NEXT) | instid1(VALU_DEP_2)
	v_fma_f32 v21, 0x3f317218, v16, -v22
	v_sub_f32_e32 v18, v20, v18
	s_delay_alu instid0(VALU_DEP_1) | instskip(NEXT) | instid1(VALU_DEP_1)
	v_dual_fmamk_f32 v16, v16, 0xb102e308, v21 :: v_dual_add_f32 v13, v13, v18
	v_add_f32_e32 v18, v22, v16
	s_delay_alu instid0(VALU_DEP_1) | instskip(NEXT) | instid1(VALU_DEP_1)
	v_sub_f32_e32 v22, v18, v22
	v_sub_f32_e32 v16, v16, v22
	s_delay_alu instid0(VALU_DEP_4) | instskip(NEXT) | instid1(VALU_DEP_1)
	v_add_f32_e32 v20, v19, v13
	v_sub_f32_e32 v19, v20, v19
	s_delay_alu instid0(VALU_DEP_1) | instskip(SKIP_1) | instid1(VALU_DEP_1)
	v_sub_f32_e32 v13, v13, v19
	v_add_f32_e32 v21, v18, v20
	v_sub_f32_e32 v23, v21, v18
	s_delay_alu instid0(VALU_DEP_1) | instskip(NEXT) | instid1(VALU_DEP_4)
	v_sub_f32_e32 v19, v20, v23
	v_add_f32_e32 v20, v16, v13
	v_sub_f32_e32 v24, v21, v23
	s_delay_alu instid0(VALU_DEP_1) | instskip(NEXT) | instid1(VALU_DEP_1)
	v_sub_f32_e32 v18, v18, v24
	v_dual_add_f32 v18, v19, v18 :: v_dual_sub_f32 v19, v20, v16
	s_delay_alu instid0(VALU_DEP_1) | instskip(SKIP_1) | instid1(VALU_DEP_2)
	v_dual_add_f32 v18, v20, v18 :: v_dual_sub_f32 v13, v13, v19
	v_sub_f32_e32 v20, v20, v19
	v_add_f32_e32 v22, v21, v18
	s_delay_alu instid0(VALU_DEP_1) | instskip(NEXT) | instid1(VALU_DEP_1)
	v_dual_sub_f32 v16, v16, v20 :: v_dual_sub_f32 v19, v22, v21
	v_dual_add_f32 v13, v13, v16 :: v_dual_sub_f32 v16, v18, v19
	s_delay_alu instid0(VALU_DEP_1) | instskip(NEXT) | instid1(VALU_DEP_1)
	v_add_f32_e32 v13, v13, v16
	v_add_f32_e32 v13, v22, v13
	s_wait_alu 0xf1ff
	s_delay_alu instid0(VALU_DEP_1) | instskip(SKIP_2) | instid1(VALU_DEP_1)
	v_cndmask_b32_e64 v13, 0x7f800000, v13, s0
	v_cmp_gt_f32_e64 s0, 0x33800000, |v8|
	s_wait_alu 0xf1ff
	v_cndmask_b32_e64 v8, v13, v8, s0
	s_delay_alu instid0(VALU_DEP_1) | instskip(NEXT) | instid1(VALU_DEP_1)
	v_add_f32_e32 v8, v15, v8
	v_cvt_f16_f32_e32 v18, v8
	s_delay_alu instid0(VALU_DEP_1)
	v_cvt_f32_f16_e32 v8, v18
	v_mov_b32_e32 v13, v18
.LBB430_116:
	s_wait_alu 0xfffe
	s_or_b32 exec_lo, exec_lo, s1
	v_max_num_f32_e32 v15, v4, v4
	v_max_num_f32_e32 v16, v8, v8
	v_cmp_u_f16_e64 s0, v18, v18
	s_delay_alu instid0(VALU_DEP_2) | instskip(SKIP_2) | instid1(VALU_DEP_2)
	v_min_num_f32_e32 v19, v16, v15
	v_max_num_f32_e32 v15, v16, v15
	s_wait_alu 0xf1ff
	v_cndmask_b32_e64 v16, v19, v8, s0
	s_delay_alu instid0(VALU_DEP_2) | instskip(NEXT) | instid1(VALU_DEP_2)
	v_cndmask_b32_e64 v15, v15, v8, s0
	v_cndmask_b32_e64 v16, v16, v4, s20
	s_delay_alu instid0(VALU_DEP_2) | instskip(SKIP_1) | instid1(VALU_DEP_3)
	v_cndmask_b32_e64 v15, v15, v4, s20
	v_mov_b32_e32 v4, v13
	v_cmp_class_f32_e64 s1, v16, 0x1f8
	s_delay_alu instid0(VALU_DEP_3)
	v_cmp_neq_f32_e64 s0, v16, v15
	s_or_b32 s0, s0, s1
	s_wait_alu 0xfffe
	s_and_saveexec_b32 s1, s0
	s_cbranch_execz .LBB430_118
; %bb.117:
	v_sub_f32_e32 v4, v16, v15
	s_delay_alu instid0(VALU_DEP_1) | instskip(SKIP_1) | instid1(VALU_DEP_2)
	v_mul_f32_e32 v8, 0x3fb8aa3b, v4
	v_cmp_ngt_f32_e64 s0, 0xc2ce8ed0, v4
	v_fma_f32 v16, 0x3fb8aa3b, v4, -v8
	v_rndne_f32_e32 v18, v8
	s_delay_alu instid0(VALU_DEP_2) | instskip(NEXT) | instid1(VALU_DEP_2)
	v_fmamk_f32 v16, v4, 0x32a5705f, v16
	v_sub_f32_e32 v8, v8, v18
	s_delay_alu instid0(VALU_DEP_1) | instskip(SKIP_1) | instid1(VALU_DEP_2)
	v_add_f32_e32 v8, v8, v16
	v_cvt_i32_f32_e32 v16, v18
	v_exp_f32_e32 v8, v8
	s_delay_alu instid0(TRANS32_DEP_1) | instskip(SKIP_1) | instid1(VALU_DEP_1)
	v_ldexp_f32 v8, v8, v16
	s_wait_alu 0xf1ff
	v_cndmask_b32_e64 v8, 0, v8, s0
	v_cmp_nlt_f32_e64 s0, 0x42b17218, v4
	s_wait_alu 0xf1ff
	s_delay_alu instid0(VALU_DEP_1) | instskip(NEXT) | instid1(VALU_DEP_1)
	v_cndmask_b32_e64 v4, 0x7f800000, v8, s0
	v_add_f32_e32 v8, 1.0, v4
	s_delay_alu instid0(VALU_DEP_1) | instskip(NEXT) | instid1(VALU_DEP_1)
	v_cvt_f64_f32_e32 v[18:19], v8
	v_frexp_exp_i32_f64_e32 v16, v[18:19]
	v_frexp_mant_f32_e32 v18, v8
	s_delay_alu instid0(VALU_DEP_1) | instskip(SKIP_1) | instid1(VALU_DEP_1)
	v_cmp_gt_f32_e64 s0, 0x3f2aaaab, v18
	v_add_f32_e32 v18, -1.0, v8
	v_sub_f32_e32 v20, v18, v8
	v_sub_f32_e32 v18, v4, v18
	s_delay_alu instid0(VALU_DEP_2) | instskip(NEXT) | instid1(VALU_DEP_1)
	v_add_f32_e32 v20, 1.0, v20
	v_add_f32_e32 v18, v18, v20
	s_wait_alu 0xf1ff
	v_subrev_co_ci_u32_e64 v16, null, 0, v16, s0
	s_mov_b32 s0, 0x3e9b6dac
	v_sub_nc_u32_e32 v19, 0, v16
	v_cvt_f32_i32_e32 v16, v16
	s_delay_alu instid0(VALU_DEP_2) | instskip(SKIP_1) | instid1(VALU_DEP_2)
	v_ldexp_f32 v8, v8, v19
	v_ldexp_f32 v18, v18, v19
	v_add_f32_e32 v21, 1.0, v8
	s_delay_alu instid0(VALU_DEP_1) | instskip(NEXT) | instid1(VALU_DEP_1)
	v_dual_add_f32 v19, -1.0, v8 :: v_dual_add_f32 v20, -1.0, v21
	v_add_f32_e32 v22, 1.0, v19
	s_delay_alu instid0(VALU_DEP_2) | instskip(NEXT) | instid1(VALU_DEP_2)
	v_sub_f32_e32 v20, v8, v20
	v_sub_f32_e32 v8, v8, v22
	s_delay_alu instid0(VALU_DEP_2) | instskip(NEXT) | instid1(VALU_DEP_2)
	v_add_f32_e32 v20, v18, v20
	v_add_f32_e32 v8, v18, v8
	s_delay_alu instid0(VALU_DEP_2) | instskip(NEXT) | instid1(VALU_DEP_2)
	v_add_f32_e32 v22, v21, v20
	v_add_f32_e32 v23, v19, v8
	s_delay_alu instid0(VALU_DEP_2) | instskip(SKIP_1) | instid1(VALU_DEP_1)
	v_rcp_f32_e32 v18, v22
	v_sub_f32_e32 v21, v21, v22
	v_dual_sub_f32 v19, v19, v23 :: v_dual_add_f32 v20, v20, v21
	s_delay_alu instid0(VALU_DEP_1) | instskip(NEXT) | instid1(TRANS32_DEP_1)
	v_add_f32_e32 v8, v8, v19
	v_mul_f32_e32 v24, v23, v18
	s_delay_alu instid0(VALU_DEP_1) | instskip(NEXT) | instid1(VALU_DEP_1)
	v_mul_f32_e32 v25, v22, v24
	v_fma_f32 v21, v24, v22, -v25
	s_delay_alu instid0(VALU_DEP_1) | instskip(NEXT) | instid1(VALU_DEP_1)
	v_fmac_f32_e32 v21, v24, v20
	v_add_f32_e32 v26, v25, v21
	s_delay_alu instid0(VALU_DEP_1) | instskip(SKIP_1) | instid1(VALU_DEP_2)
	v_sub_f32_e32 v27, v23, v26
	v_sub_f32_e32 v19, v26, v25
	;; [unrolled: 1-line block ×3, first 2 shown]
	s_delay_alu instid0(VALU_DEP_2) | instskip(NEXT) | instid1(VALU_DEP_2)
	v_sub_f32_e32 v19, v19, v21
	v_sub_f32_e32 v23, v23, v26
	s_delay_alu instid0(VALU_DEP_1) | instskip(NEXT) | instid1(VALU_DEP_1)
	v_add_f32_e32 v8, v8, v23
	v_add_f32_e32 v8, v19, v8
	s_delay_alu instid0(VALU_DEP_1) | instskip(NEXT) | instid1(VALU_DEP_1)
	v_add_f32_e32 v19, v27, v8
	v_mul_f32_e32 v21, v18, v19
	s_delay_alu instid0(VALU_DEP_1) | instskip(NEXT) | instid1(VALU_DEP_1)
	v_dual_sub_f32 v26, v27, v19 :: v_dual_mul_f32 v23, v22, v21
	v_add_f32_e32 v8, v8, v26
	s_delay_alu instid0(VALU_DEP_2) | instskip(NEXT) | instid1(VALU_DEP_1)
	v_fma_f32 v22, v21, v22, -v23
	v_fmac_f32_e32 v22, v21, v20
	s_delay_alu instid0(VALU_DEP_1) | instskip(NEXT) | instid1(VALU_DEP_1)
	v_add_f32_e32 v20, v23, v22
	v_sub_f32_e32 v25, v19, v20
	v_sub_f32_e32 v23, v20, v23
	s_delay_alu instid0(VALU_DEP_2) | instskip(NEXT) | instid1(VALU_DEP_1)
	v_sub_f32_e32 v19, v19, v25
	v_sub_f32_e32 v19, v19, v20
	s_delay_alu instid0(VALU_DEP_3) | instskip(NEXT) | instid1(VALU_DEP_2)
	v_sub_f32_e32 v20, v23, v22
	v_add_f32_e32 v8, v8, v19
	v_add_f32_e32 v19, v24, v21
	s_delay_alu instid0(VALU_DEP_2) | instskip(NEXT) | instid1(VALU_DEP_2)
	v_add_f32_e32 v8, v20, v8
	v_sub_f32_e32 v20, v19, v24
	s_delay_alu instid0(VALU_DEP_2) | instskip(NEXT) | instid1(VALU_DEP_2)
	v_add_f32_e32 v8, v25, v8
	v_sub_f32_e32 v20, v21, v20
	s_delay_alu instid0(VALU_DEP_2) | instskip(NEXT) | instid1(VALU_DEP_1)
	v_mul_f32_e32 v8, v18, v8
	v_add_f32_e32 v8, v20, v8
	s_delay_alu instid0(VALU_DEP_1) | instskip(NEXT) | instid1(VALU_DEP_1)
	v_add_f32_e32 v18, v19, v8
	v_mul_f32_e32 v20, v18, v18
	s_wait_alu 0xfffe
	s_delay_alu instid0(VALU_DEP_1) | instskip(SKIP_2) | instid1(VALU_DEP_3)
	v_fmaak_f32 v21, s0, v20, 0x3ecc95a3
	v_mul_f32_e32 v22, v18, v20
	v_cmp_neq_f32_e64 s0, 0x7f800000, v4
	v_fmaak_f32 v20, v20, v21, 0x3f2aaada
	v_ldexp_f32 v21, v18, 1
	v_sub_f32_e32 v18, v18, v19
	s_delay_alu instid0(VALU_DEP_3) | instskip(SKIP_1) | instid1(VALU_DEP_2)
	v_mul_f32_e32 v20, v22, v20
	v_mul_f32_e32 v22, 0x3f317218, v16
	v_dual_sub_f32 v8, v8, v18 :: v_dual_add_f32 v19, v21, v20
	s_delay_alu instid0(VALU_DEP_1) | instskip(NEXT) | instid1(VALU_DEP_2)
	v_ldexp_f32 v8, v8, 1
	v_sub_f32_e32 v18, v19, v21
	s_delay_alu instid0(VALU_DEP_4) | instskip(NEXT) | instid1(VALU_DEP_2)
	v_fma_f32 v21, 0x3f317218, v16, -v22
	v_sub_f32_e32 v18, v20, v18
	s_delay_alu instid0(VALU_DEP_2) | instskip(NEXT) | instid1(VALU_DEP_2)
	v_fmamk_f32 v16, v16, 0xb102e308, v21
	v_add_f32_e32 v8, v8, v18
	s_delay_alu instid0(VALU_DEP_2) | instskip(NEXT) | instid1(VALU_DEP_2)
	v_add_f32_e32 v18, v22, v16
	v_add_f32_e32 v20, v19, v8
	s_delay_alu instid0(VALU_DEP_2) | instskip(NEXT) | instid1(VALU_DEP_2)
	v_sub_f32_e32 v22, v18, v22
	v_add_f32_e32 v21, v18, v20
	v_sub_f32_e32 v19, v20, v19
	s_delay_alu instid0(VALU_DEP_3) | instskip(NEXT) | instid1(VALU_DEP_2)
	v_sub_f32_e32 v16, v16, v22
	v_dual_sub_f32 v23, v21, v18 :: v_dual_sub_f32 v8, v8, v19
	s_delay_alu instid0(VALU_DEP_1) | instskip(SKIP_1) | instid1(VALU_DEP_3)
	v_sub_f32_e32 v24, v21, v23
	v_sub_f32_e32 v19, v20, v23
	v_add_f32_e32 v20, v16, v8
	s_delay_alu instid0(VALU_DEP_3) | instskip(NEXT) | instid1(VALU_DEP_1)
	v_sub_f32_e32 v18, v18, v24
	v_dual_add_f32 v18, v19, v18 :: v_dual_sub_f32 v19, v20, v16
	s_delay_alu instid0(VALU_DEP_1) | instskip(NEXT) | instid1(VALU_DEP_2)
	v_add_f32_e32 v18, v20, v18
	v_sub_f32_e32 v20, v20, v19
	v_sub_f32_e32 v8, v8, v19
	s_delay_alu instid0(VALU_DEP_3) | instskip(NEXT) | instid1(VALU_DEP_1)
	v_add_f32_e32 v22, v21, v18
	v_dual_sub_f32 v16, v16, v20 :: v_dual_sub_f32 v19, v22, v21
	s_delay_alu instid0(VALU_DEP_1) | instskip(NEXT) | instid1(VALU_DEP_2)
	v_add_f32_e32 v8, v8, v16
	v_sub_f32_e32 v16, v18, v19
	s_delay_alu instid0(VALU_DEP_1) | instskip(NEXT) | instid1(VALU_DEP_1)
	v_add_f32_e32 v8, v8, v16
	v_add_f32_e32 v8, v22, v8
	s_wait_alu 0xf1ff
	s_delay_alu instid0(VALU_DEP_1) | instskip(SKIP_2) | instid1(VALU_DEP_1)
	v_cndmask_b32_e64 v8, 0x7f800000, v8, s0
	v_cmp_gt_f32_e64 s0, 0x33800000, |v4|
	s_wait_alu 0xf1ff
	v_cndmask_b32_e64 v4, v8, v4, s0
	s_delay_alu instid0(VALU_DEP_1) | instskip(NEXT) | instid1(VALU_DEP_1)
	v_add_f32_e32 v4, v15, v4
	v_cvt_f16_f32_e32 v18, v4
	s_delay_alu instid0(VALU_DEP_1)
	v_cvt_f32_f16_e32 v8, v18
	v_mov_b32_e32 v4, v18
.LBB430_118:
	s_wait_alu 0xfffe
	s_or_b32 exec_lo, exec_lo, s1
	s_delay_alu instid0(VALU_DEP_2) | instskip(SKIP_1) | instid1(VALU_DEP_2)
	v_dual_max_num_f32 v15, v14, v14 :: v_dual_max_num_f32 v16, v8, v8
	v_cmp_u_f16_e64 s0, v18, v18
	v_min_num_f32_e32 v19, v16, v15
	v_max_num_f32_e32 v15, v16, v15
	s_wait_alu 0xf1ff
	s_delay_alu instid0(VALU_DEP_2) | instskip(NEXT) | instid1(VALU_DEP_2)
	v_cndmask_b32_e64 v16, v19, v8, s0
	v_cndmask_b32_e64 v15, v15, v8, s0
	s_delay_alu instid0(VALU_DEP_2) | instskip(NEXT) | instid1(VALU_DEP_2)
	v_cndmask_b32_e64 v16, v16, v14, s21
	v_cndmask_b32_e64 v15, v15, v14, s21
	v_mov_b32_e32 v14, v4
	s_delay_alu instid0(VALU_DEP_3) | instskip(NEXT) | instid1(VALU_DEP_3)
	v_cmp_class_f32_e64 s1, v16, 0x1f8
	v_cmp_neq_f32_e64 s0, v16, v15
	s_or_b32 s0, s0, s1
	s_wait_alu 0xfffe
	s_and_saveexec_b32 s1, s0
	s_cbranch_execz .LBB430_120
; %bb.119:
	v_sub_f32_e32 v8, v16, v15
	s_delay_alu instid0(VALU_DEP_1) | instskip(SKIP_1) | instid1(VALU_DEP_2)
	v_mul_f32_e32 v14, 0x3fb8aa3b, v8
	v_cmp_ngt_f32_e64 s0, 0xc2ce8ed0, v8
	v_fma_f32 v16, 0x3fb8aa3b, v8, -v14
	v_rndne_f32_e32 v18, v14
	s_delay_alu instid0(VALU_DEP_2) | instskip(NEXT) | instid1(VALU_DEP_2)
	v_fmamk_f32 v16, v8, 0x32a5705f, v16
	v_sub_f32_e32 v14, v14, v18
	s_delay_alu instid0(VALU_DEP_1) | instskip(SKIP_1) | instid1(VALU_DEP_2)
	v_add_f32_e32 v14, v14, v16
	v_cvt_i32_f32_e32 v16, v18
	v_exp_f32_e32 v14, v14
	s_delay_alu instid0(TRANS32_DEP_1) | instskip(SKIP_1) | instid1(VALU_DEP_1)
	v_ldexp_f32 v14, v14, v16
	s_wait_alu 0xf1ff
	v_cndmask_b32_e64 v14, 0, v14, s0
	v_cmp_nlt_f32_e64 s0, 0x42b17218, v8
	s_wait_alu 0xf1ff
	s_delay_alu instid0(VALU_DEP_1) | instskip(NEXT) | instid1(VALU_DEP_1)
	v_cndmask_b32_e64 v8, 0x7f800000, v14, s0
	v_add_f32_e32 v14, 1.0, v8
	s_delay_alu instid0(VALU_DEP_1) | instskip(NEXT) | instid1(VALU_DEP_1)
	v_cvt_f64_f32_e32 v[18:19], v14
	v_frexp_exp_i32_f64_e32 v16, v[18:19]
	v_frexp_mant_f32_e32 v18, v14
	s_delay_alu instid0(VALU_DEP_1) | instskip(SKIP_1) | instid1(VALU_DEP_1)
	v_cmp_gt_f32_e64 s0, 0x3f2aaaab, v18
	v_add_f32_e32 v18, -1.0, v14
	v_sub_f32_e32 v20, v18, v14
	v_sub_f32_e32 v18, v8, v18
	s_delay_alu instid0(VALU_DEP_2) | instskip(NEXT) | instid1(VALU_DEP_1)
	v_add_f32_e32 v20, 1.0, v20
	v_add_f32_e32 v18, v18, v20
	s_wait_alu 0xf1ff
	v_subrev_co_ci_u32_e64 v16, null, 0, v16, s0
	s_mov_b32 s0, 0x3e9b6dac
	v_sub_nc_u32_e32 v19, 0, v16
	v_cvt_f32_i32_e32 v16, v16
	s_delay_alu instid0(VALU_DEP_2) | instskip(SKIP_1) | instid1(VALU_DEP_2)
	v_ldexp_f32 v14, v14, v19
	v_ldexp_f32 v18, v18, v19
	v_add_f32_e32 v21, 1.0, v14
	s_delay_alu instid0(VALU_DEP_1) | instskip(NEXT) | instid1(VALU_DEP_1)
	v_dual_add_f32 v19, -1.0, v14 :: v_dual_add_f32 v20, -1.0, v21
	v_add_f32_e32 v22, 1.0, v19
	s_delay_alu instid0(VALU_DEP_2) | instskip(NEXT) | instid1(VALU_DEP_2)
	v_sub_f32_e32 v20, v14, v20
	v_sub_f32_e32 v14, v14, v22
	s_delay_alu instid0(VALU_DEP_2) | instskip(NEXT) | instid1(VALU_DEP_2)
	v_add_f32_e32 v20, v18, v20
	v_add_f32_e32 v14, v18, v14
	s_delay_alu instid0(VALU_DEP_1) | instskip(NEXT) | instid1(VALU_DEP_1)
	v_dual_add_f32 v22, v21, v20 :: v_dual_add_f32 v23, v19, v14
	v_rcp_f32_e32 v18, v22
	v_sub_f32_e32 v21, v21, v22
	s_delay_alu instid0(VALU_DEP_1) | instskip(NEXT) | instid1(TRANS32_DEP_1)
	v_dual_sub_f32 v19, v19, v23 :: v_dual_add_f32 v20, v20, v21
	v_mul_f32_e32 v24, v23, v18
	s_delay_alu instid0(VALU_DEP_2) | instskip(NEXT) | instid1(VALU_DEP_2)
	v_add_f32_e32 v14, v14, v19
	v_mul_f32_e32 v25, v22, v24
	s_delay_alu instid0(VALU_DEP_1) | instskip(NEXT) | instid1(VALU_DEP_1)
	v_fma_f32 v21, v24, v22, -v25
	v_fmac_f32_e32 v21, v24, v20
	s_delay_alu instid0(VALU_DEP_1) | instskip(NEXT) | instid1(VALU_DEP_1)
	v_add_f32_e32 v26, v25, v21
	v_sub_f32_e32 v27, v23, v26
	v_sub_f32_e32 v19, v26, v25
	s_delay_alu instid0(VALU_DEP_2) | instskip(NEXT) | instid1(VALU_DEP_2)
	v_sub_f32_e32 v23, v23, v27
	v_sub_f32_e32 v19, v19, v21
	s_delay_alu instid0(VALU_DEP_2) | instskip(NEXT) | instid1(VALU_DEP_1)
	v_sub_f32_e32 v23, v23, v26
	v_add_f32_e32 v14, v14, v23
	s_delay_alu instid0(VALU_DEP_1) | instskip(NEXT) | instid1(VALU_DEP_1)
	v_add_f32_e32 v14, v19, v14
	v_add_f32_e32 v19, v27, v14
	s_delay_alu instid0(VALU_DEP_1) | instskip(NEXT) | instid1(VALU_DEP_1)
	v_mul_f32_e32 v21, v18, v19
	v_dual_sub_f32 v26, v27, v19 :: v_dual_mul_f32 v23, v22, v21
	s_delay_alu instid0(VALU_DEP_1) | instskip(NEXT) | instid1(VALU_DEP_2)
	v_add_f32_e32 v14, v14, v26
	v_fma_f32 v22, v21, v22, -v23
	s_delay_alu instid0(VALU_DEP_1) | instskip(NEXT) | instid1(VALU_DEP_1)
	v_fmac_f32_e32 v22, v21, v20
	v_add_f32_e32 v20, v23, v22
	s_delay_alu instid0(VALU_DEP_1) | instskip(SKIP_1) | instid1(VALU_DEP_2)
	v_sub_f32_e32 v25, v19, v20
	v_sub_f32_e32 v23, v20, v23
	;; [unrolled: 1-line block ×3, first 2 shown]
	s_delay_alu instid0(VALU_DEP_1) | instskip(NEXT) | instid1(VALU_DEP_3)
	v_sub_f32_e32 v19, v19, v20
	v_sub_f32_e32 v20, v23, v22
	s_delay_alu instid0(VALU_DEP_2) | instskip(NEXT) | instid1(VALU_DEP_1)
	v_dual_add_f32 v14, v14, v19 :: v_dual_add_f32 v19, v24, v21
	v_add_f32_e32 v14, v20, v14
	s_delay_alu instid0(VALU_DEP_2) | instskip(NEXT) | instid1(VALU_DEP_2)
	v_sub_f32_e32 v20, v19, v24
	v_add_f32_e32 v14, v25, v14
	s_delay_alu instid0(VALU_DEP_2) | instskip(NEXT) | instid1(VALU_DEP_2)
	v_sub_f32_e32 v20, v21, v20
	v_mul_f32_e32 v14, v18, v14
	s_delay_alu instid0(VALU_DEP_1) | instskip(NEXT) | instid1(VALU_DEP_1)
	v_add_f32_e32 v14, v20, v14
	v_add_f32_e32 v18, v19, v14
	s_delay_alu instid0(VALU_DEP_1) | instskip(SKIP_1) | instid1(VALU_DEP_1)
	v_mul_f32_e32 v20, v18, v18
	s_wait_alu 0xfffe
	v_fmaak_f32 v21, s0, v20, 0x3ecc95a3
	v_mul_f32_e32 v22, v18, v20
	v_cmp_neq_f32_e64 s0, 0x7f800000, v8
	s_delay_alu instid0(VALU_DEP_3) | instskip(SKIP_2) | instid1(VALU_DEP_3)
	v_fmaak_f32 v20, v20, v21, 0x3f2aaada
	v_ldexp_f32 v21, v18, 1
	v_sub_f32_e32 v18, v18, v19
	v_mul_f32_e32 v20, v22, v20
	v_mul_f32_e32 v22, 0x3f317218, v16
	s_delay_alu instid0(VALU_DEP_2) | instskip(NEXT) | instid1(VALU_DEP_1)
	v_dual_sub_f32 v14, v14, v18 :: v_dual_add_f32 v19, v21, v20
	v_ldexp_f32 v14, v14, 1
	s_delay_alu instid0(VALU_DEP_2) | instskip(NEXT) | instid1(VALU_DEP_4)
	v_sub_f32_e32 v18, v19, v21
	v_fma_f32 v21, 0x3f317218, v16, -v22
	s_delay_alu instid0(VALU_DEP_2) | instskip(NEXT) | instid1(VALU_DEP_2)
	v_sub_f32_e32 v18, v20, v18
	v_fmamk_f32 v16, v16, 0xb102e308, v21
	s_delay_alu instid0(VALU_DEP_2) | instskip(NEXT) | instid1(VALU_DEP_2)
	v_add_f32_e32 v14, v14, v18
	v_add_f32_e32 v18, v22, v16
	s_delay_alu instid0(VALU_DEP_2) | instskip(NEXT) | instid1(VALU_DEP_2)
	v_add_f32_e32 v20, v19, v14
	v_sub_f32_e32 v22, v18, v22
	s_delay_alu instid0(VALU_DEP_2) | instskip(SKIP_1) | instid1(VALU_DEP_3)
	v_add_f32_e32 v21, v18, v20
	v_sub_f32_e32 v19, v20, v19
	v_sub_f32_e32 v16, v16, v22
	s_delay_alu instid0(VALU_DEP_2) | instskip(NEXT) | instid1(VALU_DEP_1)
	v_dual_sub_f32 v23, v21, v18 :: v_dual_sub_f32 v14, v14, v19
	v_sub_f32_e32 v24, v21, v23
	v_sub_f32_e32 v19, v20, v23
	s_delay_alu instid0(VALU_DEP_3) | instskip(NEXT) | instid1(VALU_DEP_3)
	v_add_f32_e32 v20, v16, v14
	v_sub_f32_e32 v18, v18, v24
	s_delay_alu instid0(VALU_DEP_1) | instskip(NEXT) | instid1(VALU_DEP_1)
	v_dual_add_f32 v18, v19, v18 :: v_dual_sub_f32 v19, v20, v16
	v_add_f32_e32 v18, v20, v18
	s_delay_alu instid0(VALU_DEP_2) | instskip(SKIP_1) | instid1(VALU_DEP_3)
	v_sub_f32_e32 v20, v20, v19
	v_sub_f32_e32 v14, v14, v19
	v_add_f32_e32 v22, v21, v18
	s_delay_alu instid0(VALU_DEP_1) | instskip(NEXT) | instid1(VALU_DEP_1)
	v_dual_sub_f32 v16, v16, v20 :: v_dual_sub_f32 v19, v22, v21
	v_add_f32_e32 v14, v14, v16
	s_delay_alu instid0(VALU_DEP_2) | instskip(NEXT) | instid1(VALU_DEP_1)
	v_sub_f32_e32 v16, v18, v19
	v_add_f32_e32 v14, v14, v16
	s_delay_alu instid0(VALU_DEP_1) | instskip(SKIP_1) | instid1(VALU_DEP_1)
	v_add_f32_e32 v14, v22, v14
	s_wait_alu 0xf1ff
	v_cndmask_b32_e64 v14, 0x7f800000, v14, s0
	v_cmp_gt_f32_e64 s0, 0x33800000, |v8|
	s_wait_alu 0xf1ff
	s_delay_alu instid0(VALU_DEP_1) | instskip(NEXT) | instid1(VALU_DEP_1)
	v_cndmask_b32_e64 v8, v14, v8, s0
	v_add_f32_e32 v8, v15, v8
	s_delay_alu instid0(VALU_DEP_1) | instskip(NEXT) | instid1(VALU_DEP_1)
	v_cvt_f16_f32_e32 v18, v8
	v_cvt_f32_f16_e32 v8, v18
	v_mov_b32_e32 v14, v18
.LBB430_120:
	s_wait_alu 0xfffe
	s_or_b32 exec_lo, exec_lo, s1
	s_delay_alu instid0(VALU_DEP_2) | instskip(SKIP_1) | instid1(VALU_DEP_2)
	v_dual_max_num_f32 v15, v5, v5 :: v_dual_max_num_f32 v16, v8, v8
	v_cmp_u_f16_e64 s0, v18, v18
	v_min_num_f32_e32 v19, v16, v15
	v_max_num_f32_e32 v15, v16, v15
	s_wait_alu 0xf1ff
	s_delay_alu instid0(VALU_DEP_2) | instskip(NEXT) | instid1(VALU_DEP_2)
	v_cndmask_b32_e64 v16, v19, v8, s0
	v_cndmask_b32_e64 v15, v15, v8, s0
	s_delay_alu instid0(VALU_DEP_2) | instskip(NEXT) | instid1(VALU_DEP_2)
	v_cndmask_b32_e64 v16, v16, v5, s22
	v_cndmask_b32_e64 v15, v15, v5, s22
	v_mov_b32_e32 v5, v14
	s_delay_alu instid0(VALU_DEP_3) | instskip(NEXT) | instid1(VALU_DEP_3)
	v_cmp_class_f32_e64 s1, v16, 0x1f8
	v_cmp_neq_f32_e64 s0, v16, v15
	s_or_b32 s0, s0, s1
	s_wait_alu 0xfffe
	s_and_saveexec_b32 s1, s0
	s_cbranch_execz .LBB430_122
; %bb.121:
	v_sub_f32_e32 v5, v16, v15
	s_delay_alu instid0(VALU_DEP_1) | instskip(SKIP_1) | instid1(VALU_DEP_2)
	v_mul_f32_e32 v8, 0x3fb8aa3b, v5
	v_cmp_ngt_f32_e64 s0, 0xc2ce8ed0, v5
	v_fma_f32 v16, 0x3fb8aa3b, v5, -v8
	v_rndne_f32_e32 v18, v8
	s_delay_alu instid0(VALU_DEP_2) | instskip(NEXT) | instid1(VALU_DEP_2)
	v_fmamk_f32 v16, v5, 0x32a5705f, v16
	v_sub_f32_e32 v8, v8, v18
	s_delay_alu instid0(VALU_DEP_1) | instskip(SKIP_1) | instid1(VALU_DEP_2)
	v_add_f32_e32 v8, v8, v16
	v_cvt_i32_f32_e32 v16, v18
	v_exp_f32_e32 v8, v8
	s_delay_alu instid0(TRANS32_DEP_1) | instskip(SKIP_1) | instid1(VALU_DEP_1)
	v_ldexp_f32 v8, v8, v16
	s_wait_alu 0xf1ff
	v_cndmask_b32_e64 v8, 0, v8, s0
	v_cmp_nlt_f32_e64 s0, 0x42b17218, v5
	s_wait_alu 0xf1ff
	s_delay_alu instid0(VALU_DEP_1) | instskip(NEXT) | instid1(VALU_DEP_1)
	v_cndmask_b32_e64 v5, 0x7f800000, v8, s0
	v_add_f32_e32 v8, 1.0, v5
	s_delay_alu instid0(VALU_DEP_1) | instskip(NEXT) | instid1(VALU_DEP_1)
	v_cvt_f64_f32_e32 v[18:19], v8
	v_frexp_exp_i32_f64_e32 v16, v[18:19]
	v_frexp_mant_f32_e32 v18, v8
	s_delay_alu instid0(VALU_DEP_1) | instskip(SKIP_1) | instid1(VALU_DEP_1)
	v_cmp_gt_f32_e64 s0, 0x3f2aaaab, v18
	v_add_f32_e32 v18, -1.0, v8
	v_sub_f32_e32 v20, v18, v8
	s_delay_alu instid0(VALU_DEP_1)
	v_add_f32_e32 v20, 1.0, v20
	s_wait_alu 0xf1ff
	v_subrev_co_ci_u32_e64 v16, null, 0, v16, s0
	s_mov_b32 s0, 0x3e9b6dac
	v_sub_nc_u32_e32 v19, 0, v16
	v_cvt_f32_i32_e32 v16, v16
	s_delay_alu instid0(VALU_DEP_2) | instskip(NEXT) | instid1(VALU_DEP_1)
	v_ldexp_f32 v8, v8, v19
	v_dual_sub_f32 v18, v5, v18 :: v_dual_add_f32 v21, 1.0, v8
	s_delay_alu instid0(VALU_DEP_1) | instskip(NEXT) | instid1(VALU_DEP_1)
	v_add_f32_e32 v18, v18, v20
	v_ldexp_f32 v18, v18, v19
	s_delay_alu instid0(VALU_DEP_3) | instskip(NEXT) | instid1(VALU_DEP_1)
	v_dual_add_f32 v19, -1.0, v8 :: v_dual_add_f32 v20, -1.0, v21
	v_add_f32_e32 v22, 1.0, v19
	s_delay_alu instid0(VALU_DEP_2) | instskip(NEXT) | instid1(VALU_DEP_2)
	v_sub_f32_e32 v20, v8, v20
	v_sub_f32_e32 v8, v8, v22
	s_delay_alu instid0(VALU_DEP_2) | instskip(NEXT) | instid1(VALU_DEP_2)
	v_add_f32_e32 v20, v18, v20
	v_add_f32_e32 v8, v18, v8
	s_delay_alu instid0(VALU_DEP_2) | instskip(NEXT) | instid1(VALU_DEP_2)
	v_add_f32_e32 v22, v21, v20
	v_add_f32_e32 v23, v19, v8
	s_delay_alu instid0(VALU_DEP_2) | instskip(SKIP_1) | instid1(VALU_DEP_1)
	v_rcp_f32_e32 v18, v22
	v_sub_f32_e32 v21, v21, v22
	v_dual_sub_f32 v19, v19, v23 :: v_dual_add_f32 v20, v20, v21
	s_delay_alu instid0(VALU_DEP_1) | instskip(NEXT) | instid1(TRANS32_DEP_1)
	v_add_f32_e32 v8, v8, v19
	v_mul_f32_e32 v24, v23, v18
	s_delay_alu instid0(VALU_DEP_1) | instskip(NEXT) | instid1(VALU_DEP_1)
	v_mul_f32_e32 v25, v22, v24
	v_fma_f32 v21, v24, v22, -v25
	s_delay_alu instid0(VALU_DEP_1) | instskip(NEXT) | instid1(VALU_DEP_1)
	v_fmac_f32_e32 v21, v24, v20
	v_add_f32_e32 v26, v25, v21
	s_delay_alu instid0(VALU_DEP_1) | instskip(SKIP_1) | instid1(VALU_DEP_2)
	v_sub_f32_e32 v27, v23, v26
	v_sub_f32_e32 v19, v26, v25
	;; [unrolled: 1-line block ×3, first 2 shown]
	s_delay_alu instid0(VALU_DEP_2) | instskip(NEXT) | instid1(VALU_DEP_2)
	v_sub_f32_e32 v19, v19, v21
	v_sub_f32_e32 v23, v23, v26
	s_delay_alu instid0(VALU_DEP_1) | instskip(NEXT) | instid1(VALU_DEP_1)
	v_add_f32_e32 v8, v8, v23
	v_add_f32_e32 v8, v19, v8
	s_delay_alu instid0(VALU_DEP_1) | instskip(NEXT) | instid1(VALU_DEP_1)
	v_add_f32_e32 v19, v27, v8
	v_mul_f32_e32 v21, v18, v19
	s_delay_alu instid0(VALU_DEP_1) | instskip(NEXT) | instid1(VALU_DEP_1)
	v_dual_sub_f32 v26, v27, v19 :: v_dual_mul_f32 v23, v22, v21
	v_add_f32_e32 v8, v8, v26
	s_delay_alu instid0(VALU_DEP_2) | instskip(NEXT) | instid1(VALU_DEP_1)
	v_fma_f32 v22, v21, v22, -v23
	v_fmac_f32_e32 v22, v21, v20
	s_delay_alu instid0(VALU_DEP_1) | instskip(NEXT) | instid1(VALU_DEP_1)
	v_add_f32_e32 v20, v23, v22
	v_sub_f32_e32 v25, v19, v20
	v_sub_f32_e32 v23, v20, v23
	s_delay_alu instid0(VALU_DEP_2) | instskip(NEXT) | instid1(VALU_DEP_1)
	v_sub_f32_e32 v19, v19, v25
	v_sub_f32_e32 v19, v19, v20
	s_delay_alu instid0(VALU_DEP_3) | instskip(NEXT) | instid1(VALU_DEP_2)
	v_sub_f32_e32 v20, v23, v22
	v_add_f32_e32 v8, v8, v19
	v_add_f32_e32 v19, v24, v21
	s_delay_alu instid0(VALU_DEP_2) | instskip(NEXT) | instid1(VALU_DEP_2)
	v_add_f32_e32 v8, v20, v8
	v_sub_f32_e32 v20, v19, v24
	s_delay_alu instid0(VALU_DEP_2) | instskip(NEXT) | instid1(VALU_DEP_2)
	v_add_f32_e32 v8, v25, v8
	v_sub_f32_e32 v20, v21, v20
	s_delay_alu instid0(VALU_DEP_2) | instskip(NEXT) | instid1(VALU_DEP_1)
	v_mul_f32_e32 v8, v18, v8
	v_add_f32_e32 v8, v20, v8
	s_delay_alu instid0(VALU_DEP_1) | instskip(NEXT) | instid1(VALU_DEP_1)
	v_add_f32_e32 v18, v19, v8
	v_mul_f32_e32 v20, v18, v18
	s_wait_alu 0xfffe
	s_delay_alu instid0(VALU_DEP_1) | instskip(SKIP_2) | instid1(VALU_DEP_3)
	v_fmaak_f32 v21, s0, v20, 0x3ecc95a3
	v_mul_f32_e32 v22, v18, v20
	v_cmp_neq_f32_e64 s0, 0x7f800000, v5
	v_fmaak_f32 v20, v20, v21, 0x3f2aaada
	v_ldexp_f32 v21, v18, 1
	v_sub_f32_e32 v18, v18, v19
	s_delay_alu instid0(VALU_DEP_3) | instskip(SKIP_1) | instid1(VALU_DEP_2)
	v_mul_f32_e32 v20, v22, v20
	v_mul_f32_e32 v22, 0x3f317218, v16
	v_dual_sub_f32 v8, v8, v18 :: v_dual_add_f32 v19, v21, v20
	s_delay_alu instid0(VALU_DEP_1) | instskip(NEXT) | instid1(VALU_DEP_2)
	v_ldexp_f32 v8, v8, 1
	v_sub_f32_e32 v18, v19, v21
	s_delay_alu instid0(VALU_DEP_4) | instskip(NEXT) | instid1(VALU_DEP_2)
	v_fma_f32 v21, 0x3f317218, v16, -v22
	v_sub_f32_e32 v18, v20, v18
	s_delay_alu instid0(VALU_DEP_2) | instskip(NEXT) | instid1(VALU_DEP_2)
	v_fmamk_f32 v16, v16, 0xb102e308, v21
	v_add_f32_e32 v8, v8, v18
	s_delay_alu instid0(VALU_DEP_2) | instskip(NEXT) | instid1(VALU_DEP_2)
	v_add_f32_e32 v18, v22, v16
	v_add_f32_e32 v20, v19, v8
	s_delay_alu instid0(VALU_DEP_2) | instskip(NEXT) | instid1(VALU_DEP_2)
	v_sub_f32_e32 v22, v18, v22
	v_add_f32_e32 v21, v18, v20
	v_sub_f32_e32 v19, v20, v19
	s_delay_alu instid0(VALU_DEP_3) | instskip(NEXT) | instid1(VALU_DEP_2)
	v_sub_f32_e32 v16, v16, v22
	v_dual_sub_f32 v23, v21, v18 :: v_dual_sub_f32 v8, v8, v19
	s_delay_alu instid0(VALU_DEP_1) | instskip(SKIP_1) | instid1(VALU_DEP_3)
	v_sub_f32_e32 v24, v21, v23
	v_sub_f32_e32 v19, v20, v23
	v_add_f32_e32 v20, v16, v8
	s_delay_alu instid0(VALU_DEP_3) | instskip(NEXT) | instid1(VALU_DEP_1)
	v_sub_f32_e32 v18, v18, v24
	v_dual_add_f32 v18, v19, v18 :: v_dual_sub_f32 v19, v20, v16
	s_delay_alu instid0(VALU_DEP_1) | instskip(NEXT) | instid1(VALU_DEP_2)
	v_add_f32_e32 v18, v20, v18
	v_sub_f32_e32 v20, v20, v19
	v_sub_f32_e32 v8, v8, v19
	s_delay_alu instid0(VALU_DEP_3) | instskip(NEXT) | instid1(VALU_DEP_1)
	v_add_f32_e32 v22, v21, v18
	v_dual_sub_f32 v16, v16, v20 :: v_dual_sub_f32 v19, v22, v21
	s_delay_alu instid0(VALU_DEP_1) | instskip(NEXT) | instid1(VALU_DEP_2)
	v_add_f32_e32 v8, v8, v16
	v_sub_f32_e32 v16, v18, v19
	s_delay_alu instid0(VALU_DEP_1) | instskip(NEXT) | instid1(VALU_DEP_1)
	v_add_f32_e32 v8, v8, v16
	v_add_f32_e32 v8, v22, v8
	s_wait_alu 0xf1ff
	s_delay_alu instid0(VALU_DEP_1) | instskip(SKIP_2) | instid1(VALU_DEP_1)
	v_cndmask_b32_e64 v8, 0x7f800000, v8, s0
	v_cmp_gt_f32_e64 s0, 0x33800000, |v5|
	s_wait_alu 0xf1ff
	v_cndmask_b32_e64 v5, v8, v5, s0
	s_delay_alu instid0(VALU_DEP_1) | instskip(NEXT) | instid1(VALU_DEP_1)
	v_add_f32_e32 v5, v15, v5
	v_cvt_f16_f32_e32 v18, v5
	s_delay_alu instid0(VALU_DEP_1)
	v_cvt_f32_f16_e32 v8, v18
	v_mov_b32_e32 v5, v18
.LBB430_122:
	s_wait_alu 0xfffe
	s_or_b32 exec_lo, exec_lo, s1
	s_delay_alu instid0(VALU_DEP_2) | instskip(SKIP_1) | instid1(VALU_DEP_2)
	v_dual_max_num_f32 v15, v6, v6 :: v_dual_max_num_f32 v16, v8, v8
	v_cmp_u_f16_e64 s0, v18, v18
	v_min_num_f32_e32 v19, v16, v15
	v_max_num_f32_e32 v15, v16, v15
	s_wait_alu 0xf1ff
	s_delay_alu instid0(VALU_DEP_2) | instskip(NEXT) | instid1(VALU_DEP_2)
	v_cndmask_b32_e64 v16, v19, v8, s0
	v_cndmask_b32_e64 v8, v15, v8, s0
	s_delay_alu instid0(VALU_DEP_2) | instskip(NEXT) | instid1(VALU_DEP_2)
	v_cndmask_b32_e64 v15, v16, v6, s23
	v_cndmask_b32_e64 v6, v8, v6, s23
	v_mov_b32_e32 v8, v5
	s_delay_alu instid0(VALU_DEP_3) | instskip(NEXT) | instid1(VALU_DEP_3)
	v_cmp_class_f32_e64 s1, v15, 0x1f8
	v_cmp_neq_f32_e64 s0, v15, v6
	s_or_b32 s0, s0, s1
	s_wait_alu 0xfffe
	s_and_saveexec_b32 s1, s0
	s_cbranch_execz .LBB430_124
; %bb.123:
	v_sub_f32_e32 v8, v15, v6
	s_delay_alu instid0(VALU_DEP_1) | instskip(SKIP_1) | instid1(VALU_DEP_2)
	v_mul_f32_e32 v15, 0x3fb8aa3b, v8
	v_cmp_ngt_f32_e64 s0, 0xc2ce8ed0, v8
	v_fma_f32 v16, 0x3fb8aa3b, v8, -v15
	v_rndne_f32_e32 v18, v15
	s_delay_alu instid0(VALU_DEP_1) | instskip(NEXT) | instid1(VALU_DEP_1)
	v_dual_fmamk_f32 v16, v8, 0x32a5705f, v16 :: v_dual_sub_f32 v15, v15, v18
	v_add_f32_e32 v15, v15, v16
	v_cvt_i32_f32_e32 v16, v18
	s_delay_alu instid0(VALU_DEP_2) | instskip(NEXT) | instid1(TRANS32_DEP_1)
	v_exp_f32_e32 v15, v15
	v_ldexp_f32 v15, v15, v16
	s_wait_alu 0xf1ff
	s_delay_alu instid0(VALU_DEP_1) | instskip(SKIP_2) | instid1(VALU_DEP_1)
	v_cndmask_b32_e64 v15, 0, v15, s0
	v_cmp_nlt_f32_e64 s0, 0x42b17218, v8
	s_wait_alu 0xf1ff
	v_cndmask_b32_e64 v8, 0x7f800000, v15, s0
	s_delay_alu instid0(VALU_DEP_1) | instskip(NEXT) | instid1(VALU_DEP_1)
	v_add_f32_e32 v18, 1.0, v8
	v_cvt_f64_f32_e32 v[15:16], v18
	s_delay_alu instid0(VALU_DEP_1) | instskip(SKIP_1) | instid1(VALU_DEP_1)
	v_frexp_exp_i32_f64_e32 v15, v[15:16]
	v_frexp_mant_f32_e32 v16, v18
	v_cmp_gt_f32_e64 s0, 0x3f2aaaab, v16
	v_add_f32_e32 v16, -1.0, v18
	s_delay_alu instid0(VALU_DEP_1) | instskip(SKIP_1) | instid1(VALU_DEP_3)
	v_sub_f32_e32 v20, v16, v18
	s_wait_alu 0xf1ff
	v_subrev_co_ci_u32_e64 v15, null, 0, v15, s0
	s_mov_b32 s0, 0x3e9b6dac
	v_sub_nc_u32_e32 v19, 0, v15
	v_cvt_f32_i32_e32 v15, v15
	s_delay_alu instid0(VALU_DEP_2) | instskip(SKIP_1) | instid1(VALU_DEP_2)
	v_ldexp_f32 v18, v18, v19
	v_sub_f32_e32 v16, v8, v16
	v_dual_add_f32 v20, 1.0, v20 :: v_dual_add_f32 v21, 1.0, v18
	s_delay_alu instid0(VALU_DEP_1) | instskip(NEXT) | instid1(VALU_DEP_1)
	v_add_f32_e32 v16, v16, v20
	v_ldexp_f32 v16, v16, v19
	s_delay_alu instid0(VALU_DEP_3) | instskip(NEXT) | instid1(VALU_DEP_1)
	v_dual_add_f32 v19, -1.0, v18 :: v_dual_add_f32 v20, -1.0, v21
	v_add_f32_e32 v22, 1.0, v19
	s_delay_alu instid0(VALU_DEP_2) | instskip(NEXT) | instid1(VALU_DEP_2)
	v_sub_f32_e32 v20, v18, v20
	v_sub_f32_e32 v18, v18, v22
	s_delay_alu instid0(VALU_DEP_2) | instskip(NEXT) | instid1(VALU_DEP_2)
	v_add_f32_e32 v20, v16, v20
	v_add_f32_e32 v16, v16, v18
	s_delay_alu instid0(VALU_DEP_2) | instskip(NEXT) | instid1(VALU_DEP_2)
	v_add_f32_e32 v22, v21, v20
	v_add_f32_e32 v23, v19, v16
	s_delay_alu instid0(VALU_DEP_2) | instskip(SKIP_1) | instid1(VALU_DEP_1)
	v_rcp_f32_e32 v18, v22
	v_sub_f32_e32 v21, v21, v22
	v_dual_sub_f32 v19, v19, v23 :: v_dual_add_f32 v20, v20, v21
	s_delay_alu instid0(VALU_DEP_1) | instskip(NEXT) | instid1(TRANS32_DEP_1)
	v_add_f32_e32 v16, v16, v19
	v_mul_f32_e32 v24, v23, v18
	s_delay_alu instid0(VALU_DEP_1) | instskip(NEXT) | instid1(VALU_DEP_1)
	v_mul_f32_e32 v25, v22, v24
	v_fma_f32 v21, v24, v22, -v25
	s_delay_alu instid0(VALU_DEP_1) | instskip(NEXT) | instid1(VALU_DEP_1)
	v_fmac_f32_e32 v21, v24, v20
	v_add_f32_e32 v26, v25, v21
	s_delay_alu instid0(VALU_DEP_1) | instskip(SKIP_1) | instid1(VALU_DEP_2)
	v_sub_f32_e32 v27, v23, v26
	v_sub_f32_e32 v19, v26, v25
	v_sub_f32_e32 v23, v23, v27
	s_delay_alu instid0(VALU_DEP_2) | instskip(NEXT) | instid1(VALU_DEP_2)
	v_sub_f32_e32 v19, v19, v21
	v_sub_f32_e32 v23, v23, v26
	s_delay_alu instid0(VALU_DEP_1) | instskip(NEXT) | instid1(VALU_DEP_1)
	v_add_f32_e32 v16, v16, v23
	v_add_f32_e32 v16, v19, v16
	s_delay_alu instid0(VALU_DEP_1) | instskip(NEXT) | instid1(VALU_DEP_1)
	v_add_f32_e32 v19, v27, v16
	v_mul_f32_e32 v21, v18, v19
	s_delay_alu instid0(VALU_DEP_1) | instskip(NEXT) | instid1(VALU_DEP_1)
	v_dual_sub_f32 v26, v27, v19 :: v_dual_mul_f32 v23, v22, v21
	v_fma_f32 v22, v21, v22, -v23
	s_delay_alu instid0(VALU_DEP_1) | instskip(NEXT) | instid1(VALU_DEP_1)
	v_fmac_f32_e32 v22, v21, v20
	v_add_f32_e32 v20, v23, v22
	s_delay_alu instid0(VALU_DEP_1) | instskip(SKIP_1) | instid1(VALU_DEP_2)
	v_sub_f32_e32 v25, v19, v20
	v_sub_f32_e32 v23, v20, v23
	v_dual_sub_f32 v19, v19, v25 :: v_dual_add_f32 v16, v16, v26
	s_delay_alu instid0(VALU_DEP_1) | instskip(NEXT) | instid1(VALU_DEP_1)
	v_sub_f32_e32 v19, v19, v20
	v_add_f32_e32 v16, v16, v19
	s_delay_alu instid0(VALU_DEP_4) | instskip(NEXT) | instid1(VALU_DEP_1)
	v_dual_add_f32 v19, v24, v21 :: v_dual_sub_f32 v20, v23, v22
	v_add_f32_e32 v16, v20, v16
	s_delay_alu instid0(VALU_DEP_2) | instskip(NEXT) | instid1(VALU_DEP_2)
	v_sub_f32_e32 v20, v19, v24
	v_add_f32_e32 v16, v25, v16
	s_delay_alu instid0(VALU_DEP_2) | instskip(NEXT) | instid1(VALU_DEP_2)
	v_sub_f32_e32 v20, v21, v20
	v_mul_f32_e32 v16, v18, v16
	s_delay_alu instid0(VALU_DEP_1) | instskip(NEXT) | instid1(VALU_DEP_1)
	v_add_f32_e32 v16, v20, v16
	v_add_f32_e32 v18, v19, v16
	s_delay_alu instid0(VALU_DEP_1) | instskip(SKIP_1) | instid1(VALU_DEP_1)
	v_mul_f32_e32 v20, v18, v18
	s_wait_alu 0xfffe
	v_fmaak_f32 v21, s0, v20, 0x3ecc95a3
	v_mul_f32_e32 v22, v18, v20
	v_cmp_neq_f32_e64 s0, 0x7f800000, v8
	s_delay_alu instid0(VALU_DEP_3) | instskip(SKIP_2) | instid1(VALU_DEP_3)
	v_fmaak_f32 v20, v20, v21, 0x3f2aaada
	v_ldexp_f32 v21, v18, 1
	v_sub_f32_e32 v18, v18, v19
	v_mul_f32_e32 v20, v22, v20
	s_delay_alu instid0(VALU_DEP_1) | instskip(NEXT) | instid1(VALU_DEP_1)
	v_dual_sub_f32 v16, v16, v18 :: v_dual_add_f32 v19, v21, v20
	v_ldexp_f32 v16, v16, 1
	s_delay_alu instid0(VALU_DEP_2) | instskip(NEXT) | instid1(VALU_DEP_1)
	v_sub_f32_e32 v18, v19, v21
	v_sub_f32_e32 v18, v20, v18
	s_delay_alu instid0(VALU_DEP_1) | instskip(NEXT) | instid1(VALU_DEP_1)
	v_add_f32_e32 v16, v16, v18
	v_add_f32_e32 v20, v19, v16
	v_mul_f32_e32 v22, 0x3f317218, v15
	s_delay_alu instid0(VALU_DEP_2) | instskip(NEXT) | instid1(VALU_DEP_2)
	v_sub_f32_e32 v19, v20, v19
	v_fma_f32 v21, 0x3f317218, v15, -v22
	s_delay_alu instid0(VALU_DEP_1) | instskip(NEXT) | instid1(VALU_DEP_1)
	v_dual_sub_f32 v16, v16, v19 :: v_dual_fmamk_f32 v15, v15, 0xb102e308, v21
	v_add_f32_e32 v18, v22, v15
	s_delay_alu instid0(VALU_DEP_1) | instskip(SKIP_1) | instid1(VALU_DEP_2)
	v_add_f32_e32 v21, v18, v20
	v_sub_f32_e32 v22, v18, v22
	v_sub_f32_e32 v23, v21, v18
	s_delay_alu instid0(VALU_DEP_1) | instskip(NEXT) | instid1(VALU_DEP_1)
	v_dual_sub_f32 v15, v15, v22 :: v_dual_sub_f32 v24, v21, v23
	v_dual_sub_f32 v19, v20, v23 :: v_dual_add_f32 v20, v15, v16
	s_delay_alu instid0(VALU_DEP_2) | instskip(NEXT) | instid1(VALU_DEP_1)
	v_sub_f32_e32 v18, v18, v24
	v_dual_add_f32 v18, v19, v18 :: v_dual_sub_f32 v19, v20, v15
	s_delay_alu instid0(VALU_DEP_1) | instskip(NEXT) | instid1(VALU_DEP_2)
	v_add_f32_e32 v18, v20, v18
	v_sub_f32_e32 v20, v20, v19
	v_sub_f32_e32 v16, v16, v19
	s_delay_alu instid0(VALU_DEP_2) | instskip(NEXT) | instid1(VALU_DEP_1)
	v_dual_add_f32 v22, v21, v18 :: v_dual_sub_f32 v15, v15, v20
	v_sub_f32_e32 v19, v22, v21
	s_delay_alu instid0(VALU_DEP_2) | instskip(NEXT) | instid1(VALU_DEP_2)
	v_add_f32_e32 v15, v16, v15
	v_sub_f32_e32 v16, v18, v19
	s_delay_alu instid0(VALU_DEP_1) | instskip(NEXT) | instid1(VALU_DEP_1)
	v_add_f32_e32 v15, v15, v16
	v_add_f32_e32 v15, v22, v15
	s_wait_alu 0xf1ff
	s_delay_alu instid0(VALU_DEP_1) | instskip(SKIP_2) | instid1(VALU_DEP_1)
	v_cndmask_b32_e64 v15, 0x7f800000, v15, s0
	v_cmp_gt_f32_e64 s0, 0x33800000, |v8|
	s_wait_alu 0xf1ff
	v_cndmask_b32_e64 v8, v15, v8, s0
	s_delay_alu instid0(VALU_DEP_1) | instskip(NEXT) | instid1(VALU_DEP_1)
	v_add_f32_e32 v6, v6, v8
	v_cvt_f16_f32_e32 v8, v6
.LBB430_124:
	s_wait_alu 0xfffe
	s_or_b32 exec_lo, exec_lo, s1
	v_add_nc_u32_e32 v6, v7, v17
	v_perm_b32 v3, v13, v3, 0x5040100
	v_perm_b32 v2, v12, v2, 0x5040100
	;; [unrolled: 1-line block ×6, first 2 shown]
	s_wait_loadcnt 0x0
	s_barrier_signal -1
	s_barrier_wait -1
	global_inv scope:SCOPE_SE
	ds_store_2addr_b64 v6, v[9:10], v[2:3] offset1:1
	ds_store_b64 v6, v[4:5] offset:16
	s_wait_loadcnt_dscnt 0x0
	s_barrier_signal -1
	s_barrier_wait -1
	global_inv scope:SCOPE_SE
	ds_load_u16 v13, v7 offset:512
	ds_load_u16 v12, v7 offset:1024
	;; [unrolled: 1-line block ×11, first 2 shown]
	v_lshlrev_b32_e32 v0, 1, v0
	s_wait_kmcnt 0x0
	s_delay_alu instid0(VALU_DEP_1)
	v_add_co_u32 v0, s0, s26, v0
	s_wait_alu 0xf1ff
	v_add_co_ci_u32_e64 v1, null, s27, 0, s0
	s_and_saveexec_b32 s0, vcc_lo
	s_cbranch_execnz .LBB430_137
; %bb.125:
	s_wait_alu 0xfffe
	s_or_b32 exec_lo, exec_lo, s0
	s_and_saveexec_b32 s0, s2
	s_cbranch_execnz .LBB430_138
.LBB430_126:
	s_wait_alu 0xfffe
	s_or_b32 exec_lo, exec_lo, s0
	s_and_saveexec_b32 s0, s3
	s_cbranch_execnz .LBB430_139
.LBB430_127:
	s_wait_alu 0xfffe
	s_or_b32 exec_lo, exec_lo, s0
	s_and_saveexec_b32 s0, s4
	s_cbranch_execnz .LBB430_140
.LBB430_128:
	s_wait_alu 0xfffe
	s_or_b32 exec_lo, exec_lo, s0
	s_and_saveexec_b32 s0, s5
	s_cbranch_execnz .LBB430_141
.LBB430_129:
	s_wait_alu 0xfffe
	s_or_b32 exec_lo, exec_lo, s0
	s_and_saveexec_b32 s0, s6
	s_cbranch_execnz .LBB430_142
.LBB430_130:
	s_wait_alu 0xfffe
	s_or_b32 exec_lo, exec_lo, s0
	s_and_saveexec_b32 s0, s7
	s_cbranch_execnz .LBB430_143
.LBB430_131:
	s_wait_alu 0xfffe
	s_or_b32 exec_lo, exec_lo, s0
	s_and_saveexec_b32 s0, s8
	s_cbranch_execnz .LBB430_144
.LBB430_132:
	s_wait_alu 0xfffe
	s_or_b32 exec_lo, exec_lo, s0
	s_and_saveexec_b32 s0, s9
	s_cbranch_execnz .LBB430_145
.LBB430_133:
	s_wait_alu 0xfffe
	s_or_b32 exec_lo, exec_lo, s0
	s_and_saveexec_b32 s0, s10
	s_cbranch_execnz .LBB430_146
.LBB430_134:
	s_wait_alu 0xfffe
	s_or_b32 exec_lo, exec_lo, s0
	s_and_saveexec_b32 s0, s11
	s_cbranch_execnz .LBB430_147
.LBB430_135:
	s_wait_alu 0xfffe
	s_or_b32 exec_lo, exec_lo, s0
	s_and_saveexec_b32 s0, s12
	s_cbranch_execnz .LBB430_148
.LBB430_136:
	s_endpgm
.LBB430_137:
	ds_load_u16 v7, v7
	s_wait_dscnt 0x0
	global_store_b16 v[0:1], v7, off
	s_wait_alu 0xfffe
	s_or_b32 exec_lo, exec_lo, s0
	s_and_saveexec_b32 s0, s2
	s_cbranch_execz .LBB430_126
.LBB430_138:
	s_wait_dscnt 0xa
	global_store_b16 v[0:1], v13, off offset:512
	s_wait_alu 0xfffe
	s_or_b32 exec_lo, exec_lo, s0
	s_and_saveexec_b32 s0, s3
	s_cbranch_execz .LBB430_127
.LBB430_139:
	s_wait_dscnt 0x9
	global_store_b16 v[0:1], v12, off offset:1024
	s_wait_alu 0xfffe
	s_or_b32 exec_lo, exec_lo, s0
	s_and_saveexec_b32 s0, s4
	s_cbranch_execz .LBB430_128
.LBB430_140:
	s_wait_dscnt 0x8
	global_store_b16 v[0:1], v11, off offset:1536
	s_wait_alu 0xfffe
	s_or_b32 exec_lo, exec_lo, s0
	s_and_saveexec_b32 s0, s5
	s_cbranch_execz .LBB430_129
.LBB430_141:
	s_wait_dscnt 0x7
	global_store_b16 v[0:1], v10, off offset:2048
	s_wait_alu 0xfffe
	s_or_b32 exec_lo, exec_lo, s0
	s_and_saveexec_b32 s0, s6
	s_cbranch_execz .LBB430_130
.LBB430_142:
	s_wait_dscnt 0x6
	global_store_b16 v[0:1], v9, off offset:2560
	s_wait_alu 0xfffe
	s_or_b32 exec_lo, exec_lo, s0
	s_and_saveexec_b32 s0, s7
	s_cbranch_execz .LBB430_131
.LBB430_143:
	s_wait_dscnt 0x5
	global_store_b16 v[0:1], v8, off offset:3072
	s_wait_alu 0xfffe
	s_or_b32 exec_lo, exec_lo, s0
	s_and_saveexec_b32 s0, s8
	s_cbranch_execz .LBB430_132
.LBB430_144:
	s_wait_dscnt 0x4
	global_store_b16 v[0:1], v6, off offset:3584
	s_wait_alu 0xfffe
	s_or_b32 exec_lo, exec_lo, s0
	s_and_saveexec_b32 s0, s9
	s_cbranch_execz .LBB430_133
.LBB430_145:
	s_wait_dscnt 0x3
	global_store_b16 v[0:1], v5, off offset:4096
	s_wait_alu 0xfffe
	s_or_b32 exec_lo, exec_lo, s0
	s_and_saveexec_b32 s0, s10
	s_cbranch_execz .LBB430_134
.LBB430_146:
	s_wait_dscnt 0x2
	global_store_b16 v[0:1], v4, off offset:4608
	s_wait_alu 0xfffe
	s_or_b32 exec_lo, exec_lo, s0
	s_and_saveexec_b32 s0, s11
	s_cbranch_execz .LBB430_135
.LBB430_147:
	s_wait_dscnt 0x1
	global_store_b16 v[0:1], v3, off offset:5120
	s_wait_alu 0xfffe
	s_or_b32 exec_lo, exec_lo, s0
	s_and_saveexec_b32 s0, s12
	s_cbranch_execz .LBB430_136
.LBB430_148:
	s_wait_dscnt 0x0
	global_store_b16 v[0:1], v2, off offset:5632
	s_endpgm
	.section	.rodata,"a",@progbits
	.p2align	6, 0x0
	.amdhsa_kernel _ZN7rocprim17ROCPRIM_400000_NS6detail17trampoline_kernelINS0_14default_configENS1_20scan_config_selectorIN3c104HalfEEEZZNS1_9scan_implILNS1_25lookback_scan_determinismE0ELb0ELb0ES3_PKS6_PS6_S6_ZZZN2at6native31launch_logcumsumexp_cuda_kernelERKNSD_10TensorBaseESH_lENKUlvE_clEvENKUlvE3_clEvEUlS6_S6_E_S6_EEDaPvRmT3_T4_T5_mT6_P12ihipStream_tbENKUlT_T0_E_clISt17integral_constantIbLb0EESX_IbLb1EEEEDaST_SU_EUlST_E0_NS1_11comp_targetILNS1_3genE10ELNS1_11target_archE1201ELNS1_3gpuE5ELNS1_3repE0EEENS1_30default_config_static_selectorELNS0_4arch9wavefront6targetE0EEEvT1_
		.amdhsa_group_segment_fixed_size 6144
		.amdhsa_private_segment_fixed_size 0
		.amdhsa_kernarg_size 32
		.amdhsa_user_sgpr_count 2
		.amdhsa_user_sgpr_dispatch_ptr 0
		.amdhsa_user_sgpr_queue_ptr 0
		.amdhsa_user_sgpr_kernarg_segment_ptr 1
		.amdhsa_user_sgpr_dispatch_id 0
		.amdhsa_user_sgpr_private_segment_size 0
		.amdhsa_wavefront_size32 1
		.amdhsa_uses_dynamic_stack 0
		.amdhsa_enable_private_segment 0
		.amdhsa_system_sgpr_workgroup_id_x 1
		.amdhsa_system_sgpr_workgroup_id_y 0
		.amdhsa_system_sgpr_workgroup_id_z 0
		.amdhsa_system_sgpr_workgroup_info 0
		.amdhsa_system_vgpr_workitem_id 0
		.amdhsa_next_free_vgpr 36
		.amdhsa_next_free_sgpr 30
		.amdhsa_reserve_vcc 1
		.amdhsa_float_round_mode_32 0
		.amdhsa_float_round_mode_16_64 0
		.amdhsa_float_denorm_mode_32 3
		.amdhsa_float_denorm_mode_16_64 3
		.amdhsa_fp16_overflow 0
		.amdhsa_workgroup_processor_mode 1
		.amdhsa_memory_ordered 1
		.amdhsa_forward_progress 1
		.amdhsa_inst_pref_size 255
		.amdhsa_round_robin_scheduling 0
		.amdhsa_exception_fp_ieee_invalid_op 0
		.amdhsa_exception_fp_denorm_src 0
		.amdhsa_exception_fp_ieee_div_zero 0
		.amdhsa_exception_fp_ieee_overflow 0
		.amdhsa_exception_fp_ieee_underflow 0
		.amdhsa_exception_fp_ieee_inexact 0
		.amdhsa_exception_int_div_zero 0
	.end_amdhsa_kernel
	.section	.text._ZN7rocprim17ROCPRIM_400000_NS6detail17trampoline_kernelINS0_14default_configENS1_20scan_config_selectorIN3c104HalfEEEZZNS1_9scan_implILNS1_25lookback_scan_determinismE0ELb0ELb0ES3_PKS6_PS6_S6_ZZZN2at6native31launch_logcumsumexp_cuda_kernelERKNSD_10TensorBaseESH_lENKUlvE_clEvENKUlvE3_clEvEUlS6_S6_E_S6_EEDaPvRmT3_T4_T5_mT6_P12ihipStream_tbENKUlT_T0_E_clISt17integral_constantIbLb0EESX_IbLb1EEEEDaST_SU_EUlST_E0_NS1_11comp_targetILNS1_3genE10ELNS1_11target_archE1201ELNS1_3gpuE5ELNS1_3repE0EEENS1_30default_config_static_selectorELNS0_4arch9wavefront6targetE0EEEvT1_,"axG",@progbits,_ZN7rocprim17ROCPRIM_400000_NS6detail17trampoline_kernelINS0_14default_configENS1_20scan_config_selectorIN3c104HalfEEEZZNS1_9scan_implILNS1_25lookback_scan_determinismE0ELb0ELb0ES3_PKS6_PS6_S6_ZZZN2at6native31launch_logcumsumexp_cuda_kernelERKNSD_10TensorBaseESH_lENKUlvE_clEvENKUlvE3_clEvEUlS6_S6_E_S6_EEDaPvRmT3_T4_T5_mT6_P12ihipStream_tbENKUlT_T0_E_clISt17integral_constantIbLb0EESX_IbLb1EEEEDaST_SU_EUlST_E0_NS1_11comp_targetILNS1_3genE10ELNS1_11target_archE1201ELNS1_3gpuE5ELNS1_3repE0EEENS1_30default_config_static_selectorELNS0_4arch9wavefront6targetE0EEEvT1_,comdat
.Lfunc_end430:
	.size	_ZN7rocprim17ROCPRIM_400000_NS6detail17trampoline_kernelINS0_14default_configENS1_20scan_config_selectorIN3c104HalfEEEZZNS1_9scan_implILNS1_25lookback_scan_determinismE0ELb0ELb0ES3_PKS6_PS6_S6_ZZZN2at6native31launch_logcumsumexp_cuda_kernelERKNSD_10TensorBaseESH_lENKUlvE_clEvENKUlvE3_clEvEUlS6_S6_E_S6_EEDaPvRmT3_T4_T5_mT6_P12ihipStream_tbENKUlT_T0_E_clISt17integral_constantIbLb0EESX_IbLb1EEEEDaST_SU_EUlST_E0_NS1_11comp_targetILNS1_3genE10ELNS1_11target_archE1201ELNS1_3gpuE5ELNS1_3repE0EEENS1_30default_config_static_selectorELNS0_4arch9wavefront6targetE0EEEvT1_, .Lfunc_end430-_ZN7rocprim17ROCPRIM_400000_NS6detail17trampoline_kernelINS0_14default_configENS1_20scan_config_selectorIN3c104HalfEEEZZNS1_9scan_implILNS1_25lookback_scan_determinismE0ELb0ELb0ES3_PKS6_PS6_S6_ZZZN2at6native31launch_logcumsumexp_cuda_kernelERKNSD_10TensorBaseESH_lENKUlvE_clEvENKUlvE3_clEvEUlS6_S6_E_S6_EEDaPvRmT3_T4_T5_mT6_P12ihipStream_tbENKUlT_T0_E_clISt17integral_constantIbLb0EESX_IbLb1EEEEDaST_SU_EUlST_E0_NS1_11comp_targetILNS1_3genE10ELNS1_11target_archE1201ELNS1_3gpuE5ELNS1_3repE0EEENS1_30default_config_static_selectorELNS0_4arch9wavefront6targetE0EEEvT1_
                                        ; -- End function
	.set _ZN7rocprim17ROCPRIM_400000_NS6detail17trampoline_kernelINS0_14default_configENS1_20scan_config_selectorIN3c104HalfEEEZZNS1_9scan_implILNS1_25lookback_scan_determinismE0ELb0ELb0ES3_PKS6_PS6_S6_ZZZN2at6native31launch_logcumsumexp_cuda_kernelERKNSD_10TensorBaseESH_lENKUlvE_clEvENKUlvE3_clEvEUlS6_S6_E_S6_EEDaPvRmT3_T4_T5_mT6_P12ihipStream_tbENKUlT_T0_E_clISt17integral_constantIbLb0EESX_IbLb1EEEEDaST_SU_EUlST_E0_NS1_11comp_targetILNS1_3genE10ELNS1_11target_archE1201ELNS1_3gpuE5ELNS1_3repE0EEENS1_30default_config_static_selectorELNS0_4arch9wavefront6targetE0EEEvT1_.num_vgpr, 36
	.set _ZN7rocprim17ROCPRIM_400000_NS6detail17trampoline_kernelINS0_14default_configENS1_20scan_config_selectorIN3c104HalfEEEZZNS1_9scan_implILNS1_25lookback_scan_determinismE0ELb0ELb0ES3_PKS6_PS6_S6_ZZZN2at6native31launch_logcumsumexp_cuda_kernelERKNSD_10TensorBaseESH_lENKUlvE_clEvENKUlvE3_clEvEUlS6_S6_E_S6_EEDaPvRmT3_T4_T5_mT6_P12ihipStream_tbENKUlT_T0_E_clISt17integral_constantIbLb0EESX_IbLb1EEEEDaST_SU_EUlST_E0_NS1_11comp_targetILNS1_3genE10ELNS1_11target_archE1201ELNS1_3gpuE5ELNS1_3repE0EEENS1_30default_config_static_selectorELNS0_4arch9wavefront6targetE0EEEvT1_.num_agpr, 0
	.set _ZN7rocprim17ROCPRIM_400000_NS6detail17trampoline_kernelINS0_14default_configENS1_20scan_config_selectorIN3c104HalfEEEZZNS1_9scan_implILNS1_25lookback_scan_determinismE0ELb0ELb0ES3_PKS6_PS6_S6_ZZZN2at6native31launch_logcumsumexp_cuda_kernelERKNSD_10TensorBaseESH_lENKUlvE_clEvENKUlvE3_clEvEUlS6_S6_E_S6_EEDaPvRmT3_T4_T5_mT6_P12ihipStream_tbENKUlT_T0_E_clISt17integral_constantIbLb0EESX_IbLb1EEEEDaST_SU_EUlST_E0_NS1_11comp_targetILNS1_3genE10ELNS1_11target_archE1201ELNS1_3gpuE5ELNS1_3repE0EEENS1_30default_config_static_selectorELNS0_4arch9wavefront6targetE0EEEvT1_.numbered_sgpr, 30
	.set _ZN7rocprim17ROCPRIM_400000_NS6detail17trampoline_kernelINS0_14default_configENS1_20scan_config_selectorIN3c104HalfEEEZZNS1_9scan_implILNS1_25lookback_scan_determinismE0ELb0ELb0ES3_PKS6_PS6_S6_ZZZN2at6native31launch_logcumsumexp_cuda_kernelERKNSD_10TensorBaseESH_lENKUlvE_clEvENKUlvE3_clEvEUlS6_S6_E_S6_EEDaPvRmT3_T4_T5_mT6_P12ihipStream_tbENKUlT_T0_E_clISt17integral_constantIbLb0EESX_IbLb1EEEEDaST_SU_EUlST_E0_NS1_11comp_targetILNS1_3genE10ELNS1_11target_archE1201ELNS1_3gpuE5ELNS1_3repE0EEENS1_30default_config_static_selectorELNS0_4arch9wavefront6targetE0EEEvT1_.num_named_barrier, 0
	.set _ZN7rocprim17ROCPRIM_400000_NS6detail17trampoline_kernelINS0_14default_configENS1_20scan_config_selectorIN3c104HalfEEEZZNS1_9scan_implILNS1_25lookback_scan_determinismE0ELb0ELb0ES3_PKS6_PS6_S6_ZZZN2at6native31launch_logcumsumexp_cuda_kernelERKNSD_10TensorBaseESH_lENKUlvE_clEvENKUlvE3_clEvEUlS6_S6_E_S6_EEDaPvRmT3_T4_T5_mT6_P12ihipStream_tbENKUlT_T0_E_clISt17integral_constantIbLb0EESX_IbLb1EEEEDaST_SU_EUlST_E0_NS1_11comp_targetILNS1_3genE10ELNS1_11target_archE1201ELNS1_3gpuE5ELNS1_3repE0EEENS1_30default_config_static_selectorELNS0_4arch9wavefront6targetE0EEEvT1_.private_seg_size, 0
	.set _ZN7rocprim17ROCPRIM_400000_NS6detail17trampoline_kernelINS0_14default_configENS1_20scan_config_selectorIN3c104HalfEEEZZNS1_9scan_implILNS1_25lookback_scan_determinismE0ELb0ELb0ES3_PKS6_PS6_S6_ZZZN2at6native31launch_logcumsumexp_cuda_kernelERKNSD_10TensorBaseESH_lENKUlvE_clEvENKUlvE3_clEvEUlS6_S6_E_S6_EEDaPvRmT3_T4_T5_mT6_P12ihipStream_tbENKUlT_T0_E_clISt17integral_constantIbLb0EESX_IbLb1EEEEDaST_SU_EUlST_E0_NS1_11comp_targetILNS1_3genE10ELNS1_11target_archE1201ELNS1_3gpuE5ELNS1_3repE0EEENS1_30default_config_static_selectorELNS0_4arch9wavefront6targetE0EEEvT1_.uses_vcc, 1
	.set _ZN7rocprim17ROCPRIM_400000_NS6detail17trampoline_kernelINS0_14default_configENS1_20scan_config_selectorIN3c104HalfEEEZZNS1_9scan_implILNS1_25lookback_scan_determinismE0ELb0ELb0ES3_PKS6_PS6_S6_ZZZN2at6native31launch_logcumsumexp_cuda_kernelERKNSD_10TensorBaseESH_lENKUlvE_clEvENKUlvE3_clEvEUlS6_S6_E_S6_EEDaPvRmT3_T4_T5_mT6_P12ihipStream_tbENKUlT_T0_E_clISt17integral_constantIbLb0EESX_IbLb1EEEEDaST_SU_EUlST_E0_NS1_11comp_targetILNS1_3genE10ELNS1_11target_archE1201ELNS1_3gpuE5ELNS1_3repE0EEENS1_30default_config_static_selectorELNS0_4arch9wavefront6targetE0EEEvT1_.uses_flat_scratch, 0
	.set _ZN7rocprim17ROCPRIM_400000_NS6detail17trampoline_kernelINS0_14default_configENS1_20scan_config_selectorIN3c104HalfEEEZZNS1_9scan_implILNS1_25lookback_scan_determinismE0ELb0ELb0ES3_PKS6_PS6_S6_ZZZN2at6native31launch_logcumsumexp_cuda_kernelERKNSD_10TensorBaseESH_lENKUlvE_clEvENKUlvE3_clEvEUlS6_S6_E_S6_EEDaPvRmT3_T4_T5_mT6_P12ihipStream_tbENKUlT_T0_E_clISt17integral_constantIbLb0EESX_IbLb1EEEEDaST_SU_EUlST_E0_NS1_11comp_targetILNS1_3genE10ELNS1_11target_archE1201ELNS1_3gpuE5ELNS1_3repE0EEENS1_30default_config_static_selectorELNS0_4arch9wavefront6targetE0EEEvT1_.has_dyn_sized_stack, 0
	.set _ZN7rocprim17ROCPRIM_400000_NS6detail17trampoline_kernelINS0_14default_configENS1_20scan_config_selectorIN3c104HalfEEEZZNS1_9scan_implILNS1_25lookback_scan_determinismE0ELb0ELb0ES3_PKS6_PS6_S6_ZZZN2at6native31launch_logcumsumexp_cuda_kernelERKNSD_10TensorBaseESH_lENKUlvE_clEvENKUlvE3_clEvEUlS6_S6_E_S6_EEDaPvRmT3_T4_T5_mT6_P12ihipStream_tbENKUlT_T0_E_clISt17integral_constantIbLb0EESX_IbLb1EEEEDaST_SU_EUlST_E0_NS1_11comp_targetILNS1_3genE10ELNS1_11target_archE1201ELNS1_3gpuE5ELNS1_3repE0EEENS1_30default_config_static_selectorELNS0_4arch9wavefront6targetE0EEEvT1_.has_recursion, 0
	.set _ZN7rocprim17ROCPRIM_400000_NS6detail17trampoline_kernelINS0_14default_configENS1_20scan_config_selectorIN3c104HalfEEEZZNS1_9scan_implILNS1_25lookback_scan_determinismE0ELb0ELb0ES3_PKS6_PS6_S6_ZZZN2at6native31launch_logcumsumexp_cuda_kernelERKNSD_10TensorBaseESH_lENKUlvE_clEvENKUlvE3_clEvEUlS6_S6_E_S6_EEDaPvRmT3_T4_T5_mT6_P12ihipStream_tbENKUlT_T0_E_clISt17integral_constantIbLb0EESX_IbLb1EEEEDaST_SU_EUlST_E0_NS1_11comp_targetILNS1_3genE10ELNS1_11target_archE1201ELNS1_3gpuE5ELNS1_3repE0EEENS1_30default_config_static_selectorELNS0_4arch9wavefront6targetE0EEEvT1_.has_indirect_call, 0
	.section	.AMDGPU.csdata,"",@progbits
; Kernel info:
; codeLenInByte = 44520
; TotalNumSgprs: 32
; NumVgprs: 36
; ScratchSize: 0
; MemoryBound: 0
; FloatMode: 240
; IeeeMode: 1
; LDSByteSize: 6144 bytes/workgroup (compile time only)
; SGPRBlocks: 0
; VGPRBlocks: 4
; NumSGPRsForWavesPerEU: 32
; NumVGPRsForWavesPerEU: 36
; Occupancy: 16
; WaveLimiterHint : 0
; COMPUTE_PGM_RSRC2:SCRATCH_EN: 0
; COMPUTE_PGM_RSRC2:USER_SGPR: 2
; COMPUTE_PGM_RSRC2:TRAP_HANDLER: 0
; COMPUTE_PGM_RSRC2:TGID_X_EN: 1
; COMPUTE_PGM_RSRC2:TGID_Y_EN: 0
; COMPUTE_PGM_RSRC2:TGID_Z_EN: 0
; COMPUTE_PGM_RSRC2:TIDIG_COMP_CNT: 0
	.section	.text._ZN7rocprim17ROCPRIM_400000_NS6detail17trampoline_kernelINS0_14default_configENS1_20scan_config_selectorIN3c104HalfEEEZZNS1_9scan_implILNS1_25lookback_scan_determinismE0ELb0ELb0ES3_PKS6_PS6_S6_ZZZN2at6native31launch_logcumsumexp_cuda_kernelERKNSD_10TensorBaseESH_lENKUlvE_clEvENKUlvE3_clEvEUlS6_S6_E_S6_EEDaPvRmT3_T4_T5_mT6_P12ihipStream_tbENKUlT_T0_E_clISt17integral_constantIbLb0EESX_IbLb1EEEEDaST_SU_EUlST_E0_NS1_11comp_targetILNS1_3genE10ELNS1_11target_archE1200ELNS1_3gpuE4ELNS1_3repE0EEENS1_30default_config_static_selectorELNS0_4arch9wavefront6targetE0EEEvT1_,"axG",@progbits,_ZN7rocprim17ROCPRIM_400000_NS6detail17trampoline_kernelINS0_14default_configENS1_20scan_config_selectorIN3c104HalfEEEZZNS1_9scan_implILNS1_25lookback_scan_determinismE0ELb0ELb0ES3_PKS6_PS6_S6_ZZZN2at6native31launch_logcumsumexp_cuda_kernelERKNSD_10TensorBaseESH_lENKUlvE_clEvENKUlvE3_clEvEUlS6_S6_E_S6_EEDaPvRmT3_T4_T5_mT6_P12ihipStream_tbENKUlT_T0_E_clISt17integral_constantIbLb0EESX_IbLb1EEEEDaST_SU_EUlST_E0_NS1_11comp_targetILNS1_3genE10ELNS1_11target_archE1200ELNS1_3gpuE4ELNS1_3repE0EEENS1_30default_config_static_selectorELNS0_4arch9wavefront6targetE0EEEvT1_,comdat
	.globl	_ZN7rocprim17ROCPRIM_400000_NS6detail17trampoline_kernelINS0_14default_configENS1_20scan_config_selectorIN3c104HalfEEEZZNS1_9scan_implILNS1_25lookback_scan_determinismE0ELb0ELb0ES3_PKS6_PS6_S6_ZZZN2at6native31launch_logcumsumexp_cuda_kernelERKNSD_10TensorBaseESH_lENKUlvE_clEvENKUlvE3_clEvEUlS6_S6_E_S6_EEDaPvRmT3_T4_T5_mT6_P12ihipStream_tbENKUlT_T0_E_clISt17integral_constantIbLb0EESX_IbLb1EEEEDaST_SU_EUlST_E0_NS1_11comp_targetILNS1_3genE10ELNS1_11target_archE1200ELNS1_3gpuE4ELNS1_3repE0EEENS1_30default_config_static_selectorELNS0_4arch9wavefront6targetE0EEEvT1_ ; -- Begin function _ZN7rocprim17ROCPRIM_400000_NS6detail17trampoline_kernelINS0_14default_configENS1_20scan_config_selectorIN3c104HalfEEEZZNS1_9scan_implILNS1_25lookback_scan_determinismE0ELb0ELb0ES3_PKS6_PS6_S6_ZZZN2at6native31launch_logcumsumexp_cuda_kernelERKNSD_10TensorBaseESH_lENKUlvE_clEvENKUlvE3_clEvEUlS6_S6_E_S6_EEDaPvRmT3_T4_T5_mT6_P12ihipStream_tbENKUlT_T0_E_clISt17integral_constantIbLb0EESX_IbLb1EEEEDaST_SU_EUlST_E0_NS1_11comp_targetILNS1_3genE10ELNS1_11target_archE1200ELNS1_3gpuE4ELNS1_3repE0EEENS1_30default_config_static_selectorELNS0_4arch9wavefront6targetE0EEEvT1_
	.p2align	8
	.type	_ZN7rocprim17ROCPRIM_400000_NS6detail17trampoline_kernelINS0_14default_configENS1_20scan_config_selectorIN3c104HalfEEEZZNS1_9scan_implILNS1_25lookback_scan_determinismE0ELb0ELb0ES3_PKS6_PS6_S6_ZZZN2at6native31launch_logcumsumexp_cuda_kernelERKNSD_10TensorBaseESH_lENKUlvE_clEvENKUlvE3_clEvEUlS6_S6_E_S6_EEDaPvRmT3_T4_T5_mT6_P12ihipStream_tbENKUlT_T0_E_clISt17integral_constantIbLb0EESX_IbLb1EEEEDaST_SU_EUlST_E0_NS1_11comp_targetILNS1_3genE10ELNS1_11target_archE1200ELNS1_3gpuE4ELNS1_3repE0EEENS1_30default_config_static_selectorELNS0_4arch9wavefront6targetE0EEEvT1_,@function
_ZN7rocprim17ROCPRIM_400000_NS6detail17trampoline_kernelINS0_14default_configENS1_20scan_config_selectorIN3c104HalfEEEZZNS1_9scan_implILNS1_25lookback_scan_determinismE0ELb0ELb0ES3_PKS6_PS6_S6_ZZZN2at6native31launch_logcumsumexp_cuda_kernelERKNSD_10TensorBaseESH_lENKUlvE_clEvENKUlvE3_clEvEUlS6_S6_E_S6_EEDaPvRmT3_T4_T5_mT6_P12ihipStream_tbENKUlT_T0_E_clISt17integral_constantIbLb0EESX_IbLb1EEEEDaST_SU_EUlST_E0_NS1_11comp_targetILNS1_3genE10ELNS1_11target_archE1200ELNS1_3gpuE4ELNS1_3repE0EEENS1_30default_config_static_selectorELNS0_4arch9wavefront6targetE0EEEvT1_: ; @_ZN7rocprim17ROCPRIM_400000_NS6detail17trampoline_kernelINS0_14default_configENS1_20scan_config_selectorIN3c104HalfEEEZZNS1_9scan_implILNS1_25lookback_scan_determinismE0ELb0ELb0ES3_PKS6_PS6_S6_ZZZN2at6native31launch_logcumsumexp_cuda_kernelERKNSD_10TensorBaseESH_lENKUlvE_clEvENKUlvE3_clEvEUlS6_S6_E_S6_EEDaPvRmT3_T4_T5_mT6_P12ihipStream_tbENKUlT_T0_E_clISt17integral_constantIbLb0EESX_IbLb1EEEEDaST_SU_EUlST_E0_NS1_11comp_targetILNS1_3genE10ELNS1_11target_archE1200ELNS1_3gpuE4ELNS1_3repE0EEENS1_30default_config_static_selectorELNS0_4arch9wavefront6targetE0EEEvT1_
; %bb.0:
	.section	.rodata,"a",@progbits
	.p2align	6, 0x0
	.amdhsa_kernel _ZN7rocprim17ROCPRIM_400000_NS6detail17trampoline_kernelINS0_14default_configENS1_20scan_config_selectorIN3c104HalfEEEZZNS1_9scan_implILNS1_25lookback_scan_determinismE0ELb0ELb0ES3_PKS6_PS6_S6_ZZZN2at6native31launch_logcumsumexp_cuda_kernelERKNSD_10TensorBaseESH_lENKUlvE_clEvENKUlvE3_clEvEUlS6_S6_E_S6_EEDaPvRmT3_T4_T5_mT6_P12ihipStream_tbENKUlT_T0_E_clISt17integral_constantIbLb0EESX_IbLb1EEEEDaST_SU_EUlST_E0_NS1_11comp_targetILNS1_3genE10ELNS1_11target_archE1200ELNS1_3gpuE4ELNS1_3repE0EEENS1_30default_config_static_selectorELNS0_4arch9wavefront6targetE0EEEvT1_
		.amdhsa_group_segment_fixed_size 0
		.amdhsa_private_segment_fixed_size 0
		.amdhsa_kernarg_size 32
		.amdhsa_user_sgpr_count 2
		.amdhsa_user_sgpr_dispatch_ptr 0
		.amdhsa_user_sgpr_queue_ptr 0
		.amdhsa_user_sgpr_kernarg_segment_ptr 1
		.amdhsa_user_sgpr_dispatch_id 0
		.amdhsa_user_sgpr_private_segment_size 0
		.amdhsa_wavefront_size32 1
		.amdhsa_uses_dynamic_stack 0
		.amdhsa_enable_private_segment 0
		.amdhsa_system_sgpr_workgroup_id_x 1
		.amdhsa_system_sgpr_workgroup_id_y 0
		.amdhsa_system_sgpr_workgroup_id_z 0
		.amdhsa_system_sgpr_workgroup_info 0
		.amdhsa_system_vgpr_workitem_id 0
		.amdhsa_next_free_vgpr 1
		.amdhsa_next_free_sgpr 1
		.amdhsa_reserve_vcc 0
		.amdhsa_float_round_mode_32 0
		.amdhsa_float_round_mode_16_64 0
		.amdhsa_float_denorm_mode_32 3
		.amdhsa_float_denorm_mode_16_64 3
		.amdhsa_fp16_overflow 0
		.amdhsa_workgroup_processor_mode 1
		.amdhsa_memory_ordered 1
		.amdhsa_forward_progress 1
		.amdhsa_inst_pref_size 0
		.amdhsa_round_robin_scheduling 0
		.amdhsa_exception_fp_ieee_invalid_op 0
		.amdhsa_exception_fp_denorm_src 0
		.amdhsa_exception_fp_ieee_div_zero 0
		.amdhsa_exception_fp_ieee_overflow 0
		.amdhsa_exception_fp_ieee_underflow 0
		.amdhsa_exception_fp_ieee_inexact 0
		.amdhsa_exception_int_div_zero 0
	.end_amdhsa_kernel
	.section	.text._ZN7rocprim17ROCPRIM_400000_NS6detail17trampoline_kernelINS0_14default_configENS1_20scan_config_selectorIN3c104HalfEEEZZNS1_9scan_implILNS1_25lookback_scan_determinismE0ELb0ELb0ES3_PKS6_PS6_S6_ZZZN2at6native31launch_logcumsumexp_cuda_kernelERKNSD_10TensorBaseESH_lENKUlvE_clEvENKUlvE3_clEvEUlS6_S6_E_S6_EEDaPvRmT3_T4_T5_mT6_P12ihipStream_tbENKUlT_T0_E_clISt17integral_constantIbLb0EESX_IbLb1EEEEDaST_SU_EUlST_E0_NS1_11comp_targetILNS1_3genE10ELNS1_11target_archE1200ELNS1_3gpuE4ELNS1_3repE0EEENS1_30default_config_static_selectorELNS0_4arch9wavefront6targetE0EEEvT1_,"axG",@progbits,_ZN7rocprim17ROCPRIM_400000_NS6detail17trampoline_kernelINS0_14default_configENS1_20scan_config_selectorIN3c104HalfEEEZZNS1_9scan_implILNS1_25lookback_scan_determinismE0ELb0ELb0ES3_PKS6_PS6_S6_ZZZN2at6native31launch_logcumsumexp_cuda_kernelERKNSD_10TensorBaseESH_lENKUlvE_clEvENKUlvE3_clEvEUlS6_S6_E_S6_EEDaPvRmT3_T4_T5_mT6_P12ihipStream_tbENKUlT_T0_E_clISt17integral_constantIbLb0EESX_IbLb1EEEEDaST_SU_EUlST_E0_NS1_11comp_targetILNS1_3genE10ELNS1_11target_archE1200ELNS1_3gpuE4ELNS1_3repE0EEENS1_30default_config_static_selectorELNS0_4arch9wavefront6targetE0EEEvT1_,comdat
.Lfunc_end431:
	.size	_ZN7rocprim17ROCPRIM_400000_NS6detail17trampoline_kernelINS0_14default_configENS1_20scan_config_selectorIN3c104HalfEEEZZNS1_9scan_implILNS1_25lookback_scan_determinismE0ELb0ELb0ES3_PKS6_PS6_S6_ZZZN2at6native31launch_logcumsumexp_cuda_kernelERKNSD_10TensorBaseESH_lENKUlvE_clEvENKUlvE3_clEvEUlS6_S6_E_S6_EEDaPvRmT3_T4_T5_mT6_P12ihipStream_tbENKUlT_T0_E_clISt17integral_constantIbLb0EESX_IbLb1EEEEDaST_SU_EUlST_E0_NS1_11comp_targetILNS1_3genE10ELNS1_11target_archE1200ELNS1_3gpuE4ELNS1_3repE0EEENS1_30default_config_static_selectorELNS0_4arch9wavefront6targetE0EEEvT1_, .Lfunc_end431-_ZN7rocprim17ROCPRIM_400000_NS6detail17trampoline_kernelINS0_14default_configENS1_20scan_config_selectorIN3c104HalfEEEZZNS1_9scan_implILNS1_25lookback_scan_determinismE0ELb0ELb0ES3_PKS6_PS6_S6_ZZZN2at6native31launch_logcumsumexp_cuda_kernelERKNSD_10TensorBaseESH_lENKUlvE_clEvENKUlvE3_clEvEUlS6_S6_E_S6_EEDaPvRmT3_T4_T5_mT6_P12ihipStream_tbENKUlT_T0_E_clISt17integral_constantIbLb0EESX_IbLb1EEEEDaST_SU_EUlST_E0_NS1_11comp_targetILNS1_3genE10ELNS1_11target_archE1200ELNS1_3gpuE4ELNS1_3repE0EEENS1_30default_config_static_selectorELNS0_4arch9wavefront6targetE0EEEvT1_
                                        ; -- End function
	.set _ZN7rocprim17ROCPRIM_400000_NS6detail17trampoline_kernelINS0_14default_configENS1_20scan_config_selectorIN3c104HalfEEEZZNS1_9scan_implILNS1_25lookback_scan_determinismE0ELb0ELb0ES3_PKS6_PS6_S6_ZZZN2at6native31launch_logcumsumexp_cuda_kernelERKNSD_10TensorBaseESH_lENKUlvE_clEvENKUlvE3_clEvEUlS6_S6_E_S6_EEDaPvRmT3_T4_T5_mT6_P12ihipStream_tbENKUlT_T0_E_clISt17integral_constantIbLb0EESX_IbLb1EEEEDaST_SU_EUlST_E0_NS1_11comp_targetILNS1_3genE10ELNS1_11target_archE1200ELNS1_3gpuE4ELNS1_3repE0EEENS1_30default_config_static_selectorELNS0_4arch9wavefront6targetE0EEEvT1_.num_vgpr, 0
	.set _ZN7rocprim17ROCPRIM_400000_NS6detail17trampoline_kernelINS0_14default_configENS1_20scan_config_selectorIN3c104HalfEEEZZNS1_9scan_implILNS1_25lookback_scan_determinismE0ELb0ELb0ES3_PKS6_PS6_S6_ZZZN2at6native31launch_logcumsumexp_cuda_kernelERKNSD_10TensorBaseESH_lENKUlvE_clEvENKUlvE3_clEvEUlS6_S6_E_S6_EEDaPvRmT3_T4_T5_mT6_P12ihipStream_tbENKUlT_T0_E_clISt17integral_constantIbLb0EESX_IbLb1EEEEDaST_SU_EUlST_E0_NS1_11comp_targetILNS1_3genE10ELNS1_11target_archE1200ELNS1_3gpuE4ELNS1_3repE0EEENS1_30default_config_static_selectorELNS0_4arch9wavefront6targetE0EEEvT1_.num_agpr, 0
	.set _ZN7rocprim17ROCPRIM_400000_NS6detail17trampoline_kernelINS0_14default_configENS1_20scan_config_selectorIN3c104HalfEEEZZNS1_9scan_implILNS1_25lookback_scan_determinismE0ELb0ELb0ES3_PKS6_PS6_S6_ZZZN2at6native31launch_logcumsumexp_cuda_kernelERKNSD_10TensorBaseESH_lENKUlvE_clEvENKUlvE3_clEvEUlS6_S6_E_S6_EEDaPvRmT3_T4_T5_mT6_P12ihipStream_tbENKUlT_T0_E_clISt17integral_constantIbLb0EESX_IbLb1EEEEDaST_SU_EUlST_E0_NS1_11comp_targetILNS1_3genE10ELNS1_11target_archE1200ELNS1_3gpuE4ELNS1_3repE0EEENS1_30default_config_static_selectorELNS0_4arch9wavefront6targetE0EEEvT1_.numbered_sgpr, 0
	.set _ZN7rocprim17ROCPRIM_400000_NS6detail17trampoline_kernelINS0_14default_configENS1_20scan_config_selectorIN3c104HalfEEEZZNS1_9scan_implILNS1_25lookback_scan_determinismE0ELb0ELb0ES3_PKS6_PS6_S6_ZZZN2at6native31launch_logcumsumexp_cuda_kernelERKNSD_10TensorBaseESH_lENKUlvE_clEvENKUlvE3_clEvEUlS6_S6_E_S6_EEDaPvRmT3_T4_T5_mT6_P12ihipStream_tbENKUlT_T0_E_clISt17integral_constantIbLb0EESX_IbLb1EEEEDaST_SU_EUlST_E0_NS1_11comp_targetILNS1_3genE10ELNS1_11target_archE1200ELNS1_3gpuE4ELNS1_3repE0EEENS1_30default_config_static_selectorELNS0_4arch9wavefront6targetE0EEEvT1_.num_named_barrier, 0
	.set _ZN7rocprim17ROCPRIM_400000_NS6detail17trampoline_kernelINS0_14default_configENS1_20scan_config_selectorIN3c104HalfEEEZZNS1_9scan_implILNS1_25lookback_scan_determinismE0ELb0ELb0ES3_PKS6_PS6_S6_ZZZN2at6native31launch_logcumsumexp_cuda_kernelERKNSD_10TensorBaseESH_lENKUlvE_clEvENKUlvE3_clEvEUlS6_S6_E_S6_EEDaPvRmT3_T4_T5_mT6_P12ihipStream_tbENKUlT_T0_E_clISt17integral_constantIbLb0EESX_IbLb1EEEEDaST_SU_EUlST_E0_NS1_11comp_targetILNS1_3genE10ELNS1_11target_archE1200ELNS1_3gpuE4ELNS1_3repE0EEENS1_30default_config_static_selectorELNS0_4arch9wavefront6targetE0EEEvT1_.private_seg_size, 0
	.set _ZN7rocprim17ROCPRIM_400000_NS6detail17trampoline_kernelINS0_14default_configENS1_20scan_config_selectorIN3c104HalfEEEZZNS1_9scan_implILNS1_25lookback_scan_determinismE0ELb0ELb0ES3_PKS6_PS6_S6_ZZZN2at6native31launch_logcumsumexp_cuda_kernelERKNSD_10TensorBaseESH_lENKUlvE_clEvENKUlvE3_clEvEUlS6_S6_E_S6_EEDaPvRmT3_T4_T5_mT6_P12ihipStream_tbENKUlT_T0_E_clISt17integral_constantIbLb0EESX_IbLb1EEEEDaST_SU_EUlST_E0_NS1_11comp_targetILNS1_3genE10ELNS1_11target_archE1200ELNS1_3gpuE4ELNS1_3repE0EEENS1_30default_config_static_selectorELNS0_4arch9wavefront6targetE0EEEvT1_.uses_vcc, 0
	.set _ZN7rocprim17ROCPRIM_400000_NS6detail17trampoline_kernelINS0_14default_configENS1_20scan_config_selectorIN3c104HalfEEEZZNS1_9scan_implILNS1_25lookback_scan_determinismE0ELb0ELb0ES3_PKS6_PS6_S6_ZZZN2at6native31launch_logcumsumexp_cuda_kernelERKNSD_10TensorBaseESH_lENKUlvE_clEvENKUlvE3_clEvEUlS6_S6_E_S6_EEDaPvRmT3_T4_T5_mT6_P12ihipStream_tbENKUlT_T0_E_clISt17integral_constantIbLb0EESX_IbLb1EEEEDaST_SU_EUlST_E0_NS1_11comp_targetILNS1_3genE10ELNS1_11target_archE1200ELNS1_3gpuE4ELNS1_3repE0EEENS1_30default_config_static_selectorELNS0_4arch9wavefront6targetE0EEEvT1_.uses_flat_scratch, 0
	.set _ZN7rocprim17ROCPRIM_400000_NS6detail17trampoline_kernelINS0_14default_configENS1_20scan_config_selectorIN3c104HalfEEEZZNS1_9scan_implILNS1_25lookback_scan_determinismE0ELb0ELb0ES3_PKS6_PS6_S6_ZZZN2at6native31launch_logcumsumexp_cuda_kernelERKNSD_10TensorBaseESH_lENKUlvE_clEvENKUlvE3_clEvEUlS6_S6_E_S6_EEDaPvRmT3_T4_T5_mT6_P12ihipStream_tbENKUlT_T0_E_clISt17integral_constantIbLb0EESX_IbLb1EEEEDaST_SU_EUlST_E0_NS1_11comp_targetILNS1_3genE10ELNS1_11target_archE1200ELNS1_3gpuE4ELNS1_3repE0EEENS1_30default_config_static_selectorELNS0_4arch9wavefront6targetE0EEEvT1_.has_dyn_sized_stack, 0
	.set _ZN7rocprim17ROCPRIM_400000_NS6detail17trampoline_kernelINS0_14default_configENS1_20scan_config_selectorIN3c104HalfEEEZZNS1_9scan_implILNS1_25lookback_scan_determinismE0ELb0ELb0ES3_PKS6_PS6_S6_ZZZN2at6native31launch_logcumsumexp_cuda_kernelERKNSD_10TensorBaseESH_lENKUlvE_clEvENKUlvE3_clEvEUlS6_S6_E_S6_EEDaPvRmT3_T4_T5_mT6_P12ihipStream_tbENKUlT_T0_E_clISt17integral_constantIbLb0EESX_IbLb1EEEEDaST_SU_EUlST_E0_NS1_11comp_targetILNS1_3genE10ELNS1_11target_archE1200ELNS1_3gpuE4ELNS1_3repE0EEENS1_30default_config_static_selectorELNS0_4arch9wavefront6targetE0EEEvT1_.has_recursion, 0
	.set _ZN7rocprim17ROCPRIM_400000_NS6detail17trampoline_kernelINS0_14default_configENS1_20scan_config_selectorIN3c104HalfEEEZZNS1_9scan_implILNS1_25lookback_scan_determinismE0ELb0ELb0ES3_PKS6_PS6_S6_ZZZN2at6native31launch_logcumsumexp_cuda_kernelERKNSD_10TensorBaseESH_lENKUlvE_clEvENKUlvE3_clEvEUlS6_S6_E_S6_EEDaPvRmT3_T4_T5_mT6_P12ihipStream_tbENKUlT_T0_E_clISt17integral_constantIbLb0EESX_IbLb1EEEEDaST_SU_EUlST_E0_NS1_11comp_targetILNS1_3genE10ELNS1_11target_archE1200ELNS1_3gpuE4ELNS1_3repE0EEENS1_30default_config_static_selectorELNS0_4arch9wavefront6targetE0EEEvT1_.has_indirect_call, 0
	.section	.AMDGPU.csdata,"",@progbits
; Kernel info:
; codeLenInByte = 0
; TotalNumSgprs: 0
; NumVgprs: 0
; ScratchSize: 0
; MemoryBound: 0
; FloatMode: 240
; IeeeMode: 1
; LDSByteSize: 0 bytes/workgroup (compile time only)
; SGPRBlocks: 0
; VGPRBlocks: 0
; NumSGPRsForWavesPerEU: 1
; NumVGPRsForWavesPerEU: 1
; Occupancy: 16
; WaveLimiterHint : 0
; COMPUTE_PGM_RSRC2:SCRATCH_EN: 0
; COMPUTE_PGM_RSRC2:USER_SGPR: 2
; COMPUTE_PGM_RSRC2:TRAP_HANDLER: 0
; COMPUTE_PGM_RSRC2:TGID_X_EN: 1
; COMPUTE_PGM_RSRC2:TGID_Y_EN: 0
; COMPUTE_PGM_RSRC2:TGID_Z_EN: 0
; COMPUTE_PGM_RSRC2:TIDIG_COMP_CNT: 0
	.section	.text._ZN7rocprim17ROCPRIM_400000_NS6detail17trampoline_kernelINS0_14default_configENS1_20scan_config_selectorIN3c104HalfEEEZZNS1_9scan_implILNS1_25lookback_scan_determinismE0ELb0ELb0ES3_PKS6_PS6_S6_ZZZN2at6native31launch_logcumsumexp_cuda_kernelERKNSD_10TensorBaseESH_lENKUlvE_clEvENKUlvE3_clEvEUlS6_S6_E_S6_EEDaPvRmT3_T4_T5_mT6_P12ihipStream_tbENKUlT_T0_E_clISt17integral_constantIbLb0EESX_IbLb1EEEEDaST_SU_EUlST_E0_NS1_11comp_targetILNS1_3genE9ELNS1_11target_archE1100ELNS1_3gpuE3ELNS1_3repE0EEENS1_30default_config_static_selectorELNS0_4arch9wavefront6targetE0EEEvT1_,"axG",@progbits,_ZN7rocprim17ROCPRIM_400000_NS6detail17trampoline_kernelINS0_14default_configENS1_20scan_config_selectorIN3c104HalfEEEZZNS1_9scan_implILNS1_25lookback_scan_determinismE0ELb0ELb0ES3_PKS6_PS6_S6_ZZZN2at6native31launch_logcumsumexp_cuda_kernelERKNSD_10TensorBaseESH_lENKUlvE_clEvENKUlvE3_clEvEUlS6_S6_E_S6_EEDaPvRmT3_T4_T5_mT6_P12ihipStream_tbENKUlT_T0_E_clISt17integral_constantIbLb0EESX_IbLb1EEEEDaST_SU_EUlST_E0_NS1_11comp_targetILNS1_3genE9ELNS1_11target_archE1100ELNS1_3gpuE3ELNS1_3repE0EEENS1_30default_config_static_selectorELNS0_4arch9wavefront6targetE0EEEvT1_,comdat
	.globl	_ZN7rocprim17ROCPRIM_400000_NS6detail17trampoline_kernelINS0_14default_configENS1_20scan_config_selectorIN3c104HalfEEEZZNS1_9scan_implILNS1_25lookback_scan_determinismE0ELb0ELb0ES3_PKS6_PS6_S6_ZZZN2at6native31launch_logcumsumexp_cuda_kernelERKNSD_10TensorBaseESH_lENKUlvE_clEvENKUlvE3_clEvEUlS6_S6_E_S6_EEDaPvRmT3_T4_T5_mT6_P12ihipStream_tbENKUlT_T0_E_clISt17integral_constantIbLb0EESX_IbLb1EEEEDaST_SU_EUlST_E0_NS1_11comp_targetILNS1_3genE9ELNS1_11target_archE1100ELNS1_3gpuE3ELNS1_3repE0EEENS1_30default_config_static_selectorELNS0_4arch9wavefront6targetE0EEEvT1_ ; -- Begin function _ZN7rocprim17ROCPRIM_400000_NS6detail17trampoline_kernelINS0_14default_configENS1_20scan_config_selectorIN3c104HalfEEEZZNS1_9scan_implILNS1_25lookback_scan_determinismE0ELb0ELb0ES3_PKS6_PS6_S6_ZZZN2at6native31launch_logcumsumexp_cuda_kernelERKNSD_10TensorBaseESH_lENKUlvE_clEvENKUlvE3_clEvEUlS6_S6_E_S6_EEDaPvRmT3_T4_T5_mT6_P12ihipStream_tbENKUlT_T0_E_clISt17integral_constantIbLb0EESX_IbLb1EEEEDaST_SU_EUlST_E0_NS1_11comp_targetILNS1_3genE9ELNS1_11target_archE1100ELNS1_3gpuE3ELNS1_3repE0EEENS1_30default_config_static_selectorELNS0_4arch9wavefront6targetE0EEEvT1_
	.p2align	8
	.type	_ZN7rocprim17ROCPRIM_400000_NS6detail17trampoline_kernelINS0_14default_configENS1_20scan_config_selectorIN3c104HalfEEEZZNS1_9scan_implILNS1_25lookback_scan_determinismE0ELb0ELb0ES3_PKS6_PS6_S6_ZZZN2at6native31launch_logcumsumexp_cuda_kernelERKNSD_10TensorBaseESH_lENKUlvE_clEvENKUlvE3_clEvEUlS6_S6_E_S6_EEDaPvRmT3_T4_T5_mT6_P12ihipStream_tbENKUlT_T0_E_clISt17integral_constantIbLb0EESX_IbLb1EEEEDaST_SU_EUlST_E0_NS1_11comp_targetILNS1_3genE9ELNS1_11target_archE1100ELNS1_3gpuE3ELNS1_3repE0EEENS1_30default_config_static_selectorELNS0_4arch9wavefront6targetE0EEEvT1_,@function
_ZN7rocprim17ROCPRIM_400000_NS6detail17trampoline_kernelINS0_14default_configENS1_20scan_config_selectorIN3c104HalfEEEZZNS1_9scan_implILNS1_25lookback_scan_determinismE0ELb0ELb0ES3_PKS6_PS6_S6_ZZZN2at6native31launch_logcumsumexp_cuda_kernelERKNSD_10TensorBaseESH_lENKUlvE_clEvENKUlvE3_clEvEUlS6_S6_E_S6_EEDaPvRmT3_T4_T5_mT6_P12ihipStream_tbENKUlT_T0_E_clISt17integral_constantIbLb0EESX_IbLb1EEEEDaST_SU_EUlST_E0_NS1_11comp_targetILNS1_3genE9ELNS1_11target_archE1100ELNS1_3gpuE3ELNS1_3repE0EEENS1_30default_config_static_selectorELNS0_4arch9wavefront6targetE0EEEvT1_: ; @_ZN7rocprim17ROCPRIM_400000_NS6detail17trampoline_kernelINS0_14default_configENS1_20scan_config_selectorIN3c104HalfEEEZZNS1_9scan_implILNS1_25lookback_scan_determinismE0ELb0ELb0ES3_PKS6_PS6_S6_ZZZN2at6native31launch_logcumsumexp_cuda_kernelERKNSD_10TensorBaseESH_lENKUlvE_clEvENKUlvE3_clEvEUlS6_S6_E_S6_EEDaPvRmT3_T4_T5_mT6_P12ihipStream_tbENKUlT_T0_E_clISt17integral_constantIbLb0EESX_IbLb1EEEEDaST_SU_EUlST_E0_NS1_11comp_targetILNS1_3genE9ELNS1_11target_archE1100ELNS1_3gpuE3ELNS1_3repE0EEENS1_30default_config_static_selectorELNS0_4arch9wavefront6targetE0EEEvT1_
; %bb.0:
	.section	.rodata,"a",@progbits
	.p2align	6, 0x0
	.amdhsa_kernel _ZN7rocprim17ROCPRIM_400000_NS6detail17trampoline_kernelINS0_14default_configENS1_20scan_config_selectorIN3c104HalfEEEZZNS1_9scan_implILNS1_25lookback_scan_determinismE0ELb0ELb0ES3_PKS6_PS6_S6_ZZZN2at6native31launch_logcumsumexp_cuda_kernelERKNSD_10TensorBaseESH_lENKUlvE_clEvENKUlvE3_clEvEUlS6_S6_E_S6_EEDaPvRmT3_T4_T5_mT6_P12ihipStream_tbENKUlT_T0_E_clISt17integral_constantIbLb0EESX_IbLb1EEEEDaST_SU_EUlST_E0_NS1_11comp_targetILNS1_3genE9ELNS1_11target_archE1100ELNS1_3gpuE3ELNS1_3repE0EEENS1_30default_config_static_selectorELNS0_4arch9wavefront6targetE0EEEvT1_
		.amdhsa_group_segment_fixed_size 0
		.amdhsa_private_segment_fixed_size 0
		.amdhsa_kernarg_size 32
		.amdhsa_user_sgpr_count 2
		.amdhsa_user_sgpr_dispatch_ptr 0
		.amdhsa_user_sgpr_queue_ptr 0
		.amdhsa_user_sgpr_kernarg_segment_ptr 1
		.amdhsa_user_sgpr_dispatch_id 0
		.amdhsa_user_sgpr_private_segment_size 0
		.amdhsa_wavefront_size32 1
		.amdhsa_uses_dynamic_stack 0
		.amdhsa_enable_private_segment 0
		.amdhsa_system_sgpr_workgroup_id_x 1
		.amdhsa_system_sgpr_workgroup_id_y 0
		.amdhsa_system_sgpr_workgroup_id_z 0
		.amdhsa_system_sgpr_workgroup_info 0
		.amdhsa_system_vgpr_workitem_id 0
		.amdhsa_next_free_vgpr 1
		.amdhsa_next_free_sgpr 1
		.amdhsa_reserve_vcc 0
		.amdhsa_float_round_mode_32 0
		.amdhsa_float_round_mode_16_64 0
		.amdhsa_float_denorm_mode_32 3
		.amdhsa_float_denorm_mode_16_64 3
		.amdhsa_fp16_overflow 0
		.amdhsa_workgroup_processor_mode 1
		.amdhsa_memory_ordered 1
		.amdhsa_forward_progress 1
		.amdhsa_inst_pref_size 0
		.amdhsa_round_robin_scheduling 0
		.amdhsa_exception_fp_ieee_invalid_op 0
		.amdhsa_exception_fp_denorm_src 0
		.amdhsa_exception_fp_ieee_div_zero 0
		.amdhsa_exception_fp_ieee_overflow 0
		.amdhsa_exception_fp_ieee_underflow 0
		.amdhsa_exception_fp_ieee_inexact 0
		.amdhsa_exception_int_div_zero 0
	.end_amdhsa_kernel
	.section	.text._ZN7rocprim17ROCPRIM_400000_NS6detail17trampoline_kernelINS0_14default_configENS1_20scan_config_selectorIN3c104HalfEEEZZNS1_9scan_implILNS1_25lookback_scan_determinismE0ELb0ELb0ES3_PKS6_PS6_S6_ZZZN2at6native31launch_logcumsumexp_cuda_kernelERKNSD_10TensorBaseESH_lENKUlvE_clEvENKUlvE3_clEvEUlS6_S6_E_S6_EEDaPvRmT3_T4_T5_mT6_P12ihipStream_tbENKUlT_T0_E_clISt17integral_constantIbLb0EESX_IbLb1EEEEDaST_SU_EUlST_E0_NS1_11comp_targetILNS1_3genE9ELNS1_11target_archE1100ELNS1_3gpuE3ELNS1_3repE0EEENS1_30default_config_static_selectorELNS0_4arch9wavefront6targetE0EEEvT1_,"axG",@progbits,_ZN7rocprim17ROCPRIM_400000_NS6detail17trampoline_kernelINS0_14default_configENS1_20scan_config_selectorIN3c104HalfEEEZZNS1_9scan_implILNS1_25lookback_scan_determinismE0ELb0ELb0ES3_PKS6_PS6_S6_ZZZN2at6native31launch_logcumsumexp_cuda_kernelERKNSD_10TensorBaseESH_lENKUlvE_clEvENKUlvE3_clEvEUlS6_S6_E_S6_EEDaPvRmT3_T4_T5_mT6_P12ihipStream_tbENKUlT_T0_E_clISt17integral_constantIbLb0EESX_IbLb1EEEEDaST_SU_EUlST_E0_NS1_11comp_targetILNS1_3genE9ELNS1_11target_archE1100ELNS1_3gpuE3ELNS1_3repE0EEENS1_30default_config_static_selectorELNS0_4arch9wavefront6targetE0EEEvT1_,comdat
.Lfunc_end432:
	.size	_ZN7rocprim17ROCPRIM_400000_NS6detail17trampoline_kernelINS0_14default_configENS1_20scan_config_selectorIN3c104HalfEEEZZNS1_9scan_implILNS1_25lookback_scan_determinismE0ELb0ELb0ES3_PKS6_PS6_S6_ZZZN2at6native31launch_logcumsumexp_cuda_kernelERKNSD_10TensorBaseESH_lENKUlvE_clEvENKUlvE3_clEvEUlS6_S6_E_S6_EEDaPvRmT3_T4_T5_mT6_P12ihipStream_tbENKUlT_T0_E_clISt17integral_constantIbLb0EESX_IbLb1EEEEDaST_SU_EUlST_E0_NS1_11comp_targetILNS1_3genE9ELNS1_11target_archE1100ELNS1_3gpuE3ELNS1_3repE0EEENS1_30default_config_static_selectorELNS0_4arch9wavefront6targetE0EEEvT1_, .Lfunc_end432-_ZN7rocprim17ROCPRIM_400000_NS6detail17trampoline_kernelINS0_14default_configENS1_20scan_config_selectorIN3c104HalfEEEZZNS1_9scan_implILNS1_25lookback_scan_determinismE0ELb0ELb0ES3_PKS6_PS6_S6_ZZZN2at6native31launch_logcumsumexp_cuda_kernelERKNSD_10TensorBaseESH_lENKUlvE_clEvENKUlvE3_clEvEUlS6_S6_E_S6_EEDaPvRmT3_T4_T5_mT6_P12ihipStream_tbENKUlT_T0_E_clISt17integral_constantIbLb0EESX_IbLb1EEEEDaST_SU_EUlST_E0_NS1_11comp_targetILNS1_3genE9ELNS1_11target_archE1100ELNS1_3gpuE3ELNS1_3repE0EEENS1_30default_config_static_selectorELNS0_4arch9wavefront6targetE0EEEvT1_
                                        ; -- End function
	.set _ZN7rocprim17ROCPRIM_400000_NS6detail17trampoline_kernelINS0_14default_configENS1_20scan_config_selectorIN3c104HalfEEEZZNS1_9scan_implILNS1_25lookback_scan_determinismE0ELb0ELb0ES3_PKS6_PS6_S6_ZZZN2at6native31launch_logcumsumexp_cuda_kernelERKNSD_10TensorBaseESH_lENKUlvE_clEvENKUlvE3_clEvEUlS6_S6_E_S6_EEDaPvRmT3_T4_T5_mT6_P12ihipStream_tbENKUlT_T0_E_clISt17integral_constantIbLb0EESX_IbLb1EEEEDaST_SU_EUlST_E0_NS1_11comp_targetILNS1_3genE9ELNS1_11target_archE1100ELNS1_3gpuE3ELNS1_3repE0EEENS1_30default_config_static_selectorELNS0_4arch9wavefront6targetE0EEEvT1_.num_vgpr, 0
	.set _ZN7rocprim17ROCPRIM_400000_NS6detail17trampoline_kernelINS0_14default_configENS1_20scan_config_selectorIN3c104HalfEEEZZNS1_9scan_implILNS1_25lookback_scan_determinismE0ELb0ELb0ES3_PKS6_PS6_S6_ZZZN2at6native31launch_logcumsumexp_cuda_kernelERKNSD_10TensorBaseESH_lENKUlvE_clEvENKUlvE3_clEvEUlS6_S6_E_S6_EEDaPvRmT3_T4_T5_mT6_P12ihipStream_tbENKUlT_T0_E_clISt17integral_constantIbLb0EESX_IbLb1EEEEDaST_SU_EUlST_E0_NS1_11comp_targetILNS1_3genE9ELNS1_11target_archE1100ELNS1_3gpuE3ELNS1_3repE0EEENS1_30default_config_static_selectorELNS0_4arch9wavefront6targetE0EEEvT1_.num_agpr, 0
	.set _ZN7rocprim17ROCPRIM_400000_NS6detail17trampoline_kernelINS0_14default_configENS1_20scan_config_selectorIN3c104HalfEEEZZNS1_9scan_implILNS1_25lookback_scan_determinismE0ELb0ELb0ES3_PKS6_PS6_S6_ZZZN2at6native31launch_logcumsumexp_cuda_kernelERKNSD_10TensorBaseESH_lENKUlvE_clEvENKUlvE3_clEvEUlS6_S6_E_S6_EEDaPvRmT3_T4_T5_mT6_P12ihipStream_tbENKUlT_T0_E_clISt17integral_constantIbLb0EESX_IbLb1EEEEDaST_SU_EUlST_E0_NS1_11comp_targetILNS1_3genE9ELNS1_11target_archE1100ELNS1_3gpuE3ELNS1_3repE0EEENS1_30default_config_static_selectorELNS0_4arch9wavefront6targetE0EEEvT1_.numbered_sgpr, 0
	.set _ZN7rocprim17ROCPRIM_400000_NS6detail17trampoline_kernelINS0_14default_configENS1_20scan_config_selectorIN3c104HalfEEEZZNS1_9scan_implILNS1_25lookback_scan_determinismE0ELb0ELb0ES3_PKS6_PS6_S6_ZZZN2at6native31launch_logcumsumexp_cuda_kernelERKNSD_10TensorBaseESH_lENKUlvE_clEvENKUlvE3_clEvEUlS6_S6_E_S6_EEDaPvRmT3_T4_T5_mT6_P12ihipStream_tbENKUlT_T0_E_clISt17integral_constantIbLb0EESX_IbLb1EEEEDaST_SU_EUlST_E0_NS1_11comp_targetILNS1_3genE9ELNS1_11target_archE1100ELNS1_3gpuE3ELNS1_3repE0EEENS1_30default_config_static_selectorELNS0_4arch9wavefront6targetE0EEEvT1_.num_named_barrier, 0
	.set _ZN7rocprim17ROCPRIM_400000_NS6detail17trampoline_kernelINS0_14default_configENS1_20scan_config_selectorIN3c104HalfEEEZZNS1_9scan_implILNS1_25lookback_scan_determinismE0ELb0ELb0ES3_PKS6_PS6_S6_ZZZN2at6native31launch_logcumsumexp_cuda_kernelERKNSD_10TensorBaseESH_lENKUlvE_clEvENKUlvE3_clEvEUlS6_S6_E_S6_EEDaPvRmT3_T4_T5_mT6_P12ihipStream_tbENKUlT_T0_E_clISt17integral_constantIbLb0EESX_IbLb1EEEEDaST_SU_EUlST_E0_NS1_11comp_targetILNS1_3genE9ELNS1_11target_archE1100ELNS1_3gpuE3ELNS1_3repE0EEENS1_30default_config_static_selectorELNS0_4arch9wavefront6targetE0EEEvT1_.private_seg_size, 0
	.set _ZN7rocprim17ROCPRIM_400000_NS6detail17trampoline_kernelINS0_14default_configENS1_20scan_config_selectorIN3c104HalfEEEZZNS1_9scan_implILNS1_25lookback_scan_determinismE0ELb0ELb0ES3_PKS6_PS6_S6_ZZZN2at6native31launch_logcumsumexp_cuda_kernelERKNSD_10TensorBaseESH_lENKUlvE_clEvENKUlvE3_clEvEUlS6_S6_E_S6_EEDaPvRmT3_T4_T5_mT6_P12ihipStream_tbENKUlT_T0_E_clISt17integral_constantIbLb0EESX_IbLb1EEEEDaST_SU_EUlST_E0_NS1_11comp_targetILNS1_3genE9ELNS1_11target_archE1100ELNS1_3gpuE3ELNS1_3repE0EEENS1_30default_config_static_selectorELNS0_4arch9wavefront6targetE0EEEvT1_.uses_vcc, 0
	.set _ZN7rocprim17ROCPRIM_400000_NS6detail17trampoline_kernelINS0_14default_configENS1_20scan_config_selectorIN3c104HalfEEEZZNS1_9scan_implILNS1_25lookback_scan_determinismE0ELb0ELb0ES3_PKS6_PS6_S6_ZZZN2at6native31launch_logcumsumexp_cuda_kernelERKNSD_10TensorBaseESH_lENKUlvE_clEvENKUlvE3_clEvEUlS6_S6_E_S6_EEDaPvRmT3_T4_T5_mT6_P12ihipStream_tbENKUlT_T0_E_clISt17integral_constantIbLb0EESX_IbLb1EEEEDaST_SU_EUlST_E0_NS1_11comp_targetILNS1_3genE9ELNS1_11target_archE1100ELNS1_3gpuE3ELNS1_3repE0EEENS1_30default_config_static_selectorELNS0_4arch9wavefront6targetE0EEEvT1_.uses_flat_scratch, 0
	.set _ZN7rocprim17ROCPRIM_400000_NS6detail17trampoline_kernelINS0_14default_configENS1_20scan_config_selectorIN3c104HalfEEEZZNS1_9scan_implILNS1_25lookback_scan_determinismE0ELb0ELb0ES3_PKS6_PS6_S6_ZZZN2at6native31launch_logcumsumexp_cuda_kernelERKNSD_10TensorBaseESH_lENKUlvE_clEvENKUlvE3_clEvEUlS6_S6_E_S6_EEDaPvRmT3_T4_T5_mT6_P12ihipStream_tbENKUlT_T0_E_clISt17integral_constantIbLb0EESX_IbLb1EEEEDaST_SU_EUlST_E0_NS1_11comp_targetILNS1_3genE9ELNS1_11target_archE1100ELNS1_3gpuE3ELNS1_3repE0EEENS1_30default_config_static_selectorELNS0_4arch9wavefront6targetE0EEEvT1_.has_dyn_sized_stack, 0
	.set _ZN7rocprim17ROCPRIM_400000_NS6detail17trampoline_kernelINS0_14default_configENS1_20scan_config_selectorIN3c104HalfEEEZZNS1_9scan_implILNS1_25lookback_scan_determinismE0ELb0ELb0ES3_PKS6_PS6_S6_ZZZN2at6native31launch_logcumsumexp_cuda_kernelERKNSD_10TensorBaseESH_lENKUlvE_clEvENKUlvE3_clEvEUlS6_S6_E_S6_EEDaPvRmT3_T4_T5_mT6_P12ihipStream_tbENKUlT_T0_E_clISt17integral_constantIbLb0EESX_IbLb1EEEEDaST_SU_EUlST_E0_NS1_11comp_targetILNS1_3genE9ELNS1_11target_archE1100ELNS1_3gpuE3ELNS1_3repE0EEENS1_30default_config_static_selectorELNS0_4arch9wavefront6targetE0EEEvT1_.has_recursion, 0
	.set _ZN7rocprim17ROCPRIM_400000_NS6detail17trampoline_kernelINS0_14default_configENS1_20scan_config_selectorIN3c104HalfEEEZZNS1_9scan_implILNS1_25lookback_scan_determinismE0ELb0ELb0ES3_PKS6_PS6_S6_ZZZN2at6native31launch_logcumsumexp_cuda_kernelERKNSD_10TensorBaseESH_lENKUlvE_clEvENKUlvE3_clEvEUlS6_S6_E_S6_EEDaPvRmT3_T4_T5_mT6_P12ihipStream_tbENKUlT_T0_E_clISt17integral_constantIbLb0EESX_IbLb1EEEEDaST_SU_EUlST_E0_NS1_11comp_targetILNS1_3genE9ELNS1_11target_archE1100ELNS1_3gpuE3ELNS1_3repE0EEENS1_30default_config_static_selectorELNS0_4arch9wavefront6targetE0EEEvT1_.has_indirect_call, 0
	.section	.AMDGPU.csdata,"",@progbits
; Kernel info:
; codeLenInByte = 0
; TotalNumSgprs: 0
; NumVgprs: 0
; ScratchSize: 0
; MemoryBound: 0
; FloatMode: 240
; IeeeMode: 1
; LDSByteSize: 0 bytes/workgroup (compile time only)
; SGPRBlocks: 0
; VGPRBlocks: 0
; NumSGPRsForWavesPerEU: 1
; NumVGPRsForWavesPerEU: 1
; Occupancy: 16
; WaveLimiterHint : 0
; COMPUTE_PGM_RSRC2:SCRATCH_EN: 0
; COMPUTE_PGM_RSRC2:USER_SGPR: 2
; COMPUTE_PGM_RSRC2:TRAP_HANDLER: 0
; COMPUTE_PGM_RSRC2:TGID_X_EN: 1
; COMPUTE_PGM_RSRC2:TGID_Y_EN: 0
; COMPUTE_PGM_RSRC2:TGID_Z_EN: 0
; COMPUTE_PGM_RSRC2:TIDIG_COMP_CNT: 0
	.section	.text._ZN7rocprim17ROCPRIM_400000_NS6detail17trampoline_kernelINS0_14default_configENS1_20scan_config_selectorIN3c104HalfEEEZZNS1_9scan_implILNS1_25lookback_scan_determinismE0ELb0ELb0ES3_PKS6_PS6_S6_ZZZN2at6native31launch_logcumsumexp_cuda_kernelERKNSD_10TensorBaseESH_lENKUlvE_clEvENKUlvE3_clEvEUlS6_S6_E_S6_EEDaPvRmT3_T4_T5_mT6_P12ihipStream_tbENKUlT_T0_E_clISt17integral_constantIbLb0EESX_IbLb1EEEEDaST_SU_EUlST_E0_NS1_11comp_targetILNS1_3genE8ELNS1_11target_archE1030ELNS1_3gpuE2ELNS1_3repE0EEENS1_30default_config_static_selectorELNS0_4arch9wavefront6targetE0EEEvT1_,"axG",@progbits,_ZN7rocprim17ROCPRIM_400000_NS6detail17trampoline_kernelINS0_14default_configENS1_20scan_config_selectorIN3c104HalfEEEZZNS1_9scan_implILNS1_25lookback_scan_determinismE0ELb0ELb0ES3_PKS6_PS6_S6_ZZZN2at6native31launch_logcumsumexp_cuda_kernelERKNSD_10TensorBaseESH_lENKUlvE_clEvENKUlvE3_clEvEUlS6_S6_E_S6_EEDaPvRmT3_T4_T5_mT6_P12ihipStream_tbENKUlT_T0_E_clISt17integral_constantIbLb0EESX_IbLb1EEEEDaST_SU_EUlST_E0_NS1_11comp_targetILNS1_3genE8ELNS1_11target_archE1030ELNS1_3gpuE2ELNS1_3repE0EEENS1_30default_config_static_selectorELNS0_4arch9wavefront6targetE0EEEvT1_,comdat
	.globl	_ZN7rocprim17ROCPRIM_400000_NS6detail17trampoline_kernelINS0_14default_configENS1_20scan_config_selectorIN3c104HalfEEEZZNS1_9scan_implILNS1_25lookback_scan_determinismE0ELb0ELb0ES3_PKS6_PS6_S6_ZZZN2at6native31launch_logcumsumexp_cuda_kernelERKNSD_10TensorBaseESH_lENKUlvE_clEvENKUlvE3_clEvEUlS6_S6_E_S6_EEDaPvRmT3_T4_T5_mT6_P12ihipStream_tbENKUlT_T0_E_clISt17integral_constantIbLb0EESX_IbLb1EEEEDaST_SU_EUlST_E0_NS1_11comp_targetILNS1_3genE8ELNS1_11target_archE1030ELNS1_3gpuE2ELNS1_3repE0EEENS1_30default_config_static_selectorELNS0_4arch9wavefront6targetE0EEEvT1_ ; -- Begin function _ZN7rocprim17ROCPRIM_400000_NS6detail17trampoline_kernelINS0_14default_configENS1_20scan_config_selectorIN3c104HalfEEEZZNS1_9scan_implILNS1_25lookback_scan_determinismE0ELb0ELb0ES3_PKS6_PS6_S6_ZZZN2at6native31launch_logcumsumexp_cuda_kernelERKNSD_10TensorBaseESH_lENKUlvE_clEvENKUlvE3_clEvEUlS6_S6_E_S6_EEDaPvRmT3_T4_T5_mT6_P12ihipStream_tbENKUlT_T0_E_clISt17integral_constantIbLb0EESX_IbLb1EEEEDaST_SU_EUlST_E0_NS1_11comp_targetILNS1_3genE8ELNS1_11target_archE1030ELNS1_3gpuE2ELNS1_3repE0EEENS1_30default_config_static_selectorELNS0_4arch9wavefront6targetE0EEEvT1_
	.p2align	8
	.type	_ZN7rocprim17ROCPRIM_400000_NS6detail17trampoline_kernelINS0_14default_configENS1_20scan_config_selectorIN3c104HalfEEEZZNS1_9scan_implILNS1_25lookback_scan_determinismE0ELb0ELb0ES3_PKS6_PS6_S6_ZZZN2at6native31launch_logcumsumexp_cuda_kernelERKNSD_10TensorBaseESH_lENKUlvE_clEvENKUlvE3_clEvEUlS6_S6_E_S6_EEDaPvRmT3_T4_T5_mT6_P12ihipStream_tbENKUlT_T0_E_clISt17integral_constantIbLb0EESX_IbLb1EEEEDaST_SU_EUlST_E0_NS1_11comp_targetILNS1_3genE8ELNS1_11target_archE1030ELNS1_3gpuE2ELNS1_3repE0EEENS1_30default_config_static_selectorELNS0_4arch9wavefront6targetE0EEEvT1_,@function
_ZN7rocprim17ROCPRIM_400000_NS6detail17trampoline_kernelINS0_14default_configENS1_20scan_config_selectorIN3c104HalfEEEZZNS1_9scan_implILNS1_25lookback_scan_determinismE0ELb0ELb0ES3_PKS6_PS6_S6_ZZZN2at6native31launch_logcumsumexp_cuda_kernelERKNSD_10TensorBaseESH_lENKUlvE_clEvENKUlvE3_clEvEUlS6_S6_E_S6_EEDaPvRmT3_T4_T5_mT6_P12ihipStream_tbENKUlT_T0_E_clISt17integral_constantIbLb0EESX_IbLb1EEEEDaST_SU_EUlST_E0_NS1_11comp_targetILNS1_3genE8ELNS1_11target_archE1030ELNS1_3gpuE2ELNS1_3repE0EEENS1_30default_config_static_selectorELNS0_4arch9wavefront6targetE0EEEvT1_: ; @_ZN7rocprim17ROCPRIM_400000_NS6detail17trampoline_kernelINS0_14default_configENS1_20scan_config_selectorIN3c104HalfEEEZZNS1_9scan_implILNS1_25lookback_scan_determinismE0ELb0ELb0ES3_PKS6_PS6_S6_ZZZN2at6native31launch_logcumsumexp_cuda_kernelERKNSD_10TensorBaseESH_lENKUlvE_clEvENKUlvE3_clEvEUlS6_S6_E_S6_EEDaPvRmT3_T4_T5_mT6_P12ihipStream_tbENKUlT_T0_E_clISt17integral_constantIbLb0EESX_IbLb1EEEEDaST_SU_EUlST_E0_NS1_11comp_targetILNS1_3genE8ELNS1_11target_archE1030ELNS1_3gpuE2ELNS1_3repE0EEENS1_30default_config_static_selectorELNS0_4arch9wavefront6targetE0EEEvT1_
; %bb.0:
	.section	.rodata,"a",@progbits
	.p2align	6, 0x0
	.amdhsa_kernel _ZN7rocprim17ROCPRIM_400000_NS6detail17trampoline_kernelINS0_14default_configENS1_20scan_config_selectorIN3c104HalfEEEZZNS1_9scan_implILNS1_25lookback_scan_determinismE0ELb0ELb0ES3_PKS6_PS6_S6_ZZZN2at6native31launch_logcumsumexp_cuda_kernelERKNSD_10TensorBaseESH_lENKUlvE_clEvENKUlvE3_clEvEUlS6_S6_E_S6_EEDaPvRmT3_T4_T5_mT6_P12ihipStream_tbENKUlT_T0_E_clISt17integral_constantIbLb0EESX_IbLb1EEEEDaST_SU_EUlST_E0_NS1_11comp_targetILNS1_3genE8ELNS1_11target_archE1030ELNS1_3gpuE2ELNS1_3repE0EEENS1_30default_config_static_selectorELNS0_4arch9wavefront6targetE0EEEvT1_
		.amdhsa_group_segment_fixed_size 0
		.amdhsa_private_segment_fixed_size 0
		.amdhsa_kernarg_size 32
		.amdhsa_user_sgpr_count 2
		.amdhsa_user_sgpr_dispatch_ptr 0
		.amdhsa_user_sgpr_queue_ptr 0
		.amdhsa_user_sgpr_kernarg_segment_ptr 1
		.amdhsa_user_sgpr_dispatch_id 0
		.amdhsa_user_sgpr_private_segment_size 0
		.amdhsa_wavefront_size32 1
		.amdhsa_uses_dynamic_stack 0
		.amdhsa_enable_private_segment 0
		.amdhsa_system_sgpr_workgroup_id_x 1
		.amdhsa_system_sgpr_workgroup_id_y 0
		.amdhsa_system_sgpr_workgroup_id_z 0
		.amdhsa_system_sgpr_workgroup_info 0
		.amdhsa_system_vgpr_workitem_id 0
		.amdhsa_next_free_vgpr 1
		.amdhsa_next_free_sgpr 1
		.amdhsa_reserve_vcc 0
		.amdhsa_float_round_mode_32 0
		.amdhsa_float_round_mode_16_64 0
		.amdhsa_float_denorm_mode_32 3
		.amdhsa_float_denorm_mode_16_64 3
		.amdhsa_fp16_overflow 0
		.amdhsa_workgroup_processor_mode 1
		.amdhsa_memory_ordered 1
		.amdhsa_forward_progress 1
		.amdhsa_inst_pref_size 0
		.amdhsa_round_robin_scheduling 0
		.amdhsa_exception_fp_ieee_invalid_op 0
		.amdhsa_exception_fp_denorm_src 0
		.amdhsa_exception_fp_ieee_div_zero 0
		.amdhsa_exception_fp_ieee_overflow 0
		.amdhsa_exception_fp_ieee_underflow 0
		.amdhsa_exception_fp_ieee_inexact 0
		.amdhsa_exception_int_div_zero 0
	.end_amdhsa_kernel
	.section	.text._ZN7rocprim17ROCPRIM_400000_NS6detail17trampoline_kernelINS0_14default_configENS1_20scan_config_selectorIN3c104HalfEEEZZNS1_9scan_implILNS1_25lookback_scan_determinismE0ELb0ELb0ES3_PKS6_PS6_S6_ZZZN2at6native31launch_logcumsumexp_cuda_kernelERKNSD_10TensorBaseESH_lENKUlvE_clEvENKUlvE3_clEvEUlS6_S6_E_S6_EEDaPvRmT3_T4_T5_mT6_P12ihipStream_tbENKUlT_T0_E_clISt17integral_constantIbLb0EESX_IbLb1EEEEDaST_SU_EUlST_E0_NS1_11comp_targetILNS1_3genE8ELNS1_11target_archE1030ELNS1_3gpuE2ELNS1_3repE0EEENS1_30default_config_static_selectorELNS0_4arch9wavefront6targetE0EEEvT1_,"axG",@progbits,_ZN7rocprim17ROCPRIM_400000_NS6detail17trampoline_kernelINS0_14default_configENS1_20scan_config_selectorIN3c104HalfEEEZZNS1_9scan_implILNS1_25lookback_scan_determinismE0ELb0ELb0ES3_PKS6_PS6_S6_ZZZN2at6native31launch_logcumsumexp_cuda_kernelERKNSD_10TensorBaseESH_lENKUlvE_clEvENKUlvE3_clEvEUlS6_S6_E_S6_EEDaPvRmT3_T4_T5_mT6_P12ihipStream_tbENKUlT_T0_E_clISt17integral_constantIbLb0EESX_IbLb1EEEEDaST_SU_EUlST_E0_NS1_11comp_targetILNS1_3genE8ELNS1_11target_archE1030ELNS1_3gpuE2ELNS1_3repE0EEENS1_30default_config_static_selectorELNS0_4arch9wavefront6targetE0EEEvT1_,comdat
.Lfunc_end433:
	.size	_ZN7rocprim17ROCPRIM_400000_NS6detail17trampoline_kernelINS0_14default_configENS1_20scan_config_selectorIN3c104HalfEEEZZNS1_9scan_implILNS1_25lookback_scan_determinismE0ELb0ELb0ES3_PKS6_PS6_S6_ZZZN2at6native31launch_logcumsumexp_cuda_kernelERKNSD_10TensorBaseESH_lENKUlvE_clEvENKUlvE3_clEvEUlS6_S6_E_S6_EEDaPvRmT3_T4_T5_mT6_P12ihipStream_tbENKUlT_T0_E_clISt17integral_constantIbLb0EESX_IbLb1EEEEDaST_SU_EUlST_E0_NS1_11comp_targetILNS1_3genE8ELNS1_11target_archE1030ELNS1_3gpuE2ELNS1_3repE0EEENS1_30default_config_static_selectorELNS0_4arch9wavefront6targetE0EEEvT1_, .Lfunc_end433-_ZN7rocprim17ROCPRIM_400000_NS6detail17trampoline_kernelINS0_14default_configENS1_20scan_config_selectorIN3c104HalfEEEZZNS1_9scan_implILNS1_25lookback_scan_determinismE0ELb0ELb0ES3_PKS6_PS6_S6_ZZZN2at6native31launch_logcumsumexp_cuda_kernelERKNSD_10TensorBaseESH_lENKUlvE_clEvENKUlvE3_clEvEUlS6_S6_E_S6_EEDaPvRmT3_T4_T5_mT6_P12ihipStream_tbENKUlT_T0_E_clISt17integral_constantIbLb0EESX_IbLb1EEEEDaST_SU_EUlST_E0_NS1_11comp_targetILNS1_3genE8ELNS1_11target_archE1030ELNS1_3gpuE2ELNS1_3repE0EEENS1_30default_config_static_selectorELNS0_4arch9wavefront6targetE0EEEvT1_
                                        ; -- End function
	.set _ZN7rocprim17ROCPRIM_400000_NS6detail17trampoline_kernelINS0_14default_configENS1_20scan_config_selectorIN3c104HalfEEEZZNS1_9scan_implILNS1_25lookback_scan_determinismE0ELb0ELb0ES3_PKS6_PS6_S6_ZZZN2at6native31launch_logcumsumexp_cuda_kernelERKNSD_10TensorBaseESH_lENKUlvE_clEvENKUlvE3_clEvEUlS6_S6_E_S6_EEDaPvRmT3_T4_T5_mT6_P12ihipStream_tbENKUlT_T0_E_clISt17integral_constantIbLb0EESX_IbLb1EEEEDaST_SU_EUlST_E0_NS1_11comp_targetILNS1_3genE8ELNS1_11target_archE1030ELNS1_3gpuE2ELNS1_3repE0EEENS1_30default_config_static_selectorELNS0_4arch9wavefront6targetE0EEEvT1_.num_vgpr, 0
	.set _ZN7rocprim17ROCPRIM_400000_NS6detail17trampoline_kernelINS0_14default_configENS1_20scan_config_selectorIN3c104HalfEEEZZNS1_9scan_implILNS1_25lookback_scan_determinismE0ELb0ELb0ES3_PKS6_PS6_S6_ZZZN2at6native31launch_logcumsumexp_cuda_kernelERKNSD_10TensorBaseESH_lENKUlvE_clEvENKUlvE3_clEvEUlS6_S6_E_S6_EEDaPvRmT3_T4_T5_mT6_P12ihipStream_tbENKUlT_T0_E_clISt17integral_constantIbLb0EESX_IbLb1EEEEDaST_SU_EUlST_E0_NS1_11comp_targetILNS1_3genE8ELNS1_11target_archE1030ELNS1_3gpuE2ELNS1_3repE0EEENS1_30default_config_static_selectorELNS0_4arch9wavefront6targetE0EEEvT1_.num_agpr, 0
	.set _ZN7rocprim17ROCPRIM_400000_NS6detail17trampoline_kernelINS0_14default_configENS1_20scan_config_selectorIN3c104HalfEEEZZNS1_9scan_implILNS1_25lookback_scan_determinismE0ELb0ELb0ES3_PKS6_PS6_S6_ZZZN2at6native31launch_logcumsumexp_cuda_kernelERKNSD_10TensorBaseESH_lENKUlvE_clEvENKUlvE3_clEvEUlS6_S6_E_S6_EEDaPvRmT3_T4_T5_mT6_P12ihipStream_tbENKUlT_T0_E_clISt17integral_constantIbLb0EESX_IbLb1EEEEDaST_SU_EUlST_E0_NS1_11comp_targetILNS1_3genE8ELNS1_11target_archE1030ELNS1_3gpuE2ELNS1_3repE0EEENS1_30default_config_static_selectorELNS0_4arch9wavefront6targetE0EEEvT1_.numbered_sgpr, 0
	.set _ZN7rocprim17ROCPRIM_400000_NS6detail17trampoline_kernelINS0_14default_configENS1_20scan_config_selectorIN3c104HalfEEEZZNS1_9scan_implILNS1_25lookback_scan_determinismE0ELb0ELb0ES3_PKS6_PS6_S6_ZZZN2at6native31launch_logcumsumexp_cuda_kernelERKNSD_10TensorBaseESH_lENKUlvE_clEvENKUlvE3_clEvEUlS6_S6_E_S6_EEDaPvRmT3_T4_T5_mT6_P12ihipStream_tbENKUlT_T0_E_clISt17integral_constantIbLb0EESX_IbLb1EEEEDaST_SU_EUlST_E0_NS1_11comp_targetILNS1_3genE8ELNS1_11target_archE1030ELNS1_3gpuE2ELNS1_3repE0EEENS1_30default_config_static_selectorELNS0_4arch9wavefront6targetE0EEEvT1_.num_named_barrier, 0
	.set _ZN7rocprim17ROCPRIM_400000_NS6detail17trampoline_kernelINS0_14default_configENS1_20scan_config_selectorIN3c104HalfEEEZZNS1_9scan_implILNS1_25lookback_scan_determinismE0ELb0ELb0ES3_PKS6_PS6_S6_ZZZN2at6native31launch_logcumsumexp_cuda_kernelERKNSD_10TensorBaseESH_lENKUlvE_clEvENKUlvE3_clEvEUlS6_S6_E_S6_EEDaPvRmT3_T4_T5_mT6_P12ihipStream_tbENKUlT_T0_E_clISt17integral_constantIbLb0EESX_IbLb1EEEEDaST_SU_EUlST_E0_NS1_11comp_targetILNS1_3genE8ELNS1_11target_archE1030ELNS1_3gpuE2ELNS1_3repE0EEENS1_30default_config_static_selectorELNS0_4arch9wavefront6targetE0EEEvT1_.private_seg_size, 0
	.set _ZN7rocprim17ROCPRIM_400000_NS6detail17trampoline_kernelINS0_14default_configENS1_20scan_config_selectorIN3c104HalfEEEZZNS1_9scan_implILNS1_25lookback_scan_determinismE0ELb0ELb0ES3_PKS6_PS6_S6_ZZZN2at6native31launch_logcumsumexp_cuda_kernelERKNSD_10TensorBaseESH_lENKUlvE_clEvENKUlvE3_clEvEUlS6_S6_E_S6_EEDaPvRmT3_T4_T5_mT6_P12ihipStream_tbENKUlT_T0_E_clISt17integral_constantIbLb0EESX_IbLb1EEEEDaST_SU_EUlST_E0_NS1_11comp_targetILNS1_3genE8ELNS1_11target_archE1030ELNS1_3gpuE2ELNS1_3repE0EEENS1_30default_config_static_selectorELNS0_4arch9wavefront6targetE0EEEvT1_.uses_vcc, 0
	.set _ZN7rocprim17ROCPRIM_400000_NS6detail17trampoline_kernelINS0_14default_configENS1_20scan_config_selectorIN3c104HalfEEEZZNS1_9scan_implILNS1_25lookback_scan_determinismE0ELb0ELb0ES3_PKS6_PS6_S6_ZZZN2at6native31launch_logcumsumexp_cuda_kernelERKNSD_10TensorBaseESH_lENKUlvE_clEvENKUlvE3_clEvEUlS6_S6_E_S6_EEDaPvRmT3_T4_T5_mT6_P12ihipStream_tbENKUlT_T0_E_clISt17integral_constantIbLb0EESX_IbLb1EEEEDaST_SU_EUlST_E0_NS1_11comp_targetILNS1_3genE8ELNS1_11target_archE1030ELNS1_3gpuE2ELNS1_3repE0EEENS1_30default_config_static_selectorELNS0_4arch9wavefront6targetE0EEEvT1_.uses_flat_scratch, 0
	.set _ZN7rocprim17ROCPRIM_400000_NS6detail17trampoline_kernelINS0_14default_configENS1_20scan_config_selectorIN3c104HalfEEEZZNS1_9scan_implILNS1_25lookback_scan_determinismE0ELb0ELb0ES3_PKS6_PS6_S6_ZZZN2at6native31launch_logcumsumexp_cuda_kernelERKNSD_10TensorBaseESH_lENKUlvE_clEvENKUlvE3_clEvEUlS6_S6_E_S6_EEDaPvRmT3_T4_T5_mT6_P12ihipStream_tbENKUlT_T0_E_clISt17integral_constantIbLb0EESX_IbLb1EEEEDaST_SU_EUlST_E0_NS1_11comp_targetILNS1_3genE8ELNS1_11target_archE1030ELNS1_3gpuE2ELNS1_3repE0EEENS1_30default_config_static_selectorELNS0_4arch9wavefront6targetE0EEEvT1_.has_dyn_sized_stack, 0
	.set _ZN7rocprim17ROCPRIM_400000_NS6detail17trampoline_kernelINS0_14default_configENS1_20scan_config_selectorIN3c104HalfEEEZZNS1_9scan_implILNS1_25lookback_scan_determinismE0ELb0ELb0ES3_PKS6_PS6_S6_ZZZN2at6native31launch_logcumsumexp_cuda_kernelERKNSD_10TensorBaseESH_lENKUlvE_clEvENKUlvE3_clEvEUlS6_S6_E_S6_EEDaPvRmT3_T4_T5_mT6_P12ihipStream_tbENKUlT_T0_E_clISt17integral_constantIbLb0EESX_IbLb1EEEEDaST_SU_EUlST_E0_NS1_11comp_targetILNS1_3genE8ELNS1_11target_archE1030ELNS1_3gpuE2ELNS1_3repE0EEENS1_30default_config_static_selectorELNS0_4arch9wavefront6targetE0EEEvT1_.has_recursion, 0
	.set _ZN7rocprim17ROCPRIM_400000_NS6detail17trampoline_kernelINS0_14default_configENS1_20scan_config_selectorIN3c104HalfEEEZZNS1_9scan_implILNS1_25lookback_scan_determinismE0ELb0ELb0ES3_PKS6_PS6_S6_ZZZN2at6native31launch_logcumsumexp_cuda_kernelERKNSD_10TensorBaseESH_lENKUlvE_clEvENKUlvE3_clEvEUlS6_S6_E_S6_EEDaPvRmT3_T4_T5_mT6_P12ihipStream_tbENKUlT_T0_E_clISt17integral_constantIbLb0EESX_IbLb1EEEEDaST_SU_EUlST_E0_NS1_11comp_targetILNS1_3genE8ELNS1_11target_archE1030ELNS1_3gpuE2ELNS1_3repE0EEENS1_30default_config_static_selectorELNS0_4arch9wavefront6targetE0EEEvT1_.has_indirect_call, 0
	.section	.AMDGPU.csdata,"",@progbits
; Kernel info:
; codeLenInByte = 0
; TotalNumSgprs: 0
; NumVgprs: 0
; ScratchSize: 0
; MemoryBound: 0
; FloatMode: 240
; IeeeMode: 1
; LDSByteSize: 0 bytes/workgroup (compile time only)
; SGPRBlocks: 0
; VGPRBlocks: 0
; NumSGPRsForWavesPerEU: 1
; NumVGPRsForWavesPerEU: 1
; Occupancy: 16
; WaveLimiterHint : 0
; COMPUTE_PGM_RSRC2:SCRATCH_EN: 0
; COMPUTE_PGM_RSRC2:USER_SGPR: 2
; COMPUTE_PGM_RSRC2:TRAP_HANDLER: 0
; COMPUTE_PGM_RSRC2:TGID_X_EN: 1
; COMPUTE_PGM_RSRC2:TGID_Y_EN: 0
; COMPUTE_PGM_RSRC2:TGID_Z_EN: 0
; COMPUTE_PGM_RSRC2:TIDIG_COMP_CNT: 0
	.section	.text._ZN2at6native32tensor_kernel_scan_innermost_dimIN3c104HalfEZZZNS0_31launch_logcumsumexp_cuda_kernelERKNS_10TensorBaseES6_lENKUlvE_clEvENKUlvE3_clEvEUlS3_S3_E_EEvPT_PKSA_jjjSA_T0_,"axG",@progbits,_ZN2at6native32tensor_kernel_scan_innermost_dimIN3c104HalfEZZZNS0_31launch_logcumsumexp_cuda_kernelERKNS_10TensorBaseES6_lENKUlvE_clEvENKUlvE3_clEvEUlS3_S3_E_EEvPT_PKSA_jjjSA_T0_,comdat
	.globl	_ZN2at6native32tensor_kernel_scan_innermost_dimIN3c104HalfEZZZNS0_31launch_logcumsumexp_cuda_kernelERKNS_10TensorBaseES6_lENKUlvE_clEvENKUlvE3_clEvEUlS3_S3_E_EEvPT_PKSA_jjjSA_T0_ ; -- Begin function _ZN2at6native32tensor_kernel_scan_innermost_dimIN3c104HalfEZZZNS0_31launch_logcumsumexp_cuda_kernelERKNS_10TensorBaseES6_lENKUlvE_clEvENKUlvE3_clEvEUlS3_S3_E_EEvPT_PKSA_jjjSA_T0_
	.p2align	8
	.type	_ZN2at6native32tensor_kernel_scan_innermost_dimIN3c104HalfEZZZNS0_31launch_logcumsumexp_cuda_kernelERKNS_10TensorBaseES6_lENKUlvE_clEvENKUlvE3_clEvEUlS3_S3_E_EEvPT_PKSA_jjjSA_T0_,@function
_ZN2at6native32tensor_kernel_scan_innermost_dimIN3c104HalfEZZZNS0_31launch_logcumsumexp_cuda_kernelERKNS_10TensorBaseES6_lENKUlvE_clEvENKUlvE3_clEvEUlS3_S3_E_EEvPT_PKSA_jjjSA_T0_: ; @_ZN2at6native32tensor_kernel_scan_innermost_dimIN3c104HalfEZZZNS0_31launch_logcumsumexp_cuda_kernelERKNS_10TensorBaseES6_lENKUlvE_clEvENKUlvE3_clEvEUlS3_S3_E_EEvPT_PKSA_jjjSA_T0_
; %bb.0:
	s_load_b256 s[8:15], s[0:1], 0x0
	v_bfe_u32 v11, v0, 10, 10
	s_wait_kmcnt 0x0
	s_lshl_b32 s5, 2, s14
	s_mul_hi_u32 s2, s12, s13
	s_delay_alu instid0(VALU_DEP_1) | instskip(SKIP_2) | instid1(VALU_DEP_1)
	v_mul_lo_u32 v1, s5, v11
	s_cmp_lg_u32 s2, 0
	s_mov_b32 s2, -1
	v_lshl_add_u32 v12, v1, 1, 0
	s_cbranch_scc1 .LBB434_30
; %bb.1:
	s_load_u16 s3, s[0:1], 0x2e
	s_wait_kmcnt 0x0
	s_mul_i32 s6, ttmp9, s3
	s_delay_alu instid0(SALU_CYCLE_1)
	s_cmp_ge_u32 s6, s12
	s_cbranch_scc1 .LBB434_29
; %bb.2:
	s_add_nc_u64 s[16:17], s[0:1], 32
	v_dual_mov_b32 v2, 0 :: v_dual_and_b32 v5, 0x3ff, v0
	s_load_b32 s18, s[16:17], 0x0
	s_lshl_b32 s7, 1, s14
	s_cmp_lg_u32 s13, 0
	s_delay_alu instid0(VALU_DEP_1)
	v_lshl_add_u32 v6, v5, 1, v12
	s_cselect_b32 s16, -1, 0
	s_lshl_b32 s4, s5, 1
	v_cmp_eq_u32_e64 s2, 0, v5
	s_wait_alu 0xfffe
	v_add3_u32 v7, v12, s4, -2
	v_lshl_add_u32 v8, s7, 1, v6
	s_add_co_i32 s17, s14, 1
	s_mov_b32 s19, 0x3e9b6dac
	s_wait_kmcnt 0x0
	s_mul_i32 s18, s18, s3
	s_branch .LBB434_4
.LBB434_3:                              ;   in Loop: Header=BB434_4 Depth=1
	s_add_co_i32 s6, s6, s18
	s_wait_alu 0xfffe
	s_cmp_ge_u32 s6, s12
	s_cbranch_scc1 .LBB434_29
.LBB434_4:                              ; =>This Loop Header: Depth=1
                                        ;     Child Loop BB434_7 Depth 2
                                        ;       Child Loop BB434_19 Depth 3
	s_and_not1_b32 vcc_lo, exec_lo, s16
	s_cbranch_vccnz .LBB434_3
; %bb.5:                                ;   in Loop: Header=BB434_4 Depth=1
	v_add_nc_u32_e32 v9, s6, v11
	v_mov_b32_e32 v15, s15
	s_mov_b32 s20, 0
	s_delay_alu instid0(VALU_DEP_2) | instskip(SKIP_2) | instid1(VALU_DEP_3)
	v_mul_lo_u32 v1, v9, s13
	v_cmp_gt_u32_e32 vcc_lo, s12, v9
	v_cmp_le_u32_e64 s3, s12, v9
	v_lshlrev_b64_e32 v[3:4], 1, v[1:2]
	s_delay_alu instid0(VALU_DEP_1) | instskip(SKIP_1) | instid1(VALU_DEP_2)
	v_add_co_u32 v9, s4, s10, v3
	s_wait_alu 0xf1ff
	v_add_co_ci_u32_e64 v10, null, s11, v4, s4
	v_add_co_u32 v13, s4, s8, v3
	s_wait_alu 0xf1ff
	v_add_co_ci_u32_e64 v14, null, s9, v4, s4
	s_branch .LBB434_7
.LBB434_6:                              ;   in Loop: Header=BB434_7 Depth=2
	s_wait_alu 0xfffe
	s_or_b32 exec_lo, exec_lo, s21
	ds_load_u16 v15, v7
	s_add_co_i32 s20, s20, s5
	s_wait_storecnt 0x0
	s_wait_loadcnt_dscnt 0x0
	s_wait_alu 0xfffe
	s_cmp_ge_u32 s20, s13
	s_barrier_signal -1
	s_barrier_wait -1
	global_inv scope:SCOPE_SE
	s_cbranch_scc1 .LBB434_3
.LBB434_7:                              ;   Parent Loop BB434_4 Depth=1
                                        ; =>  This Loop Header: Depth=2
                                        ;       Child Loop BB434_19 Depth 3
	s_wait_alu 0xfffe
	v_add_nc_u32_e32 v1, s20, v5
	s_delay_alu instid0(VALU_DEP_1)
	v_add_nc_u32_e32 v3, s7, v1
	s_and_saveexec_b32 s21, vcc_lo
	s_cbranch_execz .LBB434_16
; %bb.8:                                ;   in Loop: Header=BB434_7 Depth=2
	v_mov_b32_e32 v4, s15
	s_mov_b32 s22, exec_lo
	v_cmpx_gt_u32_e64 s13, v1
	s_cbranch_execz .LBB434_10
; %bb.9:                                ;   in Loop: Header=BB434_7 Depth=2
	v_lshlrev_b64_e32 v[16:17], 1, v[1:2]
	s_delay_alu instid0(VALU_DEP_1) | instskip(SKIP_1) | instid1(VALU_DEP_2)
	v_add_co_u32 v16, s4, v9, v16
	s_wait_alu 0xf1ff
	v_add_co_ci_u32_e64 v17, null, v10, v17, s4
	global_load_u16 v4, v[16:17], off
.LBB434_10:                             ;   in Loop: Header=BB434_7 Depth=2
	s_or_b32 exec_lo, exec_lo, s22
	v_mov_b32_e32 v16, s15
	s_mov_b32 s22, exec_lo
	s_wait_loadcnt 0x0
	ds_store_b16 v6, v4
	v_cmpx_gt_u32_e64 s13, v3
	s_cbranch_execz .LBB434_12
; %bb.11:                               ;   in Loop: Header=BB434_7 Depth=2
	v_mov_b32_e32 v4, v2
	s_delay_alu instid0(VALU_DEP_1) | instskip(NEXT) | instid1(VALU_DEP_1)
	v_lshlrev_b64_e32 v[16:17], 1, v[3:4]
	v_add_co_u32 v16, s4, v9, v16
	s_wait_alu 0xf1ff
	s_delay_alu instid0(VALU_DEP_2)
	v_add_co_ci_u32_e64 v17, null, v10, v17, s4
	global_load_u16 v16, v[16:17], off
.LBB434_12:                             ;   in Loop: Header=BB434_7 Depth=2
	s_or_b32 exec_lo, exec_lo, s22
	s_wait_loadcnt 0x0
	ds_store_b16 v8, v16
	s_and_b32 exec_lo, exec_lo, s2
	s_cbranch_execz .LBB434_16
; %bb.13:                               ;   in Loop: Header=BB434_7 Depth=2
	ds_load_u16 v16, v12
	v_cvt_f32_f16_e32 v4, v15
	s_wait_dscnt 0x0
	v_cvt_f32_f16_e32 v17, v16
	v_cmp_u_f16_e64 s4, v16, v16
	s_delay_alu instid0(VALU_DEP_2) | instskip(SKIP_2) | instid1(VALU_DEP_2)
	v_min_num_f32_e32 v18, v17, v4
	v_max_num_f32_e32 v19, v17, v4
	s_wait_alu 0xf1ff
	v_cndmask_b32_e64 v18, v18, v17, s4
	s_delay_alu instid0(VALU_DEP_2) | instskip(SKIP_2) | instid1(VALU_DEP_1)
	v_cndmask_b32_e64 v17, v19, v17, s4
	v_cmp_u_f16_e64 s4, v15, v15
	s_wait_alu 0xf1ff
	v_cndmask_b32_e64 v15, v18, v4, s4
	s_delay_alu instid0(VALU_DEP_3) | instskip(NEXT) | instid1(VALU_DEP_2)
	v_cndmask_b32_e64 v4, v17, v4, s4
	v_cmp_class_f32_e64 s22, v15, 0x1f8
	s_delay_alu instid0(VALU_DEP_2)
	v_cmp_neq_f32_e64 s4, v15, v4
	s_or_b32 s4, s4, s22
	s_wait_alu 0xfffe
	s_and_saveexec_b32 s22, s4
	s_cbranch_execz .LBB434_15
; %bb.14:                               ;   in Loop: Header=BB434_7 Depth=2
	v_sub_f32_e32 v15, v15, v4
	s_delay_alu instid0(VALU_DEP_1) | instskip(NEXT) | instid1(VALU_DEP_1)
	v_mul_f32_e32 v16, 0x3fb8aa3b, v15
	v_fma_f32 v17, 0x3fb8aa3b, v15, -v16
	v_rndne_f32_e32 v18, v16
	s_delay_alu instid0(VALU_DEP_1) | instskip(SKIP_1) | instid1(VALU_DEP_2)
	v_dual_sub_f32 v16, v16, v18 :: v_dual_fmac_f32 v17, 0x32a5705f, v15
	v_cmp_ngt_f32_e64 s4, 0xc2ce8ed0, v15
	v_add_f32_e32 v16, v16, v17
	v_cvt_i32_f32_e32 v17, v18
	s_delay_alu instid0(VALU_DEP_2) | instskip(NEXT) | instid1(TRANS32_DEP_1)
	v_exp_f32_e32 v16, v16
	v_ldexp_f32 v16, v16, v17
	s_wait_alu 0xf1ff
	s_delay_alu instid0(VALU_DEP_1) | instskip(SKIP_2) | instid1(VALU_DEP_1)
	v_cndmask_b32_e64 v16, 0, v16, s4
	v_cmp_nlt_f32_e64 s4, 0x42b17218, v15
	s_wait_alu 0xf1ff
	v_cndmask_b32_e64 v17, 0x7f800000, v16, s4
	s_delay_alu instid0(VALU_DEP_1) | instskip(NEXT) | instid1(VALU_DEP_1)
	v_add_f32_e32 v18, 1.0, v17
	v_cvt_f64_f32_e32 v[15:16], v18
	s_delay_alu instid0(VALU_DEP_1) | instskip(SKIP_1) | instid1(VALU_DEP_1)
	v_frexp_exp_i32_f64_e32 v15, v[15:16]
	v_frexp_mant_f32_e32 v16, v18
	v_cmp_gt_f32_e64 s4, 0x3f2aaaab, v16
	v_add_f32_e32 v16, -1.0, v18
	s_delay_alu instid0(VALU_DEP_1) | instskip(SKIP_4) | instid1(VALU_DEP_2)
	v_sub_f32_e32 v20, v16, v18
	v_sub_f32_e32 v16, v17, v16
	s_wait_alu 0xf1ff
	v_subrev_co_ci_u32_e64 v15, null, 0, v15, s4
	v_cmp_neq_f32_e64 s4, 0x7f800000, v17
	v_sub_nc_u32_e32 v19, 0, v15
	v_cvt_f32_i32_e32 v15, v15
	s_delay_alu instid0(VALU_DEP_2) | instskip(NEXT) | instid1(VALU_DEP_1)
	v_ldexp_f32 v18, v18, v19
	v_dual_add_f32 v21, 1.0, v18 :: v_dual_add_f32 v20, 1.0, v20
	s_delay_alu instid0(VALU_DEP_1) | instskip(NEXT) | instid1(VALU_DEP_2)
	v_add_f32_e32 v16, v16, v20
	v_add_f32_e32 v20, -1.0, v21
	s_delay_alu instid0(VALU_DEP_2) | instskip(NEXT) | instid1(VALU_DEP_2)
	v_ldexp_f32 v16, v16, v19
	v_dual_add_f32 v19, -1.0, v18 :: v_dual_sub_f32 v20, v18, v20
	s_delay_alu instid0(VALU_DEP_1) | instskip(NEXT) | instid1(VALU_DEP_2)
	v_add_f32_e32 v22, 1.0, v19
	v_add_f32_e32 v20, v16, v20
	s_delay_alu instid0(VALU_DEP_2) | instskip(NEXT) | instid1(VALU_DEP_2)
	v_sub_f32_e32 v18, v18, v22
	v_add_f32_e32 v22, v21, v20
	s_delay_alu instid0(VALU_DEP_2) | instskip(NEXT) | instid1(VALU_DEP_2)
	v_add_f32_e32 v16, v16, v18
	v_rcp_f32_e32 v18, v22
	v_sub_f32_e32 v21, v21, v22
	s_delay_alu instid0(VALU_DEP_1) | instskip(NEXT) | instid1(VALU_DEP_1)
	v_dual_add_f32 v23, v19, v16 :: v_dual_add_f32 v20, v20, v21
	v_sub_f32_e32 v19, v19, v23
	s_delay_alu instid0(TRANS32_DEP_1) | instskip(NEXT) | instid1(VALU_DEP_1)
	v_mul_f32_e32 v24, v23, v18
	v_dual_add_f32 v16, v16, v19 :: v_dual_mul_f32 v25, v22, v24
	s_delay_alu instid0(VALU_DEP_1) | instskip(NEXT) | instid1(VALU_DEP_1)
	v_fma_f32 v21, v24, v22, -v25
	v_fmac_f32_e32 v21, v24, v20
	s_delay_alu instid0(VALU_DEP_1) | instskip(NEXT) | instid1(VALU_DEP_1)
	v_add_f32_e32 v26, v25, v21
	v_sub_f32_e32 v27, v23, v26
	v_sub_f32_e32 v19, v26, v25
	s_delay_alu instid0(VALU_DEP_2) | instskip(NEXT) | instid1(VALU_DEP_2)
	v_sub_f32_e32 v23, v23, v27
	v_sub_f32_e32 v19, v19, v21
	s_delay_alu instid0(VALU_DEP_2) | instskip(NEXT) | instid1(VALU_DEP_1)
	v_sub_f32_e32 v23, v23, v26
	v_add_f32_e32 v16, v16, v23
	s_delay_alu instid0(VALU_DEP_1) | instskip(NEXT) | instid1(VALU_DEP_1)
	v_add_f32_e32 v16, v19, v16
	v_add_f32_e32 v19, v27, v16
	s_delay_alu instid0(VALU_DEP_1) | instskip(NEXT) | instid1(VALU_DEP_1)
	v_mul_f32_e32 v21, v18, v19
	v_dual_sub_f32 v26, v27, v19 :: v_dual_mul_f32 v23, v22, v21
	s_delay_alu instid0(VALU_DEP_1) | instskip(NEXT) | instid1(VALU_DEP_2)
	v_add_f32_e32 v16, v16, v26
	v_fma_f32 v22, v21, v22, -v23
	s_delay_alu instid0(VALU_DEP_1) | instskip(NEXT) | instid1(VALU_DEP_1)
	v_fmac_f32_e32 v22, v21, v20
	v_add_f32_e32 v20, v23, v22
	s_delay_alu instid0(VALU_DEP_1) | instskip(SKIP_1) | instid1(VALU_DEP_2)
	v_sub_f32_e32 v25, v19, v20
	v_sub_f32_e32 v23, v20, v23
	;; [unrolled: 1-line block ×3, first 2 shown]
	s_delay_alu instid0(VALU_DEP_1) | instskip(NEXT) | instid1(VALU_DEP_3)
	v_sub_f32_e32 v19, v19, v20
	v_sub_f32_e32 v20, v23, v22
	s_delay_alu instid0(VALU_DEP_2) | instskip(SKIP_1) | instid1(VALU_DEP_2)
	v_add_f32_e32 v16, v16, v19
	v_add_f32_e32 v19, v24, v21
	;; [unrolled: 1-line block ×3, first 2 shown]
	s_delay_alu instid0(VALU_DEP_2) | instskip(NEXT) | instid1(VALU_DEP_2)
	v_sub_f32_e32 v20, v19, v24
	v_add_f32_e32 v16, v25, v16
	s_delay_alu instid0(VALU_DEP_2) | instskip(NEXT) | instid1(VALU_DEP_2)
	v_sub_f32_e32 v20, v21, v20
	v_mul_f32_e32 v16, v18, v16
	s_delay_alu instid0(VALU_DEP_1) | instskip(NEXT) | instid1(VALU_DEP_1)
	v_add_f32_e32 v16, v20, v16
	v_add_f32_e32 v18, v19, v16
	s_delay_alu instid0(VALU_DEP_1) | instskip(NEXT) | instid1(VALU_DEP_1)
	v_mul_f32_e32 v20, v18, v18
	v_fmaak_f32 v21, s19, v20, 0x3ecc95a3
	v_mul_f32_e32 v22, v18, v20
	s_delay_alu instid0(VALU_DEP_2) | instskip(SKIP_2) | instid1(VALU_DEP_3)
	v_fmaak_f32 v20, v20, v21, 0x3f2aaada
	v_ldexp_f32 v21, v18, 1
	v_sub_f32_e32 v18, v18, v19
	v_mul_f32_e32 v20, v22, v20
	v_mul_f32_e32 v22, 0x3f317218, v15
	s_delay_alu instid0(VALU_DEP_2) | instskip(NEXT) | instid1(VALU_DEP_1)
	v_dual_sub_f32 v16, v16, v18 :: v_dual_add_f32 v19, v21, v20
	v_ldexp_f32 v16, v16, 1
	s_delay_alu instid0(VALU_DEP_2) | instskip(NEXT) | instid1(VALU_DEP_4)
	v_sub_f32_e32 v18, v19, v21
	v_fma_f32 v21, 0x3f317218, v15, -v22
	s_delay_alu instid0(VALU_DEP_1) | instskip(NEXT) | instid1(VALU_DEP_1)
	v_dual_sub_f32 v18, v20, v18 :: v_dual_fmac_f32 v21, 0xb102e308, v15
	v_dual_add_f32 v15, v16, v18 :: v_dual_add_f32 v16, v22, v21
	s_delay_alu instid0(VALU_DEP_1) | instskip(NEXT) | instid1(VALU_DEP_2)
	v_add_f32_e32 v18, v19, v15
	v_sub_f32_e32 v22, v16, v22
	s_delay_alu instid0(VALU_DEP_2) | instskip(NEXT) | instid1(VALU_DEP_2)
	v_dual_add_f32 v20, v16, v18 :: v_dual_sub_f32 v19, v18, v19
	v_sub_f32_e32 v21, v21, v22
	s_delay_alu instid0(VALU_DEP_2) | instskip(NEXT) | instid1(VALU_DEP_3)
	v_sub_f32_e32 v23, v20, v16
	v_sub_f32_e32 v15, v15, v19
	s_delay_alu instid0(VALU_DEP_2) | instskip(SKIP_1) | instid1(VALU_DEP_2)
	v_sub_f32_e32 v24, v20, v23
	v_sub_f32_e32 v18, v18, v23
	v_dual_add_f32 v19, v21, v15 :: v_dual_sub_f32 v16, v16, v24
	s_delay_alu instid0(VALU_DEP_1) | instskip(NEXT) | instid1(VALU_DEP_2)
	v_add_f32_e32 v16, v18, v16
	v_sub_f32_e32 v18, v19, v21
	s_delay_alu instid0(VALU_DEP_2) | instskip(NEXT) | instid1(VALU_DEP_2)
	v_add_f32_e32 v16, v19, v16
	v_sub_f32_e32 v19, v19, v18
	s_delay_alu instid0(VALU_DEP_2) | instskip(NEXT) | instid1(VALU_DEP_1)
	v_dual_sub_f32 v15, v15, v18 :: v_dual_add_f32 v22, v20, v16
	v_dual_sub_f32 v19, v21, v19 :: v_dual_sub_f32 v18, v22, v20
	s_delay_alu instid0(VALU_DEP_1) | instskip(NEXT) | instid1(VALU_DEP_1)
	v_dual_add_f32 v15, v15, v19 :: v_dual_sub_f32 v16, v16, v18
	v_add_f32_e32 v15, v15, v16
	s_delay_alu instid0(VALU_DEP_1) | instskip(SKIP_1) | instid1(VALU_DEP_1)
	v_add_f32_e32 v15, v22, v15
	s_wait_alu 0xf1ff
	v_cndmask_b32_e64 v15, 0x7f800000, v15, s4
	v_cmp_gt_f32_e64 s4, 0x33800000, |v17|
	s_wait_alu 0xf1ff
	s_delay_alu instid0(VALU_DEP_1) | instskip(NEXT) | instid1(VALU_DEP_1)
	v_cndmask_b32_e64 v15, v15, v17, s4
	v_add_f32_e32 v4, v4, v15
	s_delay_alu instid0(VALU_DEP_1)
	v_cvt_f16_f32_e32 v16, v4
.LBB434_15:                             ;   in Loop: Header=BB434_7 Depth=2
	s_or_b32 exec_lo, exec_lo, s22
	ds_store_b16 v12, v16
.LBB434_16:                             ;   in Loop: Header=BB434_7 Depth=2
	s_wait_alu 0xfffe
	s_or_b32 exec_lo, exec_lo, s21
	v_mov_b32_e32 v15, 0
	s_mov_b32 s21, 0
	s_wait_dscnt 0x0
	s_barrier_signal -1
	s_barrier_wait -1
	global_inv scope:SCOPE_SE
	s_branch .LBB434_19
.LBB434_17:                             ;   in Loop: Header=BB434_19 Depth=3
	s_or_b32 exec_lo, exec_lo, s23
	ds_store_b16 v15, v17
.LBB434_18:                             ;   in Loop: Header=BB434_19 Depth=3
	s_or_b32 exec_lo, exec_lo, s22
	v_cmp_eq_u32_e64 s4, s17, v4
	v_mov_b32_e32 v15, v4
	s_wait_loadcnt_dscnt 0x0
	s_barrier_signal -1
	s_barrier_wait -1
	s_or_b32 s21, s4, s21
	global_inv scope:SCOPE_SE
	s_wait_alu 0xfffe
	s_and_not1_b32 exec_lo, exec_lo, s21
	s_cbranch_execz .LBB434_24
.LBB434_19:                             ;   Parent Loop BB434_4 Depth=1
                                        ;     Parent Loop BB434_7 Depth=2
                                        ; =>    This Inner Loop Header: Depth=3
	v_add_nc_u32_e32 v4, 1, v15
	s_and_saveexec_b32 s4, s3
	s_wait_alu 0xfffe
	s_xor_b32 s4, exec_lo, s4
; %bb.20:                               ;   in Loop: Header=BB434_19 Depth=3
	v_add_nc_u32_e32 v4, 1, v15
                                        ; implicit-def: $vgpr15
; %bb.21:                               ;   in Loop: Header=BB434_19 Depth=3
	s_wait_alu 0xfffe
	s_and_not1_saveexec_b32 s22, s4
	s_cbranch_execz .LBB434_18
; %bb.22:                               ;   in Loop: Header=BB434_19 Depth=3
	v_lshlrev_b32_e64 v16, v15, 1
	v_lshrrev_b32_e32 v17, v15, v5
	v_bfm_b32 v15, v15, 0
	s_delay_alu instid0(VALU_DEP_2) | instskip(NEXT) | instid1(VALU_DEP_2)
	v_lshl_or_b32 v16, v17, v4, v16
	v_and_b32_e32 v15, v15, v5
	s_delay_alu instid0(VALU_DEP_2) | instskip(NEXT) | instid1(VALU_DEP_1)
	v_lshl_add_u32 v16, v16, 1, v12
	v_lshl_add_u32 v15, v15, 1, v16
	v_add_nc_u32_e32 v16, -2, v16
	ds_load_u16 v17, v15
	ds_load_u16 v16, v16
	s_wait_dscnt 0x1
	v_cvt_f32_f16_e32 v18, v17
	s_wait_dscnt 0x0
	v_cvt_f32_f16_e32 v19, v16
	v_cmp_u_f16_e64 s4, v17, v17
	s_delay_alu instid0(VALU_DEP_2) | instskip(SKIP_2) | instid1(VALU_DEP_2)
	v_min_num_f32_e32 v20, v18, v19
	v_max_num_f32_e32 v21, v18, v19
	s_wait_alu 0xf1ff
	v_cndmask_b32_e64 v20, v20, v18, s4
	s_delay_alu instid0(VALU_DEP_2) | instskip(SKIP_2) | instid1(VALU_DEP_1)
	v_cndmask_b32_e64 v21, v21, v18, s4
	v_cmp_u_f16_e64 s4, v16, v16
	s_wait_alu 0xf1ff
	v_cndmask_b32_e64 v18, v20, v19, s4
	s_delay_alu instid0(VALU_DEP_3) | instskip(NEXT) | instid1(VALU_DEP_2)
	v_cndmask_b32_e64 v16, v21, v19, s4
	v_cmp_class_f32_e64 s23, v18, 0x1f8
	s_delay_alu instid0(VALU_DEP_2)
	v_cmp_neq_f32_e64 s4, v18, v16
	s_or_b32 s4, s4, s23
	s_wait_alu 0xfffe
	s_and_saveexec_b32 s23, s4
	s_cbranch_execz .LBB434_17
; %bb.23:                               ;   in Loop: Header=BB434_19 Depth=3
	v_sub_f32_e32 v17, v18, v16
	s_delay_alu instid0(VALU_DEP_1) | instskip(SKIP_1) | instid1(VALU_DEP_2)
	v_mul_f32_e32 v18, 0x3fb8aa3b, v17
	v_cmp_ngt_f32_e64 s4, 0xc2ce8ed0, v17
	v_fma_f32 v19, 0x3fb8aa3b, v17, -v18
	v_rndne_f32_e32 v20, v18
	s_delay_alu instid0(VALU_DEP_1) | instskip(NEXT) | instid1(VALU_DEP_1)
	v_dual_fmac_f32 v19, 0x32a5705f, v17 :: v_dual_sub_f32 v18, v18, v20
	v_add_f32_e32 v18, v18, v19
	v_cvt_i32_f32_e32 v19, v20
	s_delay_alu instid0(VALU_DEP_2) | instskip(NEXT) | instid1(TRANS32_DEP_1)
	v_exp_f32_e32 v18, v18
	v_ldexp_f32 v18, v18, v19
	s_wait_alu 0xf1ff
	s_delay_alu instid0(VALU_DEP_1) | instskip(SKIP_2) | instid1(VALU_DEP_1)
	v_cndmask_b32_e64 v18, 0, v18, s4
	v_cmp_nlt_f32_e64 s4, 0x42b17218, v17
	s_wait_alu 0xf1ff
	v_cndmask_b32_e64 v19, 0x7f800000, v18, s4
	s_delay_alu instid0(VALU_DEP_1) | instskip(NEXT) | instid1(VALU_DEP_1)
	v_add_f32_e32 v20, 1.0, v19
	v_cvt_f64_f32_e32 v[17:18], v20
	s_delay_alu instid0(VALU_DEP_1) | instskip(SKIP_1) | instid1(VALU_DEP_1)
	v_frexp_exp_i32_f64_e32 v17, v[17:18]
	v_frexp_mant_f32_e32 v18, v20
	v_cmp_gt_f32_e64 s4, 0x3f2aaaab, v18
	v_add_f32_e32 v18, -1.0, v20
	s_delay_alu instid0(VALU_DEP_1) | instskip(SKIP_4) | instid1(VALU_DEP_2)
	v_sub_f32_e32 v22, v18, v20
	v_sub_f32_e32 v18, v19, v18
	s_wait_alu 0xf1ff
	v_subrev_co_ci_u32_e64 v17, null, 0, v17, s4
	v_cmp_neq_f32_e64 s4, 0x7f800000, v19
	v_sub_nc_u32_e32 v21, 0, v17
	v_cvt_f32_i32_e32 v17, v17
	s_delay_alu instid0(VALU_DEP_2) | instskip(NEXT) | instid1(VALU_DEP_1)
	v_ldexp_f32 v20, v20, v21
	v_dual_add_f32 v23, 1.0, v20 :: v_dual_add_f32 v22, 1.0, v22
	s_delay_alu instid0(VALU_DEP_1) | instskip(NEXT) | instid1(VALU_DEP_2)
	v_add_f32_e32 v18, v18, v22
	v_add_f32_e32 v22, -1.0, v23
	s_delay_alu instid0(VALU_DEP_2) | instskip(NEXT) | instid1(VALU_DEP_2)
	v_ldexp_f32 v18, v18, v21
	v_dual_add_f32 v21, -1.0, v20 :: v_dual_sub_f32 v22, v20, v22
	s_delay_alu instid0(VALU_DEP_1) | instskip(NEXT) | instid1(VALU_DEP_2)
	v_add_f32_e32 v24, 1.0, v21
	v_add_f32_e32 v22, v18, v22
	s_delay_alu instid0(VALU_DEP_2) | instskip(NEXT) | instid1(VALU_DEP_2)
	v_sub_f32_e32 v20, v20, v24
	v_add_f32_e32 v24, v23, v22
	s_delay_alu instid0(VALU_DEP_2) | instskip(NEXT) | instid1(VALU_DEP_2)
	v_add_f32_e32 v18, v18, v20
	v_rcp_f32_e32 v20, v24
	v_sub_f32_e32 v23, v23, v24
	s_delay_alu instid0(VALU_DEP_1) | instskip(NEXT) | instid1(VALU_DEP_1)
	v_dual_add_f32 v25, v21, v18 :: v_dual_add_f32 v22, v22, v23
	v_sub_f32_e32 v21, v21, v25
	s_delay_alu instid0(TRANS32_DEP_1) | instskip(NEXT) | instid1(VALU_DEP_1)
	v_mul_f32_e32 v26, v25, v20
	v_dual_add_f32 v18, v18, v21 :: v_dual_mul_f32 v27, v24, v26
	s_delay_alu instid0(VALU_DEP_1) | instskip(NEXT) | instid1(VALU_DEP_1)
	v_fma_f32 v23, v26, v24, -v27
	v_fmac_f32_e32 v23, v26, v22
	s_delay_alu instid0(VALU_DEP_1) | instskip(NEXT) | instid1(VALU_DEP_1)
	v_add_f32_e32 v28, v27, v23
	v_sub_f32_e32 v29, v25, v28
	v_sub_f32_e32 v21, v28, v27
	s_delay_alu instid0(VALU_DEP_2) | instskip(NEXT) | instid1(VALU_DEP_2)
	v_sub_f32_e32 v25, v25, v29
	v_sub_f32_e32 v21, v21, v23
	s_delay_alu instid0(VALU_DEP_2) | instskip(NEXT) | instid1(VALU_DEP_1)
	v_sub_f32_e32 v25, v25, v28
	v_add_f32_e32 v18, v18, v25
	s_delay_alu instid0(VALU_DEP_1) | instskip(NEXT) | instid1(VALU_DEP_1)
	v_add_f32_e32 v18, v21, v18
	v_add_f32_e32 v21, v29, v18
	s_delay_alu instid0(VALU_DEP_1) | instskip(NEXT) | instid1(VALU_DEP_1)
	v_mul_f32_e32 v23, v20, v21
	v_dual_sub_f32 v28, v29, v21 :: v_dual_mul_f32 v25, v24, v23
	s_delay_alu instid0(VALU_DEP_1) | instskip(NEXT) | instid1(VALU_DEP_2)
	v_add_f32_e32 v18, v18, v28
	v_fma_f32 v24, v23, v24, -v25
	s_delay_alu instid0(VALU_DEP_1) | instskip(NEXT) | instid1(VALU_DEP_1)
	v_fmac_f32_e32 v24, v23, v22
	v_add_f32_e32 v22, v25, v24
	s_delay_alu instid0(VALU_DEP_1) | instskip(SKIP_1) | instid1(VALU_DEP_2)
	v_sub_f32_e32 v27, v21, v22
	v_sub_f32_e32 v25, v22, v25
	;; [unrolled: 1-line block ×3, first 2 shown]
	s_delay_alu instid0(VALU_DEP_1) | instskip(NEXT) | instid1(VALU_DEP_3)
	v_sub_f32_e32 v21, v21, v22
	v_sub_f32_e32 v22, v25, v24
	s_delay_alu instid0(VALU_DEP_2) | instskip(SKIP_1) | instid1(VALU_DEP_2)
	v_add_f32_e32 v18, v18, v21
	v_add_f32_e32 v21, v26, v23
	;; [unrolled: 1-line block ×3, first 2 shown]
	s_delay_alu instid0(VALU_DEP_2) | instskip(NEXT) | instid1(VALU_DEP_2)
	v_sub_f32_e32 v22, v21, v26
	v_add_f32_e32 v18, v27, v18
	s_delay_alu instid0(VALU_DEP_2) | instskip(NEXT) | instid1(VALU_DEP_2)
	v_sub_f32_e32 v22, v23, v22
	v_mul_f32_e32 v18, v20, v18
	s_delay_alu instid0(VALU_DEP_1) | instskip(NEXT) | instid1(VALU_DEP_1)
	v_add_f32_e32 v18, v22, v18
	v_add_f32_e32 v20, v21, v18
	s_delay_alu instid0(VALU_DEP_1) | instskip(NEXT) | instid1(VALU_DEP_1)
	v_mul_f32_e32 v22, v20, v20
	v_fmaak_f32 v23, s19, v22, 0x3ecc95a3
	v_mul_f32_e32 v24, v20, v22
	s_delay_alu instid0(VALU_DEP_2) | instskip(SKIP_2) | instid1(VALU_DEP_3)
	v_fmaak_f32 v22, v22, v23, 0x3f2aaada
	v_ldexp_f32 v23, v20, 1
	v_sub_f32_e32 v20, v20, v21
	v_mul_f32_e32 v22, v24, v22
	v_mul_f32_e32 v24, 0x3f317218, v17
	s_delay_alu instid0(VALU_DEP_2) | instskip(NEXT) | instid1(VALU_DEP_1)
	v_dual_sub_f32 v18, v18, v20 :: v_dual_add_f32 v21, v23, v22
	v_ldexp_f32 v18, v18, 1
	s_delay_alu instid0(VALU_DEP_2) | instskip(NEXT) | instid1(VALU_DEP_4)
	v_sub_f32_e32 v20, v21, v23
	v_fma_f32 v23, 0x3f317218, v17, -v24
	s_delay_alu instid0(VALU_DEP_1) | instskip(NEXT) | instid1(VALU_DEP_1)
	v_dual_sub_f32 v20, v22, v20 :: v_dual_fmac_f32 v23, 0xb102e308, v17
	v_dual_add_f32 v17, v18, v20 :: v_dual_add_f32 v18, v24, v23
	s_delay_alu instid0(VALU_DEP_1) | instskip(NEXT) | instid1(VALU_DEP_2)
	v_add_f32_e32 v20, v21, v17
	v_sub_f32_e32 v24, v18, v24
	s_delay_alu instid0(VALU_DEP_2) | instskip(NEXT) | instid1(VALU_DEP_2)
	v_dual_add_f32 v22, v18, v20 :: v_dual_sub_f32 v21, v20, v21
	v_sub_f32_e32 v23, v23, v24
	s_delay_alu instid0(VALU_DEP_2) | instskip(NEXT) | instid1(VALU_DEP_3)
	v_sub_f32_e32 v25, v22, v18
	v_sub_f32_e32 v17, v17, v21
	s_delay_alu instid0(VALU_DEP_2) | instskip(SKIP_1) | instid1(VALU_DEP_2)
	v_sub_f32_e32 v26, v22, v25
	v_sub_f32_e32 v20, v20, v25
	v_dual_add_f32 v21, v23, v17 :: v_dual_sub_f32 v18, v18, v26
	s_delay_alu instid0(VALU_DEP_1) | instskip(NEXT) | instid1(VALU_DEP_2)
	v_add_f32_e32 v18, v20, v18
	v_sub_f32_e32 v20, v21, v23
	s_delay_alu instid0(VALU_DEP_2) | instskip(NEXT) | instid1(VALU_DEP_2)
	v_add_f32_e32 v18, v21, v18
	v_sub_f32_e32 v21, v21, v20
	s_delay_alu instid0(VALU_DEP_2) | instskip(NEXT) | instid1(VALU_DEP_1)
	v_dual_sub_f32 v17, v17, v20 :: v_dual_add_f32 v24, v22, v18
	v_dual_sub_f32 v21, v23, v21 :: v_dual_sub_f32 v20, v24, v22
	s_delay_alu instid0(VALU_DEP_1) | instskip(NEXT) | instid1(VALU_DEP_1)
	v_dual_add_f32 v17, v17, v21 :: v_dual_sub_f32 v18, v18, v20
	v_add_f32_e32 v17, v17, v18
	s_delay_alu instid0(VALU_DEP_1) | instskip(SKIP_1) | instid1(VALU_DEP_1)
	v_add_f32_e32 v17, v24, v17
	s_wait_alu 0xf1ff
	v_cndmask_b32_e64 v17, 0x7f800000, v17, s4
	v_cmp_gt_f32_e64 s4, 0x33800000, |v19|
	s_wait_alu 0xf1ff
	s_delay_alu instid0(VALU_DEP_1) | instskip(NEXT) | instid1(VALU_DEP_1)
	v_cndmask_b32_e64 v17, v17, v19, s4
	v_add_f32_e32 v16, v16, v17
	s_delay_alu instid0(VALU_DEP_1)
	v_cvt_f16_f32_e32 v17, v16
	s_branch .LBB434_17
.LBB434_24:                             ;   in Loop: Header=BB434_7 Depth=2
	s_or_b32 exec_lo, exec_lo, s21
	s_and_saveexec_b32 s21, vcc_lo
	s_cbranch_execz .LBB434_6
; %bb.25:                               ;   in Loop: Header=BB434_7 Depth=2
	s_mov_b32 s22, exec_lo
	v_cmpx_gt_u32_e64 s13, v1
	s_cbranch_execz .LBB434_27
; %bb.26:                               ;   in Loop: Header=BB434_7 Depth=2
	ds_load_u16 v4, v6
	v_lshlrev_b64_e32 v[15:16], 1, v[1:2]
	s_delay_alu instid0(VALU_DEP_1) | instskip(SKIP_1) | instid1(VALU_DEP_2)
	v_add_co_u32 v15, s4, v13, v15
	s_wait_alu 0xf1ff
	v_add_co_ci_u32_e64 v16, null, v14, v16, s4
	s_wait_dscnt 0x0
	global_store_b16 v[15:16], v4, off
.LBB434_27:                             ;   in Loop: Header=BB434_7 Depth=2
	s_or_b32 exec_lo, exec_lo, s22
	v_cmp_gt_u32_e64 s4, s13, v3
	s_and_b32 exec_lo, exec_lo, s4
	s_cbranch_execz .LBB434_6
; %bb.28:                               ;   in Loop: Header=BB434_7 Depth=2
	ds_load_u16 v1, v8
	v_mov_b32_e32 v4, v2
	s_delay_alu instid0(VALU_DEP_1) | instskip(NEXT) | instid1(VALU_DEP_1)
	v_lshlrev_b64_e32 v[3:4], 1, v[3:4]
	v_add_co_u32 v3, s4, v13, v3
	s_wait_alu 0xf1ff
	s_delay_alu instid0(VALU_DEP_2)
	v_add_co_ci_u32_e64 v4, null, v14, v4, s4
	s_wait_dscnt 0x0
	global_store_b16 v[3:4], v1, off
	s_branch .LBB434_6
.LBB434_29:
	s_mov_b32 s2, 0
.LBB434_30:
	s_delay_alu instid0(SALU_CYCLE_1)
	s_and_not1_b32 vcc_lo, exec_lo, s2
	s_cbranch_vccnz .LBB434_61
; %bb.31:
	v_mov_b32_e32 v1, 0
	s_mov_b32 s5, 0
	s_mov_b32 s4, s12
	global_load_u16 v2, v1, s[0:1] offset:46
	s_wait_loadcnt 0x0
	v_and_b32_e32 v4, 0xffff, v2
	s_delay_alu instid0(VALU_DEP_1) | instskip(SKIP_2) | instid1(VALU_DEP_1)
	v_mul_hi_u32 v3, ttmp9, v4
	v_mul_lo_u32 v2, ttmp9, v4
	s_wait_alu 0xfffe
	v_cmp_le_u64_e32 vcc_lo, s[4:5], v[2:3]
	s_cbranch_vccnz .LBB434_61
; %bb.32:
	s_add_nc_u64 s[0:1], s[0:1], 32
	v_and_b32_e32 v0, 0x3ff, v0
	s_load_b32 s0, s[0:1], 0x0
	s_lshl_b32 s6, 1, s14
	s_mov_b32 s12, s13
	s_wait_alu 0xfffe
	s_ashr_i32 s7, s6, 31
	s_cmp_lg_u32 s13, 0
	v_lshl_add_u32 v13, v0, 1, v12
	s_cselect_b32 s3, -1, 0
	s_wait_alu 0xfffe
	s_lshl_b64 s[16:17], s[6:7], 1
	s_mov_b32 s13, s5
	s_wait_alu 0xfffe
	s_lshl_b32 s1, s16, 1
	v_lshl_add_u32 v14, s6, 1, v13
	s_wait_alu 0xfffe
	v_add3_u32 v16, v12, s1, -2
	s_add_co_i32 s14, s14, 1
	s_mov_b32 s20, 0x3e9b6dac
	s_wait_kmcnt 0x0
	v_mul_lo_u32 v15, s0, v4
	v_cmp_eq_u32_e64 s0, 0, v0
	s_branch .LBB434_34
.LBB434_33:                             ;   in Loop: Header=BB434_34 Depth=1
	s_delay_alu instid0(VALU_DEP_2) | instskip(SKIP_2) | instid1(VALU_DEP_1)
	v_add_co_u32 v2, vcc_lo, v2, v15
	s_wait_alu 0xfffd
	v_add_co_ci_u32_e64 v3, null, 0, v3, vcc_lo
	v_cmp_le_u64_e32 vcc_lo, s[4:5], v[2:3]
	s_cbranch_vccnz .LBB434_61
.LBB434_34:                             ; =>This Loop Header: Depth=1
                                        ;     Child Loop BB434_37 Depth 2
                                        ;       Child Loop BB434_49 Depth 3
	s_and_not1_b32 vcc_lo, exec_lo, s3
	s_wait_alu 0xfffe
	s_cbranch_vccnz .LBB434_33
; %bb.35:                               ;   in Loop: Header=BB434_34 Depth=1
	v_add_co_u32 v4, vcc_lo, v2, v11
	s_wait_alu 0xfffd
	v_add_co_ci_u32_e64 v5, null, 0, v3, vcc_lo
	s_mov_b64 s[18:19], 0
	v_mad_co_u64_u32 v[6:7], null, v4, s12, 0
	v_cmp_gt_u64_e64 s1, s[4:5], v[4:5]
	v_cmp_le_u64_e64 s2, s[4:5], v[4:5]
	s_delay_alu instid0(VALU_DEP_3) | instskip(SKIP_1) | instid1(VALU_DEP_2)
	v_mad_co_u64_u32 v[7:8], null, v5, s12, v[7:8]
	v_mov_b32_e32 v8, s15
	v_lshlrev_b64_e32 v[6:7], 1, v[6:7]
	s_delay_alu instid0(VALU_DEP_1) | instskip(SKIP_1) | instid1(VALU_DEP_2)
	v_add_co_u32 v17, vcc_lo, s10, v6
	s_wait_alu 0xfffd
	v_add_co_ci_u32_e64 v18, null, s11, v7, vcc_lo
	v_add_co_u32 v19, vcc_lo, s8, v6
	s_wait_alu 0xfffd
	v_add_co_ci_u32_e64 v20, null, s9, v7, vcc_lo
	s_branch .LBB434_37
.LBB434_36:                             ;   in Loop: Header=BB434_37 Depth=2
	s_wait_alu 0xfffe
	s_or_b32 exec_lo, exec_lo, s21
	ds_load_u16 v8, v16
	s_add_nc_u64 s[18:19], s[18:19], s[16:17]
	s_wait_storecnt 0x0
	s_wait_loadcnt_dscnt 0x0
	s_wait_alu 0xfffe
	v_cmp_ge_u64_e64 s21, s[18:19], s[12:13]
	s_barrier_signal -1
	s_barrier_wait -1
	global_inv scope:SCOPE_SE
	s_and_b32 vcc_lo, exec_lo, s21
	s_wait_alu 0xfffe
	s_cbranch_vccnz .LBB434_33
.LBB434_37:                             ;   Parent Loop BB434_34 Depth=1
                                        ; =>  This Loop Header: Depth=2
                                        ;       Child Loop BB434_49 Depth 3
	s_wait_alu 0xfffe
	v_add_co_u32 v6, s21, s18, v0
	s_wait_alu 0xf1ff
	v_add_co_ci_u32_e64 v7, null, s19, 0, s21
	s_delay_alu instid0(VALU_DEP_2) | instskip(SKIP_1) | instid1(VALU_DEP_2)
	v_add_co_u32 v4, vcc_lo, v6, s6
	s_wait_alu 0xfffd
	v_add_co_ci_u32_e64 v5, null, s7, v7, vcc_lo
	s_and_saveexec_b32 s21, s1
	s_cbranch_execz .LBB434_46
; %bb.38:                               ;   in Loop: Header=BB434_37 Depth=2
	v_mov_b32_e32 v9, s15
	s_mov_b32 s22, exec_lo
	v_cmpx_gt_u64_e64 s[12:13], v[6:7]
	s_cbranch_execz .LBB434_40
; %bb.39:                               ;   in Loop: Header=BB434_37 Depth=2
	v_lshlrev_b64_e32 v[9:10], 1, v[6:7]
	s_delay_alu instid0(VALU_DEP_1) | instskip(SKIP_1) | instid1(VALU_DEP_2)
	v_add_co_u32 v9, vcc_lo, v17, v9
	s_wait_alu 0xfffd
	v_add_co_ci_u32_e64 v10, null, v18, v10, vcc_lo
	global_load_u16 v9, v[9:10], off
.LBB434_40:                             ;   in Loop: Header=BB434_37 Depth=2
	s_or_b32 exec_lo, exec_lo, s22
	v_mov_b32_e32 v10, s15
	s_mov_b32 s22, exec_lo
	s_wait_loadcnt 0x0
	ds_store_b16 v13, v9
	v_cmpx_gt_u64_e64 s[12:13], v[4:5]
	s_cbranch_execz .LBB434_42
; %bb.41:                               ;   in Loop: Header=BB434_37 Depth=2
	v_lshlrev_b64_e32 v[9:10], 1, v[4:5]
	s_delay_alu instid0(VALU_DEP_1) | instskip(SKIP_1) | instid1(VALU_DEP_2)
	v_add_co_u32 v9, vcc_lo, v17, v9
	s_wait_alu 0xfffd
	v_add_co_ci_u32_e64 v10, null, v18, v10, vcc_lo
	global_load_u16 v10, v[9:10], off
.LBB434_42:                             ;   in Loop: Header=BB434_37 Depth=2
	s_or_b32 exec_lo, exec_lo, s22
	s_wait_loadcnt 0x0
	ds_store_b16 v14, v10
	s_and_b32 exec_lo, exec_lo, s0
	s_cbranch_execz .LBB434_46
; %bb.43:                               ;   in Loop: Header=BB434_37 Depth=2
	ds_load_u16 v9, v12
	v_cvt_f32_f16_e32 v21, v8
	s_wait_dscnt 0x0
	v_cvt_f32_f16_e32 v10, v9
	v_cmp_u_f16_e32 vcc_lo, v9, v9
	s_delay_alu instid0(VALU_DEP_2) | instskip(SKIP_1) | instid1(VALU_DEP_1)
	v_max_num_f32_e32 v23, v10, v21
	s_wait_alu 0xfffd
	v_dual_min_num_f32 v22, v10, v21 :: v_dual_cndmask_b32 v23, v23, v10
	s_delay_alu instid0(VALU_DEP_1) | instskip(SKIP_2) | instid1(VALU_DEP_2)
	v_cndmask_b32_e32 v22, v22, v10, vcc_lo
	v_cmp_u_f16_e32 vcc_lo, v8, v8
	s_wait_alu 0xfffd
	v_cndmask_b32_e32 v10, v22, v21, vcc_lo
	v_cndmask_b32_e32 v8, v23, v21, vcc_lo
	s_delay_alu instid0(VALU_DEP_2) | instskip(NEXT) | instid1(VALU_DEP_2)
	v_cmp_class_f32_e64 s22, v10, 0x1f8
	v_cmp_neq_f32_e32 vcc_lo, v10, v8
	s_or_b32 s23, vcc_lo, s22
	s_delay_alu instid0(SALU_CYCLE_1)
	s_and_saveexec_b32 s22, s23
	s_cbranch_execz .LBB434_45
; %bb.44:                               ;   in Loop: Header=BB434_37 Depth=2
	v_sub_f32_e32 v9, v10, v8
	s_delay_alu instid0(VALU_DEP_1) | instskip(SKIP_1) | instid1(VALU_DEP_2)
	v_mul_f32_e32 v10, 0x3fb8aa3b, v9
	v_cmp_ngt_f32_e32 vcc_lo, 0xc2ce8ed0, v9
	v_fma_f32 v21, 0x3fb8aa3b, v9, -v10
	v_rndne_f32_e32 v22, v10
	s_delay_alu instid0(VALU_DEP_1) | instskip(NEXT) | instid1(VALU_DEP_1)
	v_dual_fmac_f32 v21, 0x32a5705f, v9 :: v_dual_sub_f32 v10, v10, v22
	v_add_f32_e32 v10, v10, v21
	v_cvt_i32_f32_e32 v21, v22
	s_delay_alu instid0(VALU_DEP_2) | instskip(NEXT) | instid1(TRANS32_DEP_1)
	v_exp_f32_e32 v10, v10
	v_ldexp_f32 v10, v10, v21
	s_wait_alu 0xfffd
	s_delay_alu instid0(VALU_DEP_1) | instskip(SKIP_2) | instid1(VALU_DEP_2)
	v_cndmask_b32_e32 v10, 0, v10, vcc_lo
	v_cmp_nlt_f32_e32 vcc_lo, 0x42b17218, v9
	s_wait_alu 0xfffd
	v_cndmask_b32_e32 v21, 0x7f800000, v10, vcc_lo
	s_delay_alu instid0(VALU_DEP_1) | instskip(NEXT) | instid1(VALU_DEP_1)
	v_add_f32_e32 v22, 1.0, v21
	v_cvt_f64_f32_e32 v[9:10], v22
	s_delay_alu instid0(VALU_DEP_1) | instskip(SKIP_1) | instid1(VALU_DEP_1)
	v_frexp_exp_i32_f64_e32 v9, v[9:10]
	v_frexp_mant_f32_e32 v10, v22
	v_cmp_gt_f32_e32 vcc_lo, 0x3f2aaaab, v10
	v_add_f32_e32 v10, -1.0, v22
	s_delay_alu instid0(VALU_DEP_1) | instskip(NEXT) | instid1(VALU_DEP_1)
	v_sub_f32_e32 v24, v10, v22
	v_add_f32_e32 v24, 1.0, v24
	v_sub_f32_e32 v10, v21, v10
	s_wait_alu 0xfffd
	v_subrev_co_ci_u32_e64 v9, null, 0, v9, vcc_lo
	v_cmp_neq_f32_e32 vcc_lo, 0x7f800000, v21
	s_delay_alu instid0(VALU_DEP_2) | instskip(SKIP_1) | instid1(VALU_DEP_2)
	v_sub_nc_u32_e32 v23, 0, v9
	v_cvt_f32_i32_e32 v9, v9
	v_ldexp_f32 v22, v22, v23
	s_delay_alu instid0(VALU_DEP_1) | instskip(NEXT) | instid1(VALU_DEP_1)
	v_dual_add_f32 v25, 1.0, v22 :: v_dual_add_f32 v10, v10, v24
	v_add_f32_e32 v24, -1.0, v25
	s_delay_alu instid0(VALU_DEP_2) | instskip(NEXT) | instid1(VALU_DEP_2)
	v_ldexp_f32 v10, v10, v23
	v_dual_add_f32 v23, -1.0, v22 :: v_dual_sub_f32 v24, v22, v24
	s_delay_alu instid0(VALU_DEP_1) | instskip(NEXT) | instid1(VALU_DEP_2)
	v_add_f32_e32 v26, 1.0, v23
	v_add_f32_e32 v24, v10, v24
	s_delay_alu instid0(VALU_DEP_2) | instskip(NEXT) | instid1(VALU_DEP_2)
	v_sub_f32_e32 v22, v22, v26
	v_add_f32_e32 v26, v25, v24
	s_delay_alu instid0(VALU_DEP_2) | instskip(NEXT) | instid1(VALU_DEP_2)
	v_add_f32_e32 v10, v10, v22
	v_rcp_f32_e32 v22, v26
	v_sub_f32_e32 v25, v25, v26
	s_delay_alu instid0(VALU_DEP_1) | instskip(NEXT) | instid1(VALU_DEP_1)
	v_dual_add_f32 v27, v23, v10 :: v_dual_add_f32 v24, v24, v25
	v_sub_f32_e32 v23, v23, v27
	s_delay_alu instid0(TRANS32_DEP_1) | instskip(NEXT) | instid1(VALU_DEP_2)
	v_mul_f32_e32 v28, v27, v22
	v_add_f32_e32 v10, v10, v23
	s_delay_alu instid0(VALU_DEP_2) | instskip(NEXT) | instid1(VALU_DEP_1)
	v_mul_f32_e32 v29, v26, v28
	v_fma_f32 v25, v28, v26, -v29
	s_delay_alu instid0(VALU_DEP_1) | instskip(NEXT) | instid1(VALU_DEP_1)
	v_fmac_f32_e32 v25, v28, v24
	v_add_f32_e32 v30, v29, v25
	s_delay_alu instid0(VALU_DEP_1) | instskip(SKIP_1) | instid1(VALU_DEP_2)
	v_sub_f32_e32 v31, v27, v30
	v_sub_f32_e32 v23, v30, v29
	;; [unrolled: 1-line block ×3, first 2 shown]
	s_delay_alu instid0(VALU_DEP_2) | instskip(NEXT) | instid1(VALU_DEP_2)
	v_sub_f32_e32 v23, v23, v25
	v_sub_f32_e32 v27, v27, v30
	s_delay_alu instid0(VALU_DEP_1) | instskip(NEXT) | instid1(VALU_DEP_1)
	v_add_f32_e32 v10, v10, v27
	v_add_f32_e32 v10, v23, v10
	s_delay_alu instid0(VALU_DEP_1) | instskip(NEXT) | instid1(VALU_DEP_1)
	v_add_f32_e32 v23, v31, v10
	v_mul_f32_e32 v25, v22, v23
	s_delay_alu instid0(VALU_DEP_1) | instskip(NEXT) | instid1(VALU_DEP_1)
	v_dual_sub_f32 v30, v31, v23 :: v_dual_mul_f32 v27, v26, v25
	v_add_f32_e32 v10, v10, v30
	s_delay_alu instid0(VALU_DEP_2) | instskip(NEXT) | instid1(VALU_DEP_1)
	v_fma_f32 v26, v25, v26, -v27
	v_fmac_f32_e32 v26, v25, v24
	s_delay_alu instid0(VALU_DEP_1) | instskip(NEXT) | instid1(VALU_DEP_1)
	v_add_f32_e32 v24, v27, v26
	v_sub_f32_e32 v29, v23, v24
	v_sub_f32_e32 v27, v24, v27
	s_delay_alu instid0(VALU_DEP_2) | instskip(NEXT) | instid1(VALU_DEP_1)
	v_sub_f32_e32 v23, v23, v29
	v_sub_f32_e32 v23, v23, v24
	s_delay_alu instid0(VALU_DEP_1) | instskip(NEXT) | instid1(VALU_DEP_4)
	v_dual_add_f32 v10, v10, v23 :: v_dual_add_f32 v23, v28, v25
	v_sub_f32_e32 v24, v27, v26
	s_delay_alu instid0(VALU_DEP_1) | instskip(NEXT) | instid1(VALU_DEP_3)
	v_add_f32_e32 v10, v24, v10
	v_sub_f32_e32 v24, v23, v28
	s_delay_alu instid0(VALU_DEP_2) | instskip(NEXT) | instid1(VALU_DEP_2)
	v_add_f32_e32 v10, v29, v10
	v_sub_f32_e32 v24, v25, v24
	s_delay_alu instid0(VALU_DEP_2) | instskip(NEXT) | instid1(VALU_DEP_1)
	v_mul_f32_e32 v10, v22, v10
	v_add_f32_e32 v10, v24, v10
	s_delay_alu instid0(VALU_DEP_1) | instskip(NEXT) | instid1(VALU_DEP_1)
	v_add_f32_e32 v22, v23, v10
	v_mul_f32_e32 v24, v22, v22
	s_delay_alu instid0(VALU_DEP_1) | instskip(SKIP_1) | instid1(VALU_DEP_2)
	v_fmaak_f32 v25, s20, v24, 0x3ecc95a3
	v_mul_f32_e32 v26, v22, v24
	v_fmaak_f32 v24, v24, v25, 0x3f2aaada
	v_ldexp_f32 v25, v22, 1
	v_sub_f32_e32 v22, v22, v23
	s_delay_alu instid0(VALU_DEP_3) | instskip(SKIP_1) | instid1(VALU_DEP_2)
	v_mul_f32_e32 v24, v26, v24
	v_mul_f32_e32 v26, 0x3f317218, v9
	v_dual_sub_f32 v10, v10, v22 :: v_dual_add_f32 v23, v25, v24
	s_delay_alu instid0(VALU_DEP_1) | instskip(NEXT) | instid1(VALU_DEP_2)
	v_ldexp_f32 v10, v10, 1
	v_sub_f32_e32 v22, v23, v25
	s_delay_alu instid0(VALU_DEP_4) | instskip(NEXT) | instid1(VALU_DEP_1)
	v_fma_f32 v25, 0x3f317218, v9, -v26
	v_dual_sub_f32 v22, v24, v22 :: v_dual_fmac_f32 v25, 0xb102e308, v9
	s_delay_alu instid0(VALU_DEP_1) | instskip(NEXT) | instid1(VALU_DEP_2)
	v_add_f32_e32 v9, v10, v22
	v_add_f32_e32 v10, v26, v25
	s_delay_alu instid0(VALU_DEP_2) | instskip(NEXT) | instid1(VALU_DEP_2)
	v_add_f32_e32 v22, v23, v9
	v_sub_f32_e32 v26, v10, v26
	s_delay_alu instid0(VALU_DEP_2) | instskip(SKIP_1) | instid1(VALU_DEP_3)
	v_add_f32_e32 v24, v10, v22
	v_sub_f32_e32 v23, v22, v23
	v_sub_f32_e32 v25, v25, v26
	s_delay_alu instid0(VALU_DEP_3) | instskip(NEXT) | instid1(VALU_DEP_3)
	v_sub_f32_e32 v27, v24, v10
	v_sub_f32_e32 v9, v9, v23
	s_delay_alu instid0(VALU_DEP_2) | instskip(NEXT) | instid1(VALU_DEP_2)
	v_sub_f32_e32 v28, v24, v27
	v_dual_sub_f32 v22, v22, v27 :: v_dual_add_f32 v23, v25, v9
	s_delay_alu instid0(VALU_DEP_2) | instskip(NEXT) | instid1(VALU_DEP_1)
	v_sub_f32_e32 v10, v10, v28
	v_add_f32_e32 v10, v22, v10
	s_delay_alu instid0(VALU_DEP_3) | instskip(NEXT) | instid1(VALU_DEP_2)
	v_sub_f32_e32 v22, v23, v25
	v_add_f32_e32 v10, v23, v10
	s_delay_alu instid0(VALU_DEP_2) | instskip(SKIP_1) | instid1(VALU_DEP_2)
	v_sub_f32_e32 v23, v23, v22
	v_sub_f32_e32 v9, v9, v22
	v_dual_add_f32 v26, v24, v10 :: v_dual_sub_f32 v23, v25, v23
	s_delay_alu instid0(VALU_DEP_1) | instskip(NEXT) | instid1(VALU_DEP_1)
	v_dual_sub_f32 v22, v26, v24 :: v_dual_add_f32 v9, v9, v23
	v_sub_f32_e32 v10, v10, v22
	s_delay_alu instid0(VALU_DEP_1) | instskip(NEXT) | instid1(VALU_DEP_1)
	v_add_f32_e32 v9, v9, v10
	v_add_f32_e32 v9, v26, v9
	s_wait_alu 0xfffd
	s_delay_alu instid0(VALU_DEP_1) | instskip(SKIP_2) | instid1(VALU_DEP_2)
	v_cndmask_b32_e32 v9, 0x7f800000, v9, vcc_lo
	v_cmp_gt_f32_e64 vcc_lo, 0x33800000, |v21|
	s_wait_alu 0xfffd
	v_cndmask_b32_e32 v9, v9, v21, vcc_lo
	s_delay_alu instid0(VALU_DEP_1) | instskip(NEXT) | instid1(VALU_DEP_1)
	v_add_f32_e32 v8, v8, v9
	v_cvt_f16_f32_e32 v9, v8
.LBB434_45:                             ;   in Loop: Header=BB434_37 Depth=2
	s_or_b32 exec_lo, exec_lo, s22
	ds_store_b16 v12, v9
.LBB434_46:                             ;   in Loop: Header=BB434_37 Depth=2
	s_wait_alu 0xfffe
	s_or_b32 exec_lo, exec_lo, s21
	v_mov_b32_e32 v22, 0
	s_mov_b32 s21, 0
	s_wait_dscnt 0x0
	s_barrier_signal -1
	s_barrier_wait -1
	global_inv scope:SCOPE_SE
	s_branch .LBB434_49
.LBB434_47:                             ;   in Loop: Header=BB434_49 Depth=3
	s_or_b32 exec_lo, exec_lo, s23
	ds_store_b16 v8, v10
.LBB434_48:                             ;   in Loop: Header=BB434_49 Depth=3
	s_or_b32 exec_lo, exec_lo, s22
	s_delay_alu instid0(VALU_DEP_1)
	v_cmp_eq_u32_e32 vcc_lo, s14, v21
	v_mov_b32_e32 v22, v21
	s_wait_loadcnt_dscnt 0x0
	s_barrier_signal -1
	s_barrier_wait -1
	s_wait_alu 0xfffe
	s_or_b32 s21, vcc_lo, s21
	global_inv scope:SCOPE_SE
	s_wait_alu 0xfffe
	s_and_not1_b32 exec_lo, exec_lo, s21
	s_cbranch_execz .LBB434_56
.LBB434_49:                             ;   Parent Loop BB434_34 Depth=1
                                        ;     Parent Loop BB434_37 Depth=2
                                        ; =>    This Inner Loop Header: Depth=3
	v_add_nc_u32_e32 v21, 1, v22
	s_and_saveexec_b32 s22, s2
	s_delay_alu instid0(SALU_CYCLE_1)
	s_xor_b32 s22, exec_lo, s22
; %bb.50:                               ;   in Loop: Header=BB434_49 Depth=3
	v_add_nc_u32_e32 v21, 1, v22
                                        ; implicit-def: $vgpr22
; %bb.51:                               ;   in Loop: Header=BB434_49 Depth=3
	s_and_not1_saveexec_b32 s22, s22
	s_cbranch_execz .LBB434_48
; %bb.52:                               ;   in Loop: Header=BB434_49 Depth=3
	v_lshlrev_b32_e64 v8, v22, 1
	s_delay_alu instid0(VALU_DEP_1) | instskip(NEXT) | instid1(VALU_DEP_1)
	v_ashrrev_i32_e32 v9, 31, v8
	v_cmp_ge_u64_e32 vcc_lo, v[0:1], v[8:9]
	v_dual_mov_b32 v10, v1 :: v_dual_mov_b32 v9, v0
	s_and_saveexec_b32 s23, vcc_lo
	s_cbranch_execz .LBB434_54
; %bb.53:                               ;   in Loop: Header=BB434_49 Depth=3
	v_cvt_f32_u32_e32 v9, v8
	v_sub_nc_u32_e32 v10, 0, v8
	s_delay_alu instid0(VALU_DEP_2) | instskip(NEXT) | instid1(TRANS32_DEP_1)
	v_rcp_iflag_f32_e32 v9, v9
	v_mul_f32_e32 v9, 0x4f7ffffe, v9
	s_delay_alu instid0(VALU_DEP_1) | instskip(NEXT) | instid1(VALU_DEP_1)
	v_cvt_u32_f32_e32 v9, v9
	v_mul_lo_u32 v10, v10, v9
	s_delay_alu instid0(VALU_DEP_1) | instskip(NEXT) | instid1(VALU_DEP_1)
	v_mul_hi_u32 v10, v9, v10
	v_add_nc_u32_e32 v9, v9, v10
	s_delay_alu instid0(VALU_DEP_1) | instskip(NEXT) | instid1(VALU_DEP_1)
	v_mul_hi_u32 v9, v0, v9
	v_mul_lo_u32 v9, v9, v8
	s_delay_alu instid0(VALU_DEP_1) | instskip(NEXT) | instid1(VALU_DEP_1)
	v_sub_nc_u32_e32 v9, v0, v9
	v_sub_nc_u32_e32 v10, v9, v8
	v_cmp_ge_u32_e32 vcc_lo, v9, v8
	s_wait_alu 0xfffd
	s_delay_alu instid0(VALU_DEP_2) | instskip(NEXT) | instid1(VALU_DEP_1)
	v_cndmask_b32_e32 v9, v9, v10, vcc_lo
	v_sub_nc_u32_e32 v10, v9, v8
	v_cmp_ge_u32_e32 vcc_lo, v9, v8
	s_wait_alu 0xfffd
	s_delay_alu instid0(VALU_DEP_2)
	v_cndmask_b32_e32 v9, v9, v10, vcc_lo
.LBB434_54:                             ;   in Loop: Header=BB434_49 Depth=3
	s_or_b32 exec_lo, exec_lo, s23
	v_lshrrev_b32_e32 v10, v22, v0
	s_delay_alu instid0(VALU_DEP_1) | instskip(NEXT) | instid1(VALU_DEP_1)
	v_lshl_or_b32 v8, v10, v21, v8
	v_lshl_add_u32 v10, v8, 1, v12
	s_delay_alu instid0(VALU_DEP_1)
	v_lshl_add_u32 v8, v9, 1, v10
	v_add_nc_u32_e32 v9, -2, v10
	ds_load_u16 v10, v8
	ds_load_u16 v9, v9
	s_wait_dscnt 0x1
	v_cvt_f32_f16_e32 v22, v10
	s_wait_dscnt 0x0
	v_cvt_f32_f16_e32 v23, v9
	v_cmp_u_f16_e32 vcc_lo, v10, v10
	s_delay_alu instid0(VALU_DEP_2) | instskip(SKIP_1) | instid1(VALU_DEP_1)
	v_min_num_f32_e32 v24, v22, v23
	s_wait_alu 0xfffd
	v_dual_max_num_f32 v25, v22, v23 :: v_dual_cndmask_b32 v24, v24, v22
	s_delay_alu instid0(VALU_DEP_1) | instskip(SKIP_2) | instid1(VALU_DEP_3)
	v_cndmask_b32_e32 v25, v25, v22, vcc_lo
	v_cmp_u_f16_e32 vcc_lo, v9, v9
	s_wait_alu 0xfffd
	v_cndmask_b32_e32 v22, v24, v23, vcc_lo
	s_delay_alu instid0(VALU_DEP_3) | instskip(NEXT) | instid1(VALU_DEP_2)
	v_cndmask_b32_e32 v9, v25, v23, vcc_lo
	v_cmp_class_f32_e64 s23, v22, 0x1f8
	s_delay_alu instid0(VALU_DEP_2) | instskip(SKIP_1) | instid1(SALU_CYCLE_1)
	v_cmp_neq_f32_e32 vcc_lo, v22, v9
	s_or_b32 s24, vcc_lo, s23
	s_and_saveexec_b32 s23, s24
	s_cbranch_execz .LBB434_47
; %bb.55:                               ;   in Loop: Header=BB434_49 Depth=3
	v_sub_f32_e32 v10, v22, v9
	s_delay_alu instid0(VALU_DEP_1) | instskip(SKIP_1) | instid1(VALU_DEP_2)
	v_mul_f32_e32 v22, 0x3fb8aa3b, v10
	v_cmp_ngt_f32_e32 vcc_lo, 0xc2ce8ed0, v10
	v_fma_f32 v23, 0x3fb8aa3b, v10, -v22
	v_rndne_f32_e32 v24, v22
	s_delay_alu instid0(VALU_DEP_1) | instskip(NEXT) | instid1(VALU_DEP_1)
	v_dual_fmac_f32 v23, 0x32a5705f, v10 :: v_dual_sub_f32 v22, v22, v24
	v_add_f32_e32 v22, v22, v23
	v_cvt_i32_f32_e32 v23, v24
	s_delay_alu instid0(VALU_DEP_2) | instskip(NEXT) | instid1(TRANS32_DEP_1)
	v_exp_f32_e32 v22, v22
	v_ldexp_f32 v22, v22, v23
	s_wait_alu 0xfffd
	s_delay_alu instid0(VALU_DEP_1) | instskip(SKIP_2) | instid1(VALU_DEP_2)
	v_cndmask_b32_e32 v22, 0, v22, vcc_lo
	v_cmp_nlt_f32_e32 vcc_lo, 0x42b17218, v10
	s_wait_alu 0xfffd
	v_cndmask_b32_e32 v10, 0x7f800000, v22, vcc_lo
	s_delay_alu instid0(VALU_DEP_1) | instskip(NEXT) | instid1(VALU_DEP_1)
	v_add_f32_e32 v24, 1.0, v10
	v_cvt_f64_f32_e32 v[22:23], v24
	s_delay_alu instid0(VALU_DEP_1) | instskip(SKIP_1) | instid1(VALU_DEP_1)
	v_frexp_exp_i32_f64_e32 v22, v[22:23]
	v_frexp_mant_f32_e32 v23, v24
	v_cmp_gt_f32_e32 vcc_lo, 0x3f2aaaab, v23
	v_add_f32_e32 v23, -1.0, v24
	s_delay_alu instid0(VALU_DEP_1) | instskip(SKIP_2) | instid1(VALU_DEP_1)
	v_dual_sub_f32 v26, v23, v24 :: v_dual_sub_f32 v23, v10, v23
	s_wait_alu 0xfffd
	v_subrev_co_ci_u32_e64 v22, null, 0, v22, vcc_lo
	v_sub_nc_u32_e32 v25, 0, v22
	v_cvt_f32_i32_e32 v22, v22
	s_delay_alu instid0(VALU_DEP_2) | instskip(NEXT) | instid1(VALU_DEP_1)
	v_ldexp_f32 v24, v24, v25
	v_dual_add_f32 v27, 1.0, v24 :: v_dual_add_f32 v26, 1.0, v26
	s_delay_alu instid0(VALU_DEP_1) | instskip(NEXT) | instid1(VALU_DEP_1)
	v_dual_add_f32 v23, v23, v26 :: v_dual_add_f32 v26, -1.0, v27
	v_ldexp_f32 v23, v23, v25
	s_delay_alu instid0(VALU_DEP_2) | instskip(NEXT) | instid1(VALU_DEP_1)
	v_dual_add_f32 v25, -1.0, v24 :: v_dual_sub_f32 v26, v24, v26
	v_add_f32_e32 v28, 1.0, v25
	s_delay_alu instid0(VALU_DEP_2) | instskip(NEXT) | instid1(VALU_DEP_2)
	v_add_f32_e32 v26, v23, v26
	v_sub_f32_e32 v24, v24, v28
	s_delay_alu instid0(VALU_DEP_1) | instskip(SKIP_1) | instid1(VALU_DEP_2)
	v_add_f32_e32 v23, v23, v24
	v_cmp_neq_f32_e32 vcc_lo, 0x7f800000, v10
	v_add_f32_e32 v29, v25, v23
	s_delay_alu instid0(VALU_DEP_1) | instskip(NEXT) | instid1(VALU_DEP_1)
	v_dual_sub_f32 v25, v25, v29 :: v_dual_add_f32 v28, v27, v26
	v_add_f32_e32 v23, v23, v25
	s_delay_alu instid0(VALU_DEP_2) | instskip(SKIP_1) | instid1(VALU_DEP_1)
	v_rcp_f32_e32 v24, v28
	v_sub_f32_e32 v27, v27, v28
	v_add_f32_e32 v26, v26, v27
	s_delay_alu instid0(TRANS32_DEP_1) | instskip(NEXT) | instid1(VALU_DEP_1)
	v_mul_f32_e32 v30, v29, v24
	v_mul_f32_e32 v31, v28, v30
	s_delay_alu instid0(VALU_DEP_1) | instskip(NEXT) | instid1(VALU_DEP_1)
	v_fma_f32 v27, v30, v28, -v31
	v_fmac_f32_e32 v27, v30, v26
	s_delay_alu instid0(VALU_DEP_1) | instskip(NEXT) | instid1(VALU_DEP_1)
	v_add_f32_e32 v32, v31, v27
	v_sub_f32_e32 v33, v29, v32
	v_sub_f32_e32 v25, v32, v31
	s_delay_alu instid0(VALU_DEP_2) | instskip(NEXT) | instid1(VALU_DEP_1)
	v_sub_f32_e32 v29, v29, v33
	v_sub_f32_e32 v29, v29, v32
	s_delay_alu instid0(VALU_DEP_3) | instskip(NEXT) | instid1(VALU_DEP_2)
	v_sub_f32_e32 v25, v25, v27
	v_add_f32_e32 v23, v23, v29
	s_delay_alu instid0(VALU_DEP_1) | instskip(NEXT) | instid1(VALU_DEP_1)
	v_add_f32_e32 v23, v25, v23
	v_add_f32_e32 v25, v33, v23
	s_delay_alu instid0(VALU_DEP_1) | instskip(NEXT) | instid1(VALU_DEP_1)
	v_mul_f32_e32 v27, v24, v25
	v_dual_sub_f32 v32, v33, v25 :: v_dual_mul_f32 v29, v28, v27
	s_delay_alu instid0(VALU_DEP_1) | instskip(NEXT) | instid1(VALU_DEP_2)
	v_add_f32_e32 v23, v23, v32
	v_fma_f32 v28, v27, v28, -v29
	s_delay_alu instid0(VALU_DEP_1) | instskip(NEXT) | instid1(VALU_DEP_1)
	v_fmac_f32_e32 v28, v27, v26
	v_add_f32_e32 v26, v29, v28
	s_delay_alu instid0(VALU_DEP_1) | instskip(NEXT) | instid1(VALU_DEP_1)
	v_sub_f32_e32 v31, v25, v26
	v_sub_f32_e32 v25, v25, v31
	s_delay_alu instid0(VALU_DEP_1) | instskip(NEXT) | instid1(VALU_DEP_1)
	v_sub_f32_e32 v25, v25, v26
	v_add_f32_e32 v23, v23, v25
	v_add_f32_e32 v25, v30, v27
	v_sub_f32_e32 v29, v26, v29
	s_delay_alu instid0(VALU_DEP_1) | instskip(NEXT) | instid1(VALU_DEP_1)
	v_sub_f32_e32 v26, v29, v28
	v_dual_add_f32 v23, v26, v23 :: v_dual_sub_f32 v26, v25, v30
	s_delay_alu instid0(VALU_DEP_1) | instskip(NEXT) | instid1(VALU_DEP_1)
	v_add_f32_e32 v23, v31, v23
	v_dual_sub_f32 v26, v27, v26 :: v_dual_mul_f32 v23, v24, v23
	s_delay_alu instid0(VALU_DEP_1) | instskip(NEXT) | instid1(VALU_DEP_1)
	v_add_f32_e32 v23, v26, v23
	v_add_f32_e32 v24, v25, v23
	s_delay_alu instid0(VALU_DEP_1) | instskip(NEXT) | instid1(VALU_DEP_1)
	v_mul_f32_e32 v26, v24, v24
	v_fmaak_f32 v27, s20, v26, 0x3ecc95a3
	v_mul_f32_e32 v28, v24, v26
	s_delay_alu instid0(VALU_DEP_2) | instskip(SKIP_1) | instid1(VALU_DEP_2)
	v_fmaak_f32 v26, v26, v27, 0x3f2aaada
	v_ldexp_f32 v27, v24, 1
	v_mul_f32_e32 v26, v28, v26
	v_mul_f32_e32 v28, 0x3f317218, v22
	s_delay_alu instid0(VALU_DEP_2) | instskip(NEXT) | instid1(VALU_DEP_1)
	v_dual_sub_f32 v24, v24, v25 :: v_dual_add_f32 v25, v27, v26
	v_dual_sub_f32 v23, v23, v24 :: v_dual_sub_f32 v24, v25, v27
	s_delay_alu instid0(VALU_DEP_3) | instskip(NEXT) | instid1(VALU_DEP_2)
	v_fma_f32 v27, 0x3f317218, v22, -v28
	v_ldexp_f32 v23, v23, 1
	s_delay_alu instid0(VALU_DEP_2) | instskip(NEXT) | instid1(VALU_DEP_1)
	v_dual_sub_f32 v24, v26, v24 :: v_dual_fmac_f32 v27, 0xb102e308, v22
	v_dual_add_f32 v22, v23, v24 :: v_dual_add_f32 v23, v28, v27
	s_delay_alu instid0(VALU_DEP_1) | instskip(NEXT) | instid1(VALU_DEP_1)
	v_add_f32_e32 v24, v25, v22
	v_add_f32_e32 v26, v23, v24
	s_delay_alu instid0(VALU_DEP_1) | instskip(NEXT) | instid1(VALU_DEP_1)
	v_sub_f32_e32 v29, v26, v23
	v_sub_f32_e32 v30, v26, v29
	v_sub_f32_e32 v25, v24, v25
	s_delay_alu instid0(VALU_DEP_1) | instskip(SKIP_1) | instid1(VALU_DEP_1)
	v_sub_f32_e32 v22, v22, v25
	v_sub_f32_e32 v28, v23, v28
	v_dual_sub_f32 v24, v24, v29 :: v_dual_sub_f32 v27, v27, v28
	s_delay_alu instid0(VALU_DEP_1) | instskip(SKIP_1) | instid1(VALU_DEP_1)
	v_add_f32_e32 v25, v27, v22
	v_sub_f32_e32 v23, v23, v30
	v_add_f32_e32 v23, v24, v23
	s_delay_alu instid0(VALU_DEP_3) | instskip(NEXT) | instid1(VALU_DEP_1)
	v_sub_f32_e32 v24, v25, v27
	v_dual_sub_f32 v22, v22, v24 :: v_dual_add_f32 v23, v25, v23
	s_delay_alu instid0(VALU_DEP_1) | instskip(NEXT) | instid1(VALU_DEP_1)
	v_dual_sub_f32 v25, v25, v24 :: v_dual_add_f32 v28, v26, v23
	v_dual_sub_f32 v24, v28, v26 :: v_dual_sub_f32 v25, v27, v25
	s_delay_alu instid0(VALU_DEP_1) | instskip(NEXT) | instid1(VALU_DEP_1)
	v_dual_sub_f32 v23, v23, v24 :: v_dual_add_f32 v22, v22, v25
	v_add_f32_e32 v22, v22, v23
	s_delay_alu instid0(VALU_DEP_1) | instskip(SKIP_1) | instid1(VALU_DEP_1)
	v_add_f32_e32 v22, v28, v22
	s_wait_alu 0xfffd
	v_cndmask_b32_e32 v22, 0x7f800000, v22, vcc_lo
	v_cmp_gt_f32_e64 vcc_lo, 0x33800000, |v10|
	s_wait_alu 0xfffd
	s_delay_alu instid0(VALU_DEP_2) | instskip(NEXT) | instid1(VALU_DEP_1)
	v_cndmask_b32_e32 v10, v22, v10, vcc_lo
	v_add_f32_e32 v9, v9, v10
	s_delay_alu instid0(VALU_DEP_1)
	v_cvt_f16_f32_e32 v10, v9
	s_branch .LBB434_47
.LBB434_56:                             ;   in Loop: Header=BB434_37 Depth=2
	s_or_b32 exec_lo, exec_lo, s21
	s_and_saveexec_b32 s21, s1
	s_cbranch_execz .LBB434_36
; %bb.57:                               ;   in Loop: Header=BB434_37 Depth=2
	s_mov_b32 s22, exec_lo
	v_cmpx_gt_u64_e64 s[12:13], v[6:7]
	s_cbranch_execz .LBB434_59
; %bb.58:                               ;   in Loop: Header=BB434_37 Depth=2
	ds_load_u16 v8, v13
	v_lshlrev_b64_e32 v[6:7], 1, v[6:7]
	s_delay_alu instid0(VALU_DEP_1) | instskip(SKIP_1) | instid1(VALU_DEP_2)
	v_add_co_u32 v6, vcc_lo, v19, v6
	s_wait_alu 0xfffd
	v_add_co_ci_u32_e64 v7, null, v20, v7, vcc_lo
	s_wait_dscnt 0x0
	global_store_b16 v[6:7], v8, off
.LBB434_59:                             ;   in Loop: Header=BB434_37 Depth=2
	s_or_b32 exec_lo, exec_lo, s22
	v_cmp_gt_u64_e32 vcc_lo, s[12:13], v[4:5]
	s_and_b32 exec_lo, exec_lo, vcc_lo
	s_cbranch_execz .LBB434_36
; %bb.60:                               ;   in Loop: Header=BB434_37 Depth=2
	ds_load_u16 v6, v14
	v_lshlrev_b64_e32 v[4:5], 1, v[4:5]
	s_delay_alu instid0(VALU_DEP_1) | instskip(SKIP_1) | instid1(VALU_DEP_2)
	v_add_co_u32 v4, vcc_lo, v19, v4
	s_wait_alu 0xfffd
	v_add_co_ci_u32_e64 v5, null, v20, v5, vcc_lo
	s_wait_dscnt 0x0
	global_store_b16 v[4:5], v6, off
	s_branch .LBB434_36
.LBB434_61:
	s_endpgm
	.section	.rodata,"a",@progbits
	.p2align	6, 0x0
	.amdhsa_kernel _ZN2at6native32tensor_kernel_scan_innermost_dimIN3c104HalfEZZZNS0_31launch_logcumsumexp_cuda_kernelERKNS_10TensorBaseES6_lENKUlvE_clEvENKUlvE3_clEvEUlS3_S3_E_EEvPT_PKSA_jjjSA_T0_
		.amdhsa_group_segment_fixed_size 0
		.amdhsa_private_segment_fixed_size 0
		.amdhsa_kernarg_size 288
		.amdhsa_user_sgpr_count 2
		.amdhsa_user_sgpr_dispatch_ptr 0
		.amdhsa_user_sgpr_queue_ptr 0
		.amdhsa_user_sgpr_kernarg_segment_ptr 1
		.amdhsa_user_sgpr_dispatch_id 0
		.amdhsa_user_sgpr_private_segment_size 0
		.amdhsa_wavefront_size32 1
		.amdhsa_uses_dynamic_stack 0
		.amdhsa_enable_private_segment 0
		.amdhsa_system_sgpr_workgroup_id_x 1
		.amdhsa_system_sgpr_workgroup_id_y 0
		.amdhsa_system_sgpr_workgroup_id_z 0
		.amdhsa_system_sgpr_workgroup_info 0
		.amdhsa_system_vgpr_workitem_id 1
		.amdhsa_next_free_vgpr 34
		.amdhsa_next_free_sgpr 25
		.amdhsa_reserve_vcc 1
		.amdhsa_float_round_mode_32 0
		.amdhsa_float_round_mode_16_64 0
		.amdhsa_float_denorm_mode_32 3
		.amdhsa_float_denorm_mode_16_64 3
		.amdhsa_fp16_overflow 0
		.amdhsa_workgroup_processor_mode 1
		.amdhsa_memory_ordered 1
		.amdhsa_forward_progress 1
		.amdhsa_inst_pref_size 46
		.amdhsa_round_robin_scheduling 0
		.amdhsa_exception_fp_ieee_invalid_op 0
		.amdhsa_exception_fp_denorm_src 0
		.amdhsa_exception_fp_ieee_div_zero 0
		.amdhsa_exception_fp_ieee_overflow 0
		.amdhsa_exception_fp_ieee_underflow 0
		.amdhsa_exception_fp_ieee_inexact 0
		.amdhsa_exception_int_div_zero 0
	.end_amdhsa_kernel
	.section	.text._ZN2at6native32tensor_kernel_scan_innermost_dimIN3c104HalfEZZZNS0_31launch_logcumsumexp_cuda_kernelERKNS_10TensorBaseES6_lENKUlvE_clEvENKUlvE3_clEvEUlS3_S3_E_EEvPT_PKSA_jjjSA_T0_,"axG",@progbits,_ZN2at6native32tensor_kernel_scan_innermost_dimIN3c104HalfEZZZNS0_31launch_logcumsumexp_cuda_kernelERKNS_10TensorBaseES6_lENKUlvE_clEvENKUlvE3_clEvEUlS3_S3_E_EEvPT_PKSA_jjjSA_T0_,comdat
.Lfunc_end434:
	.size	_ZN2at6native32tensor_kernel_scan_innermost_dimIN3c104HalfEZZZNS0_31launch_logcumsumexp_cuda_kernelERKNS_10TensorBaseES6_lENKUlvE_clEvENKUlvE3_clEvEUlS3_S3_E_EEvPT_PKSA_jjjSA_T0_, .Lfunc_end434-_ZN2at6native32tensor_kernel_scan_innermost_dimIN3c104HalfEZZZNS0_31launch_logcumsumexp_cuda_kernelERKNS_10TensorBaseES6_lENKUlvE_clEvENKUlvE3_clEvEUlS3_S3_E_EEvPT_PKSA_jjjSA_T0_
                                        ; -- End function
	.set _ZN2at6native32tensor_kernel_scan_innermost_dimIN3c104HalfEZZZNS0_31launch_logcumsumexp_cuda_kernelERKNS_10TensorBaseES6_lENKUlvE_clEvENKUlvE3_clEvEUlS3_S3_E_EEvPT_PKSA_jjjSA_T0_.num_vgpr, 34
	.set _ZN2at6native32tensor_kernel_scan_innermost_dimIN3c104HalfEZZZNS0_31launch_logcumsumexp_cuda_kernelERKNS_10TensorBaseES6_lENKUlvE_clEvENKUlvE3_clEvEUlS3_S3_E_EEvPT_PKSA_jjjSA_T0_.num_agpr, 0
	.set _ZN2at6native32tensor_kernel_scan_innermost_dimIN3c104HalfEZZZNS0_31launch_logcumsumexp_cuda_kernelERKNS_10TensorBaseES6_lENKUlvE_clEvENKUlvE3_clEvEUlS3_S3_E_EEvPT_PKSA_jjjSA_T0_.numbered_sgpr, 25
	.set _ZN2at6native32tensor_kernel_scan_innermost_dimIN3c104HalfEZZZNS0_31launch_logcumsumexp_cuda_kernelERKNS_10TensorBaseES6_lENKUlvE_clEvENKUlvE3_clEvEUlS3_S3_E_EEvPT_PKSA_jjjSA_T0_.num_named_barrier, 0
	.set _ZN2at6native32tensor_kernel_scan_innermost_dimIN3c104HalfEZZZNS0_31launch_logcumsumexp_cuda_kernelERKNS_10TensorBaseES6_lENKUlvE_clEvENKUlvE3_clEvEUlS3_S3_E_EEvPT_PKSA_jjjSA_T0_.private_seg_size, 0
	.set _ZN2at6native32tensor_kernel_scan_innermost_dimIN3c104HalfEZZZNS0_31launch_logcumsumexp_cuda_kernelERKNS_10TensorBaseES6_lENKUlvE_clEvENKUlvE3_clEvEUlS3_S3_E_EEvPT_PKSA_jjjSA_T0_.uses_vcc, 1
	.set _ZN2at6native32tensor_kernel_scan_innermost_dimIN3c104HalfEZZZNS0_31launch_logcumsumexp_cuda_kernelERKNS_10TensorBaseES6_lENKUlvE_clEvENKUlvE3_clEvEUlS3_S3_E_EEvPT_PKSA_jjjSA_T0_.uses_flat_scratch, 0
	.set _ZN2at6native32tensor_kernel_scan_innermost_dimIN3c104HalfEZZZNS0_31launch_logcumsumexp_cuda_kernelERKNS_10TensorBaseES6_lENKUlvE_clEvENKUlvE3_clEvEUlS3_S3_E_EEvPT_PKSA_jjjSA_T0_.has_dyn_sized_stack, 0
	.set _ZN2at6native32tensor_kernel_scan_innermost_dimIN3c104HalfEZZZNS0_31launch_logcumsumexp_cuda_kernelERKNS_10TensorBaseES6_lENKUlvE_clEvENKUlvE3_clEvEUlS3_S3_E_EEvPT_PKSA_jjjSA_T0_.has_recursion, 0
	.set _ZN2at6native32tensor_kernel_scan_innermost_dimIN3c104HalfEZZZNS0_31launch_logcumsumexp_cuda_kernelERKNS_10TensorBaseES6_lENKUlvE_clEvENKUlvE3_clEvEUlS3_S3_E_EEvPT_PKSA_jjjSA_T0_.has_indirect_call, 0
	.section	.AMDGPU.csdata,"",@progbits
; Kernel info:
; codeLenInByte = 5884
; TotalNumSgprs: 27
; NumVgprs: 34
; ScratchSize: 0
; MemoryBound: 0
; FloatMode: 240
; IeeeMode: 1
; LDSByteSize: 0 bytes/workgroup (compile time only)
; SGPRBlocks: 0
; VGPRBlocks: 4
; NumSGPRsForWavesPerEU: 27
; NumVGPRsForWavesPerEU: 34
; Occupancy: 16
; WaveLimiterHint : 0
; COMPUTE_PGM_RSRC2:SCRATCH_EN: 0
; COMPUTE_PGM_RSRC2:USER_SGPR: 2
; COMPUTE_PGM_RSRC2:TRAP_HANDLER: 0
; COMPUTE_PGM_RSRC2:TGID_X_EN: 1
; COMPUTE_PGM_RSRC2:TGID_Y_EN: 0
; COMPUTE_PGM_RSRC2:TGID_Z_EN: 0
; COMPUTE_PGM_RSRC2:TIDIG_COMP_CNT: 1
	.section	.text._ZN2at6native28tensor_kernel_scan_outer_dimIN3c104HalfEjZZZNS0_31launch_logcumsumexp_cuda_kernelERKNS_10TensorBaseES6_lENKUlvE_clEvENKUlvE3_clEvEUlS3_S3_E_EEvPT_PKSA_jjjSA_T1_,"axG",@progbits,_ZN2at6native28tensor_kernel_scan_outer_dimIN3c104HalfEjZZZNS0_31launch_logcumsumexp_cuda_kernelERKNS_10TensorBaseES6_lENKUlvE_clEvENKUlvE3_clEvEUlS3_S3_E_EEvPT_PKSA_jjjSA_T1_,comdat
	.globl	_ZN2at6native28tensor_kernel_scan_outer_dimIN3c104HalfEjZZZNS0_31launch_logcumsumexp_cuda_kernelERKNS_10TensorBaseES6_lENKUlvE_clEvENKUlvE3_clEvEUlS3_S3_E_EEvPT_PKSA_jjjSA_T1_ ; -- Begin function _ZN2at6native28tensor_kernel_scan_outer_dimIN3c104HalfEjZZZNS0_31launch_logcumsumexp_cuda_kernelERKNS_10TensorBaseES6_lENKUlvE_clEvENKUlvE3_clEvEUlS3_S3_E_EEvPT_PKSA_jjjSA_T1_
	.p2align	8
	.type	_ZN2at6native28tensor_kernel_scan_outer_dimIN3c104HalfEjZZZNS0_31launch_logcumsumexp_cuda_kernelERKNS_10TensorBaseES6_lENKUlvE_clEvENKUlvE3_clEvEUlS3_S3_E_EEvPT_PKSA_jjjSA_T1_,@function
_ZN2at6native28tensor_kernel_scan_outer_dimIN3c104HalfEjZZZNS0_31launch_logcumsumexp_cuda_kernelERKNS_10TensorBaseES6_lENKUlvE_clEvENKUlvE3_clEvEUlS3_S3_E_EEvPT_PKSA_jjjSA_T1_: ; @_ZN2at6native28tensor_kernel_scan_outer_dimIN3c104HalfEjZZZNS0_31launch_logcumsumexp_cuda_kernelERKNS_10TensorBaseES6_lENKUlvE_clEvENKUlvE3_clEvEUlS3_S3_E_EEvPT_PKSA_jjjSA_T1_
; %bb.0:
	s_load_b128 s[4:7], s[0:1], 0x10
	s_wait_kmcnt 0x0
	s_cmp_ge_u32 ttmp9, s4
	s_cbranch_scc1 .LBB435_11
; %bb.1:
	s_clause 0x2
	s_load_b32 s12, s[0:1], 0x2c
	s_load_b32 s19, s[0:1], 0x20
	s_load_b128 s[8:11], s[0:1], 0x0
	s_add_nc_u64 s[2:3], s[0:1], 32
	s_mul_i32 s0, ttmp9, s6
	v_mov_b32_e32 v2, 0
	s_mul_i32 s16, s0, s5
	s_mov_b32 s13, 0
	s_mov_b32 s18, ttmp9
	s_mov_b32 s22, 0x3e9b6dac
	s_wait_kmcnt 0x0
	s_and_b32 s1, s12, 0xffff
	s_mov_b32 s12, s5
	v_mad_co_u64_u32 v[0:1], null, ttmp7, s1, v[0:1]
	s_mul_i32 s20, s19, s6
	s_cmp_lg_u32 s6, 0
	s_mul_i32 s20, s20, s5
	s_cselect_b32 s21, -1, 0
	s_lshl_b64 s[14:15], s[12:13], 1
	s_mov_b32 s12, s16
	v_cmp_gt_u32_e64 s0, s5, v0
	s_branch .LBB435_3
.LBB435_2:                              ;   in Loop: Header=BB435_3 Depth=1
	s_wait_alu 0xfffe
	s_or_b32 exec_lo, exec_lo, s23
	s_add_co_i32 s18, s19, s18
	s_add_co_i32 s12, s12, s20
	s_cmp_ge_u32 s18, s4
	s_cbranch_scc1 .LBB435_11
.LBB435_3:                              ; =>This Loop Header: Depth=1
                                        ;     Child Loop BB435_6 Depth 2
                                        ;       Child Loop BB435_9 Depth 3
	s_delay_alu instid0(VALU_DEP_1)
	s_and_saveexec_b32 s23, s0
	s_cbranch_execz .LBB435_2
; %bb.4:                                ;   in Loop: Header=BB435_3 Depth=1
	s_load_b32 s24, s[2:3], 0x4
	v_mov_b32_e32 v1, v0
	s_lshl_b64 s[16:17], s[12:13], 1
	s_mov_b32 s25, 0
	s_wait_kmcnt 0x0
	s_mul_i32 s24, s24, s1
	s_branch .LBB435_6
.LBB435_5:                              ;   in Loop: Header=BB435_6 Depth=2
	s_wait_alu 0xfffe
	v_add_nc_u32_e32 v1, s24, v1
	s_delay_alu instid0(VALU_DEP_1)
	v_cmp_le_u32_e32 vcc_lo, s5, v1
	s_or_b32 s25, vcc_lo, s25
	s_wait_alu 0xfffe
	s_and_not1_b32 exec_lo, exec_lo, s25
	s_cbranch_execz .LBB435_2
.LBB435_6:                              ;   Parent Loop BB435_3 Depth=1
                                        ; =>  This Loop Header: Depth=2
                                        ;       Child Loop BB435_9 Depth 3
	s_and_not1_b32 vcc_lo, exec_lo, s21
	s_wait_alu 0xfffe
	s_cbranch_vccnz .LBB435_5
; %bb.7:                                ;   in Loop: Header=BB435_6 Depth=2
	v_lshlrev_b64_e32 v[3:4], 1, v[1:2]
	v_mov_b32_e32 v6, s7
	s_mov_b32 s26, s6
	s_delay_alu instid0(VALU_DEP_2) | instskip(SKIP_1) | instid1(VALU_DEP_3)
	v_add_co_u32 v3, vcc_lo, s16, v3
	s_wait_alu 0xfffd
	v_add_co_ci_u32_e64 v4, null, s17, v4, vcc_lo
	s_branch .LBB435_9
.LBB435_8:                              ;   in Loop: Header=BB435_9 Depth=3
	s_or_b32 exec_lo, exec_lo, s27
	v_add_co_u32 v7, vcc_lo, s8, v3
	s_wait_alu 0xfffd
	v_add_co_ci_u32_e64 v8, null, s9, v4, vcc_lo
	v_add_co_u32 v3, vcc_lo, v3, s14
	s_wait_alu 0xfffd
	v_add_co_ci_u32_e64 v4, null, s15, v4, vcc_lo
	s_add_co_i32 s26, s26, -1
	global_store_b16 v[7:8], v6, off
	s_cmp_eq_u32 s26, 0
	s_cbranch_scc1 .LBB435_5
.LBB435_9:                              ;   Parent Loop BB435_3 Depth=1
                                        ;     Parent Loop BB435_6 Depth=2
                                        ; =>    This Inner Loop Header: Depth=3
	s_delay_alu instid0(VALU_DEP_2) | instskip(SKIP_1) | instid1(VALU_DEP_2)
	v_add_co_u32 v7, vcc_lo, s10, v3
	s_wait_alu 0xfffd
	v_add_co_ci_u32_e64 v8, null, s11, v4, vcc_lo
	v_cmp_u_f16_e32 vcc_lo, v6, v6
	global_load_u16 v5, v[7:8], off
	v_cvt_f32_f16_e32 v7, v6
	s_wait_loadcnt 0x0
	v_cvt_f32_f16_e32 v8, v5
	s_delay_alu instid0(VALU_DEP_1) | instskip(SKIP_1) | instid1(VALU_DEP_1)
	v_max_num_f32_e32 v10, v7, v8
	s_wait_alu 0xfffd
	v_dual_min_num_f32 v9, v7, v8 :: v_dual_cndmask_b32 v10, v10, v7
	s_delay_alu instid0(VALU_DEP_1) | instskip(SKIP_2) | instid1(VALU_DEP_2)
	v_cndmask_b32_e32 v9, v9, v7, vcc_lo
	v_cmp_u_f16_e32 vcc_lo, v5, v5
	s_wait_alu 0xfffd
	v_cndmask_b32_e32 v7, v9, v8, vcc_lo
	v_cndmask_b32_e32 v5, v10, v8, vcc_lo
	s_delay_alu instid0(VALU_DEP_2) | instskip(NEXT) | instid1(VALU_DEP_2)
	v_cmp_class_f32_e64 s27, v7, 0x1f8
	v_cmp_neq_f32_e32 vcc_lo, v7, v5
	s_or_b32 s28, vcc_lo, s27
	s_delay_alu instid0(SALU_CYCLE_1)
	s_and_saveexec_b32 s27, s28
	s_cbranch_execz .LBB435_8
; %bb.10:                               ;   in Loop: Header=BB435_9 Depth=3
	v_sub_f32_e32 v6, v7, v5
	s_delay_alu instid0(VALU_DEP_1) | instskip(SKIP_1) | instid1(VALU_DEP_2)
	v_mul_f32_e32 v7, 0x3fb8aa3b, v6
	v_cmp_ngt_f32_e32 vcc_lo, 0xc2ce8ed0, v6
	v_fma_f32 v8, 0x3fb8aa3b, v6, -v7
	v_rndne_f32_e32 v9, v7
	s_delay_alu instid0(VALU_DEP_1) | instskip(NEXT) | instid1(VALU_DEP_1)
	v_dual_fmac_f32 v8, 0x32a5705f, v6 :: v_dual_sub_f32 v7, v7, v9
	v_add_f32_e32 v7, v7, v8
	v_cvt_i32_f32_e32 v8, v9
	s_delay_alu instid0(VALU_DEP_2) | instskip(NEXT) | instid1(TRANS32_DEP_1)
	v_exp_f32_e32 v7, v7
	v_ldexp_f32 v7, v7, v8
	s_wait_alu 0xfffd
	s_delay_alu instid0(VALU_DEP_1) | instskip(SKIP_2) | instid1(VALU_DEP_2)
	v_cndmask_b32_e32 v7, 0, v7, vcc_lo
	v_cmp_nlt_f32_e32 vcc_lo, 0x42b17218, v6
	s_wait_alu 0xfffd
	v_cndmask_b32_e32 v8, 0x7f800000, v7, vcc_lo
	s_delay_alu instid0(VALU_DEP_1) | instskip(NEXT) | instid1(VALU_DEP_1)
	v_add_f32_e32 v9, 1.0, v8
	v_cvt_f64_f32_e32 v[6:7], v9
	s_delay_alu instid0(VALU_DEP_1) | instskip(SKIP_1) | instid1(VALU_DEP_1)
	v_frexp_exp_i32_f64_e32 v6, v[6:7]
	v_frexp_mant_f32_e32 v7, v9
	v_cmp_gt_f32_e32 vcc_lo, 0x3f2aaaab, v7
	v_add_f32_e32 v7, -1.0, v9
	s_delay_alu instid0(VALU_DEP_1) | instskip(SKIP_4) | instid1(VALU_DEP_2)
	v_sub_f32_e32 v11, v7, v9
	v_sub_f32_e32 v7, v8, v7
	s_wait_alu 0xfffd
	v_subrev_co_ci_u32_e64 v6, null, 0, v6, vcc_lo
	v_cmp_neq_f32_e32 vcc_lo, 0x7f800000, v8
	v_sub_nc_u32_e32 v10, 0, v6
	v_cvt_f32_i32_e32 v6, v6
	s_delay_alu instid0(VALU_DEP_2) | instskip(NEXT) | instid1(VALU_DEP_1)
	v_ldexp_f32 v9, v9, v10
	v_dual_add_f32 v12, 1.0, v9 :: v_dual_add_f32 v11, 1.0, v11
	s_delay_alu instid0(VALU_DEP_1) | instskip(NEXT) | instid1(VALU_DEP_2)
	v_add_f32_e32 v7, v7, v11
	v_add_f32_e32 v11, -1.0, v12
	s_delay_alu instid0(VALU_DEP_2) | instskip(NEXT) | instid1(VALU_DEP_2)
	v_ldexp_f32 v7, v7, v10
	v_dual_add_f32 v10, -1.0, v9 :: v_dual_sub_f32 v11, v9, v11
	s_delay_alu instid0(VALU_DEP_1) | instskip(NEXT) | instid1(VALU_DEP_2)
	v_add_f32_e32 v13, 1.0, v10
	v_add_f32_e32 v11, v7, v11
	s_delay_alu instid0(VALU_DEP_2) | instskip(NEXT) | instid1(VALU_DEP_2)
	v_sub_f32_e32 v9, v9, v13
	v_add_f32_e32 v13, v12, v11
	s_delay_alu instid0(VALU_DEP_2) | instskip(NEXT) | instid1(VALU_DEP_2)
	v_add_f32_e32 v7, v7, v9
	v_rcp_f32_e32 v9, v13
	v_sub_f32_e32 v12, v12, v13
	s_delay_alu instid0(VALU_DEP_1) | instskip(NEXT) | instid1(VALU_DEP_1)
	v_dual_add_f32 v14, v10, v7 :: v_dual_add_f32 v11, v11, v12
	v_sub_f32_e32 v10, v10, v14
	s_delay_alu instid0(TRANS32_DEP_1) | instskip(NEXT) | instid1(VALU_DEP_1)
	v_mul_f32_e32 v15, v14, v9
	v_dual_add_f32 v7, v7, v10 :: v_dual_mul_f32 v16, v13, v15
	s_delay_alu instid0(VALU_DEP_1) | instskip(NEXT) | instid1(VALU_DEP_1)
	v_fma_f32 v12, v15, v13, -v16
	v_fmac_f32_e32 v12, v15, v11
	s_delay_alu instid0(VALU_DEP_1) | instskip(NEXT) | instid1(VALU_DEP_1)
	v_add_f32_e32 v17, v16, v12
	v_sub_f32_e32 v18, v14, v17
	v_sub_f32_e32 v10, v17, v16
	s_delay_alu instid0(VALU_DEP_2) | instskip(NEXT) | instid1(VALU_DEP_2)
	v_sub_f32_e32 v14, v14, v18
	v_sub_f32_e32 v10, v10, v12
	s_delay_alu instid0(VALU_DEP_2) | instskip(NEXT) | instid1(VALU_DEP_1)
	v_sub_f32_e32 v14, v14, v17
	v_add_f32_e32 v7, v7, v14
	s_delay_alu instid0(VALU_DEP_1) | instskip(NEXT) | instid1(VALU_DEP_1)
	v_add_f32_e32 v7, v10, v7
	v_add_f32_e32 v10, v18, v7
	s_delay_alu instid0(VALU_DEP_1) | instskip(NEXT) | instid1(VALU_DEP_1)
	v_mul_f32_e32 v12, v9, v10
	v_dual_sub_f32 v17, v18, v10 :: v_dual_mul_f32 v14, v13, v12
	s_delay_alu instid0(VALU_DEP_1) | instskip(NEXT) | instid1(VALU_DEP_2)
	v_add_f32_e32 v7, v7, v17
	v_fma_f32 v13, v12, v13, -v14
	s_delay_alu instid0(VALU_DEP_1) | instskip(NEXT) | instid1(VALU_DEP_1)
	v_fmac_f32_e32 v13, v12, v11
	v_add_f32_e32 v11, v14, v13
	s_delay_alu instid0(VALU_DEP_1) | instskip(SKIP_1) | instid1(VALU_DEP_2)
	v_sub_f32_e32 v16, v10, v11
	v_sub_f32_e32 v14, v11, v14
	;; [unrolled: 1-line block ×3, first 2 shown]
	s_delay_alu instid0(VALU_DEP_1) | instskip(NEXT) | instid1(VALU_DEP_3)
	v_sub_f32_e32 v10, v10, v11
	v_sub_f32_e32 v11, v14, v13
	s_delay_alu instid0(VALU_DEP_2) | instskip(SKIP_1) | instid1(VALU_DEP_2)
	v_add_f32_e32 v7, v7, v10
	v_add_f32_e32 v10, v15, v12
	;; [unrolled: 1-line block ×3, first 2 shown]
	s_delay_alu instid0(VALU_DEP_2) | instskip(NEXT) | instid1(VALU_DEP_2)
	v_sub_f32_e32 v11, v10, v15
	v_add_f32_e32 v7, v16, v7
	s_delay_alu instid0(VALU_DEP_2) | instskip(NEXT) | instid1(VALU_DEP_2)
	v_sub_f32_e32 v11, v12, v11
	v_mul_f32_e32 v7, v9, v7
	s_delay_alu instid0(VALU_DEP_1) | instskip(NEXT) | instid1(VALU_DEP_1)
	v_add_f32_e32 v7, v11, v7
	v_add_f32_e32 v9, v10, v7
	s_delay_alu instid0(VALU_DEP_1) | instskip(NEXT) | instid1(VALU_DEP_1)
	v_mul_f32_e32 v11, v9, v9
	v_fmaak_f32 v12, s22, v11, 0x3ecc95a3
	v_mul_f32_e32 v13, v9, v11
	s_delay_alu instid0(VALU_DEP_2) | instskip(SKIP_2) | instid1(VALU_DEP_3)
	v_fmaak_f32 v11, v11, v12, 0x3f2aaada
	v_ldexp_f32 v12, v9, 1
	v_sub_f32_e32 v9, v9, v10
	v_mul_f32_e32 v11, v13, v11
	v_mul_f32_e32 v13, 0x3f317218, v6
	s_delay_alu instid0(VALU_DEP_2) | instskip(NEXT) | instid1(VALU_DEP_1)
	v_dual_sub_f32 v7, v7, v9 :: v_dual_add_f32 v10, v12, v11
	v_ldexp_f32 v7, v7, 1
	s_delay_alu instid0(VALU_DEP_2) | instskip(NEXT) | instid1(VALU_DEP_4)
	v_sub_f32_e32 v9, v10, v12
	v_fma_f32 v12, 0x3f317218, v6, -v13
	s_delay_alu instid0(VALU_DEP_1) | instskip(NEXT) | instid1(VALU_DEP_1)
	v_dual_sub_f32 v9, v11, v9 :: v_dual_fmac_f32 v12, 0xb102e308, v6
	v_dual_add_f32 v6, v7, v9 :: v_dual_add_f32 v7, v13, v12
	s_delay_alu instid0(VALU_DEP_1) | instskip(NEXT) | instid1(VALU_DEP_2)
	v_add_f32_e32 v9, v10, v6
	v_sub_f32_e32 v13, v7, v13
	s_delay_alu instid0(VALU_DEP_2) | instskip(NEXT) | instid1(VALU_DEP_2)
	v_dual_add_f32 v11, v7, v9 :: v_dual_sub_f32 v10, v9, v10
	v_sub_f32_e32 v12, v12, v13
	s_delay_alu instid0(VALU_DEP_2) | instskip(NEXT) | instid1(VALU_DEP_3)
	v_sub_f32_e32 v14, v11, v7
	v_sub_f32_e32 v6, v6, v10
	s_delay_alu instid0(VALU_DEP_2) | instskip(SKIP_1) | instid1(VALU_DEP_2)
	v_sub_f32_e32 v15, v11, v14
	v_sub_f32_e32 v9, v9, v14
	v_dual_add_f32 v10, v12, v6 :: v_dual_sub_f32 v7, v7, v15
	s_delay_alu instid0(VALU_DEP_1) | instskip(NEXT) | instid1(VALU_DEP_2)
	v_add_f32_e32 v7, v9, v7
	v_sub_f32_e32 v9, v10, v12
	s_delay_alu instid0(VALU_DEP_2) | instskip(NEXT) | instid1(VALU_DEP_2)
	v_add_f32_e32 v7, v10, v7
	v_sub_f32_e32 v10, v10, v9
	s_delay_alu instid0(VALU_DEP_2) | instskip(NEXT) | instid1(VALU_DEP_1)
	v_dual_sub_f32 v6, v6, v9 :: v_dual_add_f32 v13, v11, v7
	v_dual_sub_f32 v10, v12, v10 :: v_dual_sub_f32 v9, v13, v11
	s_delay_alu instid0(VALU_DEP_1) | instskip(NEXT) | instid1(VALU_DEP_1)
	v_dual_add_f32 v6, v6, v10 :: v_dual_sub_f32 v7, v7, v9
	v_add_f32_e32 v6, v6, v7
	s_delay_alu instid0(VALU_DEP_1) | instskip(SKIP_1) | instid1(VALU_DEP_1)
	v_add_f32_e32 v6, v13, v6
	s_wait_alu 0xfffd
	v_cndmask_b32_e32 v6, 0x7f800000, v6, vcc_lo
	v_cmp_gt_f32_e64 vcc_lo, 0x33800000, |v8|
	s_wait_alu 0xfffd
	s_delay_alu instid0(VALU_DEP_2) | instskip(NEXT) | instid1(VALU_DEP_1)
	v_cndmask_b32_e32 v6, v6, v8, vcc_lo
	v_add_f32_e32 v5, v5, v6
	s_delay_alu instid0(VALU_DEP_1)
	v_cvt_f16_f32_e32 v6, v5
	s_branch .LBB435_8
.LBB435_11:
	s_endpgm
	.section	.rodata,"a",@progbits
	.p2align	6, 0x0
	.amdhsa_kernel _ZN2at6native28tensor_kernel_scan_outer_dimIN3c104HalfEjZZZNS0_31launch_logcumsumexp_cuda_kernelERKNS_10TensorBaseES6_lENKUlvE_clEvENKUlvE3_clEvEUlS3_S3_E_EEvPT_PKSA_jjjSA_T1_
		.amdhsa_group_segment_fixed_size 0
		.amdhsa_private_segment_fixed_size 0
		.amdhsa_kernarg_size 288
		.amdhsa_user_sgpr_count 2
		.amdhsa_user_sgpr_dispatch_ptr 0
		.amdhsa_user_sgpr_queue_ptr 0
		.amdhsa_user_sgpr_kernarg_segment_ptr 1
		.amdhsa_user_sgpr_dispatch_id 0
		.amdhsa_user_sgpr_private_segment_size 0
		.amdhsa_wavefront_size32 1
		.amdhsa_uses_dynamic_stack 0
		.amdhsa_enable_private_segment 0
		.amdhsa_system_sgpr_workgroup_id_x 1
		.amdhsa_system_sgpr_workgroup_id_y 1
		.amdhsa_system_sgpr_workgroup_id_z 0
		.amdhsa_system_sgpr_workgroup_info 0
		.amdhsa_system_vgpr_workitem_id 0
		.amdhsa_next_free_vgpr 19
		.amdhsa_next_free_sgpr 29
		.amdhsa_reserve_vcc 1
		.amdhsa_float_round_mode_32 0
		.amdhsa_float_round_mode_16_64 0
		.amdhsa_float_denorm_mode_32 3
		.amdhsa_float_denorm_mode_16_64 3
		.amdhsa_fp16_overflow 0
		.amdhsa_workgroup_processor_mode 1
		.amdhsa_memory_ordered 1
		.amdhsa_forward_progress 1
		.amdhsa_inst_pref_size 11
		.amdhsa_round_robin_scheduling 0
		.amdhsa_exception_fp_ieee_invalid_op 0
		.amdhsa_exception_fp_denorm_src 0
		.amdhsa_exception_fp_ieee_div_zero 0
		.amdhsa_exception_fp_ieee_overflow 0
		.amdhsa_exception_fp_ieee_underflow 0
		.amdhsa_exception_fp_ieee_inexact 0
		.amdhsa_exception_int_div_zero 0
	.end_amdhsa_kernel
	.section	.text._ZN2at6native28tensor_kernel_scan_outer_dimIN3c104HalfEjZZZNS0_31launch_logcumsumexp_cuda_kernelERKNS_10TensorBaseES6_lENKUlvE_clEvENKUlvE3_clEvEUlS3_S3_E_EEvPT_PKSA_jjjSA_T1_,"axG",@progbits,_ZN2at6native28tensor_kernel_scan_outer_dimIN3c104HalfEjZZZNS0_31launch_logcumsumexp_cuda_kernelERKNS_10TensorBaseES6_lENKUlvE_clEvENKUlvE3_clEvEUlS3_S3_E_EEvPT_PKSA_jjjSA_T1_,comdat
.Lfunc_end435:
	.size	_ZN2at6native28tensor_kernel_scan_outer_dimIN3c104HalfEjZZZNS0_31launch_logcumsumexp_cuda_kernelERKNS_10TensorBaseES6_lENKUlvE_clEvENKUlvE3_clEvEUlS3_S3_E_EEvPT_PKSA_jjjSA_T1_, .Lfunc_end435-_ZN2at6native28tensor_kernel_scan_outer_dimIN3c104HalfEjZZZNS0_31launch_logcumsumexp_cuda_kernelERKNS_10TensorBaseES6_lENKUlvE_clEvENKUlvE3_clEvEUlS3_S3_E_EEvPT_PKSA_jjjSA_T1_
                                        ; -- End function
	.set _ZN2at6native28tensor_kernel_scan_outer_dimIN3c104HalfEjZZZNS0_31launch_logcumsumexp_cuda_kernelERKNS_10TensorBaseES6_lENKUlvE_clEvENKUlvE3_clEvEUlS3_S3_E_EEvPT_PKSA_jjjSA_T1_.num_vgpr, 19
	.set _ZN2at6native28tensor_kernel_scan_outer_dimIN3c104HalfEjZZZNS0_31launch_logcumsumexp_cuda_kernelERKNS_10TensorBaseES6_lENKUlvE_clEvENKUlvE3_clEvEUlS3_S3_E_EEvPT_PKSA_jjjSA_T1_.num_agpr, 0
	.set _ZN2at6native28tensor_kernel_scan_outer_dimIN3c104HalfEjZZZNS0_31launch_logcumsumexp_cuda_kernelERKNS_10TensorBaseES6_lENKUlvE_clEvENKUlvE3_clEvEUlS3_S3_E_EEvPT_PKSA_jjjSA_T1_.numbered_sgpr, 29
	.set _ZN2at6native28tensor_kernel_scan_outer_dimIN3c104HalfEjZZZNS0_31launch_logcumsumexp_cuda_kernelERKNS_10TensorBaseES6_lENKUlvE_clEvENKUlvE3_clEvEUlS3_S3_E_EEvPT_PKSA_jjjSA_T1_.num_named_barrier, 0
	.set _ZN2at6native28tensor_kernel_scan_outer_dimIN3c104HalfEjZZZNS0_31launch_logcumsumexp_cuda_kernelERKNS_10TensorBaseES6_lENKUlvE_clEvENKUlvE3_clEvEUlS3_S3_E_EEvPT_PKSA_jjjSA_T1_.private_seg_size, 0
	.set _ZN2at6native28tensor_kernel_scan_outer_dimIN3c104HalfEjZZZNS0_31launch_logcumsumexp_cuda_kernelERKNS_10TensorBaseES6_lENKUlvE_clEvENKUlvE3_clEvEUlS3_S3_E_EEvPT_PKSA_jjjSA_T1_.uses_vcc, 1
	.set _ZN2at6native28tensor_kernel_scan_outer_dimIN3c104HalfEjZZZNS0_31launch_logcumsumexp_cuda_kernelERKNS_10TensorBaseES6_lENKUlvE_clEvENKUlvE3_clEvEUlS3_S3_E_EEvPT_PKSA_jjjSA_T1_.uses_flat_scratch, 0
	.set _ZN2at6native28tensor_kernel_scan_outer_dimIN3c104HalfEjZZZNS0_31launch_logcumsumexp_cuda_kernelERKNS_10TensorBaseES6_lENKUlvE_clEvENKUlvE3_clEvEUlS3_S3_E_EEvPT_PKSA_jjjSA_T1_.has_dyn_sized_stack, 0
	.set _ZN2at6native28tensor_kernel_scan_outer_dimIN3c104HalfEjZZZNS0_31launch_logcumsumexp_cuda_kernelERKNS_10TensorBaseES6_lENKUlvE_clEvENKUlvE3_clEvEUlS3_S3_E_EEvPT_PKSA_jjjSA_T1_.has_recursion, 0
	.set _ZN2at6native28tensor_kernel_scan_outer_dimIN3c104HalfEjZZZNS0_31launch_logcumsumexp_cuda_kernelERKNS_10TensorBaseES6_lENKUlvE_clEvENKUlvE3_clEvEUlS3_S3_E_EEvPT_PKSA_jjjSA_T1_.has_indirect_call, 0
	.section	.AMDGPU.csdata,"",@progbits
; Kernel info:
; codeLenInByte = 1300
; TotalNumSgprs: 31
; NumVgprs: 19
; ScratchSize: 0
; MemoryBound: 0
; FloatMode: 240
; IeeeMode: 1
; LDSByteSize: 0 bytes/workgroup (compile time only)
; SGPRBlocks: 0
; VGPRBlocks: 2
; NumSGPRsForWavesPerEU: 31
; NumVGPRsForWavesPerEU: 19
; Occupancy: 16
; WaveLimiterHint : 0
; COMPUTE_PGM_RSRC2:SCRATCH_EN: 0
; COMPUTE_PGM_RSRC2:USER_SGPR: 2
; COMPUTE_PGM_RSRC2:TRAP_HANDLER: 0
; COMPUTE_PGM_RSRC2:TGID_X_EN: 1
; COMPUTE_PGM_RSRC2:TGID_Y_EN: 1
; COMPUTE_PGM_RSRC2:TGID_Z_EN: 0
; COMPUTE_PGM_RSRC2:TIDIG_COMP_CNT: 0
	.section	.text._ZN2at6native28tensor_kernel_scan_outer_dimIN3c104HalfEmZZZNS0_31launch_logcumsumexp_cuda_kernelERKNS_10TensorBaseES6_lENKUlvE_clEvENKUlvE3_clEvEUlS3_S3_E_EEvPT_PKSA_jjjSA_T1_,"axG",@progbits,_ZN2at6native28tensor_kernel_scan_outer_dimIN3c104HalfEmZZZNS0_31launch_logcumsumexp_cuda_kernelERKNS_10TensorBaseES6_lENKUlvE_clEvENKUlvE3_clEvEUlS3_S3_E_EEvPT_PKSA_jjjSA_T1_,comdat
	.globl	_ZN2at6native28tensor_kernel_scan_outer_dimIN3c104HalfEmZZZNS0_31launch_logcumsumexp_cuda_kernelERKNS_10TensorBaseES6_lENKUlvE_clEvENKUlvE3_clEvEUlS3_S3_E_EEvPT_PKSA_jjjSA_T1_ ; -- Begin function _ZN2at6native28tensor_kernel_scan_outer_dimIN3c104HalfEmZZZNS0_31launch_logcumsumexp_cuda_kernelERKNS_10TensorBaseES6_lENKUlvE_clEvENKUlvE3_clEvEUlS3_S3_E_EEvPT_PKSA_jjjSA_T1_
	.p2align	8
	.type	_ZN2at6native28tensor_kernel_scan_outer_dimIN3c104HalfEmZZZNS0_31launch_logcumsumexp_cuda_kernelERKNS_10TensorBaseES6_lENKUlvE_clEvENKUlvE3_clEvEUlS3_S3_E_EEvPT_PKSA_jjjSA_T1_,@function
_ZN2at6native28tensor_kernel_scan_outer_dimIN3c104HalfEmZZZNS0_31launch_logcumsumexp_cuda_kernelERKNS_10TensorBaseES6_lENKUlvE_clEvENKUlvE3_clEvEUlS3_S3_E_EEvPT_PKSA_jjjSA_T1_: ; @_ZN2at6native28tensor_kernel_scan_outer_dimIN3c104HalfEmZZZNS0_31launch_logcumsumexp_cuda_kernelERKNS_10TensorBaseES6_lENKUlvE_clEvENKUlvE3_clEvEUlS3_S3_E_EEvPT_PKSA_jjjSA_T1_
; %bb.0:
	s_load_b128 s[4:7], s[0:1], 0x10
	s_wait_kmcnt 0x0
	s_cmp_ge_u32 ttmp9, s4
	s_cbranch_scc1 .LBB436_11
; %bb.1:
	s_clause 0x2
	s_load_b32 s12, s[0:1], 0x2c
	s_load_b128 s[8:11], s[0:1], 0x0
	s_load_b32 s20, s[0:1], 0x20
	s_mov_b32 s3, 0
	s_mov_b32 s2, s6
	;; [unrolled: 1-line block ×4, first 2 shown]
	v_mov_b32_e32 v2, 0
	s_mul_u64 s[14:15], s[2:3], s[16:17]
	s_mov_b32 s22, 0x3e9b6dac
	s_mov_b32 s2, ttmp9
	s_wait_kmcnt 0x0
	s_and_b32 s21, s12, 0xffff
	s_add_nc_u64 s[12:13], s[0:1], 32
	v_mad_co_u64_u32 v[0:1], null, ttmp7, s21, v[0:1]
	s_cmp_lg_u32 s6, 0
	s_cselect_b32 s1, -1, 0
	s_lshl_b64 s[14:15], s[14:15], 1
	s_lshl_b64 s[16:17], s[16:17], 1
	v_cmp_gt_u32_e64 s0, s5, v0
	s_branch .LBB436_3
.LBB436_2:                              ;   in Loop: Header=BB436_3 Depth=1
	s_wait_alu 0xfffe
	s_or_b32 exec_lo, exec_lo, s23
	s_add_co_i32 s2, s2, s20
	s_delay_alu instid0(SALU_CYCLE_1)
	s_cmp_ge_u32 s2, s4
	s_cbranch_scc1 .LBB436_11
.LBB436_3:                              ; =>This Loop Header: Depth=1
                                        ;     Child Loop BB436_6 Depth 2
                                        ;       Child Loop BB436_9 Depth 3
	s_delay_alu instid0(VALU_DEP_1)
	s_and_saveexec_b32 s23, s0
	s_cbranch_execz .LBB436_2
; %bb.4:                                ;   in Loop: Header=BB436_3 Depth=1
	s_load_b32 s24, s[12:13], 0x4
	v_mov_b32_e32 v1, v0
	s_mul_u64 s[18:19], s[14:15], s[2:3]
	s_mov_b32 s25, 0
	s_wait_kmcnt 0x0
	s_mul_i32 s24, s24, s21
	s_branch .LBB436_6
.LBB436_5:                              ;   in Loop: Header=BB436_6 Depth=2
	s_wait_alu 0xfffe
	v_add_nc_u32_e32 v1, s24, v1
	s_delay_alu instid0(VALU_DEP_1)
	v_cmp_le_u32_e32 vcc_lo, s5, v1
	s_or_b32 s25, vcc_lo, s25
	s_wait_alu 0xfffe
	s_and_not1_b32 exec_lo, exec_lo, s25
	s_cbranch_execz .LBB436_2
.LBB436_6:                              ;   Parent Loop BB436_3 Depth=1
                                        ; =>  This Loop Header: Depth=2
                                        ;       Child Loop BB436_9 Depth 3
	s_and_not1_b32 vcc_lo, exec_lo, s1
	s_wait_alu 0xfffe
	s_cbranch_vccnz .LBB436_5
; %bb.7:                                ;   in Loop: Header=BB436_6 Depth=2
	v_lshlrev_b64_e32 v[3:4], 1, v[1:2]
	v_mov_b32_e32 v6, s7
	s_mov_b32 s26, s6
	s_delay_alu instid0(VALU_DEP_2) | instskip(SKIP_1) | instid1(VALU_DEP_3)
	v_add_co_u32 v3, vcc_lo, s18, v3
	s_wait_alu 0xfffd
	v_add_co_ci_u32_e64 v4, null, s19, v4, vcc_lo
	s_branch .LBB436_9
.LBB436_8:                              ;   in Loop: Header=BB436_9 Depth=3
	s_or_b32 exec_lo, exec_lo, s27
	v_add_co_u32 v7, vcc_lo, s8, v3
	s_wait_alu 0xfffd
	v_add_co_ci_u32_e64 v8, null, s9, v4, vcc_lo
	v_add_co_u32 v3, vcc_lo, v3, s16
	s_wait_alu 0xfffd
	v_add_co_ci_u32_e64 v4, null, s17, v4, vcc_lo
	s_add_co_i32 s26, s26, -1
	global_store_b16 v[7:8], v6, off
	s_cmp_eq_u32 s26, 0
	s_cbranch_scc1 .LBB436_5
.LBB436_9:                              ;   Parent Loop BB436_3 Depth=1
                                        ;     Parent Loop BB436_6 Depth=2
                                        ; =>    This Inner Loop Header: Depth=3
	s_delay_alu instid0(VALU_DEP_2) | instskip(SKIP_1) | instid1(VALU_DEP_2)
	v_add_co_u32 v7, vcc_lo, s10, v3
	s_wait_alu 0xfffd
	v_add_co_ci_u32_e64 v8, null, s11, v4, vcc_lo
	v_cmp_u_f16_e32 vcc_lo, v6, v6
	global_load_u16 v5, v[7:8], off
	v_cvt_f32_f16_e32 v7, v6
	s_wait_loadcnt 0x0
	v_cvt_f32_f16_e32 v8, v5
	s_delay_alu instid0(VALU_DEP_1) | instskip(SKIP_1) | instid1(VALU_DEP_1)
	v_max_num_f32_e32 v10, v7, v8
	s_wait_alu 0xfffd
	v_dual_min_num_f32 v9, v7, v8 :: v_dual_cndmask_b32 v10, v10, v7
	s_delay_alu instid0(VALU_DEP_1) | instskip(SKIP_2) | instid1(VALU_DEP_2)
	v_cndmask_b32_e32 v9, v9, v7, vcc_lo
	v_cmp_u_f16_e32 vcc_lo, v5, v5
	s_wait_alu 0xfffd
	v_cndmask_b32_e32 v7, v9, v8, vcc_lo
	v_cndmask_b32_e32 v5, v10, v8, vcc_lo
	s_delay_alu instid0(VALU_DEP_2) | instskip(NEXT) | instid1(VALU_DEP_2)
	v_cmp_class_f32_e64 s27, v7, 0x1f8
	v_cmp_neq_f32_e32 vcc_lo, v7, v5
	s_or_b32 s28, vcc_lo, s27
	s_delay_alu instid0(SALU_CYCLE_1)
	s_and_saveexec_b32 s27, s28
	s_cbranch_execz .LBB436_8
; %bb.10:                               ;   in Loop: Header=BB436_9 Depth=3
	v_sub_f32_e32 v6, v7, v5
	s_delay_alu instid0(VALU_DEP_1) | instskip(SKIP_1) | instid1(VALU_DEP_2)
	v_mul_f32_e32 v7, 0x3fb8aa3b, v6
	v_cmp_ngt_f32_e32 vcc_lo, 0xc2ce8ed0, v6
	v_fma_f32 v8, 0x3fb8aa3b, v6, -v7
	v_rndne_f32_e32 v9, v7
	s_delay_alu instid0(VALU_DEP_1) | instskip(NEXT) | instid1(VALU_DEP_1)
	v_dual_fmac_f32 v8, 0x32a5705f, v6 :: v_dual_sub_f32 v7, v7, v9
	v_add_f32_e32 v7, v7, v8
	v_cvt_i32_f32_e32 v8, v9
	s_delay_alu instid0(VALU_DEP_2) | instskip(NEXT) | instid1(TRANS32_DEP_1)
	v_exp_f32_e32 v7, v7
	v_ldexp_f32 v7, v7, v8
	s_wait_alu 0xfffd
	s_delay_alu instid0(VALU_DEP_1) | instskip(SKIP_2) | instid1(VALU_DEP_2)
	v_cndmask_b32_e32 v7, 0, v7, vcc_lo
	v_cmp_nlt_f32_e32 vcc_lo, 0x42b17218, v6
	s_wait_alu 0xfffd
	v_cndmask_b32_e32 v8, 0x7f800000, v7, vcc_lo
	s_delay_alu instid0(VALU_DEP_1) | instskip(NEXT) | instid1(VALU_DEP_1)
	v_add_f32_e32 v9, 1.0, v8
	v_cvt_f64_f32_e32 v[6:7], v9
	s_delay_alu instid0(VALU_DEP_1) | instskip(SKIP_1) | instid1(VALU_DEP_1)
	v_frexp_exp_i32_f64_e32 v6, v[6:7]
	v_frexp_mant_f32_e32 v7, v9
	v_cmp_gt_f32_e32 vcc_lo, 0x3f2aaaab, v7
	v_add_f32_e32 v7, -1.0, v9
	s_delay_alu instid0(VALU_DEP_1) | instskip(SKIP_4) | instid1(VALU_DEP_2)
	v_sub_f32_e32 v11, v7, v9
	v_sub_f32_e32 v7, v8, v7
	s_wait_alu 0xfffd
	v_subrev_co_ci_u32_e64 v6, null, 0, v6, vcc_lo
	v_cmp_neq_f32_e32 vcc_lo, 0x7f800000, v8
	v_sub_nc_u32_e32 v10, 0, v6
	v_cvt_f32_i32_e32 v6, v6
	s_delay_alu instid0(VALU_DEP_2) | instskip(NEXT) | instid1(VALU_DEP_1)
	v_ldexp_f32 v9, v9, v10
	v_dual_add_f32 v12, 1.0, v9 :: v_dual_add_f32 v11, 1.0, v11
	s_delay_alu instid0(VALU_DEP_1) | instskip(NEXT) | instid1(VALU_DEP_2)
	v_add_f32_e32 v7, v7, v11
	v_add_f32_e32 v11, -1.0, v12
	s_delay_alu instid0(VALU_DEP_2) | instskip(NEXT) | instid1(VALU_DEP_2)
	v_ldexp_f32 v7, v7, v10
	v_dual_add_f32 v10, -1.0, v9 :: v_dual_sub_f32 v11, v9, v11
	s_delay_alu instid0(VALU_DEP_1) | instskip(NEXT) | instid1(VALU_DEP_2)
	v_add_f32_e32 v13, 1.0, v10
	v_add_f32_e32 v11, v7, v11
	s_delay_alu instid0(VALU_DEP_2) | instskip(NEXT) | instid1(VALU_DEP_2)
	v_sub_f32_e32 v9, v9, v13
	v_add_f32_e32 v13, v12, v11
	s_delay_alu instid0(VALU_DEP_2) | instskip(NEXT) | instid1(VALU_DEP_2)
	v_add_f32_e32 v7, v7, v9
	v_rcp_f32_e32 v9, v13
	v_sub_f32_e32 v12, v12, v13
	s_delay_alu instid0(VALU_DEP_1) | instskip(NEXT) | instid1(VALU_DEP_1)
	v_dual_add_f32 v14, v10, v7 :: v_dual_add_f32 v11, v11, v12
	v_sub_f32_e32 v10, v10, v14
	s_delay_alu instid0(TRANS32_DEP_1) | instskip(NEXT) | instid1(VALU_DEP_1)
	v_mul_f32_e32 v15, v14, v9
	v_dual_add_f32 v7, v7, v10 :: v_dual_mul_f32 v16, v13, v15
	s_delay_alu instid0(VALU_DEP_1) | instskip(NEXT) | instid1(VALU_DEP_1)
	v_fma_f32 v12, v15, v13, -v16
	v_fmac_f32_e32 v12, v15, v11
	s_delay_alu instid0(VALU_DEP_1) | instskip(NEXT) | instid1(VALU_DEP_1)
	v_add_f32_e32 v17, v16, v12
	v_sub_f32_e32 v18, v14, v17
	v_sub_f32_e32 v10, v17, v16
	s_delay_alu instid0(VALU_DEP_2) | instskip(NEXT) | instid1(VALU_DEP_2)
	v_sub_f32_e32 v14, v14, v18
	v_sub_f32_e32 v10, v10, v12
	s_delay_alu instid0(VALU_DEP_2) | instskip(NEXT) | instid1(VALU_DEP_1)
	v_sub_f32_e32 v14, v14, v17
	v_add_f32_e32 v7, v7, v14
	s_delay_alu instid0(VALU_DEP_1) | instskip(NEXT) | instid1(VALU_DEP_1)
	v_add_f32_e32 v7, v10, v7
	v_add_f32_e32 v10, v18, v7
	s_delay_alu instid0(VALU_DEP_1) | instskip(NEXT) | instid1(VALU_DEP_1)
	v_mul_f32_e32 v12, v9, v10
	v_dual_sub_f32 v17, v18, v10 :: v_dual_mul_f32 v14, v13, v12
	s_delay_alu instid0(VALU_DEP_1) | instskip(NEXT) | instid1(VALU_DEP_2)
	v_add_f32_e32 v7, v7, v17
	v_fma_f32 v13, v12, v13, -v14
	s_delay_alu instid0(VALU_DEP_1) | instskip(NEXT) | instid1(VALU_DEP_1)
	v_fmac_f32_e32 v13, v12, v11
	v_add_f32_e32 v11, v14, v13
	s_delay_alu instid0(VALU_DEP_1) | instskip(SKIP_1) | instid1(VALU_DEP_2)
	v_sub_f32_e32 v16, v10, v11
	v_sub_f32_e32 v14, v11, v14
	;; [unrolled: 1-line block ×3, first 2 shown]
	s_delay_alu instid0(VALU_DEP_1) | instskip(NEXT) | instid1(VALU_DEP_3)
	v_sub_f32_e32 v10, v10, v11
	v_sub_f32_e32 v11, v14, v13
	s_delay_alu instid0(VALU_DEP_2) | instskip(SKIP_1) | instid1(VALU_DEP_2)
	v_add_f32_e32 v7, v7, v10
	v_add_f32_e32 v10, v15, v12
	;; [unrolled: 1-line block ×3, first 2 shown]
	s_delay_alu instid0(VALU_DEP_2) | instskip(NEXT) | instid1(VALU_DEP_2)
	v_sub_f32_e32 v11, v10, v15
	v_add_f32_e32 v7, v16, v7
	s_delay_alu instid0(VALU_DEP_2) | instskip(NEXT) | instid1(VALU_DEP_2)
	v_sub_f32_e32 v11, v12, v11
	v_mul_f32_e32 v7, v9, v7
	s_delay_alu instid0(VALU_DEP_1) | instskip(NEXT) | instid1(VALU_DEP_1)
	v_add_f32_e32 v7, v11, v7
	v_add_f32_e32 v9, v10, v7
	s_delay_alu instid0(VALU_DEP_1) | instskip(NEXT) | instid1(VALU_DEP_1)
	v_mul_f32_e32 v11, v9, v9
	v_fmaak_f32 v12, s22, v11, 0x3ecc95a3
	v_mul_f32_e32 v13, v9, v11
	s_delay_alu instid0(VALU_DEP_2) | instskip(SKIP_2) | instid1(VALU_DEP_3)
	v_fmaak_f32 v11, v11, v12, 0x3f2aaada
	v_ldexp_f32 v12, v9, 1
	v_sub_f32_e32 v9, v9, v10
	v_mul_f32_e32 v11, v13, v11
	v_mul_f32_e32 v13, 0x3f317218, v6
	s_delay_alu instid0(VALU_DEP_2) | instskip(NEXT) | instid1(VALU_DEP_1)
	v_dual_sub_f32 v7, v7, v9 :: v_dual_add_f32 v10, v12, v11
	v_ldexp_f32 v7, v7, 1
	s_delay_alu instid0(VALU_DEP_2) | instskip(NEXT) | instid1(VALU_DEP_4)
	v_sub_f32_e32 v9, v10, v12
	v_fma_f32 v12, 0x3f317218, v6, -v13
	s_delay_alu instid0(VALU_DEP_1) | instskip(NEXT) | instid1(VALU_DEP_1)
	v_dual_sub_f32 v9, v11, v9 :: v_dual_fmac_f32 v12, 0xb102e308, v6
	v_dual_add_f32 v6, v7, v9 :: v_dual_add_f32 v7, v13, v12
	s_delay_alu instid0(VALU_DEP_1) | instskip(NEXT) | instid1(VALU_DEP_2)
	v_add_f32_e32 v9, v10, v6
	v_sub_f32_e32 v13, v7, v13
	s_delay_alu instid0(VALU_DEP_2) | instskip(NEXT) | instid1(VALU_DEP_2)
	v_dual_add_f32 v11, v7, v9 :: v_dual_sub_f32 v10, v9, v10
	v_sub_f32_e32 v12, v12, v13
	s_delay_alu instid0(VALU_DEP_2) | instskip(NEXT) | instid1(VALU_DEP_3)
	v_sub_f32_e32 v14, v11, v7
	v_sub_f32_e32 v6, v6, v10
	s_delay_alu instid0(VALU_DEP_2) | instskip(SKIP_1) | instid1(VALU_DEP_2)
	v_sub_f32_e32 v15, v11, v14
	v_sub_f32_e32 v9, v9, v14
	v_dual_add_f32 v10, v12, v6 :: v_dual_sub_f32 v7, v7, v15
	s_delay_alu instid0(VALU_DEP_1) | instskip(NEXT) | instid1(VALU_DEP_2)
	v_add_f32_e32 v7, v9, v7
	v_sub_f32_e32 v9, v10, v12
	s_delay_alu instid0(VALU_DEP_2) | instskip(NEXT) | instid1(VALU_DEP_2)
	v_add_f32_e32 v7, v10, v7
	v_sub_f32_e32 v10, v10, v9
	s_delay_alu instid0(VALU_DEP_2) | instskip(NEXT) | instid1(VALU_DEP_1)
	v_dual_sub_f32 v6, v6, v9 :: v_dual_add_f32 v13, v11, v7
	v_dual_sub_f32 v10, v12, v10 :: v_dual_sub_f32 v9, v13, v11
	s_delay_alu instid0(VALU_DEP_1) | instskip(NEXT) | instid1(VALU_DEP_1)
	v_dual_add_f32 v6, v6, v10 :: v_dual_sub_f32 v7, v7, v9
	v_add_f32_e32 v6, v6, v7
	s_delay_alu instid0(VALU_DEP_1) | instskip(SKIP_1) | instid1(VALU_DEP_1)
	v_add_f32_e32 v6, v13, v6
	s_wait_alu 0xfffd
	v_cndmask_b32_e32 v6, 0x7f800000, v6, vcc_lo
	v_cmp_gt_f32_e64 vcc_lo, 0x33800000, |v8|
	s_wait_alu 0xfffd
	s_delay_alu instid0(VALU_DEP_2) | instskip(NEXT) | instid1(VALU_DEP_1)
	v_cndmask_b32_e32 v6, v6, v8, vcc_lo
	v_add_f32_e32 v5, v5, v6
	s_delay_alu instid0(VALU_DEP_1)
	v_cvt_f16_f32_e32 v6, v5
	s_branch .LBB436_8
.LBB436_11:
	s_endpgm
	.section	.rodata,"a",@progbits
	.p2align	6, 0x0
	.amdhsa_kernel _ZN2at6native28tensor_kernel_scan_outer_dimIN3c104HalfEmZZZNS0_31launch_logcumsumexp_cuda_kernelERKNS_10TensorBaseES6_lENKUlvE_clEvENKUlvE3_clEvEUlS3_S3_E_EEvPT_PKSA_jjjSA_T1_
		.amdhsa_group_segment_fixed_size 0
		.amdhsa_private_segment_fixed_size 0
		.amdhsa_kernarg_size 288
		.amdhsa_user_sgpr_count 2
		.amdhsa_user_sgpr_dispatch_ptr 0
		.amdhsa_user_sgpr_queue_ptr 0
		.amdhsa_user_sgpr_kernarg_segment_ptr 1
		.amdhsa_user_sgpr_dispatch_id 0
		.amdhsa_user_sgpr_private_segment_size 0
		.amdhsa_wavefront_size32 1
		.amdhsa_uses_dynamic_stack 0
		.amdhsa_enable_private_segment 0
		.amdhsa_system_sgpr_workgroup_id_x 1
		.amdhsa_system_sgpr_workgroup_id_y 1
		.amdhsa_system_sgpr_workgroup_id_z 0
		.amdhsa_system_sgpr_workgroup_info 0
		.amdhsa_system_vgpr_workitem_id 0
		.amdhsa_next_free_vgpr 19
		.amdhsa_next_free_sgpr 29
		.amdhsa_reserve_vcc 1
		.amdhsa_float_round_mode_32 0
		.amdhsa_float_round_mode_16_64 0
		.amdhsa_float_denorm_mode_32 3
		.amdhsa_float_denorm_mode_16_64 3
		.amdhsa_fp16_overflow 0
		.amdhsa_workgroup_processor_mode 1
		.amdhsa_memory_ordered 1
		.amdhsa_forward_progress 1
		.amdhsa_inst_pref_size 11
		.amdhsa_round_robin_scheduling 0
		.amdhsa_exception_fp_ieee_invalid_op 0
		.amdhsa_exception_fp_denorm_src 0
		.amdhsa_exception_fp_ieee_div_zero 0
		.amdhsa_exception_fp_ieee_overflow 0
		.amdhsa_exception_fp_ieee_underflow 0
		.amdhsa_exception_fp_ieee_inexact 0
		.amdhsa_exception_int_div_zero 0
	.end_amdhsa_kernel
	.section	.text._ZN2at6native28tensor_kernel_scan_outer_dimIN3c104HalfEmZZZNS0_31launch_logcumsumexp_cuda_kernelERKNS_10TensorBaseES6_lENKUlvE_clEvENKUlvE3_clEvEUlS3_S3_E_EEvPT_PKSA_jjjSA_T1_,"axG",@progbits,_ZN2at6native28tensor_kernel_scan_outer_dimIN3c104HalfEmZZZNS0_31launch_logcumsumexp_cuda_kernelERKNS_10TensorBaseES6_lENKUlvE_clEvENKUlvE3_clEvEUlS3_S3_E_EEvPT_PKSA_jjjSA_T1_,comdat
.Lfunc_end436:
	.size	_ZN2at6native28tensor_kernel_scan_outer_dimIN3c104HalfEmZZZNS0_31launch_logcumsumexp_cuda_kernelERKNS_10TensorBaseES6_lENKUlvE_clEvENKUlvE3_clEvEUlS3_S3_E_EEvPT_PKSA_jjjSA_T1_, .Lfunc_end436-_ZN2at6native28tensor_kernel_scan_outer_dimIN3c104HalfEmZZZNS0_31launch_logcumsumexp_cuda_kernelERKNS_10TensorBaseES6_lENKUlvE_clEvENKUlvE3_clEvEUlS3_S3_E_EEvPT_PKSA_jjjSA_T1_
                                        ; -- End function
	.set _ZN2at6native28tensor_kernel_scan_outer_dimIN3c104HalfEmZZZNS0_31launch_logcumsumexp_cuda_kernelERKNS_10TensorBaseES6_lENKUlvE_clEvENKUlvE3_clEvEUlS3_S3_E_EEvPT_PKSA_jjjSA_T1_.num_vgpr, 19
	.set _ZN2at6native28tensor_kernel_scan_outer_dimIN3c104HalfEmZZZNS0_31launch_logcumsumexp_cuda_kernelERKNS_10TensorBaseES6_lENKUlvE_clEvENKUlvE3_clEvEUlS3_S3_E_EEvPT_PKSA_jjjSA_T1_.num_agpr, 0
	.set _ZN2at6native28tensor_kernel_scan_outer_dimIN3c104HalfEmZZZNS0_31launch_logcumsumexp_cuda_kernelERKNS_10TensorBaseES6_lENKUlvE_clEvENKUlvE3_clEvEUlS3_S3_E_EEvPT_PKSA_jjjSA_T1_.numbered_sgpr, 29
	.set _ZN2at6native28tensor_kernel_scan_outer_dimIN3c104HalfEmZZZNS0_31launch_logcumsumexp_cuda_kernelERKNS_10TensorBaseES6_lENKUlvE_clEvENKUlvE3_clEvEUlS3_S3_E_EEvPT_PKSA_jjjSA_T1_.num_named_barrier, 0
	.set _ZN2at6native28tensor_kernel_scan_outer_dimIN3c104HalfEmZZZNS0_31launch_logcumsumexp_cuda_kernelERKNS_10TensorBaseES6_lENKUlvE_clEvENKUlvE3_clEvEUlS3_S3_E_EEvPT_PKSA_jjjSA_T1_.private_seg_size, 0
	.set _ZN2at6native28tensor_kernel_scan_outer_dimIN3c104HalfEmZZZNS0_31launch_logcumsumexp_cuda_kernelERKNS_10TensorBaseES6_lENKUlvE_clEvENKUlvE3_clEvEUlS3_S3_E_EEvPT_PKSA_jjjSA_T1_.uses_vcc, 1
	.set _ZN2at6native28tensor_kernel_scan_outer_dimIN3c104HalfEmZZZNS0_31launch_logcumsumexp_cuda_kernelERKNS_10TensorBaseES6_lENKUlvE_clEvENKUlvE3_clEvEUlS3_S3_E_EEvPT_PKSA_jjjSA_T1_.uses_flat_scratch, 0
	.set _ZN2at6native28tensor_kernel_scan_outer_dimIN3c104HalfEmZZZNS0_31launch_logcumsumexp_cuda_kernelERKNS_10TensorBaseES6_lENKUlvE_clEvENKUlvE3_clEvEUlS3_S3_E_EEvPT_PKSA_jjjSA_T1_.has_dyn_sized_stack, 0
	.set _ZN2at6native28tensor_kernel_scan_outer_dimIN3c104HalfEmZZZNS0_31launch_logcumsumexp_cuda_kernelERKNS_10TensorBaseES6_lENKUlvE_clEvENKUlvE3_clEvEUlS3_S3_E_EEvPT_PKSA_jjjSA_T1_.has_recursion, 0
	.set _ZN2at6native28tensor_kernel_scan_outer_dimIN3c104HalfEmZZZNS0_31launch_logcumsumexp_cuda_kernelERKNS_10TensorBaseES6_lENKUlvE_clEvENKUlvE3_clEvEUlS3_S3_E_EEvPT_PKSA_jjjSA_T1_.has_indirect_call, 0
	.section	.AMDGPU.csdata,"",@progbits
; Kernel info:
; codeLenInByte = 1296
; TotalNumSgprs: 31
; NumVgprs: 19
; ScratchSize: 0
; MemoryBound: 0
; FloatMode: 240
; IeeeMode: 1
; LDSByteSize: 0 bytes/workgroup (compile time only)
; SGPRBlocks: 0
; VGPRBlocks: 2
; NumSGPRsForWavesPerEU: 31
; NumVGPRsForWavesPerEU: 19
; Occupancy: 16
; WaveLimiterHint : 0
; COMPUTE_PGM_RSRC2:SCRATCH_EN: 0
; COMPUTE_PGM_RSRC2:USER_SGPR: 2
; COMPUTE_PGM_RSRC2:TRAP_HANDLER: 0
; COMPUTE_PGM_RSRC2:TGID_X_EN: 1
; COMPUTE_PGM_RSRC2:TGID_Y_EN: 1
; COMPUTE_PGM_RSRC2:TGID_Z_EN: 0
; COMPUTE_PGM_RSRC2:TIDIG_COMP_CNT: 0
	.section	.text._ZN7rocprim17ROCPRIM_400000_NS6detail31init_lookback_scan_state_kernelINS1_19lookback_scan_stateIN3c108BFloat16ELb0ELb1EEENS1_16block_id_wrapperIjLb0EEEEEvT_jT0_jPNS9_10value_typeE,"axG",@progbits,_ZN7rocprim17ROCPRIM_400000_NS6detail31init_lookback_scan_state_kernelINS1_19lookback_scan_stateIN3c108BFloat16ELb0ELb1EEENS1_16block_id_wrapperIjLb0EEEEEvT_jT0_jPNS9_10value_typeE,comdat
	.protected	_ZN7rocprim17ROCPRIM_400000_NS6detail31init_lookback_scan_state_kernelINS1_19lookback_scan_stateIN3c108BFloat16ELb0ELb1EEENS1_16block_id_wrapperIjLb0EEEEEvT_jT0_jPNS9_10value_typeE ; -- Begin function _ZN7rocprim17ROCPRIM_400000_NS6detail31init_lookback_scan_state_kernelINS1_19lookback_scan_stateIN3c108BFloat16ELb0ELb1EEENS1_16block_id_wrapperIjLb0EEEEEvT_jT0_jPNS9_10value_typeE
	.globl	_ZN7rocprim17ROCPRIM_400000_NS6detail31init_lookback_scan_state_kernelINS1_19lookback_scan_stateIN3c108BFloat16ELb0ELb1EEENS1_16block_id_wrapperIjLb0EEEEEvT_jT0_jPNS9_10value_typeE
	.p2align	8
	.type	_ZN7rocprim17ROCPRIM_400000_NS6detail31init_lookback_scan_state_kernelINS1_19lookback_scan_stateIN3c108BFloat16ELb0ELb1EEENS1_16block_id_wrapperIjLb0EEEEEvT_jT0_jPNS9_10value_typeE,@function
_ZN7rocprim17ROCPRIM_400000_NS6detail31init_lookback_scan_state_kernelINS1_19lookback_scan_stateIN3c108BFloat16ELb0ELb1EEENS1_16block_id_wrapperIjLb0EEEEEvT_jT0_jPNS9_10value_typeE: ; @_ZN7rocprim17ROCPRIM_400000_NS6detail31init_lookback_scan_state_kernelINS1_19lookback_scan_stateIN3c108BFloat16ELb0ELb1EEENS1_16block_id_wrapperIjLb0EEEEEvT_jT0_jPNS9_10value_typeE
; %bb.0:
	s_clause 0x2
	s_load_b32 s7, s[0:1], 0x2c
	s_load_b64 s[2:3], s[0:1], 0x18
	s_load_b96 s[4:6], s[0:1], 0x0
	s_wait_kmcnt 0x0
	s_and_b32 s7, s7, 0xffff
	s_cmp_eq_u64 s[2:3], 0
	v_mad_co_u64_u32 v[0:1], null, ttmp9, s7, v[0:1]
	s_cbranch_scc1 .LBB437_6
; %bb.1:
	s_load_b32 s0, s[0:1], 0x10
	s_wait_kmcnt 0x0
	s_cmp_lt_u32 s0, s6
	s_cselect_b32 s1, s0, 0
	s_wait_alu 0xfffe
	v_cmp_eq_u32_e32 vcc_lo, s1, v0
	s_mov_b32 s1, 0
	s_and_saveexec_b32 s7, vcc_lo
	s_cbranch_execz .LBB437_5
; %bb.2:
	s_add_co_i32 s0, s0, 32
	v_mov_b32_e32 v2, 0
	s_wait_alu 0xfffe
	s_lshl_b64 s[0:1], s[0:1], 2
	s_wait_alu 0xfffe
	s_add_nc_u64 s[0:1], s[4:5], s[0:1]
	global_load_b32 v1, v2, s[0:1] scope:SCOPE_DEV
	s_wait_loadcnt 0x0
	v_and_b32_e32 v3, 0xff0000, v1
	s_delay_alu instid0(VALU_DEP_1)
	v_cmp_ne_u32_e32 vcc_lo, 0, v3
	s_cbranch_vccnz .LBB437_4
.LBB437_3:                              ; =>This Inner Loop Header: Depth=1
	global_load_b32 v1, v2, s[0:1] scope:SCOPE_DEV
	s_wait_loadcnt 0x0
	v_and_b32_e32 v3, 0xff0000, v1
	s_delay_alu instid0(VALU_DEP_1)
	v_cmp_eq_u32_e32 vcc_lo, 0, v3
	s_cbranch_vccnz .LBB437_3
.LBB437_4:
	v_mov_b32_e32 v2, 0
	global_store_b16 v2, v1, s[2:3]
.LBB437_5:
	s_wait_alu 0xfffe
	s_or_b32 exec_lo, exec_lo, s7
.LBB437_6:
	s_delay_alu instid0(SALU_CYCLE_1)
	s_mov_b32 s0, exec_lo
	v_cmpx_gt_u32_e64 s6, v0
	s_cbranch_execz .LBB437_8
; %bb.7:
	v_dual_mov_b32 v2, 0 :: v_dual_add_nc_u32 v1, 32, v0
	s_delay_alu instid0(VALU_DEP_1) | instskip(NEXT) | instid1(VALU_DEP_1)
	v_lshlrev_b64_e32 v[3:4], 2, v[1:2]
	v_add_co_u32 v3, vcc_lo, s4, v3
	s_delay_alu instid0(VALU_DEP_1)
	v_add_co_ci_u32_e64 v4, null, s5, v4, vcc_lo
	global_store_b32 v[3:4], v2, off
.LBB437_8:
	s_wait_alu 0xfffe
	s_or_b32 exec_lo, exec_lo, s0
	s_delay_alu instid0(SALU_CYCLE_1)
	s_mov_b32 s0, exec_lo
	v_cmpx_gt_u32_e32 32, v0
	s_cbranch_execz .LBB437_10
; %bb.9:
	v_dual_mov_b32 v1, 0 :: v_dual_mov_b32 v2, 0xff0000
	s_delay_alu instid0(VALU_DEP_1) | instskip(NEXT) | instid1(VALU_DEP_1)
	v_lshlrev_b64_e32 v[0:1], 2, v[0:1]
	v_add_co_u32 v0, vcc_lo, s4, v0
	s_wait_alu 0xfffd
	s_delay_alu instid0(VALU_DEP_2)
	v_add_co_ci_u32_e64 v1, null, s5, v1, vcc_lo
	global_store_b32 v[0:1], v2, off
.LBB437_10:
	s_endpgm
	.section	.rodata,"a",@progbits
	.p2align	6, 0x0
	.amdhsa_kernel _ZN7rocprim17ROCPRIM_400000_NS6detail31init_lookback_scan_state_kernelINS1_19lookback_scan_stateIN3c108BFloat16ELb0ELb1EEENS1_16block_id_wrapperIjLb0EEEEEvT_jT0_jPNS9_10value_typeE
		.amdhsa_group_segment_fixed_size 0
		.amdhsa_private_segment_fixed_size 0
		.amdhsa_kernarg_size 288
		.amdhsa_user_sgpr_count 2
		.amdhsa_user_sgpr_dispatch_ptr 0
		.amdhsa_user_sgpr_queue_ptr 0
		.amdhsa_user_sgpr_kernarg_segment_ptr 1
		.amdhsa_user_sgpr_dispatch_id 0
		.amdhsa_user_sgpr_private_segment_size 0
		.amdhsa_wavefront_size32 1
		.amdhsa_uses_dynamic_stack 0
		.amdhsa_enable_private_segment 0
		.amdhsa_system_sgpr_workgroup_id_x 1
		.amdhsa_system_sgpr_workgroup_id_y 0
		.amdhsa_system_sgpr_workgroup_id_z 0
		.amdhsa_system_sgpr_workgroup_info 0
		.amdhsa_system_vgpr_workitem_id 0
		.amdhsa_next_free_vgpr 5
		.amdhsa_next_free_sgpr 8
		.amdhsa_reserve_vcc 1
		.amdhsa_float_round_mode_32 0
		.amdhsa_float_round_mode_16_64 0
		.amdhsa_float_denorm_mode_32 3
		.amdhsa_float_denorm_mode_16_64 3
		.amdhsa_fp16_overflow 0
		.amdhsa_workgroup_processor_mode 1
		.amdhsa_memory_ordered 1
		.amdhsa_forward_progress 1
		.amdhsa_inst_pref_size 3
		.amdhsa_round_robin_scheduling 0
		.amdhsa_exception_fp_ieee_invalid_op 0
		.amdhsa_exception_fp_denorm_src 0
		.amdhsa_exception_fp_ieee_div_zero 0
		.amdhsa_exception_fp_ieee_overflow 0
		.amdhsa_exception_fp_ieee_underflow 0
		.amdhsa_exception_fp_ieee_inexact 0
		.amdhsa_exception_int_div_zero 0
	.end_amdhsa_kernel
	.section	.text._ZN7rocprim17ROCPRIM_400000_NS6detail31init_lookback_scan_state_kernelINS1_19lookback_scan_stateIN3c108BFloat16ELb0ELb1EEENS1_16block_id_wrapperIjLb0EEEEEvT_jT0_jPNS9_10value_typeE,"axG",@progbits,_ZN7rocprim17ROCPRIM_400000_NS6detail31init_lookback_scan_state_kernelINS1_19lookback_scan_stateIN3c108BFloat16ELb0ELb1EEENS1_16block_id_wrapperIjLb0EEEEEvT_jT0_jPNS9_10value_typeE,comdat
.Lfunc_end437:
	.size	_ZN7rocprim17ROCPRIM_400000_NS6detail31init_lookback_scan_state_kernelINS1_19lookback_scan_stateIN3c108BFloat16ELb0ELb1EEENS1_16block_id_wrapperIjLb0EEEEEvT_jT0_jPNS9_10value_typeE, .Lfunc_end437-_ZN7rocprim17ROCPRIM_400000_NS6detail31init_lookback_scan_state_kernelINS1_19lookback_scan_stateIN3c108BFloat16ELb0ELb1EEENS1_16block_id_wrapperIjLb0EEEEEvT_jT0_jPNS9_10value_typeE
                                        ; -- End function
	.set _ZN7rocprim17ROCPRIM_400000_NS6detail31init_lookback_scan_state_kernelINS1_19lookback_scan_stateIN3c108BFloat16ELb0ELb1EEENS1_16block_id_wrapperIjLb0EEEEEvT_jT0_jPNS9_10value_typeE.num_vgpr, 5
	.set _ZN7rocprim17ROCPRIM_400000_NS6detail31init_lookback_scan_state_kernelINS1_19lookback_scan_stateIN3c108BFloat16ELb0ELb1EEENS1_16block_id_wrapperIjLb0EEEEEvT_jT0_jPNS9_10value_typeE.num_agpr, 0
	.set _ZN7rocprim17ROCPRIM_400000_NS6detail31init_lookback_scan_state_kernelINS1_19lookback_scan_stateIN3c108BFloat16ELb0ELb1EEENS1_16block_id_wrapperIjLb0EEEEEvT_jT0_jPNS9_10value_typeE.numbered_sgpr, 8
	.set _ZN7rocprim17ROCPRIM_400000_NS6detail31init_lookback_scan_state_kernelINS1_19lookback_scan_stateIN3c108BFloat16ELb0ELb1EEENS1_16block_id_wrapperIjLb0EEEEEvT_jT0_jPNS9_10value_typeE.num_named_barrier, 0
	.set _ZN7rocprim17ROCPRIM_400000_NS6detail31init_lookback_scan_state_kernelINS1_19lookback_scan_stateIN3c108BFloat16ELb0ELb1EEENS1_16block_id_wrapperIjLb0EEEEEvT_jT0_jPNS9_10value_typeE.private_seg_size, 0
	.set _ZN7rocprim17ROCPRIM_400000_NS6detail31init_lookback_scan_state_kernelINS1_19lookback_scan_stateIN3c108BFloat16ELb0ELb1EEENS1_16block_id_wrapperIjLb0EEEEEvT_jT0_jPNS9_10value_typeE.uses_vcc, 1
	.set _ZN7rocprim17ROCPRIM_400000_NS6detail31init_lookback_scan_state_kernelINS1_19lookback_scan_stateIN3c108BFloat16ELb0ELb1EEENS1_16block_id_wrapperIjLb0EEEEEvT_jT0_jPNS9_10value_typeE.uses_flat_scratch, 0
	.set _ZN7rocprim17ROCPRIM_400000_NS6detail31init_lookback_scan_state_kernelINS1_19lookback_scan_stateIN3c108BFloat16ELb0ELb1EEENS1_16block_id_wrapperIjLb0EEEEEvT_jT0_jPNS9_10value_typeE.has_dyn_sized_stack, 0
	.set _ZN7rocprim17ROCPRIM_400000_NS6detail31init_lookback_scan_state_kernelINS1_19lookback_scan_stateIN3c108BFloat16ELb0ELb1EEENS1_16block_id_wrapperIjLb0EEEEEvT_jT0_jPNS9_10value_typeE.has_recursion, 0
	.set _ZN7rocprim17ROCPRIM_400000_NS6detail31init_lookback_scan_state_kernelINS1_19lookback_scan_stateIN3c108BFloat16ELb0ELb1EEENS1_16block_id_wrapperIjLb0EEEEEvT_jT0_jPNS9_10value_typeE.has_indirect_call, 0
	.section	.AMDGPU.csdata,"",@progbits
; Kernel info:
; codeLenInByte = 368
; TotalNumSgprs: 10
; NumVgprs: 5
; ScratchSize: 0
; MemoryBound: 0
; FloatMode: 240
; IeeeMode: 1
; LDSByteSize: 0 bytes/workgroup (compile time only)
; SGPRBlocks: 0
; VGPRBlocks: 0
; NumSGPRsForWavesPerEU: 10
; NumVGPRsForWavesPerEU: 5
; Occupancy: 16
; WaveLimiterHint : 0
; COMPUTE_PGM_RSRC2:SCRATCH_EN: 0
; COMPUTE_PGM_RSRC2:USER_SGPR: 2
; COMPUTE_PGM_RSRC2:TRAP_HANDLER: 0
; COMPUTE_PGM_RSRC2:TGID_X_EN: 1
; COMPUTE_PGM_RSRC2:TGID_Y_EN: 0
; COMPUTE_PGM_RSRC2:TGID_Z_EN: 0
; COMPUTE_PGM_RSRC2:TIDIG_COMP_CNT: 0
	.section	.text._ZN7rocprim17ROCPRIM_400000_NS6detail17trampoline_kernelINS0_14default_configENS1_20scan_config_selectorIN3c108BFloat16EEEZZNS1_9scan_implILNS1_25lookback_scan_determinismE0ELb0ELb0ES3_PKS6_PS6_S6_ZZZN2at6native31launch_logcumsumexp_cuda_kernelERKNSD_10TensorBaseESH_lENKUlvE_clEvENKUlvE4_clEvEUlS6_S6_E_S6_EEDaPvRmT3_T4_T5_mT6_P12ihipStream_tbENKUlT_T0_E_clISt17integral_constantIbLb0EESY_EEDaST_SU_EUlST_E_NS1_11comp_targetILNS1_3genE0ELNS1_11target_archE4294967295ELNS1_3gpuE0ELNS1_3repE0EEENS1_30default_config_static_selectorELNS0_4arch9wavefront6targetE0EEEvT1_,"axG",@progbits,_ZN7rocprim17ROCPRIM_400000_NS6detail17trampoline_kernelINS0_14default_configENS1_20scan_config_selectorIN3c108BFloat16EEEZZNS1_9scan_implILNS1_25lookback_scan_determinismE0ELb0ELb0ES3_PKS6_PS6_S6_ZZZN2at6native31launch_logcumsumexp_cuda_kernelERKNSD_10TensorBaseESH_lENKUlvE_clEvENKUlvE4_clEvEUlS6_S6_E_S6_EEDaPvRmT3_T4_T5_mT6_P12ihipStream_tbENKUlT_T0_E_clISt17integral_constantIbLb0EESY_EEDaST_SU_EUlST_E_NS1_11comp_targetILNS1_3genE0ELNS1_11target_archE4294967295ELNS1_3gpuE0ELNS1_3repE0EEENS1_30default_config_static_selectorELNS0_4arch9wavefront6targetE0EEEvT1_,comdat
	.globl	_ZN7rocprim17ROCPRIM_400000_NS6detail17trampoline_kernelINS0_14default_configENS1_20scan_config_selectorIN3c108BFloat16EEEZZNS1_9scan_implILNS1_25lookback_scan_determinismE0ELb0ELb0ES3_PKS6_PS6_S6_ZZZN2at6native31launch_logcumsumexp_cuda_kernelERKNSD_10TensorBaseESH_lENKUlvE_clEvENKUlvE4_clEvEUlS6_S6_E_S6_EEDaPvRmT3_T4_T5_mT6_P12ihipStream_tbENKUlT_T0_E_clISt17integral_constantIbLb0EESY_EEDaST_SU_EUlST_E_NS1_11comp_targetILNS1_3genE0ELNS1_11target_archE4294967295ELNS1_3gpuE0ELNS1_3repE0EEENS1_30default_config_static_selectorELNS0_4arch9wavefront6targetE0EEEvT1_ ; -- Begin function _ZN7rocprim17ROCPRIM_400000_NS6detail17trampoline_kernelINS0_14default_configENS1_20scan_config_selectorIN3c108BFloat16EEEZZNS1_9scan_implILNS1_25lookback_scan_determinismE0ELb0ELb0ES3_PKS6_PS6_S6_ZZZN2at6native31launch_logcumsumexp_cuda_kernelERKNSD_10TensorBaseESH_lENKUlvE_clEvENKUlvE4_clEvEUlS6_S6_E_S6_EEDaPvRmT3_T4_T5_mT6_P12ihipStream_tbENKUlT_T0_E_clISt17integral_constantIbLb0EESY_EEDaST_SU_EUlST_E_NS1_11comp_targetILNS1_3genE0ELNS1_11target_archE4294967295ELNS1_3gpuE0ELNS1_3repE0EEENS1_30default_config_static_selectorELNS0_4arch9wavefront6targetE0EEEvT1_
	.p2align	8
	.type	_ZN7rocprim17ROCPRIM_400000_NS6detail17trampoline_kernelINS0_14default_configENS1_20scan_config_selectorIN3c108BFloat16EEEZZNS1_9scan_implILNS1_25lookback_scan_determinismE0ELb0ELb0ES3_PKS6_PS6_S6_ZZZN2at6native31launch_logcumsumexp_cuda_kernelERKNSD_10TensorBaseESH_lENKUlvE_clEvENKUlvE4_clEvEUlS6_S6_E_S6_EEDaPvRmT3_T4_T5_mT6_P12ihipStream_tbENKUlT_T0_E_clISt17integral_constantIbLb0EESY_EEDaST_SU_EUlST_E_NS1_11comp_targetILNS1_3genE0ELNS1_11target_archE4294967295ELNS1_3gpuE0ELNS1_3repE0EEENS1_30default_config_static_selectorELNS0_4arch9wavefront6targetE0EEEvT1_,@function
_ZN7rocprim17ROCPRIM_400000_NS6detail17trampoline_kernelINS0_14default_configENS1_20scan_config_selectorIN3c108BFloat16EEEZZNS1_9scan_implILNS1_25lookback_scan_determinismE0ELb0ELb0ES3_PKS6_PS6_S6_ZZZN2at6native31launch_logcumsumexp_cuda_kernelERKNSD_10TensorBaseESH_lENKUlvE_clEvENKUlvE4_clEvEUlS6_S6_E_S6_EEDaPvRmT3_T4_T5_mT6_P12ihipStream_tbENKUlT_T0_E_clISt17integral_constantIbLb0EESY_EEDaST_SU_EUlST_E_NS1_11comp_targetILNS1_3genE0ELNS1_11target_archE4294967295ELNS1_3gpuE0ELNS1_3repE0EEENS1_30default_config_static_selectorELNS0_4arch9wavefront6targetE0EEEvT1_: ; @_ZN7rocprim17ROCPRIM_400000_NS6detail17trampoline_kernelINS0_14default_configENS1_20scan_config_selectorIN3c108BFloat16EEEZZNS1_9scan_implILNS1_25lookback_scan_determinismE0ELb0ELb0ES3_PKS6_PS6_S6_ZZZN2at6native31launch_logcumsumexp_cuda_kernelERKNSD_10TensorBaseESH_lENKUlvE_clEvENKUlvE4_clEvEUlS6_S6_E_S6_EEDaPvRmT3_T4_T5_mT6_P12ihipStream_tbENKUlT_T0_E_clISt17integral_constantIbLb0EESY_EEDaST_SU_EUlST_E_NS1_11comp_targetILNS1_3genE0ELNS1_11target_archE4294967295ELNS1_3gpuE0ELNS1_3repE0EEENS1_30default_config_static_selectorELNS0_4arch9wavefront6targetE0EEEvT1_
; %bb.0:
	.section	.rodata,"a",@progbits
	.p2align	6, 0x0
	.amdhsa_kernel _ZN7rocprim17ROCPRIM_400000_NS6detail17trampoline_kernelINS0_14default_configENS1_20scan_config_selectorIN3c108BFloat16EEEZZNS1_9scan_implILNS1_25lookback_scan_determinismE0ELb0ELb0ES3_PKS6_PS6_S6_ZZZN2at6native31launch_logcumsumexp_cuda_kernelERKNSD_10TensorBaseESH_lENKUlvE_clEvENKUlvE4_clEvEUlS6_S6_E_S6_EEDaPvRmT3_T4_T5_mT6_P12ihipStream_tbENKUlT_T0_E_clISt17integral_constantIbLb0EESY_EEDaST_SU_EUlST_E_NS1_11comp_targetILNS1_3genE0ELNS1_11target_archE4294967295ELNS1_3gpuE0ELNS1_3repE0EEENS1_30default_config_static_selectorELNS0_4arch9wavefront6targetE0EEEvT1_
		.amdhsa_group_segment_fixed_size 0
		.amdhsa_private_segment_fixed_size 0
		.amdhsa_kernarg_size 96
		.amdhsa_user_sgpr_count 2
		.amdhsa_user_sgpr_dispatch_ptr 0
		.amdhsa_user_sgpr_queue_ptr 0
		.amdhsa_user_sgpr_kernarg_segment_ptr 1
		.amdhsa_user_sgpr_dispatch_id 0
		.amdhsa_user_sgpr_private_segment_size 0
		.amdhsa_wavefront_size32 1
		.amdhsa_uses_dynamic_stack 0
		.amdhsa_enable_private_segment 0
		.amdhsa_system_sgpr_workgroup_id_x 1
		.amdhsa_system_sgpr_workgroup_id_y 0
		.amdhsa_system_sgpr_workgroup_id_z 0
		.amdhsa_system_sgpr_workgroup_info 0
		.amdhsa_system_vgpr_workitem_id 0
		.amdhsa_next_free_vgpr 1
		.amdhsa_next_free_sgpr 1
		.amdhsa_reserve_vcc 0
		.amdhsa_float_round_mode_32 0
		.amdhsa_float_round_mode_16_64 0
		.amdhsa_float_denorm_mode_32 3
		.amdhsa_float_denorm_mode_16_64 3
		.amdhsa_fp16_overflow 0
		.amdhsa_workgroup_processor_mode 1
		.amdhsa_memory_ordered 1
		.amdhsa_forward_progress 1
		.amdhsa_inst_pref_size 0
		.amdhsa_round_robin_scheduling 0
		.amdhsa_exception_fp_ieee_invalid_op 0
		.amdhsa_exception_fp_denorm_src 0
		.amdhsa_exception_fp_ieee_div_zero 0
		.amdhsa_exception_fp_ieee_overflow 0
		.amdhsa_exception_fp_ieee_underflow 0
		.amdhsa_exception_fp_ieee_inexact 0
		.amdhsa_exception_int_div_zero 0
	.end_amdhsa_kernel
	.section	.text._ZN7rocprim17ROCPRIM_400000_NS6detail17trampoline_kernelINS0_14default_configENS1_20scan_config_selectorIN3c108BFloat16EEEZZNS1_9scan_implILNS1_25lookback_scan_determinismE0ELb0ELb0ES3_PKS6_PS6_S6_ZZZN2at6native31launch_logcumsumexp_cuda_kernelERKNSD_10TensorBaseESH_lENKUlvE_clEvENKUlvE4_clEvEUlS6_S6_E_S6_EEDaPvRmT3_T4_T5_mT6_P12ihipStream_tbENKUlT_T0_E_clISt17integral_constantIbLb0EESY_EEDaST_SU_EUlST_E_NS1_11comp_targetILNS1_3genE0ELNS1_11target_archE4294967295ELNS1_3gpuE0ELNS1_3repE0EEENS1_30default_config_static_selectorELNS0_4arch9wavefront6targetE0EEEvT1_,"axG",@progbits,_ZN7rocprim17ROCPRIM_400000_NS6detail17trampoline_kernelINS0_14default_configENS1_20scan_config_selectorIN3c108BFloat16EEEZZNS1_9scan_implILNS1_25lookback_scan_determinismE0ELb0ELb0ES3_PKS6_PS6_S6_ZZZN2at6native31launch_logcumsumexp_cuda_kernelERKNSD_10TensorBaseESH_lENKUlvE_clEvENKUlvE4_clEvEUlS6_S6_E_S6_EEDaPvRmT3_T4_T5_mT6_P12ihipStream_tbENKUlT_T0_E_clISt17integral_constantIbLb0EESY_EEDaST_SU_EUlST_E_NS1_11comp_targetILNS1_3genE0ELNS1_11target_archE4294967295ELNS1_3gpuE0ELNS1_3repE0EEENS1_30default_config_static_selectorELNS0_4arch9wavefront6targetE0EEEvT1_,comdat
.Lfunc_end438:
	.size	_ZN7rocprim17ROCPRIM_400000_NS6detail17trampoline_kernelINS0_14default_configENS1_20scan_config_selectorIN3c108BFloat16EEEZZNS1_9scan_implILNS1_25lookback_scan_determinismE0ELb0ELb0ES3_PKS6_PS6_S6_ZZZN2at6native31launch_logcumsumexp_cuda_kernelERKNSD_10TensorBaseESH_lENKUlvE_clEvENKUlvE4_clEvEUlS6_S6_E_S6_EEDaPvRmT3_T4_T5_mT6_P12ihipStream_tbENKUlT_T0_E_clISt17integral_constantIbLb0EESY_EEDaST_SU_EUlST_E_NS1_11comp_targetILNS1_3genE0ELNS1_11target_archE4294967295ELNS1_3gpuE0ELNS1_3repE0EEENS1_30default_config_static_selectorELNS0_4arch9wavefront6targetE0EEEvT1_, .Lfunc_end438-_ZN7rocprim17ROCPRIM_400000_NS6detail17trampoline_kernelINS0_14default_configENS1_20scan_config_selectorIN3c108BFloat16EEEZZNS1_9scan_implILNS1_25lookback_scan_determinismE0ELb0ELb0ES3_PKS6_PS6_S6_ZZZN2at6native31launch_logcumsumexp_cuda_kernelERKNSD_10TensorBaseESH_lENKUlvE_clEvENKUlvE4_clEvEUlS6_S6_E_S6_EEDaPvRmT3_T4_T5_mT6_P12ihipStream_tbENKUlT_T0_E_clISt17integral_constantIbLb0EESY_EEDaST_SU_EUlST_E_NS1_11comp_targetILNS1_3genE0ELNS1_11target_archE4294967295ELNS1_3gpuE0ELNS1_3repE0EEENS1_30default_config_static_selectorELNS0_4arch9wavefront6targetE0EEEvT1_
                                        ; -- End function
	.set _ZN7rocprim17ROCPRIM_400000_NS6detail17trampoline_kernelINS0_14default_configENS1_20scan_config_selectorIN3c108BFloat16EEEZZNS1_9scan_implILNS1_25lookback_scan_determinismE0ELb0ELb0ES3_PKS6_PS6_S6_ZZZN2at6native31launch_logcumsumexp_cuda_kernelERKNSD_10TensorBaseESH_lENKUlvE_clEvENKUlvE4_clEvEUlS6_S6_E_S6_EEDaPvRmT3_T4_T5_mT6_P12ihipStream_tbENKUlT_T0_E_clISt17integral_constantIbLb0EESY_EEDaST_SU_EUlST_E_NS1_11comp_targetILNS1_3genE0ELNS1_11target_archE4294967295ELNS1_3gpuE0ELNS1_3repE0EEENS1_30default_config_static_selectorELNS0_4arch9wavefront6targetE0EEEvT1_.num_vgpr, 0
	.set _ZN7rocprim17ROCPRIM_400000_NS6detail17trampoline_kernelINS0_14default_configENS1_20scan_config_selectorIN3c108BFloat16EEEZZNS1_9scan_implILNS1_25lookback_scan_determinismE0ELb0ELb0ES3_PKS6_PS6_S6_ZZZN2at6native31launch_logcumsumexp_cuda_kernelERKNSD_10TensorBaseESH_lENKUlvE_clEvENKUlvE4_clEvEUlS6_S6_E_S6_EEDaPvRmT3_T4_T5_mT6_P12ihipStream_tbENKUlT_T0_E_clISt17integral_constantIbLb0EESY_EEDaST_SU_EUlST_E_NS1_11comp_targetILNS1_3genE0ELNS1_11target_archE4294967295ELNS1_3gpuE0ELNS1_3repE0EEENS1_30default_config_static_selectorELNS0_4arch9wavefront6targetE0EEEvT1_.num_agpr, 0
	.set _ZN7rocprim17ROCPRIM_400000_NS6detail17trampoline_kernelINS0_14default_configENS1_20scan_config_selectorIN3c108BFloat16EEEZZNS1_9scan_implILNS1_25lookback_scan_determinismE0ELb0ELb0ES3_PKS6_PS6_S6_ZZZN2at6native31launch_logcumsumexp_cuda_kernelERKNSD_10TensorBaseESH_lENKUlvE_clEvENKUlvE4_clEvEUlS6_S6_E_S6_EEDaPvRmT3_T4_T5_mT6_P12ihipStream_tbENKUlT_T0_E_clISt17integral_constantIbLb0EESY_EEDaST_SU_EUlST_E_NS1_11comp_targetILNS1_3genE0ELNS1_11target_archE4294967295ELNS1_3gpuE0ELNS1_3repE0EEENS1_30default_config_static_selectorELNS0_4arch9wavefront6targetE0EEEvT1_.numbered_sgpr, 0
	.set _ZN7rocprim17ROCPRIM_400000_NS6detail17trampoline_kernelINS0_14default_configENS1_20scan_config_selectorIN3c108BFloat16EEEZZNS1_9scan_implILNS1_25lookback_scan_determinismE0ELb0ELb0ES3_PKS6_PS6_S6_ZZZN2at6native31launch_logcumsumexp_cuda_kernelERKNSD_10TensorBaseESH_lENKUlvE_clEvENKUlvE4_clEvEUlS6_S6_E_S6_EEDaPvRmT3_T4_T5_mT6_P12ihipStream_tbENKUlT_T0_E_clISt17integral_constantIbLb0EESY_EEDaST_SU_EUlST_E_NS1_11comp_targetILNS1_3genE0ELNS1_11target_archE4294967295ELNS1_3gpuE0ELNS1_3repE0EEENS1_30default_config_static_selectorELNS0_4arch9wavefront6targetE0EEEvT1_.num_named_barrier, 0
	.set _ZN7rocprim17ROCPRIM_400000_NS6detail17trampoline_kernelINS0_14default_configENS1_20scan_config_selectorIN3c108BFloat16EEEZZNS1_9scan_implILNS1_25lookback_scan_determinismE0ELb0ELb0ES3_PKS6_PS6_S6_ZZZN2at6native31launch_logcumsumexp_cuda_kernelERKNSD_10TensorBaseESH_lENKUlvE_clEvENKUlvE4_clEvEUlS6_S6_E_S6_EEDaPvRmT3_T4_T5_mT6_P12ihipStream_tbENKUlT_T0_E_clISt17integral_constantIbLb0EESY_EEDaST_SU_EUlST_E_NS1_11comp_targetILNS1_3genE0ELNS1_11target_archE4294967295ELNS1_3gpuE0ELNS1_3repE0EEENS1_30default_config_static_selectorELNS0_4arch9wavefront6targetE0EEEvT1_.private_seg_size, 0
	.set _ZN7rocprim17ROCPRIM_400000_NS6detail17trampoline_kernelINS0_14default_configENS1_20scan_config_selectorIN3c108BFloat16EEEZZNS1_9scan_implILNS1_25lookback_scan_determinismE0ELb0ELb0ES3_PKS6_PS6_S6_ZZZN2at6native31launch_logcumsumexp_cuda_kernelERKNSD_10TensorBaseESH_lENKUlvE_clEvENKUlvE4_clEvEUlS6_S6_E_S6_EEDaPvRmT3_T4_T5_mT6_P12ihipStream_tbENKUlT_T0_E_clISt17integral_constantIbLb0EESY_EEDaST_SU_EUlST_E_NS1_11comp_targetILNS1_3genE0ELNS1_11target_archE4294967295ELNS1_3gpuE0ELNS1_3repE0EEENS1_30default_config_static_selectorELNS0_4arch9wavefront6targetE0EEEvT1_.uses_vcc, 0
	.set _ZN7rocprim17ROCPRIM_400000_NS6detail17trampoline_kernelINS0_14default_configENS1_20scan_config_selectorIN3c108BFloat16EEEZZNS1_9scan_implILNS1_25lookback_scan_determinismE0ELb0ELb0ES3_PKS6_PS6_S6_ZZZN2at6native31launch_logcumsumexp_cuda_kernelERKNSD_10TensorBaseESH_lENKUlvE_clEvENKUlvE4_clEvEUlS6_S6_E_S6_EEDaPvRmT3_T4_T5_mT6_P12ihipStream_tbENKUlT_T0_E_clISt17integral_constantIbLb0EESY_EEDaST_SU_EUlST_E_NS1_11comp_targetILNS1_3genE0ELNS1_11target_archE4294967295ELNS1_3gpuE0ELNS1_3repE0EEENS1_30default_config_static_selectorELNS0_4arch9wavefront6targetE0EEEvT1_.uses_flat_scratch, 0
	.set _ZN7rocprim17ROCPRIM_400000_NS6detail17trampoline_kernelINS0_14default_configENS1_20scan_config_selectorIN3c108BFloat16EEEZZNS1_9scan_implILNS1_25lookback_scan_determinismE0ELb0ELb0ES3_PKS6_PS6_S6_ZZZN2at6native31launch_logcumsumexp_cuda_kernelERKNSD_10TensorBaseESH_lENKUlvE_clEvENKUlvE4_clEvEUlS6_S6_E_S6_EEDaPvRmT3_T4_T5_mT6_P12ihipStream_tbENKUlT_T0_E_clISt17integral_constantIbLb0EESY_EEDaST_SU_EUlST_E_NS1_11comp_targetILNS1_3genE0ELNS1_11target_archE4294967295ELNS1_3gpuE0ELNS1_3repE0EEENS1_30default_config_static_selectorELNS0_4arch9wavefront6targetE0EEEvT1_.has_dyn_sized_stack, 0
	.set _ZN7rocprim17ROCPRIM_400000_NS6detail17trampoline_kernelINS0_14default_configENS1_20scan_config_selectorIN3c108BFloat16EEEZZNS1_9scan_implILNS1_25lookback_scan_determinismE0ELb0ELb0ES3_PKS6_PS6_S6_ZZZN2at6native31launch_logcumsumexp_cuda_kernelERKNSD_10TensorBaseESH_lENKUlvE_clEvENKUlvE4_clEvEUlS6_S6_E_S6_EEDaPvRmT3_T4_T5_mT6_P12ihipStream_tbENKUlT_T0_E_clISt17integral_constantIbLb0EESY_EEDaST_SU_EUlST_E_NS1_11comp_targetILNS1_3genE0ELNS1_11target_archE4294967295ELNS1_3gpuE0ELNS1_3repE0EEENS1_30default_config_static_selectorELNS0_4arch9wavefront6targetE0EEEvT1_.has_recursion, 0
	.set _ZN7rocprim17ROCPRIM_400000_NS6detail17trampoline_kernelINS0_14default_configENS1_20scan_config_selectorIN3c108BFloat16EEEZZNS1_9scan_implILNS1_25lookback_scan_determinismE0ELb0ELb0ES3_PKS6_PS6_S6_ZZZN2at6native31launch_logcumsumexp_cuda_kernelERKNSD_10TensorBaseESH_lENKUlvE_clEvENKUlvE4_clEvEUlS6_S6_E_S6_EEDaPvRmT3_T4_T5_mT6_P12ihipStream_tbENKUlT_T0_E_clISt17integral_constantIbLb0EESY_EEDaST_SU_EUlST_E_NS1_11comp_targetILNS1_3genE0ELNS1_11target_archE4294967295ELNS1_3gpuE0ELNS1_3repE0EEENS1_30default_config_static_selectorELNS0_4arch9wavefront6targetE0EEEvT1_.has_indirect_call, 0
	.section	.AMDGPU.csdata,"",@progbits
; Kernel info:
; codeLenInByte = 0
; TotalNumSgprs: 0
; NumVgprs: 0
; ScratchSize: 0
; MemoryBound: 0
; FloatMode: 240
; IeeeMode: 1
; LDSByteSize: 0 bytes/workgroup (compile time only)
; SGPRBlocks: 0
; VGPRBlocks: 0
; NumSGPRsForWavesPerEU: 1
; NumVGPRsForWavesPerEU: 1
; Occupancy: 16
; WaveLimiterHint : 0
; COMPUTE_PGM_RSRC2:SCRATCH_EN: 0
; COMPUTE_PGM_RSRC2:USER_SGPR: 2
; COMPUTE_PGM_RSRC2:TRAP_HANDLER: 0
; COMPUTE_PGM_RSRC2:TGID_X_EN: 1
; COMPUTE_PGM_RSRC2:TGID_Y_EN: 0
; COMPUTE_PGM_RSRC2:TGID_Z_EN: 0
; COMPUTE_PGM_RSRC2:TIDIG_COMP_CNT: 0
	.section	.text._ZN7rocprim17ROCPRIM_400000_NS6detail17trampoline_kernelINS0_14default_configENS1_20scan_config_selectorIN3c108BFloat16EEEZZNS1_9scan_implILNS1_25lookback_scan_determinismE0ELb0ELb0ES3_PKS6_PS6_S6_ZZZN2at6native31launch_logcumsumexp_cuda_kernelERKNSD_10TensorBaseESH_lENKUlvE_clEvENKUlvE4_clEvEUlS6_S6_E_S6_EEDaPvRmT3_T4_T5_mT6_P12ihipStream_tbENKUlT_T0_E_clISt17integral_constantIbLb0EESY_EEDaST_SU_EUlST_E_NS1_11comp_targetILNS1_3genE5ELNS1_11target_archE942ELNS1_3gpuE9ELNS1_3repE0EEENS1_30default_config_static_selectorELNS0_4arch9wavefront6targetE0EEEvT1_,"axG",@progbits,_ZN7rocprim17ROCPRIM_400000_NS6detail17trampoline_kernelINS0_14default_configENS1_20scan_config_selectorIN3c108BFloat16EEEZZNS1_9scan_implILNS1_25lookback_scan_determinismE0ELb0ELb0ES3_PKS6_PS6_S6_ZZZN2at6native31launch_logcumsumexp_cuda_kernelERKNSD_10TensorBaseESH_lENKUlvE_clEvENKUlvE4_clEvEUlS6_S6_E_S6_EEDaPvRmT3_T4_T5_mT6_P12ihipStream_tbENKUlT_T0_E_clISt17integral_constantIbLb0EESY_EEDaST_SU_EUlST_E_NS1_11comp_targetILNS1_3genE5ELNS1_11target_archE942ELNS1_3gpuE9ELNS1_3repE0EEENS1_30default_config_static_selectorELNS0_4arch9wavefront6targetE0EEEvT1_,comdat
	.globl	_ZN7rocprim17ROCPRIM_400000_NS6detail17trampoline_kernelINS0_14default_configENS1_20scan_config_selectorIN3c108BFloat16EEEZZNS1_9scan_implILNS1_25lookback_scan_determinismE0ELb0ELb0ES3_PKS6_PS6_S6_ZZZN2at6native31launch_logcumsumexp_cuda_kernelERKNSD_10TensorBaseESH_lENKUlvE_clEvENKUlvE4_clEvEUlS6_S6_E_S6_EEDaPvRmT3_T4_T5_mT6_P12ihipStream_tbENKUlT_T0_E_clISt17integral_constantIbLb0EESY_EEDaST_SU_EUlST_E_NS1_11comp_targetILNS1_3genE5ELNS1_11target_archE942ELNS1_3gpuE9ELNS1_3repE0EEENS1_30default_config_static_selectorELNS0_4arch9wavefront6targetE0EEEvT1_ ; -- Begin function _ZN7rocprim17ROCPRIM_400000_NS6detail17trampoline_kernelINS0_14default_configENS1_20scan_config_selectorIN3c108BFloat16EEEZZNS1_9scan_implILNS1_25lookback_scan_determinismE0ELb0ELb0ES3_PKS6_PS6_S6_ZZZN2at6native31launch_logcumsumexp_cuda_kernelERKNSD_10TensorBaseESH_lENKUlvE_clEvENKUlvE4_clEvEUlS6_S6_E_S6_EEDaPvRmT3_T4_T5_mT6_P12ihipStream_tbENKUlT_T0_E_clISt17integral_constantIbLb0EESY_EEDaST_SU_EUlST_E_NS1_11comp_targetILNS1_3genE5ELNS1_11target_archE942ELNS1_3gpuE9ELNS1_3repE0EEENS1_30default_config_static_selectorELNS0_4arch9wavefront6targetE0EEEvT1_
	.p2align	8
	.type	_ZN7rocprim17ROCPRIM_400000_NS6detail17trampoline_kernelINS0_14default_configENS1_20scan_config_selectorIN3c108BFloat16EEEZZNS1_9scan_implILNS1_25lookback_scan_determinismE0ELb0ELb0ES3_PKS6_PS6_S6_ZZZN2at6native31launch_logcumsumexp_cuda_kernelERKNSD_10TensorBaseESH_lENKUlvE_clEvENKUlvE4_clEvEUlS6_S6_E_S6_EEDaPvRmT3_T4_T5_mT6_P12ihipStream_tbENKUlT_T0_E_clISt17integral_constantIbLb0EESY_EEDaST_SU_EUlST_E_NS1_11comp_targetILNS1_3genE5ELNS1_11target_archE942ELNS1_3gpuE9ELNS1_3repE0EEENS1_30default_config_static_selectorELNS0_4arch9wavefront6targetE0EEEvT1_,@function
_ZN7rocprim17ROCPRIM_400000_NS6detail17trampoline_kernelINS0_14default_configENS1_20scan_config_selectorIN3c108BFloat16EEEZZNS1_9scan_implILNS1_25lookback_scan_determinismE0ELb0ELb0ES3_PKS6_PS6_S6_ZZZN2at6native31launch_logcumsumexp_cuda_kernelERKNSD_10TensorBaseESH_lENKUlvE_clEvENKUlvE4_clEvEUlS6_S6_E_S6_EEDaPvRmT3_T4_T5_mT6_P12ihipStream_tbENKUlT_T0_E_clISt17integral_constantIbLb0EESY_EEDaST_SU_EUlST_E_NS1_11comp_targetILNS1_3genE5ELNS1_11target_archE942ELNS1_3gpuE9ELNS1_3repE0EEENS1_30default_config_static_selectorELNS0_4arch9wavefront6targetE0EEEvT1_: ; @_ZN7rocprim17ROCPRIM_400000_NS6detail17trampoline_kernelINS0_14default_configENS1_20scan_config_selectorIN3c108BFloat16EEEZZNS1_9scan_implILNS1_25lookback_scan_determinismE0ELb0ELb0ES3_PKS6_PS6_S6_ZZZN2at6native31launch_logcumsumexp_cuda_kernelERKNSD_10TensorBaseESH_lENKUlvE_clEvENKUlvE4_clEvEUlS6_S6_E_S6_EEDaPvRmT3_T4_T5_mT6_P12ihipStream_tbENKUlT_T0_E_clISt17integral_constantIbLb0EESY_EEDaST_SU_EUlST_E_NS1_11comp_targetILNS1_3genE5ELNS1_11target_archE942ELNS1_3gpuE9ELNS1_3repE0EEENS1_30default_config_static_selectorELNS0_4arch9wavefront6targetE0EEEvT1_
; %bb.0:
	.section	.rodata,"a",@progbits
	.p2align	6, 0x0
	.amdhsa_kernel _ZN7rocprim17ROCPRIM_400000_NS6detail17trampoline_kernelINS0_14default_configENS1_20scan_config_selectorIN3c108BFloat16EEEZZNS1_9scan_implILNS1_25lookback_scan_determinismE0ELb0ELb0ES3_PKS6_PS6_S6_ZZZN2at6native31launch_logcumsumexp_cuda_kernelERKNSD_10TensorBaseESH_lENKUlvE_clEvENKUlvE4_clEvEUlS6_S6_E_S6_EEDaPvRmT3_T4_T5_mT6_P12ihipStream_tbENKUlT_T0_E_clISt17integral_constantIbLb0EESY_EEDaST_SU_EUlST_E_NS1_11comp_targetILNS1_3genE5ELNS1_11target_archE942ELNS1_3gpuE9ELNS1_3repE0EEENS1_30default_config_static_selectorELNS0_4arch9wavefront6targetE0EEEvT1_
		.amdhsa_group_segment_fixed_size 0
		.amdhsa_private_segment_fixed_size 0
		.amdhsa_kernarg_size 96
		.amdhsa_user_sgpr_count 2
		.amdhsa_user_sgpr_dispatch_ptr 0
		.amdhsa_user_sgpr_queue_ptr 0
		.amdhsa_user_sgpr_kernarg_segment_ptr 1
		.amdhsa_user_sgpr_dispatch_id 0
		.amdhsa_user_sgpr_private_segment_size 0
		.amdhsa_wavefront_size32 1
		.amdhsa_uses_dynamic_stack 0
		.amdhsa_enable_private_segment 0
		.amdhsa_system_sgpr_workgroup_id_x 1
		.amdhsa_system_sgpr_workgroup_id_y 0
		.amdhsa_system_sgpr_workgroup_id_z 0
		.amdhsa_system_sgpr_workgroup_info 0
		.amdhsa_system_vgpr_workitem_id 0
		.amdhsa_next_free_vgpr 1
		.amdhsa_next_free_sgpr 1
		.amdhsa_reserve_vcc 0
		.amdhsa_float_round_mode_32 0
		.amdhsa_float_round_mode_16_64 0
		.amdhsa_float_denorm_mode_32 3
		.amdhsa_float_denorm_mode_16_64 3
		.amdhsa_fp16_overflow 0
		.amdhsa_workgroup_processor_mode 1
		.amdhsa_memory_ordered 1
		.amdhsa_forward_progress 1
		.amdhsa_inst_pref_size 0
		.amdhsa_round_robin_scheduling 0
		.amdhsa_exception_fp_ieee_invalid_op 0
		.amdhsa_exception_fp_denorm_src 0
		.amdhsa_exception_fp_ieee_div_zero 0
		.amdhsa_exception_fp_ieee_overflow 0
		.amdhsa_exception_fp_ieee_underflow 0
		.amdhsa_exception_fp_ieee_inexact 0
		.amdhsa_exception_int_div_zero 0
	.end_amdhsa_kernel
	.section	.text._ZN7rocprim17ROCPRIM_400000_NS6detail17trampoline_kernelINS0_14default_configENS1_20scan_config_selectorIN3c108BFloat16EEEZZNS1_9scan_implILNS1_25lookback_scan_determinismE0ELb0ELb0ES3_PKS6_PS6_S6_ZZZN2at6native31launch_logcumsumexp_cuda_kernelERKNSD_10TensorBaseESH_lENKUlvE_clEvENKUlvE4_clEvEUlS6_S6_E_S6_EEDaPvRmT3_T4_T5_mT6_P12ihipStream_tbENKUlT_T0_E_clISt17integral_constantIbLb0EESY_EEDaST_SU_EUlST_E_NS1_11comp_targetILNS1_3genE5ELNS1_11target_archE942ELNS1_3gpuE9ELNS1_3repE0EEENS1_30default_config_static_selectorELNS0_4arch9wavefront6targetE0EEEvT1_,"axG",@progbits,_ZN7rocprim17ROCPRIM_400000_NS6detail17trampoline_kernelINS0_14default_configENS1_20scan_config_selectorIN3c108BFloat16EEEZZNS1_9scan_implILNS1_25lookback_scan_determinismE0ELb0ELb0ES3_PKS6_PS6_S6_ZZZN2at6native31launch_logcumsumexp_cuda_kernelERKNSD_10TensorBaseESH_lENKUlvE_clEvENKUlvE4_clEvEUlS6_S6_E_S6_EEDaPvRmT3_T4_T5_mT6_P12ihipStream_tbENKUlT_T0_E_clISt17integral_constantIbLb0EESY_EEDaST_SU_EUlST_E_NS1_11comp_targetILNS1_3genE5ELNS1_11target_archE942ELNS1_3gpuE9ELNS1_3repE0EEENS1_30default_config_static_selectorELNS0_4arch9wavefront6targetE0EEEvT1_,comdat
.Lfunc_end439:
	.size	_ZN7rocprim17ROCPRIM_400000_NS6detail17trampoline_kernelINS0_14default_configENS1_20scan_config_selectorIN3c108BFloat16EEEZZNS1_9scan_implILNS1_25lookback_scan_determinismE0ELb0ELb0ES3_PKS6_PS6_S6_ZZZN2at6native31launch_logcumsumexp_cuda_kernelERKNSD_10TensorBaseESH_lENKUlvE_clEvENKUlvE4_clEvEUlS6_S6_E_S6_EEDaPvRmT3_T4_T5_mT6_P12ihipStream_tbENKUlT_T0_E_clISt17integral_constantIbLb0EESY_EEDaST_SU_EUlST_E_NS1_11comp_targetILNS1_3genE5ELNS1_11target_archE942ELNS1_3gpuE9ELNS1_3repE0EEENS1_30default_config_static_selectorELNS0_4arch9wavefront6targetE0EEEvT1_, .Lfunc_end439-_ZN7rocprim17ROCPRIM_400000_NS6detail17trampoline_kernelINS0_14default_configENS1_20scan_config_selectorIN3c108BFloat16EEEZZNS1_9scan_implILNS1_25lookback_scan_determinismE0ELb0ELb0ES3_PKS6_PS6_S6_ZZZN2at6native31launch_logcumsumexp_cuda_kernelERKNSD_10TensorBaseESH_lENKUlvE_clEvENKUlvE4_clEvEUlS6_S6_E_S6_EEDaPvRmT3_T4_T5_mT6_P12ihipStream_tbENKUlT_T0_E_clISt17integral_constantIbLb0EESY_EEDaST_SU_EUlST_E_NS1_11comp_targetILNS1_3genE5ELNS1_11target_archE942ELNS1_3gpuE9ELNS1_3repE0EEENS1_30default_config_static_selectorELNS0_4arch9wavefront6targetE0EEEvT1_
                                        ; -- End function
	.set _ZN7rocprim17ROCPRIM_400000_NS6detail17trampoline_kernelINS0_14default_configENS1_20scan_config_selectorIN3c108BFloat16EEEZZNS1_9scan_implILNS1_25lookback_scan_determinismE0ELb0ELb0ES3_PKS6_PS6_S6_ZZZN2at6native31launch_logcumsumexp_cuda_kernelERKNSD_10TensorBaseESH_lENKUlvE_clEvENKUlvE4_clEvEUlS6_S6_E_S6_EEDaPvRmT3_T4_T5_mT6_P12ihipStream_tbENKUlT_T0_E_clISt17integral_constantIbLb0EESY_EEDaST_SU_EUlST_E_NS1_11comp_targetILNS1_3genE5ELNS1_11target_archE942ELNS1_3gpuE9ELNS1_3repE0EEENS1_30default_config_static_selectorELNS0_4arch9wavefront6targetE0EEEvT1_.num_vgpr, 0
	.set _ZN7rocprim17ROCPRIM_400000_NS6detail17trampoline_kernelINS0_14default_configENS1_20scan_config_selectorIN3c108BFloat16EEEZZNS1_9scan_implILNS1_25lookback_scan_determinismE0ELb0ELb0ES3_PKS6_PS6_S6_ZZZN2at6native31launch_logcumsumexp_cuda_kernelERKNSD_10TensorBaseESH_lENKUlvE_clEvENKUlvE4_clEvEUlS6_S6_E_S6_EEDaPvRmT3_T4_T5_mT6_P12ihipStream_tbENKUlT_T0_E_clISt17integral_constantIbLb0EESY_EEDaST_SU_EUlST_E_NS1_11comp_targetILNS1_3genE5ELNS1_11target_archE942ELNS1_3gpuE9ELNS1_3repE0EEENS1_30default_config_static_selectorELNS0_4arch9wavefront6targetE0EEEvT1_.num_agpr, 0
	.set _ZN7rocprim17ROCPRIM_400000_NS6detail17trampoline_kernelINS0_14default_configENS1_20scan_config_selectorIN3c108BFloat16EEEZZNS1_9scan_implILNS1_25lookback_scan_determinismE0ELb0ELb0ES3_PKS6_PS6_S6_ZZZN2at6native31launch_logcumsumexp_cuda_kernelERKNSD_10TensorBaseESH_lENKUlvE_clEvENKUlvE4_clEvEUlS6_S6_E_S6_EEDaPvRmT3_T4_T5_mT6_P12ihipStream_tbENKUlT_T0_E_clISt17integral_constantIbLb0EESY_EEDaST_SU_EUlST_E_NS1_11comp_targetILNS1_3genE5ELNS1_11target_archE942ELNS1_3gpuE9ELNS1_3repE0EEENS1_30default_config_static_selectorELNS0_4arch9wavefront6targetE0EEEvT1_.numbered_sgpr, 0
	.set _ZN7rocprim17ROCPRIM_400000_NS6detail17trampoline_kernelINS0_14default_configENS1_20scan_config_selectorIN3c108BFloat16EEEZZNS1_9scan_implILNS1_25lookback_scan_determinismE0ELb0ELb0ES3_PKS6_PS6_S6_ZZZN2at6native31launch_logcumsumexp_cuda_kernelERKNSD_10TensorBaseESH_lENKUlvE_clEvENKUlvE4_clEvEUlS6_S6_E_S6_EEDaPvRmT3_T4_T5_mT6_P12ihipStream_tbENKUlT_T0_E_clISt17integral_constantIbLb0EESY_EEDaST_SU_EUlST_E_NS1_11comp_targetILNS1_3genE5ELNS1_11target_archE942ELNS1_3gpuE9ELNS1_3repE0EEENS1_30default_config_static_selectorELNS0_4arch9wavefront6targetE0EEEvT1_.num_named_barrier, 0
	.set _ZN7rocprim17ROCPRIM_400000_NS6detail17trampoline_kernelINS0_14default_configENS1_20scan_config_selectorIN3c108BFloat16EEEZZNS1_9scan_implILNS1_25lookback_scan_determinismE0ELb0ELb0ES3_PKS6_PS6_S6_ZZZN2at6native31launch_logcumsumexp_cuda_kernelERKNSD_10TensorBaseESH_lENKUlvE_clEvENKUlvE4_clEvEUlS6_S6_E_S6_EEDaPvRmT3_T4_T5_mT6_P12ihipStream_tbENKUlT_T0_E_clISt17integral_constantIbLb0EESY_EEDaST_SU_EUlST_E_NS1_11comp_targetILNS1_3genE5ELNS1_11target_archE942ELNS1_3gpuE9ELNS1_3repE0EEENS1_30default_config_static_selectorELNS0_4arch9wavefront6targetE0EEEvT1_.private_seg_size, 0
	.set _ZN7rocprim17ROCPRIM_400000_NS6detail17trampoline_kernelINS0_14default_configENS1_20scan_config_selectorIN3c108BFloat16EEEZZNS1_9scan_implILNS1_25lookback_scan_determinismE0ELb0ELb0ES3_PKS6_PS6_S6_ZZZN2at6native31launch_logcumsumexp_cuda_kernelERKNSD_10TensorBaseESH_lENKUlvE_clEvENKUlvE4_clEvEUlS6_S6_E_S6_EEDaPvRmT3_T4_T5_mT6_P12ihipStream_tbENKUlT_T0_E_clISt17integral_constantIbLb0EESY_EEDaST_SU_EUlST_E_NS1_11comp_targetILNS1_3genE5ELNS1_11target_archE942ELNS1_3gpuE9ELNS1_3repE0EEENS1_30default_config_static_selectorELNS0_4arch9wavefront6targetE0EEEvT1_.uses_vcc, 0
	.set _ZN7rocprim17ROCPRIM_400000_NS6detail17trampoline_kernelINS0_14default_configENS1_20scan_config_selectorIN3c108BFloat16EEEZZNS1_9scan_implILNS1_25lookback_scan_determinismE0ELb0ELb0ES3_PKS6_PS6_S6_ZZZN2at6native31launch_logcumsumexp_cuda_kernelERKNSD_10TensorBaseESH_lENKUlvE_clEvENKUlvE4_clEvEUlS6_S6_E_S6_EEDaPvRmT3_T4_T5_mT6_P12ihipStream_tbENKUlT_T0_E_clISt17integral_constantIbLb0EESY_EEDaST_SU_EUlST_E_NS1_11comp_targetILNS1_3genE5ELNS1_11target_archE942ELNS1_3gpuE9ELNS1_3repE0EEENS1_30default_config_static_selectorELNS0_4arch9wavefront6targetE0EEEvT1_.uses_flat_scratch, 0
	.set _ZN7rocprim17ROCPRIM_400000_NS6detail17trampoline_kernelINS0_14default_configENS1_20scan_config_selectorIN3c108BFloat16EEEZZNS1_9scan_implILNS1_25lookback_scan_determinismE0ELb0ELb0ES3_PKS6_PS6_S6_ZZZN2at6native31launch_logcumsumexp_cuda_kernelERKNSD_10TensorBaseESH_lENKUlvE_clEvENKUlvE4_clEvEUlS6_S6_E_S6_EEDaPvRmT3_T4_T5_mT6_P12ihipStream_tbENKUlT_T0_E_clISt17integral_constantIbLb0EESY_EEDaST_SU_EUlST_E_NS1_11comp_targetILNS1_3genE5ELNS1_11target_archE942ELNS1_3gpuE9ELNS1_3repE0EEENS1_30default_config_static_selectorELNS0_4arch9wavefront6targetE0EEEvT1_.has_dyn_sized_stack, 0
	.set _ZN7rocprim17ROCPRIM_400000_NS6detail17trampoline_kernelINS0_14default_configENS1_20scan_config_selectorIN3c108BFloat16EEEZZNS1_9scan_implILNS1_25lookback_scan_determinismE0ELb0ELb0ES3_PKS6_PS6_S6_ZZZN2at6native31launch_logcumsumexp_cuda_kernelERKNSD_10TensorBaseESH_lENKUlvE_clEvENKUlvE4_clEvEUlS6_S6_E_S6_EEDaPvRmT3_T4_T5_mT6_P12ihipStream_tbENKUlT_T0_E_clISt17integral_constantIbLb0EESY_EEDaST_SU_EUlST_E_NS1_11comp_targetILNS1_3genE5ELNS1_11target_archE942ELNS1_3gpuE9ELNS1_3repE0EEENS1_30default_config_static_selectorELNS0_4arch9wavefront6targetE0EEEvT1_.has_recursion, 0
	.set _ZN7rocprim17ROCPRIM_400000_NS6detail17trampoline_kernelINS0_14default_configENS1_20scan_config_selectorIN3c108BFloat16EEEZZNS1_9scan_implILNS1_25lookback_scan_determinismE0ELb0ELb0ES3_PKS6_PS6_S6_ZZZN2at6native31launch_logcumsumexp_cuda_kernelERKNSD_10TensorBaseESH_lENKUlvE_clEvENKUlvE4_clEvEUlS6_S6_E_S6_EEDaPvRmT3_T4_T5_mT6_P12ihipStream_tbENKUlT_T0_E_clISt17integral_constantIbLb0EESY_EEDaST_SU_EUlST_E_NS1_11comp_targetILNS1_3genE5ELNS1_11target_archE942ELNS1_3gpuE9ELNS1_3repE0EEENS1_30default_config_static_selectorELNS0_4arch9wavefront6targetE0EEEvT1_.has_indirect_call, 0
	.section	.AMDGPU.csdata,"",@progbits
; Kernel info:
; codeLenInByte = 0
; TotalNumSgprs: 0
; NumVgprs: 0
; ScratchSize: 0
; MemoryBound: 0
; FloatMode: 240
; IeeeMode: 1
; LDSByteSize: 0 bytes/workgroup (compile time only)
; SGPRBlocks: 0
; VGPRBlocks: 0
; NumSGPRsForWavesPerEU: 1
; NumVGPRsForWavesPerEU: 1
; Occupancy: 16
; WaveLimiterHint : 0
; COMPUTE_PGM_RSRC2:SCRATCH_EN: 0
; COMPUTE_PGM_RSRC2:USER_SGPR: 2
; COMPUTE_PGM_RSRC2:TRAP_HANDLER: 0
; COMPUTE_PGM_RSRC2:TGID_X_EN: 1
; COMPUTE_PGM_RSRC2:TGID_Y_EN: 0
; COMPUTE_PGM_RSRC2:TGID_Z_EN: 0
; COMPUTE_PGM_RSRC2:TIDIG_COMP_CNT: 0
	.section	.text._ZN7rocprim17ROCPRIM_400000_NS6detail17trampoline_kernelINS0_14default_configENS1_20scan_config_selectorIN3c108BFloat16EEEZZNS1_9scan_implILNS1_25lookback_scan_determinismE0ELb0ELb0ES3_PKS6_PS6_S6_ZZZN2at6native31launch_logcumsumexp_cuda_kernelERKNSD_10TensorBaseESH_lENKUlvE_clEvENKUlvE4_clEvEUlS6_S6_E_S6_EEDaPvRmT3_T4_T5_mT6_P12ihipStream_tbENKUlT_T0_E_clISt17integral_constantIbLb0EESY_EEDaST_SU_EUlST_E_NS1_11comp_targetILNS1_3genE4ELNS1_11target_archE910ELNS1_3gpuE8ELNS1_3repE0EEENS1_30default_config_static_selectorELNS0_4arch9wavefront6targetE0EEEvT1_,"axG",@progbits,_ZN7rocprim17ROCPRIM_400000_NS6detail17trampoline_kernelINS0_14default_configENS1_20scan_config_selectorIN3c108BFloat16EEEZZNS1_9scan_implILNS1_25lookback_scan_determinismE0ELb0ELb0ES3_PKS6_PS6_S6_ZZZN2at6native31launch_logcumsumexp_cuda_kernelERKNSD_10TensorBaseESH_lENKUlvE_clEvENKUlvE4_clEvEUlS6_S6_E_S6_EEDaPvRmT3_T4_T5_mT6_P12ihipStream_tbENKUlT_T0_E_clISt17integral_constantIbLb0EESY_EEDaST_SU_EUlST_E_NS1_11comp_targetILNS1_3genE4ELNS1_11target_archE910ELNS1_3gpuE8ELNS1_3repE0EEENS1_30default_config_static_selectorELNS0_4arch9wavefront6targetE0EEEvT1_,comdat
	.globl	_ZN7rocprim17ROCPRIM_400000_NS6detail17trampoline_kernelINS0_14default_configENS1_20scan_config_selectorIN3c108BFloat16EEEZZNS1_9scan_implILNS1_25lookback_scan_determinismE0ELb0ELb0ES3_PKS6_PS6_S6_ZZZN2at6native31launch_logcumsumexp_cuda_kernelERKNSD_10TensorBaseESH_lENKUlvE_clEvENKUlvE4_clEvEUlS6_S6_E_S6_EEDaPvRmT3_T4_T5_mT6_P12ihipStream_tbENKUlT_T0_E_clISt17integral_constantIbLb0EESY_EEDaST_SU_EUlST_E_NS1_11comp_targetILNS1_3genE4ELNS1_11target_archE910ELNS1_3gpuE8ELNS1_3repE0EEENS1_30default_config_static_selectorELNS0_4arch9wavefront6targetE0EEEvT1_ ; -- Begin function _ZN7rocprim17ROCPRIM_400000_NS6detail17trampoline_kernelINS0_14default_configENS1_20scan_config_selectorIN3c108BFloat16EEEZZNS1_9scan_implILNS1_25lookback_scan_determinismE0ELb0ELb0ES3_PKS6_PS6_S6_ZZZN2at6native31launch_logcumsumexp_cuda_kernelERKNSD_10TensorBaseESH_lENKUlvE_clEvENKUlvE4_clEvEUlS6_S6_E_S6_EEDaPvRmT3_T4_T5_mT6_P12ihipStream_tbENKUlT_T0_E_clISt17integral_constantIbLb0EESY_EEDaST_SU_EUlST_E_NS1_11comp_targetILNS1_3genE4ELNS1_11target_archE910ELNS1_3gpuE8ELNS1_3repE0EEENS1_30default_config_static_selectorELNS0_4arch9wavefront6targetE0EEEvT1_
	.p2align	8
	.type	_ZN7rocprim17ROCPRIM_400000_NS6detail17trampoline_kernelINS0_14default_configENS1_20scan_config_selectorIN3c108BFloat16EEEZZNS1_9scan_implILNS1_25lookback_scan_determinismE0ELb0ELb0ES3_PKS6_PS6_S6_ZZZN2at6native31launch_logcumsumexp_cuda_kernelERKNSD_10TensorBaseESH_lENKUlvE_clEvENKUlvE4_clEvEUlS6_S6_E_S6_EEDaPvRmT3_T4_T5_mT6_P12ihipStream_tbENKUlT_T0_E_clISt17integral_constantIbLb0EESY_EEDaST_SU_EUlST_E_NS1_11comp_targetILNS1_3genE4ELNS1_11target_archE910ELNS1_3gpuE8ELNS1_3repE0EEENS1_30default_config_static_selectorELNS0_4arch9wavefront6targetE0EEEvT1_,@function
_ZN7rocprim17ROCPRIM_400000_NS6detail17trampoline_kernelINS0_14default_configENS1_20scan_config_selectorIN3c108BFloat16EEEZZNS1_9scan_implILNS1_25lookback_scan_determinismE0ELb0ELb0ES3_PKS6_PS6_S6_ZZZN2at6native31launch_logcumsumexp_cuda_kernelERKNSD_10TensorBaseESH_lENKUlvE_clEvENKUlvE4_clEvEUlS6_S6_E_S6_EEDaPvRmT3_T4_T5_mT6_P12ihipStream_tbENKUlT_T0_E_clISt17integral_constantIbLb0EESY_EEDaST_SU_EUlST_E_NS1_11comp_targetILNS1_3genE4ELNS1_11target_archE910ELNS1_3gpuE8ELNS1_3repE0EEENS1_30default_config_static_selectorELNS0_4arch9wavefront6targetE0EEEvT1_: ; @_ZN7rocprim17ROCPRIM_400000_NS6detail17trampoline_kernelINS0_14default_configENS1_20scan_config_selectorIN3c108BFloat16EEEZZNS1_9scan_implILNS1_25lookback_scan_determinismE0ELb0ELb0ES3_PKS6_PS6_S6_ZZZN2at6native31launch_logcumsumexp_cuda_kernelERKNSD_10TensorBaseESH_lENKUlvE_clEvENKUlvE4_clEvEUlS6_S6_E_S6_EEDaPvRmT3_T4_T5_mT6_P12ihipStream_tbENKUlT_T0_E_clISt17integral_constantIbLb0EESY_EEDaST_SU_EUlST_E_NS1_11comp_targetILNS1_3genE4ELNS1_11target_archE910ELNS1_3gpuE8ELNS1_3repE0EEENS1_30default_config_static_selectorELNS0_4arch9wavefront6targetE0EEEvT1_
; %bb.0:
	.section	.rodata,"a",@progbits
	.p2align	6, 0x0
	.amdhsa_kernel _ZN7rocprim17ROCPRIM_400000_NS6detail17trampoline_kernelINS0_14default_configENS1_20scan_config_selectorIN3c108BFloat16EEEZZNS1_9scan_implILNS1_25lookback_scan_determinismE0ELb0ELb0ES3_PKS6_PS6_S6_ZZZN2at6native31launch_logcumsumexp_cuda_kernelERKNSD_10TensorBaseESH_lENKUlvE_clEvENKUlvE4_clEvEUlS6_S6_E_S6_EEDaPvRmT3_T4_T5_mT6_P12ihipStream_tbENKUlT_T0_E_clISt17integral_constantIbLb0EESY_EEDaST_SU_EUlST_E_NS1_11comp_targetILNS1_3genE4ELNS1_11target_archE910ELNS1_3gpuE8ELNS1_3repE0EEENS1_30default_config_static_selectorELNS0_4arch9wavefront6targetE0EEEvT1_
		.amdhsa_group_segment_fixed_size 0
		.amdhsa_private_segment_fixed_size 0
		.amdhsa_kernarg_size 96
		.amdhsa_user_sgpr_count 2
		.amdhsa_user_sgpr_dispatch_ptr 0
		.amdhsa_user_sgpr_queue_ptr 0
		.amdhsa_user_sgpr_kernarg_segment_ptr 1
		.amdhsa_user_sgpr_dispatch_id 0
		.amdhsa_user_sgpr_private_segment_size 0
		.amdhsa_wavefront_size32 1
		.amdhsa_uses_dynamic_stack 0
		.amdhsa_enable_private_segment 0
		.amdhsa_system_sgpr_workgroup_id_x 1
		.amdhsa_system_sgpr_workgroup_id_y 0
		.amdhsa_system_sgpr_workgroup_id_z 0
		.amdhsa_system_sgpr_workgroup_info 0
		.amdhsa_system_vgpr_workitem_id 0
		.amdhsa_next_free_vgpr 1
		.amdhsa_next_free_sgpr 1
		.amdhsa_reserve_vcc 0
		.amdhsa_float_round_mode_32 0
		.amdhsa_float_round_mode_16_64 0
		.amdhsa_float_denorm_mode_32 3
		.amdhsa_float_denorm_mode_16_64 3
		.amdhsa_fp16_overflow 0
		.amdhsa_workgroup_processor_mode 1
		.amdhsa_memory_ordered 1
		.amdhsa_forward_progress 1
		.amdhsa_inst_pref_size 0
		.amdhsa_round_robin_scheduling 0
		.amdhsa_exception_fp_ieee_invalid_op 0
		.amdhsa_exception_fp_denorm_src 0
		.amdhsa_exception_fp_ieee_div_zero 0
		.amdhsa_exception_fp_ieee_overflow 0
		.amdhsa_exception_fp_ieee_underflow 0
		.amdhsa_exception_fp_ieee_inexact 0
		.amdhsa_exception_int_div_zero 0
	.end_amdhsa_kernel
	.section	.text._ZN7rocprim17ROCPRIM_400000_NS6detail17trampoline_kernelINS0_14default_configENS1_20scan_config_selectorIN3c108BFloat16EEEZZNS1_9scan_implILNS1_25lookback_scan_determinismE0ELb0ELb0ES3_PKS6_PS6_S6_ZZZN2at6native31launch_logcumsumexp_cuda_kernelERKNSD_10TensorBaseESH_lENKUlvE_clEvENKUlvE4_clEvEUlS6_S6_E_S6_EEDaPvRmT3_T4_T5_mT6_P12ihipStream_tbENKUlT_T0_E_clISt17integral_constantIbLb0EESY_EEDaST_SU_EUlST_E_NS1_11comp_targetILNS1_3genE4ELNS1_11target_archE910ELNS1_3gpuE8ELNS1_3repE0EEENS1_30default_config_static_selectorELNS0_4arch9wavefront6targetE0EEEvT1_,"axG",@progbits,_ZN7rocprim17ROCPRIM_400000_NS6detail17trampoline_kernelINS0_14default_configENS1_20scan_config_selectorIN3c108BFloat16EEEZZNS1_9scan_implILNS1_25lookback_scan_determinismE0ELb0ELb0ES3_PKS6_PS6_S6_ZZZN2at6native31launch_logcumsumexp_cuda_kernelERKNSD_10TensorBaseESH_lENKUlvE_clEvENKUlvE4_clEvEUlS6_S6_E_S6_EEDaPvRmT3_T4_T5_mT6_P12ihipStream_tbENKUlT_T0_E_clISt17integral_constantIbLb0EESY_EEDaST_SU_EUlST_E_NS1_11comp_targetILNS1_3genE4ELNS1_11target_archE910ELNS1_3gpuE8ELNS1_3repE0EEENS1_30default_config_static_selectorELNS0_4arch9wavefront6targetE0EEEvT1_,comdat
.Lfunc_end440:
	.size	_ZN7rocprim17ROCPRIM_400000_NS6detail17trampoline_kernelINS0_14default_configENS1_20scan_config_selectorIN3c108BFloat16EEEZZNS1_9scan_implILNS1_25lookback_scan_determinismE0ELb0ELb0ES3_PKS6_PS6_S6_ZZZN2at6native31launch_logcumsumexp_cuda_kernelERKNSD_10TensorBaseESH_lENKUlvE_clEvENKUlvE4_clEvEUlS6_S6_E_S6_EEDaPvRmT3_T4_T5_mT6_P12ihipStream_tbENKUlT_T0_E_clISt17integral_constantIbLb0EESY_EEDaST_SU_EUlST_E_NS1_11comp_targetILNS1_3genE4ELNS1_11target_archE910ELNS1_3gpuE8ELNS1_3repE0EEENS1_30default_config_static_selectorELNS0_4arch9wavefront6targetE0EEEvT1_, .Lfunc_end440-_ZN7rocprim17ROCPRIM_400000_NS6detail17trampoline_kernelINS0_14default_configENS1_20scan_config_selectorIN3c108BFloat16EEEZZNS1_9scan_implILNS1_25lookback_scan_determinismE0ELb0ELb0ES3_PKS6_PS6_S6_ZZZN2at6native31launch_logcumsumexp_cuda_kernelERKNSD_10TensorBaseESH_lENKUlvE_clEvENKUlvE4_clEvEUlS6_S6_E_S6_EEDaPvRmT3_T4_T5_mT6_P12ihipStream_tbENKUlT_T0_E_clISt17integral_constantIbLb0EESY_EEDaST_SU_EUlST_E_NS1_11comp_targetILNS1_3genE4ELNS1_11target_archE910ELNS1_3gpuE8ELNS1_3repE0EEENS1_30default_config_static_selectorELNS0_4arch9wavefront6targetE0EEEvT1_
                                        ; -- End function
	.set _ZN7rocprim17ROCPRIM_400000_NS6detail17trampoline_kernelINS0_14default_configENS1_20scan_config_selectorIN3c108BFloat16EEEZZNS1_9scan_implILNS1_25lookback_scan_determinismE0ELb0ELb0ES3_PKS6_PS6_S6_ZZZN2at6native31launch_logcumsumexp_cuda_kernelERKNSD_10TensorBaseESH_lENKUlvE_clEvENKUlvE4_clEvEUlS6_S6_E_S6_EEDaPvRmT3_T4_T5_mT6_P12ihipStream_tbENKUlT_T0_E_clISt17integral_constantIbLb0EESY_EEDaST_SU_EUlST_E_NS1_11comp_targetILNS1_3genE4ELNS1_11target_archE910ELNS1_3gpuE8ELNS1_3repE0EEENS1_30default_config_static_selectorELNS0_4arch9wavefront6targetE0EEEvT1_.num_vgpr, 0
	.set _ZN7rocprim17ROCPRIM_400000_NS6detail17trampoline_kernelINS0_14default_configENS1_20scan_config_selectorIN3c108BFloat16EEEZZNS1_9scan_implILNS1_25lookback_scan_determinismE0ELb0ELb0ES3_PKS6_PS6_S6_ZZZN2at6native31launch_logcumsumexp_cuda_kernelERKNSD_10TensorBaseESH_lENKUlvE_clEvENKUlvE4_clEvEUlS6_S6_E_S6_EEDaPvRmT3_T4_T5_mT6_P12ihipStream_tbENKUlT_T0_E_clISt17integral_constantIbLb0EESY_EEDaST_SU_EUlST_E_NS1_11comp_targetILNS1_3genE4ELNS1_11target_archE910ELNS1_3gpuE8ELNS1_3repE0EEENS1_30default_config_static_selectorELNS0_4arch9wavefront6targetE0EEEvT1_.num_agpr, 0
	.set _ZN7rocprim17ROCPRIM_400000_NS6detail17trampoline_kernelINS0_14default_configENS1_20scan_config_selectorIN3c108BFloat16EEEZZNS1_9scan_implILNS1_25lookback_scan_determinismE0ELb0ELb0ES3_PKS6_PS6_S6_ZZZN2at6native31launch_logcumsumexp_cuda_kernelERKNSD_10TensorBaseESH_lENKUlvE_clEvENKUlvE4_clEvEUlS6_S6_E_S6_EEDaPvRmT3_T4_T5_mT6_P12ihipStream_tbENKUlT_T0_E_clISt17integral_constantIbLb0EESY_EEDaST_SU_EUlST_E_NS1_11comp_targetILNS1_3genE4ELNS1_11target_archE910ELNS1_3gpuE8ELNS1_3repE0EEENS1_30default_config_static_selectorELNS0_4arch9wavefront6targetE0EEEvT1_.numbered_sgpr, 0
	.set _ZN7rocprim17ROCPRIM_400000_NS6detail17trampoline_kernelINS0_14default_configENS1_20scan_config_selectorIN3c108BFloat16EEEZZNS1_9scan_implILNS1_25lookback_scan_determinismE0ELb0ELb0ES3_PKS6_PS6_S6_ZZZN2at6native31launch_logcumsumexp_cuda_kernelERKNSD_10TensorBaseESH_lENKUlvE_clEvENKUlvE4_clEvEUlS6_S6_E_S6_EEDaPvRmT3_T4_T5_mT6_P12ihipStream_tbENKUlT_T0_E_clISt17integral_constantIbLb0EESY_EEDaST_SU_EUlST_E_NS1_11comp_targetILNS1_3genE4ELNS1_11target_archE910ELNS1_3gpuE8ELNS1_3repE0EEENS1_30default_config_static_selectorELNS0_4arch9wavefront6targetE0EEEvT1_.num_named_barrier, 0
	.set _ZN7rocprim17ROCPRIM_400000_NS6detail17trampoline_kernelINS0_14default_configENS1_20scan_config_selectorIN3c108BFloat16EEEZZNS1_9scan_implILNS1_25lookback_scan_determinismE0ELb0ELb0ES3_PKS6_PS6_S6_ZZZN2at6native31launch_logcumsumexp_cuda_kernelERKNSD_10TensorBaseESH_lENKUlvE_clEvENKUlvE4_clEvEUlS6_S6_E_S6_EEDaPvRmT3_T4_T5_mT6_P12ihipStream_tbENKUlT_T0_E_clISt17integral_constantIbLb0EESY_EEDaST_SU_EUlST_E_NS1_11comp_targetILNS1_3genE4ELNS1_11target_archE910ELNS1_3gpuE8ELNS1_3repE0EEENS1_30default_config_static_selectorELNS0_4arch9wavefront6targetE0EEEvT1_.private_seg_size, 0
	.set _ZN7rocprim17ROCPRIM_400000_NS6detail17trampoline_kernelINS0_14default_configENS1_20scan_config_selectorIN3c108BFloat16EEEZZNS1_9scan_implILNS1_25lookback_scan_determinismE0ELb0ELb0ES3_PKS6_PS6_S6_ZZZN2at6native31launch_logcumsumexp_cuda_kernelERKNSD_10TensorBaseESH_lENKUlvE_clEvENKUlvE4_clEvEUlS6_S6_E_S6_EEDaPvRmT3_T4_T5_mT6_P12ihipStream_tbENKUlT_T0_E_clISt17integral_constantIbLb0EESY_EEDaST_SU_EUlST_E_NS1_11comp_targetILNS1_3genE4ELNS1_11target_archE910ELNS1_3gpuE8ELNS1_3repE0EEENS1_30default_config_static_selectorELNS0_4arch9wavefront6targetE0EEEvT1_.uses_vcc, 0
	.set _ZN7rocprim17ROCPRIM_400000_NS6detail17trampoline_kernelINS0_14default_configENS1_20scan_config_selectorIN3c108BFloat16EEEZZNS1_9scan_implILNS1_25lookback_scan_determinismE0ELb0ELb0ES3_PKS6_PS6_S6_ZZZN2at6native31launch_logcumsumexp_cuda_kernelERKNSD_10TensorBaseESH_lENKUlvE_clEvENKUlvE4_clEvEUlS6_S6_E_S6_EEDaPvRmT3_T4_T5_mT6_P12ihipStream_tbENKUlT_T0_E_clISt17integral_constantIbLb0EESY_EEDaST_SU_EUlST_E_NS1_11comp_targetILNS1_3genE4ELNS1_11target_archE910ELNS1_3gpuE8ELNS1_3repE0EEENS1_30default_config_static_selectorELNS0_4arch9wavefront6targetE0EEEvT1_.uses_flat_scratch, 0
	.set _ZN7rocprim17ROCPRIM_400000_NS6detail17trampoline_kernelINS0_14default_configENS1_20scan_config_selectorIN3c108BFloat16EEEZZNS1_9scan_implILNS1_25lookback_scan_determinismE0ELb0ELb0ES3_PKS6_PS6_S6_ZZZN2at6native31launch_logcumsumexp_cuda_kernelERKNSD_10TensorBaseESH_lENKUlvE_clEvENKUlvE4_clEvEUlS6_S6_E_S6_EEDaPvRmT3_T4_T5_mT6_P12ihipStream_tbENKUlT_T0_E_clISt17integral_constantIbLb0EESY_EEDaST_SU_EUlST_E_NS1_11comp_targetILNS1_3genE4ELNS1_11target_archE910ELNS1_3gpuE8ELNS1_3repE0EEENS1_30default_config_static_selectorELNS0_4arch9wavefront6targetE0EEEvT1_.has_dyn_sized_stack, 0
	.set _ZN7rocprim17ROCPRIM_400000_NS6detail17trampoline_kernelINS0_14default_configENS1_20scan_config_selectorIN3c108BFloat16EEEZZNS1_9scan_implILNS1_25lookback_scan_determinismE0ELb0ELb0ES3_PKS6_PS6_S6_ZZZN2at6native31launch_logcumsumexp_cuda_kernelERKNSD_10TensorBaseESH_lENKUlvE_clEvENKUlvE4_clEvEUlS6_S6_E_S6_EEDaPvRmT3_T4_T5_mT6_P12ihipStream_tbENKUlT_T0_E_clISt17integral_constantIbLb0EESY_EEDaST_SU_EUlST_E_NS1_11comp_targetILNS1_3genE4ELNS1_11target_archE910ELNS1_3gpuE8ELNS1_3repE0EEENS1_30default_config_static_selectorELNS0_4arch9wavefront6targetE0EEEvT1_.has_recursion, 0
	.set _ZN7rocprim17ROCPRIM_400000_NS6detail17trampoline_kernelINS0_14default_configENS1_20scan_config_selectorIN3c108BFloat16EEEZZNS1_9scan_implILNS1_25lookback_scan_determinismE0ELb0ELb0ES3_PKS6_PS6_S6_ZZZN2at6native31launch_logcumsumexp_cuda_kernelERKNSD_10TensorBaseESH_lENKUlvE_clEvENKUlvE4_clEvEUlS6_S6_E_S6_EEDaPvRmT3_T4_T5_mT6_P12ihipStream_tbENKUlT_T0_E_clISt17integral_constantIbLb0EESY_EEDaST_SU_EUlST_E_NS1_11comp_targetILNS1_3genE4ELNS1_11target_archE910ELNS1_3gpuE8ELNS1_3repE0EEENS1_30default_config_static_selectorELNS0_4arch9wavefront6targetE0EEEvT1_.has_indirect_call, 0
	.section	.AMDGPU.csdata,"",@progbits
; Kernel info:
; codeLenInByte = 0
; TotalNumSgprs: 0
; NumVgprs: 0
; ScratchSize: 0
; MemoryBound: 0
; FloatMode: 240
; IeeeMode: 1
; LDSByteSize: 0 bytes/workgroup (compile time only)
; SGPRBlocks: 0
; VGPRBlocks: 0
; NumSGPRsForWavesPerEU: 1
; NumVGPRsForWavesPerEU: 1
; Occupancy: 16
; WaveLimiterHint : 0
; COMPUTE_PGM_RSRC2:SCRATCH_EN: 0
; COMPUTE_PGM_RSRC2:USER_SGPR: 2
; COMPUTE_PGM_RSRC2:TRAP_HANDLER: 0
; COMPUTE_PGM_RSRC2:TGID_X_EN: 1
; COMPUTE_PGM_RSRC2:TGID_Y_EN: 0
; COMPUTE_PGM_RSRC2:TGID_Z_EN: 0
; COMPUTE_PGM_RSRC2:TIDIG_COMP_CNT: 0
	.section	.text._ZN7rocprim17ROCPRIM_400000_NS6detail17trampoline_kernelINS0_14default_configENS1_20scan_config_selectorIN3c108BFloat16EEEZZNS1_9scan_implILNS1_25lookback_scan_determinismE0ELb0ELb0ES3_PKS6_PS6_S6_ZZZN2at6native31launch_logcumsumexp_cuda_kernelERKNSD_10TensorBaseESH_lENKUlvE_clEvENKUlvE4_clEvEUlS6_S6_E_S6_EEDaPvRmT3_T4_T5_mT6_P12ihipStream_tbENKUlT_T0_E_clISt17integral_constantIbLb0EESY_EEDaST_SU_EUlST_E_NS1_11comp_targetILNS1_3genE3ELNS1_11target_archE908ELNS1_3gpuE7ELNS1_3repE0EEENS1_30default_config_static_selectorELNS0_4arch9wavefront6targetE0EEEvT1_,"axG",@progbits,_ZN7rocprim17ROCPRIM_400000_NS6detail17trampoline_kernelINS0_14default_configENS1_20scan_config_selectorIN3c108BFloat16EEEZZNS1_9scan_implILNS1_25lookback_scan_determinismE0ELb0ELb0ES3_PKS6_PS6_S6_ZZZN2at6native31launch_logcumsumexp_cuda_kernelERKNSD_10TensorBaseESH_lENKUlvE_clEvENKUlvE4_clEvEUlS6_S6_E_S6_EEDaPvRmT3_T4_T5_mT6_P12ihipStream_tbENKUlT_T0_E_clISt17integral_constantIbLb0EESY_EEDaST_SU_EUlST_E_NS1_11comp_targetILNS1_3genE3ELNS1_11target_archE908ELNS1_3gpuE7ELNS1_3repE0EEENS1_30default_config_static_selectorELNS0_4arch9wavefront6targetE0EEEvT1_,comdat
	.globl	_ZN7rocprim17ROCPRIM_400000_NS6detail17trampoline_kernelINS0_14default_configENS1_20scan_config_selectorIN3c108BFloat16EEEZZNS1_9scan_implILNS1_25lookback_scan_determinismE0ELb0ELb0ES3_PKS6_PS6_S6_ZZZN2at6native31launch_logcumsumexp_cuda_kernelERKNSD_10TensorBaseESH_lENKUlvE_clEvENKUlvE4_clEvEUlS6_S6_E_S6_EEDaPvRmT3_T4_T5_mT6_P12ihipStream_tbENKUlT_T0_E_clISt17integral_constantIbLb0EESY_EEDaST_SU_EUlST_E_NS1_11comp_targetILNS1_3genE3ELNS1_11target_archE908ELNS1_3gpuE7ELNS1_3repE0EEENS1_30default_config_static_selectorELNS0_4arch9wavefront6targetE0EEEvT1_ ; -- Begin function _ZN7rocprim17ROCPRIM_400000_NS6detail17trampoline_kernelINS0_14default_configENS1_20scan_config_selectorIN3c108BFloat16EEEZZNS1_9scan_implILNS1_25lookback_scan_determinismE0ELb0ELb0ES3_PKS6_PS6_S6_ZZZN2at6native31launch_logcumsumexp_cuda_kernelERKNSD_10TensorBaseESH_lENKUlvE_clEvENKUlvE4_clEvEUlS6_S6_E_S6_EEDaPvRmT3_T4_T5_mT6_P12ihipStream_tbENKUlT_T0_E_clISt17integral_constantIbLb0EESY_EEDaST_SU_EUlST_E_NS1_11comp_targetILNS1_3genE3ELNS1_11target_archE908ELNS1_3gpuE7ELNS1_3repE0EEENS1_30default_config_static_selectorELNS0_4arch9wavefront6targetE0EEEvT1_
	.p2align	8
	.type	_ZN7rocprim17ROCPRIM_400000_NS6detail17trampoline_kernelINS0_14default_configENS1_20scan_config_selectorIN3c108BFloat16EEEZZNS1_9scan_implILNS1_25lookback_scan_determinismE0ELb0ELb0ES3_PKS6_PS6_S6_ZZZN2at6native31launch_logcumsumexp_cuda_kernelERKNSD_10TensorBaseESH_lENKUlvE_clEvENKUlvE4_clEvEUlS6_S6_E_S6_EEDaPvRmT3_T4_T5_mT6_P12ihipStream_tbENKUlT_T0_E_clISt17integral_constantIbLb0EESY_EEDaST_SU_EUlST_E_NS1_11comp_targetILNS1_3genE3ELNS1_11target_archE908ELNS1_3gpuE7ELNS1_3repE0EEENS1_30default_config_static_selectorELNS0_4arch9wavefront6targetE0EEEvT1_,@function
_ZN7rocprim17ROCPRIM_400000_NS6detail17trampoline_kernelINS0_14default_configENS1_20scan_config_selectorIN3c108BFloat16EEEZZNS1_9scan_implILNS1_25lookback_scan_determinismE0ELb0ELb0ES3_PKS6_PS6_S6_ZZZN2at6native31launch_logcumsumexp_cuda_kernelERKNSD_10TensorBaseESH_lENKUlvE_clEvENKUlvE4_clEvEUlS6_S6_E_S6_EEDaPvRmT3_T4_T5_mT6_P12ihipStream_tbENKUlT_T0_E_clISt17integral_constantIbLb0EESY_EEDaST_SU_EUlST_E_NS1_11comp_targetILNS1_3genE3ELNS1_11target_archE908ELNS1_3gpuE7ELNS1_3repE0EEENS1_30default_config_static_selectorELNS0_4arch9wavefront6targetE0EEEvT1_: ; @_ZN7rocprim17ROCPRIM_400000_NS6detail17trampoline_kernelINS0_14default_configENS1_20scan_config_selectorIN3c108BFloat16EEEZZNS1_9scan_implILNS1_25lookback_scan_determinismE0ELb0ELb0ES3_PKS6_PS6_S6_ZZZN2at6native31launch_logcumsumexp_cuda_kernelERKNSD_10TensorBaseESH_lENKUlvE_clEvENKUlvE4_clEvEUlS6_S6_E_S6_EEDaPvRmT3_T4_T5_mT6_P12ihipStream_tbENKUlT_T0_E_clISt17integral_constantIbLb0EESY_EEDaST_SU_EUlST_E_NS1_11comp_targetILNS1_3genE3ELNS1_11target_archE908ELNS1_3gpuE7ELNS1_3repE0EEENS1_30default_config_static_selectorELNS0_4arch9wavefront6targetE0EEEvT1_
; %bb.0:
	.section	.rodata,"a",@progbits
	.p2align	6, 0x0
	.amdhsa_kernel _ZN7rocprim17ROCPRIM_400000_NS6detail17trampoline_kernelINS0_14default_configENS1_20scan_config_selectorIN3c108BFloat16EEEZZNS1_9scan_implILNS1_25lookback_scan_determinismE0ELb0ELb0ES3_PKS6_PS6_S6_ZZZN2at6native31launch_logcumsumexp_cuda_kernelERKNSD_10TensorBaseESH_lENKUlvE_clEvENKUlvE4_clEvEUlS6_S6_E_S6_EEDaPvRmT3_T4_T5_mT6_P12ihipStream_tbENKUlT_T0_E_clISt17integral_constantIbLb0EESY_EEDaST_SU_EUlST_E_NS1_11comp_targetILNS1_3genE3ELNS1_11target_archE908ELNS1_3gpuE7ELNS1_3repE0EEENS1_30default_config_static_selectorELNS0_4arch9wavefront6targetE0EEEvT1_
		.amdhsa_group_segment_fixed_size 0
		.amdhsa_private_segment_fixed_size 0
		.amdhsa_kernarg_size 96
		.amdhsa_user_sgpr_count 2
		.amdhsa_user_sgpr_dispatch_ptr 0
		.amdhsa_user_sgpr_queue_ptr 0
		.amdhsa_user_sgpr_kernarg_segment_ptr 1
		.amdhsa_user_sgpr_dispatch_id 0
		.amdhsa_user_sgpr_private_segment_size 0
		.amdhsa_wavefront_size32 1
		.amdhsa_uses_dynamic_stack 0
		.amdhsa_enable_private_segment 0
		.amdhsa_system_sgpr_workgroup_id_x 1
		.amdhsa_system_sgpr_workgroup_id_y 0
		.amdhsa_system_sgpr_workgroup_id_z 0
		.amdhsa_system_sgpr_workgroup_info 0
		.amdhsa_system_vgpr_workitem_id 0
		.amdhsa_next_free_vgpr 1
		.amdhsa_next_free_sgpr 1
		.amdhsa_reserve_vcc 0
		.amdhsa_float_round_mode_32 0
		.amdhsa_float_round_mode_16_64 0
		.amdhsa_float_denorm_mode_32 3
		.amdhsa_float_denorm_mode_16_64 3
		.amdhsa_fp16_overflow 0
		.amdhsa_workgroup_processor_mode 1
		.amdhsa_memory_ordered 1
		.amdhsa_forward_progress 1
		.amdhsa_inst_pref_size 0
		.amdhsa_round_robin_scheduling 0
		.amdhsa_exception_fp_ieee_invalid_op 0
		.amdhsa_exception_fp_denorm_src 0
		.amdhsa_exception_fp_ieee_div_zero 0
		.amdhsa_exception_fp_ieee_overflow 0
		.amdhsa_exception_fp_ieee_underflow 0
		.amdhsa_exception_fp_ieee_inexact 0
		.amdhsa_exception_int_div_zero 0
	.end_amdhsa_kernel
	.section	.text._ZN7rocprim17ROCPRIM_400000_NS6detail17trampoline_kernelINS0_14default_configENS1_20scan_config_selectorIN3c108BFloat16EEEZZNS1_9scan_implILNS1_25lookback_scan_determinismE0ELb0ELb0ES3_PKS6_PS6_S6_ZZZN2at6native31launch_logcumsumexp_cuda_kernelERKNSD_10TensorBaseESH_lENKUlvE_clEvENKUlvE4_clEvEUlS6_S6_E_S6_EEDaPvRmT3_T4_T5_mT6_P12ihipStream_tbENKUlT_T0_E_clISt17integral_constantIbLb0EESY_EEDaST_SU_EUlST_E_NS1_11comp_targetILNS1_3genE3ELNS1_11target_archE908ELNS1_3gpuE7ELNS1_3repE0EEENS1_30default_config_static_selectorELNS0_4arch9wavefront6targetE0EEEvT1_,"axG",@progbits,_ZN7rocprim17ROCPRIM_400000_NS6detail17trampoline_kernelINS0_14default_configENS1_20scan_config_selectorIN3c108BFloat16EEEZZNS1_9scan_implILNS1_25lookback_scan_determinismE0ELb0ELb0ES3_PKS6_PS6_S6_ZZZN2at6native31launch_logcumsumexp_cuda_kernelERKNSD_10TensorBaseESH_lENKUlvE_clEvENKUlvE4_clEvEUlS6_S6_E_S6_EEDaPvRmT3_T4_T5_mT6_P12ihipStream_tbENKUlT_T0_E_clISt17integral_constantIbLb0EESY_EEDaST_SU_EUlST_E_NS1_11comp_targetILNS1_3genE3ELNS1_11target_archE908ELNS1_3gpuE7ELNS1_3repE0EEENS1_30default_config_static_selectorELNS0_4arch9wavefront6targetE0EEEvT1_,comdat
.Lfunc_end441:
	.size	_ZN7rocprim17ROCPRIM_400000_NS6detail17trampoline_kernelINS0_14default_configENS1_20scan_config_selectorIN3c108BFloat16EEEZZNS1_9scan_implILNS1_25lookback_scan_determinismE0ELb0ELb0ES3_PKS6_PS6_S6_ZZZN2at6native31launch_logcumsumexp_cuda_kernelERKNSD_10TensorBaseESH_lENKUlvE_clEvENKUlvE4_clEvEUlS6_S6_E_S6_EEDaPvRmT3_T4_T5_mT6_P12ihipStream_tbENKUlT_T0_E_clISt17integral_constantIbLb0EESY_EEDaST_SU_EUlST_E_NS1_11comp_targetILNS1_3genE3ELNS1_11target_archE908ELNS1_3gpuE7ELNS1_3repE0EEENS1_30default_config_static_selectorELNS0_4arch9wavefront6targetE0EEEvT1_, .Lfunc_end441-_ZN7rocprim17ROCPRIM_400000_NS6detail17trampoline_kernelINS0_14default_configENS1_20scan_config_selectorIN3c108BFloat16EEEZZNS1_9scan_implILNS1_25lookback_scan_determinismE0ELb0ELb0ES3_PKS6_PS6_S6_ZZZN2at6native31launch_logcumsumexp_cuda_kernelERKNSD_10TensorBaseESH_lENKUlvE_clEvENKUlvE4_clEvEUlS6_S6_E_S6_EEDaPvRmT3_T4_T5_mT6_P12ihipStream_tbENKUlT_T0_E_clISt17integral_constantIbLb0EESY_EEDaST_SU_EUlST_E_NS1_11comp_targetILNS1_3genE3ELNS1_11target_archE908ELNS1_3gpuE7ELNS1_3repE0EEENS1_30default_config_static_selectorELNS0_4arch9wavefront6targetE0EEEvT1_
                                        ; -- End function
	.set _ZN7rocprim17ROCPRIM_400000_NS6detail17trampoline_kernelINS0_14default_configENS1_20scan_config_selectorIN3c108BFloat16EEEZZNS1_9scan_implILNS1_25lookback_scan_determinismE0ELb0ELb0ES3_PKS6_PS6_S6_ZZZN2at6native31launch_logcumsumexp_cuda_kernelERKNSD_10TensorBaseESH_lENKUlvE_clEvENKUlvE4_clEvEUlS6_S6_E_S6_EEDaPvRmT3_T4_T5_mT6_P12ihipStream_tbENKUlT_T0_E_clISt17integral_constantIbLb0EESY_EEDaST_SU_EUlST_E_NS1_11comp_targetILNS1_3genE3ELNS1_11target_archE908ELNS1_3gpuE7ELNS1_3repE0EEENS1_30default_config_static_selectorELNS0_4arch9wavefront6targetE0EEEvT1_.num_vgpr, 0
	.set _ZN7rocprim17ROCPRIM_400000_NS6detail17trampoline_kernelINS0_14default_configENS1_20scan_config_selectorIN3c108BFloat16EEEZZNS1_9scan_implILNS1_25lookback_scan_determinismE0ELb0ELb0ES3_PKS6_PS6_S6_ZZZN2at6native31launch_logcumsumexp_cuda_kernelERKNSD_10TensorBaseESH_lENKUlvE_clEvENKUlvE4_clEvEUlS6_S6_E_S6_EEDaPvRmT3_T4_T5_mT6_P12ihipStream_tbENKUlT_T0_E_clISt17integral_constantIbLb0EESY_EEDaST_SU_EUlST_E_NS1_11comp_targetILNS1_3genE3ELNS1_11target_archE908ELNS1_3gpuE7ELNS1_3repE0EEENS1_30default_config_static_selectorELNS0_4arch9wavefront6targetE0EEEvT1_.num_agpr, 0
	.set _ZN7rocprim17ROCPRIM_400000_NS6detail17trampoline_kernelINS0_14default_configENS1_20scan_config_selectorIN3c108BFloat16EEEZZNS1_9scan_implILNS1_25lookback_scan_determinismE0ELb0ELb0ES3_PKS6_PS6_S6_ZZZN2at6native31launch_logcumsumexp_cuda_kernelERKNSD_10TensorBaseESH_lENKUlvE_clEvENKUlvE4_clEvEUlS6_S6_E_S6_EEDaPvRmT3_T4_T5_mT6_P12ihipStream_tbENKUlT_T0_E_clISt17integral_constantIbLb0EESY_EEDaST_SU_EUlST_E_NS1_11comp_targetILNS1_3genE3ELNS1_11target_archE908ELNS1_3gpuE7ELNS1_3repE0EEENS1_30default_config_static_selectorELNS0_4arch9wavefront6targetE0EEEvT1_.numbered_sgpr, 0
	.set _ZN7rocprim17ROCPRIM_400000_NS6detail17trampoline_kernelINS0_14default_configENS1_20scan_config_selectorIN3c108BFloat16EEEZZNS1_9scan_implILNS1_25lookback_scan_determinismE0ELb0ELb0ES3_PKS6_PS6_S6_ZZZN2at6native31launch_logcumsumexp_cuda_kernelERKNSD_10TensorBaseESH_lENKUlvE_clEvENKUlvE4_clEvEUlS6_S6_E_S6_EEDaPvRmT3_T4_T5_mT6_P12ihipStream_tbENKUlT_T0_E_clISt17integral_constantIbLb0EESY_EEDaST_SU_EUlST_E_NS1_11comp_targetILNS1_3genE3ELNS1_11target_archE908ELNS1_3gpuE7ELNS1_3repE0EEENS1_30default_config_static_selectorELNS0_4arch9wavefront6targetE0EEEvT1_.num_named_barrier, 0
	.set _ZN7rocprim17ROCPRIM_400000_NS6detail17trampoline_kernelINS0_14default_configENS1_20scan_config_selectorIN3c108BFloat16EEEZZNS1_9scan_implILNS1_25lookback_scan_determinismE0ELb0ELb0ES3_PKS6_PS6_S6_ZZZN2at6native31launch_logcumsumexp_cuda_kernelERKNSD_10TensorBaseESH_lENKUlvE_clEvENKUlvE4_clEvEUlS6_S6_E_S6_EEDaPvRmT3_T4_T5_mT6_P12ihipStream_tbENKUlT_T0_E_clISt17integral_constantIbLb0EESY_EEDaST_SU_EUlST_E_NS1_11comp_targetILNS1_3genE3ELNS1_11target_archE908ELNS1_3gpuE7ELNS1_3repE0EEENS1_30default_config_static_selectorELNS0_4arch9wavefront6targetE0EEEvT1_.private_seg_size, 0
	.set _ZN7rocprim17ROCPRIM_400000_NS6detail17trampoline_kernelINS0_14default_configENS1_20scan_config_selectorIN3c108BFloat16EEEZZNS1_9scan_implILNS1_25lookback_scan_determinismE0ELb0ELb0ES3_PKS6_PS6_S6_ZZZN2at6native31launch_logcumsumexp_cuda_kernelERKNSD_10TensorBaseESH_lENKUlvE_clEvENKUlvE4_clEvEUlS6_S6_E_S6_EEDaPvRmT3_T4_T5_mT6_P12ihipStream_tbENKUlT_T0_E_clISt17integral_constantIbLb0EESY_EEDaST_SU_EUlST_E_NS1_11comp_targetILNS1_3genE3ELNS1_11target_archE908ELNS1_3gpuE7ELNS1_3repE0EEENS1_30default_config_static_selectorELNS0_4arch9wavefront6targetE0EEEvT1_.uses_vcc, 0
	.set _ZN7rocprim17ROCPRIM_400000_NS6detail17trampoline_kernelINS0_14default_configENS1_20scan_config_selectorIN3c108BFloat16EEEZZNS1_9scan_implILNS1_25lookback_scan_determinismE0ELb0ELb0ES3_PKS6_PS6_S6_ZZZN2at6native31launch_logcumsumexp_cuda_kernelERKNSD_10TensorBaseESH_lENKUlvE_clEvENKUlvE4_clEvEUlS6_S6_E_S6_EEDaPvRmT3_T4_T5_mT6_P12ihipStream_tbENKUlT_T0_E_clISt17integral_constantIbLb0EESY_EEDaST_SU_EUlST_E_NS1_11comp_targetILNS1_3genE3ELNS1_11target_archE908ELNS1_3gpuE7ELNS1_3repE0EEENS1_30default_config_static_selectorELNS0_4arch9wavefront6targetE0EEEvT1_.uses_flat_scratch, 0
	.set _ZN7rocprim17ROCPRIM_400000_NS6detail17trampoline_kernelINS0_14default_configENS1_20scan_config_selectorIN3c108BFloat16EEEZZNS1_9scan_implILNS1_25lookback_scan_determinismE0ELb0ELb0ES3_PKS6_PS6_S6_ZZZN2at6native31launch_logcumsumexp_cuda_kernelERKNSD_10TensorBaseESH_lENKUlvE_clEvENKUlvE4_clEvEUlS6_S6_E_S6_EEDaPvRmT3_T4_T5_mT6_P12ihipStream_tbENKUlT_T0_E_clISt17integral_constantIbLb0EESY_EEDaST_SU_EUlST_E_NS1_11comp_targetILNS1_3genE3ELNS1_11target_archE908ELNS1_3gpuE7ELNS1_3repE0EEENS1_30default_config_static_selectorELNS0_4arch9wavefront6targetE0EEEvT1_.has_dyn_sized_stack, 0
	.set _ZN7rocprim17ROCPRIM_400000_NS6detail17trampoline_kernelINS0_14default_configENS1_20scan_config_selectorIN3c108BFloat16EEEZZNS1_9scan_implILNS1_25lookback_scan_determinismE0ELb0ELb0ES3_PKS6_PS6_S6_ZZZN2at6native31launch_logcumsumexp_cuda_kernelERKNSD_10TensorBaseESH_lENKUlvE_clEvENKUlvE4_clEvEUlS6_S6_E_S6_EEDaPvRmT3_T4_T5_mT6_P12ihipStream_tbENKUlT_T0_E_clISt17integral_constantIbLb0EESY_EEDaST_SU_EUlST_E_NS1_11comp_targetILNS1_3genE3ELNS1_11target_archE908ELNS1_3gpuE7ELNS1_3repE0EEENS1_30default_config_static_selectorELNS0_4arch9wavefront6targetE0EEEvT1_.has_recursion, 0
	.set _ZN7rocprim17ROCPRIM_400000_NS6detail17trampoline_kernelINS0_14default_configENS1_20scan_config_selectorIN3c108BFloat16EEEZZNS1_9scan_implILNS1_25lookback_scan_determinismE0ELb0ELb0ES3_PKS6_PS6_S6_ZZZN2at6native31launch_logcumsumexp_cuda_kernelERKNSD_10TensorBaseESH_lENKUlvE_clEvENKUlvE4_clEvEUlS6_S6_E_S6_EEDaPvRmT3_T4_T5_mT6_P12ihipStream_tbENKUlT_T0_E_clISt17integral_constantIbLb0EESY_EEDaST_SU_EUlST_E_NS1_11comp_targetILNS1_3genE3ELNS1_11target_archE908ELNS1_3gpuE7ELNS1_3repE0EEENS1_30default_config_static_selectorELNS0_4arch9wavefront6targetE0EEEvT1_.has_indirect_call, 0
	.section	.AMDGPU.csdata,"",@progbits
; Kernel info:
; codeLenInByte = 0
; TotalNumSgprs: 0
; NumVgprs: 0
; ScratchSize: 0
; MemoryBound: 0
; FloatMode: 240
; IeeeMode: 1
; LDSByteSize: 0 bytes/workgroup (compile time only)
; SGPRBlocks: 0
; VGPRBlocks: 0
; NumSGPRsForWavesPerEU: 1
; NumVGPRsForWavesPerEU: 1
; Occupancy: 16
; WaveLimiterHint : 0
; COMPUTE_PGM_RSRC2:SCRATCH_EN: 0
; COMPUTE_PGM_RSRC2:USER_SGPR: 2
; COMPUTE_PGM_RSRC2:TRAP_HANDLER: 0
; COMPUTE_PGM_RSRC2:TGID_X_EN: 1
; COMPUTE_PGM_RSRC2:TGID_Y_EN: 0
; COMPUTE_PGM_RSRC2:TGID_Z_EN: 0
; COMPUTE_PGM_RSRC2:TIDIG_COMP_CNT: 0
	.section	.text._ZN7rocprim17ROCPRIM_400000_NS6detail17trampoline_kernelINS0_14default_configENS1_20scan_config_selectorIN3c108BFloat16EEEZZNS1_9scan_implILNS1_25lookback_scan_determinismE0ELb0ELb0ES3_PKS6_PS6_S6_ZZZN2at6native31launch_logcumsumexp_cuda_kernelERKNSD_10TensorBaseESH_lENKUlvE_clEvENKUlvE4_clEvEUlS6_S6_E_S6_EEDaPvRmT3_T4_T5_mT6_P12ihipStream_tbENKUlT_T0_E_clISt17integral_constantIbLb0EESY_EEDaST_SU_EUlST_E_NS1_11comp_targetILNS1_3genE2ELNS1_11target_archE906ELNS1_3gpuE6ELNS1_3repE0EEENS1_30default_config_static_selectorELNS0_4arch9wavefront6targetE0EEEvT1_,"axG",@progbits,_ZN7rocprim17ROCPRIM_400000_NS6detail17trampoline_kernelINS0_14default_configENS1_20scan_config_selectorIN3c108BFloat16EEEZZNS1_9scan_implILNS1_25lookback_scan_determinismE0ELb0ELb0ES3_PKS6_PS6_S6_ZZZN2at6native31launch_logcumsumexp_cuda_kernelERKNSD_10TensorBaseESH_lENKUlvE_clEvENKUlvE4_clEvEUlS6_S6_E_S6_EEDaPvRmT3_T4_T5_mT6_P12ihipStream_tbENKUlT_T0_E_clISt17integral_constantIbLb0EESY_EEDaST_SU_EUlST_E_NS1_11comp_targetILNS1_3genE2ELNS1_11target_archE906ELNS1_3gpuE6ELNS1_3repE0EEENS1_30default_config_static_selectorELNS0_4arch9wavefront6targetE0EEEvT1_,comdat
	.globl	_ZN7rocprim17ROCPRIM_400000_NS6detail17trampoline_kernelINS0_14default_configENS1_20scan_config_selectorIN3c108BFloat16EEEZZNS1_9scan_implILNS1_25lookback_scan_determinismE0ELb0ELb0ES3_PKS6_PS6_S6_ZZZN2at6native31launch_logcumsumexp_cuda_kernelERKNSD_10TensorBaseESH_lENKUlvE_clEvENKUlvE4_clEvEUlS6_S6_E_S6_EEDaPvRmT3_T4_T5_mT6_P12ihipStream_tbENKUlT_T0_E_clISt17integral_constantIbLb0EESY_EEDaST_SU_EUlST_E_NS1_11comp_targetILNS1_3genE2ELNS1_11target_archE906ELNS1_3gpuE6ELNS1_3repE0EEENS1_30default_config_static_selectorELNS0_4arch9wavefront6targetE0EEEvT1_ ; -- Begin function _ZN7rocprim17ROCPRIM_400000_NS6detail17trampoline_kernelINS0_14default_configENS1_20scan_config_selectorIN3c108BFloat16EEEZZNS1_9scan_implILNS1_25lookback_scan_determinismE0ELb0ELb0ES3_PKS6_PS6_S6_ZZZN2at6native31launch_logcumsumexp_cuda_kernelERKNSD_10TensorBaseESH_lENKUlvE_clEvENKUlvE4_clEvEUlS6_S6_E_S6_EEDaPvRmT3_T4_T5_mT6_P12ihipStream_tbENKUlT_T0_E_clISt17integral_constantIbLb0EESY_EEDaST_SU_EUlST_E_NS1_11comp_targetILNS1_3genE2ELNS1_11target_archE906ELNS1_3gpuE6ELNS1_3repE0EEENS1_30default_config_static_selectorELNS0_4arch9wavefront6targetE0EEEvT1_
	.p2align	8
	.type	_ZN7rocprim17ROCPRIM_400000_NS6detail17trampoline_kernelINS0_14default_configENS1_20scan_config_selectorIN3c108BFloat16EEEZZNS1_9scan_implILNS1_25lookback_scan_determinismE0ELb0ELb0ES3_PKS6_PS6_S6_ZZZN2at6native31launch_logcumsumexp_cuda_kernelERKNSD_10TensorBaseESH_lENKUlvE_clEvENKUlvE4_clEvEUlS6_S6_E_S6_EEDaPvRmT3_T4_T5_mT6_P12ihipStream_tbENKUlT_T0_E_clISt17integral_constantIbLb0EESY_EEDaST_SU_EUlST_E_NS1_11comp_targetILNS1_3genE2ELNS1_11target_archE906ELNS1_3gpuE6ELNS1_3repE0EEENS1_30default_config_static_selectorELNS0_4arch9wavefront6targetE0EEEvT1_,@function
_ZN7rocprim17ROCPRIM_400000_NS6detail17trampoline_kernelINS0_14default_configENS1_20scan_config_selectorIN3c108BFloat16EEEZZNS1_9scan_implILNS1_25lookback_scan_determinismE0ELb0ELb0ES3_PKS6_PS6_S6_ZZZN2at6native31launch_logcumsumexp_cuda_kernelERKNSD_10TensorBaseESH_lENKUlvE_clEvENKUlvE4_clEvEUlS6_S6_E_S6_EEDaPvRmT3_T4_T5_mT6_P12ihipStream_tbENKUlT_T0_E_clISt17integral_constantIbLb0EESY_EEDaST_SU_EUlST_E_NS1_11comp_targetILNS1_3genE2ELNS1_11target_archE906ELNS1_3gpuE6ELNS1_3repE0EEENS1_30default_config_static_selectorELNS0_4arch9wavefront6targetE0EEEvT1_: ; @_ZN7rocprim17ROCPRIM_400000_NS6detail17trampoline_kernelINS0_14default_configENS1_20scan_config_selectorIN3c108BFloat16EEEZZNS1_9scan_implILNS1_25lookback_scan_determinismE0ELb0ELb0ES3_PKS6_PS6_S6_ZZZN2at6native31launch_logcumsumexp_cuda_kernelERKNSD_10TensorBaseESH_lENKUlvE_clEvENKUlvE4_clEvEUlS6_S6_E_S6_EEDaPvRmT3_T4_T5_mT6_P12ihipStream_tbENKUlT_T0_E_clISt17integral_constantIbLb0EESY_EEDaST_SU_EUlST_E_NS1_11comp_targetILNS1_3genE2ELNS1_11target_archE906ELNS1_3gpuE6ELNS1_3repE0EEENS1_30default_config_static_selectorELNS0_4arch9wavefront6targetE0EEEvT1_
; %bb.0:
	.section	.rodata,"a",@progbits
	.p2align	6, 0x0
	.amdhsa_kernel _ZN7rocprim17ROCPRIM_400000_NS6detail17trampoline_kernelINS0_14default_configENS1_20scan_config_selectorIN3c108BFloat16EEEZZNS1_9scan_implILNS1_25lookback_scan_determinismE0ELb0ELb0ES3_PKS6_PS6_S6_ZZZN2at6native31launch_logcumsumexp_cuda_kernelERKNSD_10TensorBaseESH_lENKUlvE_clEvENKUlvE4_clEvEUlS6_S6_E_S6_EEDaPvRmT3_T4_T5_mT6_P12ihipStream_tbENKUlT_T0_E_clISt17integral_constantIbLb0EESY_EEDaST_SU_EUlST_E_NS1_11comp_targetILNS1_3genE2ELNS1_11target_archE906ELNS1_3gpuE6ELNS1_3repE0EEENS1_30default_config_static_selectorELNS0_4arch9wavefront6targetE0EEEvT1_
		.amdhsa_group_segment_fixed_size 0
		.amdhsa_private_segment_fixed_size 0
		.amdhsa_kernarg_size 96
		.amdhsa_user_sgpr_count 2
		.amdhsa_user_sgpr_dispatch_ptr 0
		.amdhsa_user_sgpr_queue_ptr 0
		.amdhsa_user_sgpr_kernarg_segment_ptr 1
		.amdhsa_user_sgpr_dispatch_id 0
		.amdhsa_user_sgpr_private_segment_size 0
		.amdhsa_wavefront_size32 1
		.amdhsa_uses_dynamic_stack 0
		.amdhsa_enable_private_segment 0
		.amdhsa_system_sgpr_workgroup_id_x 1
		.amdhsa_system_sgpr_workgroup_id_y 0
		.amdhsa_system_sgpr_workgroup_id_z 0
		.amdhsa_system_sgpr_workgroup_info 0
		.amdhsa_system_vgpr_workitem_id 0
		.amdhsa_next_free_vgpr 1
		.amdhsa_next_free_sgpr 1
		.amdhsa_reserve_vcc 0
		.amdhsa_float_round_mode_32 0
		.amdhsa_float_round_mode_16_64 0
		.amdhsa_float_denorm_mode_32 3
		.amdhsa_float_denorm_mode_16_64 3
		.amdhsa_fp16_overflow 0
		.amdhsa_workgroup_processor_mode 1
		.amdhsa_memory_ordered 1
		.amdhsa_forward_progress 1
		.amdhsa_inst_pref_size 0
		.amdhsa_round_robin_scheduling 0
		.amdhsa_exception_fp_ieee_invalid_op 0
		.amdhsa_exception_fp_denorm_src 0
		.amdhsa_exception_fp_ieee_div_zero 0
		.amdhsa_exception_fp_ieee_overflow 0
		.amdhsa_exception_fp_ieee_underflow 0
		.amdhsa_exception_fp_ieee_inexact 0
		.amdhsa_exception_int_div_zero 0
	.end_amdhsa_kernel
	.section	.text._ZN7rocprim17ROCPRIM_400000_NS6detail17trampoline_kernelINS0_14default_configENS1_20scan_config_selectorIN3c108BFloat16EEEZZNS1_9scan_implILNS1_25lookback_scan_determinismE0ELb0ELb0ES3_PKS6_PS6_S6_ZZZN2at6native31launch_logcumsumexp_cuda_kernelERKNSD_10TensorBaseESH_lENKUlvE_clEvENKUlvE4_clEvEUlS6_S6_E_S6_EEDaPvRmT3_T4_T5_mT6_P12ihipStream_tbENKUlT_T0_E_clISt17integral_constantIbLb0EESY_EEDaST_SU_EUlST_E_NS1_11comp_targetILNS1_3genE2ELNS1_11target_archE906ELNS1_3gpuE6ELNS1_3repE0EEENS1_30default_config_static_selectorELNS0_4arch9wavefront6targetE0EEEvT1_,"axG",@progbits,_ZN7rocprim17ROCPRIM_400000_NS6detail17trampoline_kernelINS0_14default_configENS1_20scan_config_selectorIN3c108BFloat16EEEZZNS1_9scan_implILNS1_25lookback_scan_determinismE0ELb0ELb0ES3_PKS6_PS6_S6_ZZZN2at6native31launch_logcumsumexp_cuda_kernelERKNSD_10TensorBaseESH_lENKUlvE_clEvENKUlvE4_clEvEUlS6_S6_E_S6_EEDaPvRmT3_T4_T5_mT6_P12ihipStream_tbENKUlT_T0_E_clISt17integral_constantIbLb0EESY_EEDaST_SU_EUlST_E_NS1_11comp_targetILNS1_3genE2ELNS1_11target_archE906ELNS1_3gpuE6ELNS1_3repE0EEENS1_30default_config_static_selectorELNS0_4arch9wavefront6targetE0EEEvT1_,comdat
.Lfunc_end442:
	.size	_ZN7rocprim17ROCPRIM_400000_NS6detail17trampoline_kernelINS0_14default_configENS1_20scan_config_selectorIN3c108BFloat16EEEZZNS1_9scan_implILNS1_25lookback_scan_determinismE0ELb0ELb0ES3_PKS6_PS6_S6_ZZZN2at6native31launch_logcumsumexp_cuda_kernelERKNSD_10TensorBaseESH_lENKUlvE_clEvENKUlvE4_clEvEUlS6_S6_E_S6_EEDaPvRmT3_T4_T5_mT6_P12ihipStream_tbENKUlT_T0_E_clISt17integral_constantIbLb0EESY_EEDaST_SU_EUlST_E_NS1_11comp_targetILNS1_3genE2ELNS1_11target_archE906ELNS1_3gpuE6ELNS1_3repE0EEENS1_30default_config_static_selectorELNS0_4arch9wavefront6targetE0EEEvT1_, .Lfunc_end442-_ZN7rocprim17ROCPRIM_400000_NS6detail17trampoline_kernelINS0_14default_configENS1_20scan_config_selectorIN3c108BFloat16EEEZZNS1_9scan_implILNS1_25lookback_scan_determinismE0ELb0ELb0ES3_PKS6_PS6_S6_ZZZN2at6native31launch_logcumsumexp_cuda_kernelERKNSD_10TensorBaseESH_lENKUlvE_clEvENKUlvE4_clEvEUlS6_S6_E_S6_EEDaPvRmT3_T4_T5_mT6_P12ihipStream_tbENKUlT_T0_E_clISt17integral_constantIbLb0EESY_EEDaST_SU_EUlST_E_NS1_11comp_targetILNS1_3genE2ELNS1_11target_archE906ELNS1_3gpuE6ELNS1_3repE0EEENS1_30default_config_static_selectorELNS0_4arch9wavefront6targetE0EEEvT1_
                                        ; -- End function
	.set _ZN7rocprim17ROCPRIM_400000_NS6detail17trampoline_kernelINS0_14default_configENS1_20scan_config_selectorIN3c108BFloat16EEEZZNS1_9scan_implILNS1_25lookback_scan_determinismE0ELb0ELb0ES3_PKS6_PS6_S6_ZZZN2at6native31launch_logcumsumexp_cuda_kernelERKNSD_10TensorBaseESH_lENKUlvE_clEvENKUlvE4_clEvEUlS6_S6_E_S6_EEDaPvRmT3_T4_T5_mT6_P12ihipStream_tbENKUlT_T0_E_clISt17integral_constantIbLb0EESY_EEDaST_SU_EUlST_E_NS1_11comp_targetILNS1_3genE2ELNS1_11target_archE906ELNS1_3gpuE6ELNS1_3repE0EEENS1_30default_config_static_selectorELNS0_4arch9wavefront6targetE0EEEvT1_.num_vgpr, 0
	.set _ZN7rocprim17ROCPRIM_400000_NS6detail17trampoline_kernelINS0_14default_configENS1_20scan_config_selectorIN3c108BFloat16EEEZZNS1_9scan_implILNS1_25lookback_scan_determinismE0ELb0ELb0ES3_PKS6_PS6_S6_ZZZN2at6native31launch_logcumsumexp_cuda_kernelERKNSD_10TensorBaseESH_lENKUlvE_clEvENKUlvE4_clEvEUlS6_S6_E_S6_EEDaPvRmT3_T4_T5_mT6_P12ihipStream_tbENKUlT_T0_E_clISt17integral_constantIbLb0EESY_EEDaST_SU_EUlST_E_NS1_11comp_targetILNS1_3genE2ELNS1_11target_archE906ELNS1_3gpuE6ELNS1_3repE0EEENS1_30default_config_static_selectorELNS0_4arch9wavefront6targetE0EEEvT1_.num_agpr, 0
	.set _ZN7rocprim17ROCPRIM_400000_NS6detail17trampoline_kernelINS0_14default_configENS1_20scan_config_selectorIN3c108BFloat16EEEZZNS1_9scan_implILNS1_25lookback_scan_determinismE0ELb0ELb0ES3_PKS6_PS6_S6_ZZZN2at6native31launch_logcumsumexp_cuda_kernelERKNSD_10TensorBaseESH_lENKUlvE_clEvENKUlvE4_clEvEUlS6_S6_E_S6_EEDaPvRmT3_T4_T5_mT6_P12ihipStream_tbENKUlT_T0_E_clISt17integral_constantIbLb0EESY_EEDaST_SU_EUlST_E_NS1_11comp_targetILNS1_3genE2ELNS1_11target_archE906ELNS1_3gpuE6ELNS1_3repE0EEENS1_30default_config_static_selectorELNS0_4arch9wavefront6targetE0EEEvT1_.numbered_sgpr, 0
	.set _ZN7rocprim17ROCPRIM_400000_NS6detail17trampoline_kernelINS0_14default_configENS1_20scan_config_selectorIN3c108BFloat16EEEZZNS1_9scan_implILNS1_25lookback_scan_determinismE0ELb0ELb0ES3_PKS6_PS6_S6_ZZZN2at6native31launch_logcumsumexp_cuda_kernelERKNSD_10TensorBaseESH_lENKUlvE_clEvENKUlvE4_clEvEUlS6_S6_E_S6_EEDaPvRmT3_T4_T5_mT6_P12ihipStream_tbENKUlT_T0_E_clISt17integral_constantIbLb0EESY_EEDaST_SU_EUlST_E_NS1_11comp_targetILNS1_3genE2ELNS1_11target_archE906ELNS1_3gpuE6ELNS1_3repE0EEENS1_30default_config_static_selectorELNS0_4arch9wavefront6targetE0EEEvT1_.num_named_barrier, 0
	.set _ZN7rocprim17ROCPRIM_400000_NS6detail17trampoline_kernelINS0_14default_configENS1_20scan_config_selectorIN3c108BFloat16EEEZZNS1_9scan_implILNS1_25lookback_scan_determinismE0ELb0ELb0ES3_PKS6_PS6_S6_ZZZN2at6native31launch_logcumsumexp_cuda_kernelERKNSD_10TensorBaseESH_lENKUlvE_clEvENKUlvE4_clEvEUlS6_S6_E_S6_EEDaPvRmT3_T4_T5_mT6_P12ihipStream_tbENKUlT_T0_E_clISt17integral_constantIbLb0EESY_EEDaST_SU_EUlST_E_NS1_11comp_targetILNS1_3genE2ELNS1_11target_archE906ELNS1_3gpuE6ELNS1_3repE0EEENS1_30default_config_static_selectorELNS0_4arch9wavefront6targetE0EEEvT1_.private_seg_size, 0
	.set _ZN7rocprim17ROCPRIM_400000_NS6detail17trampoline_kernelINS0_14default_configENS1_20scan_config_selectorIN3c108BFloat16EEEZZNS1_9scan_implILNS1_25lookback_scan_determinismE0ELb0ELb0ES3_PKS6_PS6_S6_ZZZN2at6native31launch_logcumsumexp_cuda_kernelERKNSD_10TensorBaseESH_lENKUlvE_clEvENKUlvE4_clEvEUlS6_S6_E_S6_EEDaPvRmT3_T4_T5_mT6_P12ihipStream_tbENKUlT_T0_E_clISt17integral_constantIbLb0EESY_EEDaST_SU_EUlST_E_NS1_11comp_targetILNS1_3genE2ELNS1_11target_archE906ELNS1_3gpuE6ELNS1_3repE0EEENS1_30default_config_static_selectorELNS0_4arch9wavefront6targetE0EEEvT1_.uses_vcc, 0
	.set _ZN7rocprim17ROCPRIM_400000_NS6detail17trampoline_kernelINS0_14default_configENS1_20scan_config_selectorIN3c108BFloat16EEEZZNS1_9scan_implILNS1_25lookback_scan_determinismE0ELb0ELb0ES3_PKS6_PS6_S6_ZZZN2at6native31launch_logcumsumexp_cuda_kernelERKNSD_10TensorBaseESH_lENKUlvE_clEvENKUlvE4_clEvEUlS6_S6_E_S6_EEDaPvRmT3_T4_T5_mT6_P12ihipStream_tbENKUlT_T0_E_clISt17integral_constantIbLb0EESY_EEDaST_SU_EUlST_E_NS1_11comp_targetILNS1_3genE2ELNS1_11target_archE906ELNS1_3gpuE6ELNS1_3repE0EEENS1_30default_config_static_selectorELNS0_4arch9wavefront6targetE0EEEvT1_.uses_flat_scratch, 0
	.set _ZN7rocprim17ROCPRIM_400000_NS6detail17trampoline_kernelINS0_14default_configENS1_20scan_config_selectorIN3c108BFloat16EEEZZNS1_9scan_implILNS1_25lookback_scan_determinismE0ELb0ELb0ES3_PKS6_PS6_S6_ZZZN2at6native31launch_logcumsumexp_cuda_kernelERKNSD_10TensorBaseESH_lENKUlvE_clEvENKUlvE4_clEvEUlS6_S6_E_S6_EEDaPvRmT3_T4_T5_mT6_P12ihipStream_tbENKUlT_T0_E_clISt17integral_constantIbLb0EESY_EEDaST_SU_EUlST_E_NS1_11comp_targetILNS1_3genE2ELNS1_11target_archE906ELNS1_3gpuE6ELNS1_3repE0EEENS1_30default_config_static_selectorELNS0_4arch9wavefront6targetE0EEEvT1_.has_dyn_sized_stack, 0
	.set _ZN7rocprim17ROCPRIM_400000_NS6detail17trampoline_kernelINS0_14default_configENS1_20scan_config_selectorIN3c108BFloat16EEEZZNS1_9scan_implILNS1_25lookback_scan_determinismE0ELb0ELb0ES3_PKS6_PS6_S6_ZZZN2at6native31launch_logcumsumexp_cuda_kernelERKNSD_10TensorBaseESH_lENKUlvE_clEvENKUlvE4_clEvEUlS6_S6_E_S6_EEDaPvRmT3_T4_T5_mT6_P12ihipStream_tbENKUlT_T0_E_clISt17integral_constantIbLb0EESY_EEDaST_SU_EUlST_E_NS1_11comp_targetILNS1_3genE2ELNS1_11target_archE906ELNS1_3gpuE6ELNS1_3repE0EEENS1_30default_config_static_selectorELNS0_4arch9wavefront6targetE0EEEvT1_.has_recursion, 0
	.set _ZN7rocprim17ROCPRIM_400000_NS6detail17trampoline_kernelINS0_14default_configENS1_20scan_config_selectorIN3c108BFloat16EEEZZNS1_9scan_implILNS1_25lookback_scan_determinismE0ELb0ELb0ES3_PKS6_PS6_S6_ZZZN2at6native31launch_logcumsumexp_cuda_kernelERKNSD_10TensorBaseESH_lENKUlvE_clEvENKUlvE4_clEvEUlS6_S6_E_S6_EEDaPvRmT3_T4_T5_mT6_P12ihipStream_tbENKUlT_T0_E_clISt17integral_constantIbLb0EESY_EEDaST_SU_EUlST_E_NS1_11comp_targetILNS1_3genE2ELNS1_11target_archE906ELNS1_3gpuE6ELNS1_3repE0EEENS1_30default_config_static_selectorELNS0_4arch9wavefront6targetE0EEEvT1_.has_indirect_call, 0
	.section	.AMDGPU.csdata,"",@progbits
; Kernel info:
; codeLenInByte = 0
; TotalNumSgprs: 0
; NumVgprs: 0
; ScratchSize: 0
; MemoryBound: 0
; FloatMode: 240
; IeeeMode: 1
; LDSByteSize: 0 bytes/workgroup (compile time only)
; SGPRBlocks: 0
; VGPRBlocks: 0
; NumSGPRsForWavesPerEU: 1
; NumVGPRsForWavesPerEU: 1
; Occupancy: 16
; WaveLimiterHint : 0
; COMPUTE_PGM_RSRC2:SCRATCH_EN: 0
; COMPUTE_PGM_RSRC2:USER_SGPR: 2
; COMPUTE_PGM_RSRC2:TRAP_HANDLER: 0
; COMPUTE_PGM_RSRC2:TGID_X_EN: 1
; COMPUTE_PGM_RSRC2:TGID_Y_EN: 0
; COMPUTE_PGM_RSRC2:TGID_Z_EN: 0
; COMPUTE_PGM_RSRC2:TIDIG_COMP_CNT: 0
	.section	.text._ZN7rocprim17ROCPRIM_400000_NS6detail17trampoline_kernelINS0_14default_configENS1_20scan_config_selectorIN3c108BFloat16EEEZZNS1_9scan_implILNS1_25lookback_scan_determinismE0ELb0ELb0ES3_PKS6_PS6_S6_ZZZN2at6native31launch_logcumsumexp_cuda_kernelERKNSD_10TensorBaseESH_lENKUlvE_clEvENKUlvE4_clEvEUlS6_S6_E_S6_EEDaPvRmT3_T4_T5_mT6_P12ihipStream_tbENKUlT_T0_E_clISt17integral_constantIbLb0EESY_EEDaST_SU_EUlST_E_NS1_11comp_targetILNS1_3genE10ELNS1_11target_archE1201ELNS1_3gpuE5ELNS1_3repE0EEENS1_30default_config_static_selectorELNS0_4arch9wavefront6targetE0EEEvT1_,"axG",@progbits,_ZN7rocprim17ROCPRIM_400000_NS6detail17trampoline_kernelINS0_14default_configENS1_20scan_config_selectorIN3c108BFloat16EEEZZNS1_9scan_implILNS1_25lookback_scan_determinismE0ELb0ELb0ES3_PKS6_PS6_S6_ZZZN2at6native31launch_logcumsumexp_cuda_kernelERKNSD_10TensorBaseESH_lENKUlvE_clEvENKUlvE4_clEvEUlS6_S6_E_S6_EEDaPvRmT3_T4_T5_mT6_P12ihipStream_tbENKUlT_T0_E_clISt17integral_constantIbLb0EESY_EEDaST_SU_EUlST_E_NS1_11comp_targetILNS1_3genE10ELNS1_11target_archE1201ELNS1_3gpuE5ELNS1_3repE0EEENS1_30default_config_static_selectorELNS0_4arch9wavefront6targetE0EEEvT1_,comdat
	.globl	_ZN7rocprim17ROCPRIM_400000_NS6detail17trampoline_kernelINS0_14default_configENS1_20scan_config_selectorIN3c108BFloat16EEEZZNS1_9scan_implILNS1_25lookback_scan_determinismE0ELb0ELb0ES3_PKS6_PS6_S6_ZZZN2at6native31launch_logcumsumexp_cuda_kernelERKNSD_10TensorBaseESH_lENKUlvE_clEvENKUlvE4_clEvEUlS6_S6_E_S6_EEDaPvRmT3_T4_T5_mT6_P12ihipStream_tbENKUlT_T0_E_clISt17integral_constantIbLb0EESY_EEDaST_SU_EUlST_E_NS1_11comp_targetILNS1_3genE10ELNS1_11target_archE1201ELNS1_3gpuE5ELNS1_3repE0EEENS1_30default_config_static_selectorELNS0_4arch9wavefront6targetE0EEEvT1_ ; -- Begin function _ZN7rocprim17ROCPRIM_400000_NS6detail17trampoline_kernelINS0_14default_configENS1_20scan_config_selectorIN3c108BFloat16EEEZZNS1_9scan_implILNS1_25lookback_scan_determinismE0ELb0ELb0ES3_PKS6_PS6_S6_ZZZN2at6native31launch_logcumsumexp_cuda_kernelERKNSD_10TensorBaseESH_lENKUlvE_clEvENKUlvE4_clEvEUlS6_S6_E_S6_EEDaPvRmT3_T4_T5_mT6_P12ihipStream_tbENKUlT_T0_E_clISt17integral_constantIbLb0EESY_EEDaST_SU_EUlST_E_NS1_11comp_targetILNS1_3genE10ELNS1_11target_archE1201ELNS1_3gpuE5ELNS1_3repE0EEENS1_30default_config_static_selectorELNS0_4arch9wavefront6targetE0EEEvT1_
	.p2align	8
	.type	_ZN7rocprim17ROCPRIM_400000_NS6detail17trampoline_kernelINS0_14default_configENS1_20scan_config_selectorIN3c108BFloat16EEEZZNS1_9scan_implILNS1_25lookback_scan_determinismE0ELb0ELb0ES3_PKS6_PS6_S6_ZZZN2at6native31launch_logcumsumexp_cuda_kernelERKNSD_10TensorBaseESH_lENKUlvE_clEvENKUlvE4_clEvEUlS6_S6_E_S6_EEDaPvRmT3_T4_T5_mT6_P12ihipStream_tbENKUlT_T0_E_clISt17integral_constantIbLb0EESY_EEDaST_SU_EUlST_E_NS1_11comp_targetILNS1_3genE10ELNS1_11target_archE1201ELNS1_3gpuE5ELNS1_3repE0EEENS1_30default_config_static_selectorELNS0_4arch9wavefront6targetE0EEEvT1_,@function
_ZN7rocprim17ROCPRIM_400000_NS6detail17trampoline_kernelINS0_14default_configENS1_20scan_config_selectorIN3c108BFloat16EEEZZNS1_9scan_implILNS1_25lookback_scan_determinismE0ELb0ELb0ES3_PKS6_PS6_S6_ZZZN2at6native31launch_logcumsumexp_cuda_kernelERKNSD_10TensorBaseESH_lENKUlvE_clEvENKUlvE4_clEvEUlS6_S6_E_S6_EEDaPvRmT3_T4_T5_mT6_P12ihipStream_tbENKUlT_T0_E_clISt17integral_constantIbLb0EESY_EEDaST_SU_EUlST_E_NS1_11comp_targetILNS1_3genE10ELNS1_11target_archE1201ELNS1_3gpuE5ELNS1_3repE0EEENS1_30default_config_static_selectorELNS0_4arch9wavefront6targetE0EEEvT1_: ; @_ZN7rocprim17ROCPRIM_400000_NS6detail17trampoline_kernelINS0_14default_configENS1_20scan_config_selectorIN3c108BFloat16EEEZZNS1_9scan_implILNS1_25lookback_scan_determinismE0ELb0ELb0ES3_PKS6_PS6_S6_ZZZN2at6native31launch_logcumsumexp_cuda_kernelERKNSD_10TensorBaseESH_lENKUlvE_clEvENKUlvE4_clEvEUlS6_S6_E_S6_EEDaPvRmT3_T4_T5_mT6_P12ihipStream_tbENKUlT_T0_E_clISt17integral_constantIbLb0EESY_EEDaST_SU_EUlST_E_NS1_11comp_targetILNS1_3genE10ELNS1_11target_archE1201ELNS1_3gpuE5ELNS1_3repE0EEENS1_30default_config_static_selectorELNS0_4arch9wavefront6targetE0EEEvT1_
; %bb.0:
	s_clause 0x1
	s_load_b256 s[16:23], s[0:1], 0x0
	s_load_b32 s2, s[0:1], 0x30
	s_mov_b32 s3, 0
	s_mul_i32 s4, ttmp9, 0xc00
	s_mov_b32 s5, s3
	v_lshlrev_b32_e32 v7, 1, v0
	s_mov_b32 s6, -1
	s_wait_kmcnt 0x0
	s_lshl_b64 s[34:35], s[18:19], 1
	s_add_co_i32 s2, s2, -1
	s_add_nc_u64 s[8:9], s[16:17], s[34:35]
	s_cmp_lg_u32 ttmp9, s2
	s_mulk_i32 s2, 0xc00
	s_cselect_b32 s17, -1, 0
	s_lshl_b64 s[36:37], s[4:5], 1
	s_and_b32 vcc_lo, exec_lo, s17
	s_add_nc_u64 s[4:5], s[8:9], s[36:37]
	s_cbranch_vccz .LBB443_2
; %bb.1:
	s_clause 0xb
	global_load_u16 v1, v7, s[4:5]
	global_load_u16 v2, v7, s[4:5] offset:512
	global_load_u16 v3, v7, s[4:5] offset:1024
	global_load_u16 v4, v7, s[4:5] offset:1536
	global_load_u16 v5, v7, s[4:5] offset:2048
	global_load_u16 v6, v7, s[4:5] offset:2560
	global_load_u16 v8, v7, s[4:5] offset:3072
	global_load_u16 v9, v7, s[4:5] offset:3584
	global_load_u16 v10, v7, s[4:5] offset:4096
	global_load_u16 v11, v7, s[4:5] offset:4608
	global_load_u16 v12, v7, s[4:5] offset:5120
	global_load_u16 v13, v7, s[4:5] offset:5632
	s_mov_b32 s6, s3
	s_wait_loadcnt 0xb
	ds_store_b16 v7, v1
	s_wait_loadcnt 0xa
	ds_store_b16 v7, v2 offset:512
	s_wait_loadcnt 0x9
	ds_store_b16 v7, v3 offset:1024
	;; [unrolled: 2-line block ×11, first 2 shown]
	s_wait_dscnt 0x0
	s_barrier_signal -1
	s_barrier_wait -1
.LBB443_2:
	s_load_b64 s[38:39], s[0:1], 0x28
	s_sub_nc_u64 s[18:19], s[22:23], s[2:3]
	s_and_not1_b32 vcc_lo, exec_lo, s6
	v_cmp_gt_u32_e64 s2, s18, v0
	s_cbranch_vccnz .LBB443_28
; %bb.3:
	v_mov_b32_e32 v1, 0
	global_load_u16 v1, v1, s[4:5]
	s_wait_loadcnt 0x0
	v_mov_b32_e32 v2, v1
	s_and_saveexec_b32 s3, s2
	s_cbranch_execz .LBB443_5
; %bb.4:
	global_load_u16 v2, v7, s[4:5]
.LBB443_5:
	s_or_b32 exec_lo, exec_lo, s3
	v_or_b32_e32 v3, 0x100, v0
	s_delay_alu instid0(VALU_DEP_1)
	v_cmp_gt_u32_e32 vcc_lo, s18, v3
	v_mov_b32_e32 v3, v1
	s_and_saveexec_b32 s2, vcc_lo
	s_cbranch_execz .LBB443_7
; %bb.6:
	global_load_u16 v3, v7, s[4:5] offset:512
.LBB443_7:
	s_or_b32 exec_lo, exec_lo, s2
	v_or_b32_e32 v4, 0x200, v0
	s_delay_alu instid0(VALU_DEP_1)
	v_cmp_gt_u32_e32 vcc_lo, s18, v4
	v_mov_b32_e32 v4, v1
	s_and_saveexec_b32 s2, vcc_lo
	s_cbranch_execz .LBB443_9
; %bb.8:
	global_load_u16 v4, v7, s[4:5] offset:1024
.LBB443_9:
	;; [unrolled: 10-line block ×10, first 2 shown]
	s_or_b32 exec_lo, exec_lo, s2
	v_or_b32_e32 v14, 0xb00, v0
	s_mov_b32 s2, exec_lo
	s_delay_alu instid0(VALU_DEP_1)
	v_cmpx_gt_u32_e64 s18, v14
	s_cbranch_execz .LBB443_27
; %bb.26:
	global_load_u16 v1, v7, s[4:5] offset:5632
.LBB443_27:
	s_or_b32 exec_lo, exec_lo, s2
	s_wait_loadcnt 0x0
	ds_store_b16 v7, v2
	ds_store_b16 v7, v3 offset:512
	ds_store_b16 v7, v4 offset:1024
	;; [unrolled: 1-line block ×11, first 2 shown]
	s_wait_dscnt 0x0
	s_barrier_signal -1
	s_barrier_wait -1
.LBB443_28:
	v_mul_u32_u24_e32 v8, 24, v0
	global_inv scope:SCOPE_SE
	s_cmp_lg_u32 ttmp9, 0
	ds_load_2addr_b64 v[1:4], v8 offset1:1
	ds_load_b64 v[5:6], v8 offset:16
	s_wait_loadcnt_dscnt 0x0
	s_barrier_signal -1
	s_barrier_wait -1
	global_inv scope:SCOPE_SE
	v_lshrrev_b32_e32 v19, 16, v1
	v_lshrrev_b32_e32 v17, 16, v2
	v_lshrrev_b32_e32 v15, 16, v3
	v_lshrrev_b32_e32 v13, 16, v4
	v_and_b32_e32 v18, 0xffff, v2
	v_and_b32_e32 v16, 0xffff, v3
	v_and_b32_e32 v14, 0xffff, v4
	v_lshrrev_b32_e32 v11, 16, v5
	v_lshrrev_b32_e32 v9, 16, v6
	v_and_b32_e32 v12, 0xffff, v5
	v_and_b32_e32 v10, 0xffff, v6
	v_lshlrev_b32_e32 v6, 16, v19
	s_cbranch_scc0 .LBB443_162
; %bb.29:
	s_delay_alu instid0(VALU_DEP_1) | instskip(SKIP_2) | instid1(VALU_DEP_2)
	v_max_num_f32_e32 v20, v6, v6
	v_lshlrev_b32_e32 v40, 16, v1
	v_cmp_u_f32_e64 s2, v6, v6
	v_max_num_f32_e32 v41, v40, v40
	s_delay_alu instid0(VALU_DEP_1) | instskip(SKIP_2) | instid1(VALU_DEP_1)
	v_max_num_f32_e32 v3, v41, v20
	v_min_num_f32_e32 v2, v41, v20
	v_cmp_u_f32_e64 s13, v40, v40
	v_cndmask_b32_e64 v2, v2, v40, s13
	s_delay_alu instid0(VALU_DEP_4) | instskip(NEXT) | instid1(VALU_DEP_2)
	v_cndmask_b32_e64 v3, v3, v40, s13
	v_cndmask_b32_e64 v4, v2, v6, s2
	s_delay_alu instid0(VALU_DEP_2) | instskip(SKIP_1) | instid1(VALU_DEP_3)
	v_cndmask_b32_e64 v2, v3, v6, s2
	v_mov_b32_e32 v3, v40
	v_cmp_class_f32_e64 s3, v4, 0x1f8
	s_delay_alu instid0(VALU_DEP_3) | instskip(SKIP_1) | instid1(SALU_CYCLE_1)
	v_cmp_neq_f32_e32 vcc_lo, v4, v2
	s_or_b32 s4, vcc_lo, s3
	s_and_saveexec_b32 s3, s4
	s_cbranch_execz .LBB443_31
; %bb.30:
	v_sub_f32_e32 v3, v4, v2
	s_mov_b32 s4, 0x3e9b6dac
	s_delay_alu instid0(VALU_DEP_1) | instskip(SKIP_1) | instid1(VALU_DEP_2)
	v_mul_f32_e32 v4, 0x3fb8aa3b, v3
	v_cmp_ngt_f32_e32 vcc_lo, 0xc2ce8ed0, v3
	v_fma_f32 v5, 0x3fb8aa3b, v3, -v4
	v_rndne_f32_e32 v19, v4
	s_delay_alu instid0(VALU_DEP_1) | instskip(NEXT) | instid1(VALU_DEP_1)
	v_dual_fmamk_f32 v5, v3, 0x32a5705f, v5 :: v_dual_sub_f32 v4, v4, v19
	v_add_f32_e32 v4, v4, v5
	v_cvt_i32_f32_e32 v5, v19
	s_delay_alu instid0(VALU_DEP_2) | instskip(NEXT) | instid1(TRANS32_DEP_1)
	v_exp_f32_e32 v4, v4
	v_ldexp_f32 v4, v4, v5
	s_delay_alu instid0(VALU_DEP_1) | instskip(SKIP_2) | instid1(VALU_DEP_2)
	v_cndmask_b32_e32 v4, 0, v4, vcc_lo
	v_cmp_nlt_f32_e32 vcc_lo, 0x42b17218, v3
	s_wait_alu 0xfffd
	v_cndmask_b32_e32 v5, 0x7f800000, v4, vcc_lo
	s_delay_alu instid0(VALU_DEP_1) | instskip(NEXT) | instid1(VALU_DEP_1)
	v_add_f32_e32 v19, 1.0, v5
	v_cvt_f64_f32_e32 v[3:4], v19
	s_delay_alu instid0(VALU_DEP_1) | instskip(SKIP_1) | instid1(VALU_DEP_1)
	v_frexp_exp_i32_f64_e32 v3, v[3:4]
	v_frexp_mant_f32_e32 v4, v19
	v_cmp_gt_f32_e32 vcc_lo, 0x3f2aaaab, v4
	v_add_f32_e32 v4, -1.0, v19
	s_delay_alu instid0(VALU_DEP_1) | instskip(NEXT) | instid1(VALU_DEP_1)
	v_sub_f32_e32 v22, v4, v19
	v_add_f32_e32 v22, 1.0, v22
	s_wait_alu 0xfffd
	v_subrev_co_ci_u32_e64 v3, null, 0, v3, vcc_lo
	v_cmp_neq_f32_e32 vcc_lo, 0x7f800000, v5
	s_delay_alu instid0(VALU_DEP_2) | instskip(SKIP_1) | instid1(VALU_DEP_2)
	v_sub_nc_u32_e32 v21, 0, v3
	v_cvt_f32_i32_e32 v3, v3
	v_ldexp_f32 v19, v19, v21
	s_delay_alu instid0(VALU_DEP_1) | instskip(NEXT) | instid1(VALU_DEP_1)
	v_dual_sub_f32 v4, v5, v4 :: v_dual_add_f32 v23, 1.0, v19
	v_add_f32_e32 v4, v4, v22
	s_delay_alu instid0(VALU_DEP_2) | instskip(NEXT) | instid1(VALU_DEP_2)
	v_add_f32_e32 v22, -1.0, v23
	v_ldexp_f32 v4, v4, v21
	s_delay_alu instid0(VALU_DEP_2) | instskip(NEXT) | instid1(VALU_DEP_1)
	v_dual_add_f32 v21, -1.0, v19 :: v_dual_sub_f32 v22, v19, v22
	v_add_f32_e32 v24, 1.0, v21
	s_delay_alu instid0(VALU_DEP_1) | instskip(NEXT) | instid1(VALU_DEP_1)
	v_dual_add_f32 v22, v4, v22 :: v_dual_sub_f32 v19, v19, v24
	v_add_f32_e32 v4, v4, v19
	s_delay_alu instid0(VALU_DEP_1) | instskip(NEXT) | instid1(VALU_DEP_1)
	v_add_f32_e32 v25, v21, v4
	v_dual_sub_f32 v21, v21, v25 :: v_dual_add_f32 v24, v23, v22
	s_delay_alu instid0(VALU_DEP_1) | instskip(SKIP_1) | instid1(VALU_DEP_1)
	v_rcp_f32_e32 v19, v24
	v_sub_f32_e32 v23, v23, v24
	v_add_f32_e32 v22, v22, v23
	s_delay_alu instid0(TRANS32_DEP_1) | instskip(NEXT) | instid1(VALU_DEP_1)
	v_mul_f32_e32 v26, v25, v19
	v_mul_f32_e32 v27, v24, v26
	s_delay_alu instid0(VALU_DEP_1) | instskip(NEXT) | instid1(VALU_DEP_1)
	v_fma_f32 v23, v26, v24, -v27
	v_fmac_f32_e32 v23, v26, v22
	s_delay_alu instid0(VALU_DEP_1) | instskip(NEXT) | instid1(VALU_DEP_1)
	v_add_f32_e32 v28, v27, v23
	v_sub_f32_e32 v29, v25, v28
	s_delay_alu instid0(VALU_DEP_1) | instskip(NEXT) | instid1(VALU_DEP_1)
	v_sub_f32_e32 v25, v25, v29
	v_dual_sub_f32 v25, v25, v28 :: v_dual_add_f32 v4, v4, v21
	v_sub_f32_e32 v21, v28, v27
	s_delay_alu instid0(VALU_DEP_1) | instskip(NEXT) | instid1(VALU_DEP_1)
	v_dual_sub_f32 v21, v21, v23 :: v_dual_add_f32 v4, v4, v25
	v_add_f32_e32 v4, v21, v4
	s_delay_alu instid0(VALU_DEP_1) | instskip(NEXT) | instid1(VALU_DEP_1)
	v_add_f32_e32 v21, v29, v4
	v_mul_f32_e32 v23, v19, v21
	s_delay_alu instid0(VALU_DEP_1) | instskip(NEXT) | instid1(VALU_DEP_1)
	v_dual_sub_f32 v28, v29, v21 :: v_dual_mul_f32 v25, v24, v23
	v_fma_f32 v24, v23, v24, -v25
	s_delay_alu instid0(VALU_DEP_1) | instskip(NEXT) | instid1(VALU_DEP_1)
	v_fmac_f32_e32 v24, v23, v22
	v_add_f32_e32 v22, v25, v24
	s_delay_alu instid0(VALU_DEP_1) | instskip(NEXT) | instid1(VALU_DEP_1)
	v_dual_add_f32 v4, v4, v28 :: v_dual_sub_f32 v27, v21, v22
	v_sub_f32_e32 v21, v21, v27
	s_delay_alu instid0(VALU_DEP_1) | instskip(NEXT) | instid1(VALU_DEP_1)
	v_sub_f32_e32 v21, v21, v22
	v_dual_add_f32 v4, v4, v21 :: v_dual_add_f32 v21, v26, v23
	v_sub_f32_e32 v25, v22, v25
	s_delay_alu instid0(VALU_DEP_1) | instskip(NEXT) | instid1(VALU_DEP_1)
	v_sub_f32_e32 v22, v25, v24
	v_add_f32_e32 v4, v22, v4
	s_delay_alu instid0(VALU_DEP_4) | instskip(NEXT) | instid1(VALU_DEP_2)
	v_sub_f32_e32 v22, v21, v26
	v_add_f32_e32 v4, v27, v4
	s_delay_alu instid0(VALU_DEP_2) | instskip(NEXT) | instid1(VALU_DEP_2)
	v_sub_f32_e32 v22, v23, v22
	v_mul_f32_e32 v4, v19, v4
	s_delay_alu instid0(VALU_DEP_1) | instskip(NEXT) | instid1(VALU_DEP_1)
	v_add_f32_e32 v4, v22, v4
	v_add_f32_e32 v19, v21, v4
	s_delay_alu instid0(VALU_DEP_1) | instskip(NEXT) | instid1(VALU_DEP_1)
	v_mul_f32_e32 v22, v19, v19
	v_fmaak_f32 v23, s4, v22, 0x3ecc95a3
	v_mul_f32_e32 v24, v19, v22
	s_delay_alu instid0(VALU_DEP_2) | instskip(SKIP_1) | instid1(VALU_DEP_2)
	v_fmaak_f32 v22, v22, v23, 0x3f2aaada
	v_ldexp_f32 v23, v19, 1
	v_dual_sub_f32 v19, v19, v21 :: v_dual_mul_f32 v22, v24, v22
	s_delay_alu instid0(VALU_DEP_1) | instskip(NEXT) | instid1(VALU_DEP_1)
	v_dual_sub_f32 v4, v4, v19 :: v_dual_add_f32 v21, v23, v22
	v_ldexp_f32 v4, v4, 1
	s_delay_alu instid0(VALU_DEP_2) | instskip(NEXT) | instid1(VALU_DEP_1)
	v_sub_f32_e32 v19, v21, v23
	v_sub_f32_e32 v19, v22, v19
	s_delay_alu instid0(VALU_DEP_1) | instskip(NEXT) | instid1(VALU_DEP_1)
	v_add_f32_e32 v4, v4, v19
	v_add_f32_e32 v22, v21, v4
	s_delay_alu instid0(VALU_DEP_1) | instskip(NEXT) | instid1(VALU_DEP_1)
	v_dual_mul_f32 v24, 0x3f317218, v3 :: v_dual_sub_f32 v21, v22, v21
	v_fma_f32 v23, 0x3f317218, v3, -v24
	s_delay_alu instid0(VALU_DEP_1) | instskip(NEXT) | instid1(VALU_DEP_1)
	v_dual_sub_f32 v4, v4, v21 :: v_dual_fmamk_f32 v3, v3, 0xb102e308, v23
	v_add_f32_e32 v19, v24, v3
	s_delay_alu instid0(VALU_DEP_1) | instskip(NEXT) | instid1(VALU_DEP_1)
	v_add_f32_e32 v23, v19, v22
	v_sub_f32_e32 v25, v23, v19
	s_delay_alu instid0(VALU_DEP_1) | instskip(SKIP_1) | instid1(VALU_DEP_2)
	v_sub_f32_e32 v26, v23, v25
	v_dual_sub_f32 v21, v22, v25 :: v_dual_sub_f32 v24, v19, v24
	v_sub_f32_e32 v19, v19, v26
	s_delay_alu instid0(VALU_DEP_1) | instskip(NEXT) | instid1(VALU_DEP_3)
	v_add_f32_e32 v19, v21, v19
	v_sub_f32_e32 v3, v3, v24
	s_delay_alu instid0(VALU_DEP_1) | instskip(NEXT) | instid1(VALU_DEP_1)
	v_add_f32_e32 v22, v3, v4
	v_sub_f32_e32 v21, v22, v3
	s_delay_alu instid0(VALU_DEP_4) | instskip(NEXT) | instid1(VALU_DEP_2)
	v_add_f32_e32 v19, v22, v19
	v_sub_f32_e32 v22, v22, v21
	s_delay_alu instid0(VALU_DEP_2) | instskip(NEXT) | instid1(VALU_DEP_2)
	v_add_f32_e32 v24, v23, v19
	v_dual_sub_f32 v4, v4, v21 :: v_dual_sub_f32 v3, v3, v22
	s_delay_alu instid0(VALU_DEP_2) | instskip(NEXT) | instid1(VALU_DEP_1)
	v_sub_f32_e32 v21, v24, v23
	v_dual_add_f32 v3, v4, v3 :: v_dual_sub_f32 v4, v19, v21
	s_delay_alu instid0(VALU_DEP_1) | instskip(NEXT) | instid1(VALU_DEP_1)
	v_add_f32_e32 v3, v3, v4
	v_add_f32_e32 v3, v24, v3
	s_wait_alu 0xfffd
	s_delay_alu instid0(VALU_DEP_1) | instskip(SKIP_2) | instid1(VALU_DEP_2)
	v_cndmask_b32_e32 v3, 0x7f800000, v3, vcc_lo
	v_cmp_gt_f32_e64 vcc_lo, 0x33800000, |v5|
	s_wait_alu 0xfffd
	v_cndmask_b32_e32 v3, v3, v5, vcc_lo
	s_delay_alu instid0(VALU_DEP_1)
	v_add_f32_e32 v3, v2, v3
.LBB443_31:
	s_wait_alu 0xfffe
	s_or_b32 exec_lo, exec_lo, s3
	s_delay_alu instid0(VALU_DEP_1) | instskip(SKIP_2) | instid1(VALU_DEP_3)
	v_bfe_u32 v2, v3, 16, 1
	v_lshlrev_b32_e32 v19, 16, v18
	v_cmp_o_f32_e32 vcc_lo, v3, v3
	v_add3_u32 v2, v3, v2, 0x7fff
	s_delay_alu instid0(VALU_DEP_1) | instskip(SKIP_1) | instid1(VALU_DEP_1)
	v_dual_max_num_f32 v23, v19, v19 :: v_dual_and_b32 v2, 0xffff0000, v2
	s_wait_alu 0xfffd
	v_cndmask_b32_e32 v3, 0x7fc00000, v2, vcc_lo
	s_delay_alu instid0(VALU_DEP_1) | instskip(SKIP_1) | instid1(VALU_DEP_2)
	v_max_num_f32_e32 v2, v3, v3
	v_cmp_u_f32_e64 s3, v19, v19
	v_min_num_f32_e32 v4, v2, v23
	v_max_num_f32_e32 v2, v2, v23
	v_cmp_u_f32_e32 vcc_lo, v3, v3
	s_wait_alu 0xfffd
	s_delay_alu instid0(VALU_DEP_3) | instskip(NEXT) | instid1(VALU_DEP_3)
	v_cndmask_b32_e32 v4, v4, v3, vcc_lo
	v_cndmask_b32_e32 v2, v2, v3, vcc_lo
	s_wait_alu 0xf1ff
	s_delay_alu instid0(VALU_DEP_2) | instskip(NEXT) | instid1(VALU_DEP_2)
	v_cndmask_b32_e64 v4, v4, v19, s3
	v_cndmask_b32_e64 v2, v2, v19, s3
	s_delay_alu instid0(VALU_DEP_2) | instskip(NEXT) | instid1(VALU_DEP_2)
	v_cmp_class_f32_e64 s4, v4, 0x1f8
	v_cmp_neq_f32_e32 vcc_lo, v4, v2
	s_or_b32 s5, vcc_lo, s4
	s_wait_alu 0xfffe
	s_and_saveexec_b32 s4, s5
	s_cbranch_execz .LBB443_33
; %bb.32:
	v_sub_f32_e32 v3, v4, v2
	s_mov_b32 s5, 0x3e9b6dac
	s_delay_alu instid0(VALU_DEP_1) | instskip(SKIP_1) | instid1(VALU_DEP_2)
	v_mul_f32_e32 v4, 0x3fb8aa3b, v3
	v_cmp_ngt_f32_e32 vcc_lo, 0xc2ce8ed0, v3
	v_fma_f32 v5, 0x3fb8aa3b, v3, -v4
	v_rndne_f32_e32 v21, v4
	s_delay_alu instid0(VALU_DEP_1) | instskip(NEXT) | instid1(VALU_DEP_1)
	v_dual_fmamk_f32 v5, v3, 0x32a5705f, v5 :: v_dual_sub_f32 v4, v4, v21
	v_add_f32_e32 v4, v4, v5
	v_cvt_i32_f32_e32 v5, v21
	s_delay_alu instid0(VALU_DEP_2) | instskip(NEXT) | instid1(TRANS32_DEP_1)
	v_exp_f32_e32 v4, v4
	v_ldexp_f32 v4, v4, v5
	s_wait_alu 0xfffd
	s_delay_alu instid0(VALU_DEP_1) | instskip(SKIP_2) | instid1(VALU_DEP_2)
	v_cndmask_b32_e32 v4, 0, v4, vcc_lo
	v_cmp_nlt_f32_e32 vcc_lo, 0x42b17218, v3
	s_wait_alu 0xfffd
	v_cndmask_b32_e32 v5, 0x7f800000, v4, vcc_lo
	s_delay_alu instid0(VALU_DEP_1) | instskip(NEXT) | instid1(VALU_DEP_1)
	v_add_f32_e32 v21, 1.0, v5
	v_cvt_f64_f32_e32 v[3:4], v21
	s_delay_alu instid0(VALU_DEP_1) | instskip(SKIP_1) | instid1(VALU_DEP_1)
	v_frexp_exp_i32_f64_e32 v3, v[3:4]
	v_frexp_mant_f32_e32 v4, v21
	v_cmp_gt_f32_e32 vcc_lo, 0x3f2aaaab, v4
	v_add_f32_e32 v4, -1.0, v21
	s_delay_alu instid0(VALU_DEP_1) | instskip(SKIP_3) | instid1(VALU_DEP_2)
	v_sub_f32_e32 v24, v4, v21
	s_wait_alu 0xfffd
	v_subrev_co_ci_u32_e64 v3, null, 0, v3, vcc_lo
	v_cmp_neq_f32_e32 vcc_lo, 0x7f800000, v5
	v_sub_nc_u32_e32 v22, 0, v3
	v_cvt_f32_i32_e32 v3, v3
	s_delay_alu instid0(VALU_DEP_2) | instskip(NEXT) | instid1(VALU_DEP_1)
	v_ldexp_f32 v21, v21, v22
	v_dual_sub_f32 v4, v5, v4 :: v_dual_add_f32 v25, 1.0, v21
	v_add_f32_e32 v24, 1.0, v24
	s_delay_alu instid0(VALU_DEP_1) | instskip(NEXT) | instid1(VALU_DEP_3)
	v_add_f32_e32 v4, v4, v24
	v_add_f32_e32 v24, -1.0, v25
	s_delay_alu instid0(VALU_DEP_2) | instskip(SKIP_1) | instid1(VALU_DEP_3)
	v_ldexp_f32 v4, v4, v22
	v_add_f32_e32 v22, -1.0, v21
	v_sub_f32_e32 v24, v21, v24
	s_delay_alu instid0(VALU_DEP_2) | instskip(NEXT) | instid1(VALU_DEP_1)
	v_add_f32_e32 v26, 1.0, v22
	v_dual_add_f32 v24, v4, v24 :: v_dual_sub_f32 v21, v21, v26
	s_delay_alu instid0(VALU_DEP_1) | instskip(NEXT) | instid1(VALU_DEP_2)
	v_add_f32_e32 v26, v25, v24
	v_add_f32_e32 v4, v4, v21
	s_delay_alu instid0(VALU_DEP_2) | instskip(SKIP_1) | instid1(VALU_DEP_1)
	v_rcp_f32_e32 v21, v26
	v_sub_f32_e32 v25, v25, v26
	v_dual_add_f32 v27, v22, v4 :: v_dual_add_f32 v24, v24, v25
	s_delay_alu instid0(TRANS32_DEP_1) | instid1(VALU_DEP_1)
	v_mul_f32_e32 v28, v27, v21
	s_delay_alu instid0(VALU_DEP_1) | instskip(NEXT) | instid1(VALU_DEP_1)
	v_mul_f32_e32 v29, v26, v28
	v_fma_f32 v25, v28, v26, -v29
	s_delay_alu instid0(VALU_DEP_1) | instskip(NEXT) | instid1(VALU_DEP_1)
	v_dual_fmac_f32 v25, v28, v24 :: v_dual_sub_f32 v22, v22, v27
	v_add_f32_e32 v30, v29, v25
	s_delay_alu instid0(VALU_DEP_2) | instskip(NEXT) | instid1(VALU_DEP_2)
	v_add_f32_e32 v4, v4, v22
	v_dual_sub_f32 v31, v27, v30 :: v_dual_sub_f32 v22, v30, v29
	s_delay_alu instid0(VALU_DEP_1) | instskip(NEXT) | instid1(VALU_DEP_1)
	v_dual_sub_f32 v27, v27, v31 :: v_dual_sub_f32 v22, v22, v25
	v_sub_f32_e32 v27, v27, v30
	s_delay_alu instid0(VALU_DEP_1) | instskip(NEXT) | instid1(VALU_DEP_1)
	v_add_f32_e32 v4, v4, v27
	v_add_f32_e32 v4, v22, v4
	s_delay_alu instid0(VALU_DEP_1) | instskip(NEXT) | instid1(VALU_DEP_1)
	v_add_f32_e32 v22, v31, v4
	v_mul_f32_e32 v25, v21, v22
	s_delay_alu instid0(VALU_DEP_1) | instskip(NEXT) | instid1(VALU_DEP_1)
	v_dual_sub_f32 v30, v31, v22 :: v_dual_mul_f32 v27, v26, v25
	v_add_f32_e32 v4, v4, v30
	s_delay_alu instid0(VALU_DEP_2) | instskip(NEXT) | instid1(VALU_DEP_1)
	v_fma_f32 v26, v25, v26, -v27
	v_fmac_f32_e32 v26, v25, v24
	s_delay_alu instid0(VALU_DEP_1) | instskip(NEXT) | instid1(VALU_DEP_1)
	v_add_f32_e32 v24, v27, v26
	v_sub_f32_e32 v29, v22, v24
	s_delay_alu instid0(VALU_DEP_1) | instskip(NEXT) | instid1(VALU_DEP_1)
	v_dual_sub_f32 v27, v24, v27 :: v_dual_sub_f32 v22, v22, v29
	v_sub_f32_e32 v22, v22, v24
	s_delay_alu instid0(VALU_DEP_2) | instskip(NEXT) | instid1(VALU_DEP_2)
	v_sub_f32_e32 v24, v27, v26
	v_add_f32_e32 v4, v4, v22
	v_add_f32_e32 v22, v28, v25
	s_delay_alu instid0(VALU_DEP_2) | instskip(NEXT) | instid1(VALU_DEP_2)
	v_add_f32_e32 v4, v24, v4
	v_sub_f32_e32 v24, v22, v28
	s_delay_alu instid0(VALU_DEP_2) | instskip(NEXT) | instid1(VALU_DEP_2)
	v_add_f32_e32 v4, v29, v4
	v_sub_f32_e32 v24, v25, v24
	s_delay_alu instid0(VALU_DEP_2) | instskip(NEXT) | instid1(VALU_DEP_1)
	v_mul_f32_e32 v4, v21, v4
	v_add_f32_e32 v4, v24, v4
	s_delay_alu instid0(VALU_DEP_1) | instskip(NEXT) | instid1(VALU_DEP_1)
	v_add_f32_e32 v21, v22, v4
	v_mul_f32_e32 v24, v21, v21
	s_wait_alu 0xfffe
	s_delay_alu instid0(VALU_DEP_1) | instskip(SKIP_1) | instid1(VALU_DEP_2)
	v_fmaak_f32 v25, s5, v24, 0x3ecc95a3
	v_mul_f32_e32 v26, v21, v24
	v_fmaak_f32 v24, v24, v25, 0x3f2aaada
	v_ldexp_f32 v25, v21, 1
	s_delay_alu instid0(VALU_DEP_2) | instskip(SKIP_1) | instid1(VALU_DEP_2)
	v_dual_sub_f32 v21, v21, v22 :: v_dual_mul_f32 v24, v26, v24
	v_mul_f32_e32 v26, 0x3f317218, v3
	v_sub_f32_e32 v4, v4, v21
	s_delay_alu instid0(VALU_DEP_3) | instskip(NEXT) | instid1(VALU_DEP_2)
	v_add_f32_e32 v22, v25, v24
	v_ldexp_f32 v4, v4, 1
	s_delay_alu instid0(VALU_DEP_2) | instskip(SKIP_1) | instid1(VALU_DEP_2)
	v_sub_f32_e32 v21, v22, v25
	v_fma_f32 v25, 0x3f317218, v3, -v26
	v_sub_f32_e32 v21, v24, v21
	s_delay_alu instid0(VALU_DEP_1) | instskip(NEXT) | instid1(VALU_DEP_1)
	v_dual_fmamk_f32 v3, v3, 0xb102e308, v25 :: v_dual_add_f32 v4, v4, v21
	v_add_f32_e32 v21, v26, v3
	s_delay_alu instid0(VALU_DEP_2) | instskip(NEXT) | instid1(VALU_DEP_2)
	v_add_f32_e32 v24, v22, v4
	v_sub_f32_e32 v26, v21, v26
	s_delay_alu instid0(VALU_DEP_2) | instskip(NEXT) | instid1(VALU_DEP_2)
	v_dual_add_f32 v25, v21, v24 :: v_dual_sub_f32 v22, v24, v22
	v_sub_f32_e32 v3, v3, v26
	s_delay_alu instid0(VALU_DEP_2) | instskip(NEXT) | instid1(VALU_DEP_1)
	v_dual_sub_f32 v27, v25, v21 :: v_dual_sub_f32 v4, v4, v22
	v_sub_f32_e32 v28, v25, v27
	v_sub_f32_e32 v22, v24, v27
	s_delay_alu instid0(VALU_DEP_3) | instskip(NEXT) | instid1(VALU_DEP_3)
	v_add_f32_e32 v24, v3, v4
	v_sub_f32_e32 v21, v21, v28
	s_delay_alu instid0(VALU_DEP_1) | instskip(NEXT) | instid1(VALU_DEP_1)
	v_dual_add_f32 v21, v22, v21 :: v_dual_sub_f32 v22, v24, v3
	v_add_f32_e32 v21, v24, v21
	s_delay_alu instid0(VALU_DEP_2) | instskip(SKIP_1) | instid1(VALU_DEP_2)
	v_sub_f32_e32 v24, v24, v22
	v_sub_f32_e32 v4, v4, v22
	v_dual_add_f32 v26, v25, v21 :: v_dual_sub_f32 v3, v3, v24
	s_delay_alu instid0(VALU_DEP_1) | instskip(NEXT) | instid1(VALU_DEP_1)
	v_dual_sub_f32 v22, v26, v25 :: v_dual_add_f32 v3, v4, v3
	v_sub_f32_e32 v4, v21, v22
	s_delay_alu instid0(VALU_DEP_1) | instskip(NEXT) | instid1(VALU_DEP_1)
	v_add_f32_e32 v3, v3, v4
	v_add_f32_e32 v3, v26, v3
	s_wait_alu 0xfffd
	s_delay_alu instid0(VALU_DEP_1) | instskip(SKIP_2) | instid1(VALU_DEP_2)
	v_cndmask_b32_e32 v3, 0x7f800000, v3, vcc_lo
	v_cmp_gt_f32_e64 vcc_lo, 0x33800000, |v5|
	s_wait_alu 0xfffd
	v_cndmask_b32_e32 v3, v3, v5, vcc_lo
	s_delay_alu instid0(VALU_DEP_1)
	v_add_f32_e32 v3, v2, v3
.LBB443_33:
	s_wait_alu 0xfffe
	s_or_b32 exec_lo, exec_lo, s4
	s_delay_alu instid0(VALU_DEP_1) | instskip(SKIP_2) | instid1(VALU_DEP_3)
	v_bfe_u32 v2, v3, 16, 1
	v_lshlrev_b32_e32 v21, 16, v17
	v_cmp_o_f32_e32 vcc_lo, v3, v3
	v_add3_u32 v2, v3, v2, 0x7fff
	s_delay_alu instid0(VALU_DEP_1) | instskip(SKIP_1) | instid1(VALU_DEP_1)
	v_dual_max_num_f32 v25, v21, v21 :: v_dual_and_b32 v2, 0xffff0000, v2
	s_wait_alu 0xfffd
	v_cndmask_b32_e32 v3, 0x7fc00000, v2, vcc_lo
	s_delay_alu instid0(VALU_DEP_1) | instskip(SKIP_1) | instid1(VALU_DEP_2)
	v_max_num_f32_e32 v2, v3, v3
	v_cmp_u_f32_e64 s4, v21, v21
	v_min_num_f32_e32 v4, v2, v25
	v_max_num_f32_e32 v2, v2, v25
	v_cmp_u_f32_e32 vcc_lo, v3, v3
	s_wait_alu 0xfffd
	s_delay_alu instid0(VALU_DEP_3) | instskip(NEXT) | instid1(VALU_DEP_3)
	v_cndmask_b32_e32 v4, v4, v3, vcc_lo
	v_cndmask_b32_e32 v2, v2, v3, vcc_lo
	s_wait_alu 0xf1ff
	s_delay_alu instid0(VALU_DEP_2) | instskip(NEXT) | instid1(VALU_DEP_2)
	v_cndmask_b32_e64 v4, v4, v21, s4
	v_cndmask_b32_e64 v2, v2, v21, s4
	s_delay_alu instid0(VALU_DEP_2) | instskip(NEXT) | instid1(VALU_DEP_2)
	v_cmp_class_f32_e64 s5, v4, 0x1f8
	v_cmp_neq_f32_e32 vcc_lo, v4, v2
	s_or_b32 s6, vcc_lo, s5
	s_delay_alu instid0(SALU_CYCLE_1)
	s_and_saveexec_b32 s5, s6
	s_cbranch_execz .LBB443_35
; %bb.34:
	v_sub_f32_e32 v3, v4, v2
	s_mov_b32 s6, 0x3e9b6dac
	s_delay_alu instid0(VALU_DEP_1) | instskip(SKIP_1) | instid1(VALU_DEP_2)
	v_mul_f32_e32 v4, 0x3fb8aa3b, v3
	v_cmp_ngt_f32_e32 vcc_lo, 0xc2ce8ed0, v3
	v_fma_f32 v5, 0x3fb8aa3b, v3, -v4
	v_rndne_f32_e32 v22, v4
	s_delay_alu instid0(VALU_DEP_1) | instskip(NEXT) | instid1(VALU_DEP_1)
	v_dual_fmamk_f32 v5, v3, 0x32a5705f, v5 :: v_dual_sub_f32 v4, v4, v22
	v_add_f32_e32 v4, v4, v5
	v_cvt_i32_f32_e32 v5, v22
	s_delay_alu instid0(VALU_DEP_2) | instskip(NEXT) | instid1(TRANS32_DEP_1)
	v_exp_f32_e32 v4, v4
	v_ldexp_f32 v4, v4, v5
	s_wait_alu 0xfffd
	s_delay_alu instid0(VALU_DEP_1) | instskip(SKIP_2) | instid1(VALU_DEP_2)
	v_cndmask_b32_e32 v4, 0, v4, vcc_lo
	v_cmp_nlt_f32_e32 vcc_lo, 0x42b17218, v3
	s_wait_alu 0xfffd
	v_cndmask_b32_e32 v5, 0x7f800000, v4, vcc_lo
	s_delay_alu instid0(VALU_DEP_1) | instskip(NEXT) | instid1(VALU_DEP_1)
	v_add_f32_e32 v22, 1.0, v5
	v_cvt_f64_f32_e32 v[3:4], v22
	s_delay_alu instid0(VALU_DEP_1) | instskip(SKIP_1) | instid1(VALU_DEP_1)
	v_frexp_exp_i32_f64_e32 v3, v[3:4]
	v_frexp_mant_f32_e32 v4, v22
	v_cmp_gt_f32_e32 vcc_lo, 0x3f2aaaab, v4
	v_add_f32_e32 v4, -1.0, v22
	s_delay_alu instid0(VALU_DEP_1) | instskip(SKIP_1) | instid1(VALU_DEP_2)
	v_sub_f32_e32 v26, v4, v22
	v_sub_f32_e32 v4, v5, v4
	v_add_f32_e32 v26, 1.0, v26
	s_delay_alu instid0(VALU_DEP_1) | instskip(SKIP_3) | instid1(VALU_DEP_2)
	v_add_f32_e32 v4, v4, v26
	s_wait_alu 0xfffd
	v_subrev_co_ci_u32_e64 v3, null, 0, v3, vcc_lo
	v_cmp_neq_f32_e32 vcc_lo, 0x7f800000, v5
	v_sub_nc_u32_e32 v24, 0, v3
	v_cvt_f32_i32_e32 v3, v3
	s_delay_alu instid0(VALU_DEP_2) | instskip(SKIP_1) | instid1(VALU_DEP_2)
	v_ldexp_f32 v22, v22, v24
	v_ldexp_f32 v4, v4, v24
	v_add_f32_e32 v27, 1.0, v22
	v_add_f32_e32 v24, -1.0, v22
	s_delay_alu instid0(VALU_DEP_2) | instskip(NEXT) | instid1(VALU_DEP_2)
	v_add_f32_e32 v26, -1.0, v27
	v_add_f32_e32 v28, 1.0, v24
	s_delay_alu instid0(VALU_DEP_2) | instskip(NEXT) | instid1(VALU_DEP_2)
	v_sub_f32_e32 v26, v22, v26
	v_sub_f32_e32 v22, v22, v28
	s_delay_alu instid0(VALU_DEP_2) | instskip(NEXT) | instid1(VALU_DEP_2)
	v_add_f32_e32 v26, v4, v26
	v_add_f32_e32 v4, v4, v22
	s_delay_alu instid0(VALU_DEP_1) | instskip(NEXT) | instid1(VALU_DEP_1)
	v_dual_add_f32 v28, v27, v26 :: v_dual_add_f32 v29, v24, v4
	v_rcp_f32_e32 v22, v28
	s_delay_alu instid0(VALU_DEP_1) | instskip(NEXT) | instid1(VALU_DEP_1)
	v_dual_sub_f32 v27, v27, v28 :: v_dual_sub_f32 v24, v24, v29
	v_add_f32_e32 v26, v26, v27
	s_delay_alu instid0(VALU_DEP_2) | instskip(NEXT) | instid1(TRANS32_DEP_1)
	v_add_f32_e32 v4, v4, v24
	v_mul_f32_e32 v30, v29, v22
	s_delay_alu instid0(VALU_DEP_1) | instskip(NEXT) | instid1(VALU_DEP_1)
	v_mul_f32_e32 v31, v28, v30
	v_fma_f32 v27, v30, v28, -v31
	s_delay_alu instid0(VALU_DEP_1) | instskip(NEXT) | instid1(VALU_DEP_1)
	v_fmac_f32_e32 v27, v30, v26
	v_add_f32_e32 v32, v31, v27
	s_delay_alu instid0(VALU_DEP_1) | instskip(NEXT) | instid1(VALU_DEP_1)
	v_dual_sub_f32 v33, v29, v32 :: v_dual_sub_f32 v24, v32, v31
	v_dual_sub_f32 v29, v29, v33 :: v_dual_sub_f32 v24, v24, v27
	s_delay_alu instid0(VALU_DEP_1) | instskip(NEXT) | instid1(VALU_DEP_1)
	v_sub_f32_e32 v29, v29, v32
	v_add_f32_e32 v4, v4, v29
	s_delay_alu instid0(VALU_DEP_1) | instskip(NEXT) | instid1(VALU_DEP_1)
	v_add_f32_e32 v4, v24, v4
	v_add_f32_e32 v24, v33, v4
	s_delay_alu instid0(VALU_DEP_1) | instskip(NEXT) | instid1(VALU_DEP_1)
	v_mul_f32_e32 v27, v22, v24
	v_dual_sub_f32 v32, v33, v24 :: v_dual_mul_f32 v29, v28, v27
	s_delay_alu instid0(VALU_DEP_1) | instskip(NEXT) | instid1(VALU_DEP_2)
	v_add_f32_e32 v4, v4, v32
	v_fma_f32 v28, v27, v28, -v29
	s_delay_alu instid0(VALU_DEP_1) | instskip(NEXT) | instid1(VALU_DEP_1)
	v_fmac_f32_e32 v28, v27, v26
	v_add_f32_e32 v26, v29, v28
	s_delay_alu instid0(VALU_DEP_1) | instskip(NEXT) | instid1(VALU_DEP_1)
	v_sub_f32_e32 v31, v24, v26
	v_dual_sub_f32 v29, v26, v29 :: v_dual_sub_f32 v24, v24, v31
	s_delay_alu instid0(VALU_DEP_1) | instskip(NEXT) | instid1(VALU_DEP_2)
	v_sub_f32_e32 v24, v24, v26
	v_sub_f32_e32 v26, v29, v28
	s_delay_alu instid0(VALU_DEP_2) | instskip(SKIP_1) | instid1(VALU_DEP_2)
	v_add_f32_e32 v4, v4, v24
	v_add_f32_e32 v24, v30, v27
	;; [unrolled: 1-line block ×3, first 2 shown]
	s_delay_alu instid0(VALU_DEP_2) | instskip(NEXT) | instid1(VALU_DEP_2)
	v_sub_f32_e32 v26, v24, v30
	v_add_f32_e32 v4, v31, v4
	s_delay_alu instid0(VALU_DEP_2) | instskip(NEXT) | instid1(VALU_DEP_2)
	v_sub_f32_e32 v26, v27, v26
	v_mul_f32_e32 v4, v22, v4
	s_delay_alu instid0(VALU_DEP_1) | instskip(NEXT) | instid1(VALU_DEP_1)
	v_add_f32_e32 v4, v26, v4
	v_add_f32_e32 v22, v24, v4
	s_delay_alu instid0(VALU_DEP_1) | instskip(NEXT) | instid1(VALU_DEP_1)
	v_mul_f32_e32 v26, v22, v22
	v_fmaak_f32 v27, s6, v26, 0x3ecc95a3
	v_mul_f32_e32 v28, v22, v26
	s_delay_alu instid0(VALU_DEP_2) | instskip(SKIP_2) | instid1(VALU_DEP_3)
	v_fmaak_f32 v26, v26, v27, 0x3f2aaada
	v_ldexp_f32 v27, v22, 1
	v_sub_f32_e32 v22, v22, v24
	v_mul_f32_e32 v26, v28, v26
	v_mul_f32_e32 v28, 0x3f317218, v3
	s_delay_alu instid0(VALU_DEP_3) | instskip(NEXT) | instid1(VALU_DEP_3)
	v_sub_f32_e32 v4, v4, v22
	v_add_f32_e32 v24, v27, v26
	s_delay_alu instid0(VALU_DEP_2) | instskip(NEXT) | instid1(VALU_DEP_2)
	v_ldexp_f32 v4, v4, 1
	v_sub_f32_e32 v22, v24, v27
	v_fma_f32 v27, 0x3f317218, v3, -v28
	s_delay_alu instid0(VALU_DEP_1) | instskip(NEXT) | instid1(VALU_DEP_1)
	v_dual_sub_f32 v22, v26, v22 :: v_dual_fmamk_f32 v3, v3, 0xb102e308, v27
	v_add_f32_e32 v4, v4, v22
	s_delay_alu instid0(VALU_DEP_2) | instskip(NEXT) | instid1(VALU_DEP_2)
	v_add_f32_e32 v22, v28, v3
	v_add_f32_e32 v26, v24, v4
	s_delay_alu instid0(VALU_DEP_2) | instskip(NEXT) | instid1(VALU_DEP_2)
	v_sub_f32_e32 v28, v22, v28
	v_add_f32_e32 v27, v22, v26
	v_sub_f32_e32 v24, v26, v24
	s_delay_alu instid0(VALU_DEP_3) | instskip(NEXT) | instid1(VALU_DEP_2)
	v_sub_f32_e32 v3, v3, v28
	v_dual_sub_f32 v29, v27, v22 :: v_dual_sub_f32 v4, v4, v24
	s_delay_alu instid0(VALU_DEP_1) | instskip(SKIP_1) | instid1(VALU_DEP_3)
	v_sub_f32_e32 v30, v27, v29
	v_sub_f32_e32 v24, v26, v29
	v_add_f32_e32 v26, v3, v4
	s_delay_alu instid0(VALU_DEP_3) | instskip(NEXT) | instid1(VALU_DEP_1)
	v_sub_f32_e32 v22, v22, v30
	v_add_f32_e32 v22, v24, v22
	s_delay_alu instid0(VALU_DEP_3) | instskip(NEXT) | instid1(VALU_DEP_2)
	v_sub_f32_e32 v24, v26, v3
	v_add_f32_e32 v22, v26, v22
	s_delay_alu instid0(VALU_DEP_2) | instskip(SKIP_1) | instid1(VALU_DEP_3)
	v_sub_f32_e32 v26, v26, v24
	v_sub_f32_e32 v4, v4, v24
	v_add_f32_e32 v28, v27, v22
	s_delay_alu instid0(VALU_DEP_1) | instskip(NEXT) | instid1(VALU_DEP_1)
	v_dual_sub_f32 v3, v3, v26 :: v_dual_sub_f32 v24, v28, v27
	v_dual_add_f32 v3, v4, v3 :: v_dual_sub_f32 v4, v22, v24
	s_delay_alu instid0(VALU_DEP_1) | instskip(NEXT) | instid1(VALU_DEP_1)
	v_add_f32_e32 v3, v3, v4
	v_add_f32_e32 v3, v28, v3
	s_wait_alu 0xfffd
	s_delay_alu instid0(VALU_DEP_1) | instskip(SKIP_2) | instid1(VALU_DEP_2)
	v_cndmask_b32_e32 v3, 0x7f800000, v3, vcc_lo
	v_cmp_gt_f32_e64 vcc_lo, 0x33800000, |v5|
	s_wait_alu 0xfffd
	v_cndmask_b32_e32 v3, v3, v5, vcc_lo
	s_delay_alu instid0(VALU_DEP_1)
	v_add_f32_e32 v3, v2, v3
.LBB443_35:
	s_wait_alu 0xfffe
	s_or_b32 exec_lo, exec_lo, s5
	s_delay_alu instid0(VALU_DEP_1) | instskip(SKIP_1) | instid1(VALU_DEP_2)
	v_bfe_u32 v2, v3, 16, 1
	v_cmp_o_f32_e32 vcc_lo, v3, v3
	v_add3_u32 v2, v3, v2, 0x7fff
	s_delay_alu instid0(VALU_DEP_1) | instskip(SKIP_1) | instid1(VALU_DEP_1)
	v_and_b32_e32 v2, 0xffff0000, v2
	s_wait_alu 0xfffd
	v_dual_cndmask_b32 v3, 0x7fc00000, v2 :: v_dual_lshlrev_b32 v22, 16, v16
	s_delay_alu instid0(VALU_DEP_1) | instskip(SKIP_1) | instid1(VALU_DEP_3)
	v_max_num_f32_e32 v27, v22, v22
	v_cmp_u_f32_e64 s5, v22, v22
	v_max_num_f32_e32 v2, v3, v3
	v_cmp_u_f32_e32 vcc_lo, v3, v3
	s_delay_alu instid0(VALU_DEP_2) | instskip(SKIP_2) | instid1(VALU_DEP_2)
	v_min_num_f32_e32 v4, v2, v27
	v_max_num_f32_e32 v2, v2, v27
	s_wait_alu 0xfffd
	v_cndmask_b32_e32 v4, v4, v3, vcc_lo
	s_delay_alu instid0(VALU_DEP_2) | instskip(SKIP_1) | instid1(VALU_DEP_2)
	v_cndmask_b32_e32 v2, v2, v3, vcc_lo
	s_wait_alu 0xf1ff
	v_cndmask_b32_e64 v4, v4, v22, s5
	s_delay_alu instid0(VALU_DEP_2) | instskip(NEXT) | instid1(VALU_DEP_2)
	v_cndmask_b32_e64 v2, v2, v22, s5
	v_cmp_class_f32_e64 s6, v4, 0x1f8
	s_delay_alu instid0(VALU_DEP_2)
	v_cmp_neq_f32_e32 vcc_lo, v4, v2
	s_or_b32 s7, vcc_lo, s6
	s_wait_alu 0xfffe
	s_and_saveexec_b32 s6, s7
	s_cbranch_execz .LBB443_37
; %bb.36:
	v_sub_f32_e32 v3, v4, v2
	s_mov_b32 s7, 0x3e9b6dac
	s_delay_alu instid0(VALU_DEP_1) | instskip(SKIP_1) | instid1(VALU_DEP_2)
	v_mul_f32_e32 v4, 0x3fb8aa3b, v3
	v_cmp_ngt_f32_e32 vcc_lo, 0xc2ce8ed0, v3
	v_fma_f32 v5, 0x3fb8aa3b, v3, -v4
	v_rndne_f32_e32 v24, v4
	s_delay_alu instid0(VALU_DEP_1) | instskip(NEXT) | instid1(VALU_DEP_1)
	v_dual_fmamk_f32 v5, v3, 0x32a5705f, v5 :: v_dual_sub_f32 v4, v4, v24
	v_add_f32_e32 v4, v4, v5
	v_cvt_i32_f32_e32 v5, v24
	s_delay_alu instid0(VALU_DEP_2) | instskip(NEXT) | instid1(TRANS32_DEP_1)
	v_exp_f32_e32 v4, v4
	v_ldexp_f32 v4, v4, v5
	s_wait_alu 0xfffd
	s_delay_alu instid0(VALU_DEP_1) | instskip(SKIP_2) | instid1(VALU_DEP_2)
	v_cndmask_b32_e32 v4, 0, v4, vcc_lo
	v_cmp_nlt_f32_e32 vcc_lo, 0x42b17218, v3
	s_wait_alu 0xfffd
	v_cndmask_b32_e32 v5, 0x7f800000, v4, vcc_lo
	s_delay_alu instid0(VALU_DEP_1) | instskip(NEXT) | instid1(VALU_DEP_1)
	v_add_f32_e32 v24, 1.0, v5
	v_cvt_f64_f32_e32 v[3:4], v24
	s_delay_alu instid0(VALU_DEP_1) | instskip(SKIP_1) | instid1(VALU_DEP_1)
	v_frexp_exp_i32_f64_e32 v3, v[3:4]
	v_frexp_mant_f32_e32 v4, v24
	v_cmp_gt_f32_e32 vcc_lo, 0x3f2aaaab, v4
	v_add_f32_e32 v4, -1.0, v24
	s_delay_alu instid0(VALU_DEP_1) | instskip(SKIP_1) | instid1(VALU_DEP_2)
	v_sub_f32_e32 v28, v4, v24
	v_sub_f32_e32 v4, v5, v4
	v_add_f32_e32 v28, 1.0, v28
	s_delay_alu instid0(VALU_DEP_1) | instskip(SKIP_2) | instid1(VALU_DEP_1)
	v_add_f32_e32 v4, v4, v28
	s_wait_alu 0xfffd
	v_subrev_co_ci_u32_e64 v3, null, 0, v3, vcc_lo
	v_sub_nc_u32_e32 v26, 0, v3
	v_cvt_f32_i32_e32 v3, v3
	s_delay_alu instid0(VALU_DEP_2) | instskip(SKIP_1) | instid1(VALU_DEP_2)
	v_ldexp_f32 v24, v24, v26
	v_ldexp_f32 v4, v4, v26
	v_add_f32_e32 v29, 1.0, v24
	v_add_f32_e32 v26, -1.0, v24
	s_delay_alu instid0(VALU_DEP_2) | instskip(NEXT) | instid1(VALU_DEP_2)
	v_add_f32_e32 v28, -1.0, v29
	v_add_f32_e32 v30, 1.0, v26
	v_cmp_neq_f32_e32 vcc_lo, 0x7f800000, v5
	s_delay_alu instid0(VALU_DEP_3) | instskip(NEXT) | instid1(VALU_DEP_3)
	v_sub_f32_e32 v28, v24, v28
	v_sub_f32_e32 v24, v24, v30
	s_delay_alu instid0(VALU_DEP_2) | instskip(NEXT) | instid1(VALU_DEP_2)
	v_add_f32_e32 v28, v4, v28
	v_add_f32_e32 v4, v4, v24
	s_delay_alu instid0(VALU_DEP_2) | instskip(NEXT) | instid1(VALU_DEP_2)
	v_add_f32_e32 v30, v29, v28
	v_add_f32_e32 v31, v26, v4
	s_delay_alu instid0(VALU_DEP_2) | instskip(NEXT) | instid1(VALU_DEP_1)
	v_rcp_f32_e32 v24, v30
	v_dual_sub_f32 v29, v29, v30 :: v_dual_sub_f32 v26, v26, v31
	s_delay_alu instid0(VALU_DEP_1) | instskip(NEXT) | instid1(VALU_DEP_2)
	v_add_f32_e32 v28, v28, v29
	v_add_f32_e32 v4, v4, v26
	s_delay_alu instid0(TRANS32_DEP_1) | instskip(NEXT) | instid1(VALU_DEP_1)
	v_mul_f32_e32 v32, v31, v24
	v_mul_f32_e32 v33, v30, v32
	s_delay_alu instid0(VALU_DEP_1) | instskip(NEXT) | instid1(VALU_DEP_1)
	v_fma_f32 v29, v32, v30, -v33
	v_fmac_f32_e32 v29, v32, v28
	s_delay_alu instid0(VALU_DEP_1) | instskip(NEXT) | instid1(VALU_DEP_1)
	v_add_f32_e32 v34, v33, v29
	v_dual_sub_f32 v35, v31, v34 :: v_dual_sub_f32 v26, v34, v33
	s_delay_alu instid0(VALU_DEP_1) | instskip(NEXT) | instid1(VALU_DEP_1)
	v_dual_sub_f32 v31, v31, v35 :: v_dual_sub_f32 v26, v26, v29
	v_sub_f32_e32 v31, v31, v34
	s_delay_alu instid0(VALU_DEP_1) | instskip(NEXT) | instid1(VALU_DEP_1)
	v_add_f32_e32 v4, v4, v31
	v_add_f32_e32 v4, v26, v4
	s_delay_alu instid0(VALU_DEP_1) | instskip(NEXT) | instid1(VALU_DEP_1)
	v_add_f32_e32 v26, v35, v4
	v_mul_f32_e32 v29, v24, v26
	s_delay_alu instid0(VALU_DEP_1) | instskip(NEXT) | instid1(VALU_DEP_1)
	v_dual_sub_f32 v34, v35, v26 :: v_dual_mul_f32 v31, v30, v29
	v_add_f32_e32 v4, v4, v34
	s_delay_alu instid0(VALU_DEP_2) | instskip(NEXT) | instid1(VALU_DEP_1)
	v_fma_f32 v30, v29, v30, -v31
	v_fmac_f32_e32 v30, v29, v28
	s_delay_alu instid0(VALU_DEP_1) | instskip(NEXT) | instid1(VALU_DEP_1)
	v_add_f32_e32 v28, v31, v30
	v_sub_f32_e32 v33, v26, v28
	s_delay_alu instid0(VALU_DEP_1) | instskip(NEXT) | instid1(VALU_DEP_1)
	v_dual_sub_f32 v31, v28, v31 :: v_dual_sub_f32 v26, v26, v33
	v_sub_f32_e32 v26, v26, v28
	s_delay_alu instid0(VALU_DEP_2) | instskip(NEXT) | instid1(VALU_DEP_2)
	v_sub_f32_e32 v28, v31, v30
	v_add_f32_e32 v4, v4, v26
	v_add_f32_e32 v26, v32, v29
	s_delay_alu instid0(VALU_DEP_2) | instskip(NEXT) | instid1(VALU_DEP_2)
	v_add_f32_e32 v4, v28, v4
	v_sub_f32_e32 v28, v26, v32
	s_delay_alu instid0(VALU_DEP_2) | instskip(NEXT) | instid1(VALU_DEP_2)
	v_add_f32_e32 v4, v33, v4
	v_sub_f32_e32 v28, v29, v28
	s_delay_alu instid0(VALU_DEP_2) | instskip(NEXT) | instid1(VALU_DEP_1)
	v_mul_f32_e32 v4, v24, v4
	v_add_f32_e32 v4, v28, v4
	s_delay_alu instid0(VALU_DEP_1) | instskip(NEXT) | instid1(VALU_DEP_1)
	v_add_f32_e32 v24, v26, v4
	v_mul_f32_e32 v28, v24, v24
	s_wait_alu 0xfffe
	s_delay_alu instid0(VALU_DEP_1) | instskip(SKIP_1) | instid1(VALU_DEP_2)
	v_fmaak_f32 v29, s7, v28, 0x3ecc95a3
	v_mul_f32_e32 v30, v24, v28
	v_fmaak_f32 v28, v28, v29, 0x3f2aaada
	v_ldexp_f32 v29, v24, 1
	v_sub_f32_e32 v24, v24, v26
	s_delay_alu instid0(VALU_DEP_3) | instskip(SKIP_1) | instid1(VALU_DEP_3)
	v_mul_f32_e32 v28, v30, v28
	v_mul_f32_e32 v30, 0x3f317218, v3
	v_sub_f32_e32 v4, v4, v24
	s_delay_alu instid0(VALU_DEP_3) | instskip(NEXT) | instid1(VALU_DEP_2)
	v_add_f32_e32 v26, v29, v28
	v_ldexp_f32 v4, v4, 1
	s_delay_alu instid0(VALU_DEP_2) | instskip(SKIP_1) | instid1(VALU_DEP_1)
	v_sub_f32_e32 v24, v26, v29
	v_fma_f32 v29, 0x3f317218, v3, -v30
	v_dual_sub_f32 v24, v28, v24 :: v_dual_fmamk_f32 v3, v3, 0xb102e308, v29
	s_delay_alu instid0(VALU_DEP_1) | instskip(NEXT) | instid1(VALU_DEP_2)
	v_add_f32_e32 v4, v4, v24
	v_add_f32_e32 v24, v30, v3
	s_delay_alu instid0(VALU_DEP_2) | instskip(NEXT) | instid1(VALU_DEP_2)
	v_add_f32_e32 v28, v26, v4
	v_sub_f32_e32 v30, v24, v30
	s_delay_alu instid0(VALU_DEP_2) | instskip(SKIP_1) | instid1(VALU_DEP_3)
	v_add_f32_e32 v29, v24, v28
	v_sub_f32_e32 v26, v28, v26
	v_sub_f32_e32 v3, v3, v30
	s_delay_alu instid0(VALU_DEP_2) | instskip(NEXT) | instid1(VALU_DEP_1)
	v_dual_sub_f32 v31, v29, v24 :: v_dual_sub_f32 v4, v4, v26
	v_sub_f32_e32 v32, v29, v31
	v_sub_f32_e32 v26, v28, v31
	s_delay_alu instid0(VALU_DEP_3) | instskip(NEXT) | instid1(VALU_DEP_3)
	v_add_f32_e32 v28, v3, v4
	v_sub_f32_e32 v24, v24, v32
	s_delay_alu instid0(VALU_DEP_1) | instskip(NEXT) | instid1(VALU_DEP_3)
	v_add_f32_e32 v24, v26, v24
	v_sub_f32_e32 v26, v28, v3
	s_delay_alu instid0(VALU_DEP_2) | instskip(NEXT) | instid1(VALU_DEP_2)
	v_add_f32_e32 v24, v28, v24
	v_sub_f32_e32 v28, v28, v26
	v_sub_f32_e32 v4, v4, v26
	s_delay_alu instid0(VALU_DEP_3) | instskip(NEXT) | instid1(VALU_DEP_1)
	v_add_f32_e32 v30, v29, v24
	v_dual_sub_f32 v3, v3, v28 :: v_dual_sub_f32 v26, v30, v29
	s_delay_alu instid0(VALU_DEP_1) | instskip(NEXT) | instid1(VALU_DEP_2)
	v_add_f32_e32 v3, v4, v3
	v_sub_f32_e32 v4, v24, v26
	s_delay_alu instid0(VALU_DEP_1) | instskip(NEXT) | instid1(VALU_DEP_1)
	v_add_f32_e32 v3, v3, v4
	v_add_f32_e32 v3, v30, v3
	s_wait_alu 0xfffd
	s_delay_alu instid0(VALU_DEP_1) | instskip(SKIP_2) | instid1(VALU_DEP_2)
	v_cndmask_b32_e32 v3, 0x7f800000, v3, vcc_lo
	v_cmp_gt_f32_e64 vcc_lo, 0x33800000, |v5|
	s_wait_alu 0xfffd
	v_cndmask_b32_e32 v3, v3, v5, vcc_lo
	s_delay_alu instid0(VALU_DEP_1)
	v_add_f32_e32 v3, v2, v3
.LBB443_37:
	s_wait_alu 0xfffe
	s_or_b32 exec_lo, exec_lo, s6
	s_delay_alu instid0(VALU_DEP_1) | instskip(SKIP_2) | instid1(VALU_DEP_3)
	v_bfe_u32 v2, v3, 16, 1
	v_cmp_o_f32_e32 vcc_lo, v3, v3
	v_lshlrev_b32_e32 v24, 16, v15
	v_add3_u32 v2, v3, v2, 0x7fff
	s_delay_alu instid0(VALU_DEP_1) | instskip(SKIP_1) | instid1(VALU_DEP_1)
	v_dual_max_num_f32 v29, v24, v24 :: v_dual_and_b32 v2, 0xffff0000, v2
	s_wait_alu 0xfffd
	v_cndmask_b32_e32 v3, 0x7fc00000, v2, vcc_lo
	v_cmp_u_f32_e64 s6, v24, v24
	s_delay_alu instid0(VALU_DEP_2) | instskip(SKIP_1) | instid1(VALU_DEP_2)
	v_max_num_f32_e32 v2, v3, v3
	v_cmp_u_f32_e32 vcc_lo, v3, v3
	v_min_num_f32_e32 v4, v2, v29
	v_max_num_f32_e32 v2, v2, v29
	s_wait_alu 0xfffd
	s_delay_alu instid0(VALU_DEP_2) | instskip(NEXT) | instid1(VALU_DEP_2)
	v_cndmask_b32_e32 v4, v4, v3, vcc_lo
	v_cndmask_b32_e32 v2, v2, v3, vcc_lo
	s_wait_alu 0xf1ff
	s_delay_alu instid0(VALU_DEP_2) | instskip(NEXT) | instid1(VALU_DEP_2)
	v_cndmask_b32_e64 v4, v4, v24, s6
	v_cndmask_b32_e64 v2, v2, v24, s6
	s_delay_alu instid0(VALU_DEP_2) | instskip(NEXT) | instid1(VALU_DEP_2)
	v_cmp_class_f32_e64 s7, v4, 0x1f8
	v_cmp_neq_f32_e32 vcc_lo, v4, v2
	s_or_b32 s8, vcc_lo, s7
	s_delay_alu instid0(SALU_CYCLE_1)
	s_and_saveexec_b32 s7, s8
	s_cbranch_execz .LBB443_39
; %bb.38:
	v_sub_f32_e32 v3, v4, v2
	s_mov_b32 s8, 0x3e9b6dac
	s_delay_alu instid0(VALU_DEP_1) | instskip(SKIP_1) | instid1(VALU_DEP_2)
	v_mul_f32_e32 v4, 0x3fb8aa3b, v3
	v_cmp_ngt_f32_e32 vcc_lo, 0xc2ce8ed0, v3
	v_fma_f32 v5, 0x3fb8aa3b, v3, -v4
	v_rndne_f32_e32 v26, v4
	s_delay_alu instid0(VALU_DEP_1) | instskip(NEXT) | instid1(VALU_DEP_1)
	v_dual_fmamk_f32 v5, v3, 0x32a5705f, v5 :: v_dual_sub_f32 v4, v4, v26
	v_add_f32_e32 v4, v4, v5
	v_cvt_i32_f32_e32 v5, v26
	s_delay_alu instid0(VALU_DEP_2) | instskip(NEXT) | instid1(TRANS32_DEP_1)
	v_exp_f32_e32 v4, v4
	v_ldexp_f32 v4, v4, v5
	s_wait_alu 0xfffd
	s_delay_alu instid0(VALU_DEP_1) | instskip(SKIP_2) | instid1(VALU_DEP_2)
	v_cndmask_b32_e32 v4, 0, v4, vcc_lo
	v_cmp_nlt_f32_e32 vcc_lo, 0x42b17218, v3
	s_wait_alu 0xfffd
	v_cndmask_b32_e32 v5, 0x7f800000, v4, vcc_lo
	s_delay_alu instid0(VALU_DEP_1) | instskip(NEXT) | instid1(VALU_DEP_1)
	v_add_f32_e32 v26, 1.0, v5
	v_cvt_f64_f32_e32 v[3:4], v26
	s_delay_alu instid0(VALU_DEP_1) | instskip(SKIP_1) | instid1(VALU_DEP_1)
	v_frexp_exp_i32_f64_e32 v3, v[3:4]
	v_frexp_mant_f32_e32 v4, v26
	v_cmp_gt_f32_e32 vcc_lo, 0x3f2aaaab, v4
	v_add_f32_e32 v4, -1.0, v26
	s_delay_alu instid0(VALU_DEP_1) | instskip(SKIP_1) | instid1(VALU_DEP_2)
	v_sub_f32_e32 v30, v4, v26
	v_sub_f32_e32 v4, v5, v4
	v_add_f32_e32 v30, 1.0, v30
	s_delay_alu instid0(VALU_DEP_1) | instskip(SKIP_3) | instid1(VALU_DEP_2)
	v_add_f32_e32 v4, v4, v30
	s_wait_alu 0xfffd
	v_subrev_co_ci_u32_e64 v3, null, 0, v3, vcc_lo
	v_cmp_neq_f32_e32 vcc_lo, 0x7f800000, v5
	v_sub_nc_u32_e32 v28, 0, v3
	v_cvt_f32_i32_e32 v3, v3
	s_delay_alu instid0(VALU_DEP_2) | instskip(SKIP_1) | instid1(VALU_DEP_2)
	v_ldexp_f32 v26, v26, v28
	v_ldexp_f32 v4, v4, v28
	v_add_f32_e32 v31, 1.0, v26
	v_add_f32_e32 v28, -1.0, v26
	s_delay_alu instid0(VALU_DEP_2) | instskip(NEXT) | instid1(VALU_DEP_2)
	v_add_f32_e32 v30, -1.0, v31
	v_add_f32_e32 v32, 1.0, v28
	s_delay_alu instid0(VALU_DEP_2) | instskip(NEXT) | instid1(VALU_DEP_2)
	v_sub_f32_e32 v30, v26, v30
	v_sub_f32_e32 v26, v26, v32
	s_delay_alu instid0(VALU_DEP_2) | instskip(NEXT) | instid1(VALU_DEP_2)
	v_add_f32_e32 v30, v4, v30
	v_add_f32_e32 v4, v4, v26
	s_delay_alu instid0(VALU_DEP_1) | instskip(NEXT) | instid1(VALU_DEP_1)
	v_dual_add_f32 v32, v31, v30 :: v_dual_add_f32 v33, v28, v4
	v_rcp_f32_e32 v26, v32
	s_delay_alu instid0(VALU_DEP_1) | instskip(NEXT) | instid1(VALU_DEP_1)
	v_dual_sub_f32 v31, v31, v32 :: v_dual_sub_f32 v28, v28, v33
	v_add_f32_e32 v30, v30, v31
	s_delay_alu instid0(VALU_DEP_2) | instskip(NEXT) | instid1(TRANS32_DEP_1)
	v_add_f32_e32 v4, v4, v28
	v_mul_f32_e32 v34, v33, v26
	s_delay_alu instid0(VALU_DEP_1) | instskip(NEXT) | instid1(VALU_DEP_1)
	v_mul_f32_e32 v35, v32, v34
	v_fma_f32 v31, v34, v32, -v35
	s_delay_alu instid0(VALU_DEP_1) | instskip(NEXT) | instid1(VALU_DEP_1)
	v_fmac_f32_e32 v31, v34, v30
	v_add_f32_e32 v36, v35, v31
	s_delay_alu instid0(VALU_DEP_1) | instskip(NEXT) | instid1(VALU_DEP_1)
	v_dual_sub_f32 v37, v33, v36 :: v_dual_sub_f32 v28, v36, v35
	v_dual_sub_f32 v33, v33, v37 :: v_dual_sub_f32 v28, v28, v31
	s_delay_alu instid0(VALU_DEP_1) | instskip(NEXT) | instid1(VALU_DEP_1)
	v_sub_f32_e32 v33, v33, v36
	v_add_f32_e32 v4, v4, v33
	s_delay_alu instid0(VALU_DEP_1) | instskip(NEXT) | instid1(VALU_DEP_1)
	v_add_f32_e32 v4, v28, v4
	v_add_f32_e32 v28, v37, v4
	s_delay_alu instid0(VALU_DEP_1) | instskip(NEXT) | instid1(VALU_DEP_1)
	v_mul_f32_e32 v31, v26, v28
	v_dual_sub_f32 v36, v37, v28 :: v_dual_mul_f32 v33, v32, v31
	s_delay_alu instid0(VALU_DEP_1) | instskip(NEXT) | instid1(VALU_DEP_2)
	v_add_f32_e32 v4, v4, v36
	v_fma_f32 v32, v31, v32, -v33
	s_delay_alu instid0(VALU_DEP_1) | instskip(NEXT) | instid1(VALU_DEP_1)
	v_fmac_f32_e32 v32, v31, v30
	v_add_f32_e32 v30, v33, v32
	s_delay_alu instid0(VALU_DEP_1) | instskip(NEXT) | instid1(VALU_DEP_1)
	v_sub_f32_e32 v35, v28, v30
	v_dual_sub_f32 v33, v30, v33 :: v_dual_sub_f32 v28, v28, v35
	s_delay_alu instid0(VALU_DEP_1) | instskip(NEXT) | instid1(VALU_DEP_2)
	v_sub_f32_e32 v28, v28, v30
	v_sub_f32_e32 v30, v33, v32
	s_delay_alu instid0(VALU_DEP_2) | instskip(SKIP_1) | instid1(VALU_DEP_2)
	v_add_f32_e32 v4, v4, v28
	v_add_f32_e32 v28, v34, v31
	;; [unrolled: 1-line block ×3, first 2 shown]
	s_delay_alu instid0(VALU_DEP_2) | instskip(NEXT) | instid1(VALU_DEP_2)
	v_sub_f32_e32 v30, v28, v34
	v_add_f32_e32 v4, v35, v4
	s_delay_alu instid0(VALU_DEP_2) | instskip(NEXT) | instid1(VALU_DEP_2)
	v_sub_f32_e32 v30, v31, v30
	v_mul_f32_e32 v4, v26, v4
	s_delay_alu instid0(VALU_DEP_1) | instskip(NEXT) | instid1(VALU_DEP_1)
	v_add_f32_e32 v4, v30, v4
	v_add_f32_e32 v26, v28, v4
	s_delay_alu instid0(VALU_DEP_1) | instskip(NEXT) | instid1(VALU_DEP_1)
	v_mul_f32_e32 v30, v26, v26
	v_fmaak_f32 v31, s8, v30, 0x3ecc95a3
	v_mul_f32_e32 v32, v26, v30
	s_delay_alu instid0(VALU_DEP_2) | instskip(SKIP_2) | instid1(VALU_DEP_3)
	v_fmaak_f32 v30, v30, v31, 0x3f2aaada
	v_ldexp_f32 v31, v26, 1
	v_sub_f32_e32 v26, v26, v28
	v_mul_f32_e32 v30, v32, v30
	v_mul_f32_e32 v32, 0x3f317218, v3
	s_delay_alu instid0(VALU_DEP_3) | instskip(NEXT) | instid1(VALU_DEP_3)
	v_sub_f32_e32 v4, v4, v26
	v_add_f32_e32 v28, v31, v30
	s_delay_alu instid0(VALU_DEP_2) | instskip(NEXT) | instid1(VALU_DEP_2)
	v_ldexp_f32 v4, v4, 1
	v_sub_f32_e32 v26, v28, v31
	v_fma_f32 v31, 0x3f317218, v3, -v32
	s_delay_alu instid0(VALU_DEP_1) | instskip(NEXT) | instid1(VALU_DEP_1)
	v_dual_sub_f32 v26, v30, v26 :: v_dual_fmamk_f32 v3, v3, 0xb102e308, v31
	v_add_f32_e32 v4, v4, v26
	s_delay_alu instid0(VALU_DEP_2) | instskip(NEXT) | instid1(VALU_DEP_2)
	v_add_f32_e32 v26, v32, v3
	v_add_f32_e32 v30, v28, v4
	s_delay_alu instid0(VALU_DEP_2) | instskip(NEXT) | instid1(VALU_DEP_2)
	v_sub_f32_e32 v32, v26, v32
	v_add_f32_e32 v31, v26, v30
	v_sub_f32_e32 v28, v30, v28
	s_delay_alu instid0(VALU_DEP_3) | instskip(NEXT) | instid1(VALU_DEP_2)
	v_sub_f32_e32 v3, v3, v32
	v_dual_sub_f32 v33, v31, v26 :: v_dual_sub_f32 v4, v4, v28
	s_delay_alu instid0(VALU_DEP_1) | instskip(SKIP_1) | instid1(VALU_DEP_3)
	v_sub_f32_e32 v34, v31, v33
	v_sub_f32_e32 v28, v30, v33
	v_add_f32_e32 v30, v3, v4
	s_delay_alu instid0(VALU_DEP_3) | instskip(NEXT) | instid1(VALU_DEP_1)
	v_sub_f32_e32 v26, v26, v34
	v_add_f32_e32 v26, v28, v26
	s_delay_alu instid0(VALU_DEP_3) | instskip(NEXT) | instid1(VALU_DEP_2)
	v_sub_f32_e32 v28, v30, v3
	v_add_f32_e32 v26, v30, v26
	s_delay_alu instid0(VALU_DEP_2) | instskip(SKIP_1) | instid1(VALU_DEP_3)
	v_sub_f32_e32 v30, v30, v28
	v_sub_f32_e32 v4, v4, v28
	v_add_f32_e32 v32, v31, v26
	s_delay_alu instid0(VALU_DEP_1) | instskip(NEXT) | instid1(VALU_DEP_1)
	v_dual_sub_f32 v3, v3, v30 :: v_dual_sub_f32 v28, v32, v31
	v_dual_add_f32 v3, v4, v3 :: v_dual_sub_f32 v4, v26, v28
	s_delay_alu instid0(VALU_DEP_1) | instskip(NEXT) | instid1(VALU_DEP_1)
	v_add_f32_e32 v3, v3, v4
	v_add_f32_e32 v3, v32, v3
	s_wait_alu 0xfffd
	s_delay_alu instid0(VALU_DEP_1) | instskip(SKIP_2) | instid1(VALU_DEP_2)
	v_cndmask_b32_e32 v3, 0x7f800000, v3, vcc_lo
	v_cmp_gt_f32_e64 vcc_lo, 0x33800000, |v5|
	s_wait_alu 0xfffd
	v_cndmask_b32_e32 v3, v3, v5, vcc_lo
	s_delay_alu instid0(VALU_DEP_1)
	v_add_f32_e32 v3, v2, v3
.LBB443_39:
	s_wait_alu 0xfffe
	s_or_b32 exec_lo, exec_lo, s7
	s_delay_alu instid0(VALU_DEP_1) | instskip(SKIP_2) | instid1(VALU_DEP_3)
	v_bfe_u32 v2, v3, 16, 1
	v_lshlrev_b32_e32 v26, 16, v14
	v_cmp_o_f32_e32 vcc_lo, v3, v3
	v_add3_u32 v2, v3, v2, 0x7fff
	s_delay_alu instid0(VALU_DEP_3) | instskip(SKIP_1) | instid1(VALU_DEP_3)
	v_max_num_f32_e32 v31, v26, v26
	v_cmp_u_f32_e64 s7, v26, v26
	v_and_b32_e32 v2, 0xffff0000, v2
	s_wait_alu 0xfffd
	s_delay_alu instid0(VALU_DEP_1) | instskip(NEXT) | instid1(VALU_DEP_1)
	v_cndmask_b32_e32 v3, 0x7fc00000, v2, vcc_lo
	v_max_num_f32_e32 v2, v3, v3
	s_delay_alu instid0(VALU_DEP_1) | instskip(SKIP_3) | instid1(VALU_DEP_3)
	v_min_num_f32_e32 v4, v2, v31
	v_max_num_f32_e32 v2, v2, v31
	v_cmp_u_f32_e32 vcc_lo, v3, v3
	s_wait_alu 0xfffd
	v_cndmask_b32_e32 v4, v4, v3, vcc_lo
	s_delay_alu instid0(VALU_DEP_3) | instskip(SKIP_1) | instid1(VALU_DEP_2)
	v_cndmask_b32_e32 v2, v2, v3, vcc_lo
	s_wait_alu 0xf1ff
	v_cndmask_b32_e64 v4, v4, v26, s7
	s_delay_alu instid0(VALU_DEP_2) | instskip(NEXT) | instid1(VALU_DEP_2)
	v_cndmask_b32_e64 v2, v2, v26, s7
	v_cmp_class_f32_e64 s8, v4, 0x1f8
	s_delay_alu instid0(VALU_DEP_2)
	v_cmp_neq_f32_e32 vcc_lo, v4, v2
	s_or_b32 s9, vcc_lo, s8
	s_wait_alu 0xfffe
	s_and_saveexec_b32 s8, s9
	s_cbranch_execz .LBB443_41
; %bb.40:
	v_sub_f32_e32 v3, v4, v2
	s_mov_b32 s9, 0x3e9b6dac
	s_delay_alu instid0(VALU_DEP_1) | instskip(SKIP_1) | instid1(VALU_DEP_2)
	v_mul_f32_e32 v4, 0x3fb8aa3b, v3
	v_cmp_ngt_f32_e32 vcc_lo, 0xc2ce8ed0, v3
	v_fma_f32 v5, 0x3fb8aa3b, v3, -v4
	v_rndne_f32_e32 v28, v4
	s_delay_alu instid0(VALU_DEP_1) | instskip(NEXT) | instid1(VALU_DEP_1)
	v_dual_fmamk_f32 v5, v3, 0x32a5705f, v5 :: v_dual_sub_f32 v4, v4, v28
	v_add_f32_e32 v4, v4, v5
	v_cvt_i32_f32_e32 v5, v28
	s_delay_alu instid0(VALU_DEP_2) | instskip(NEXT) | instid1(TRANS32_DEP_1)
	v_exp_f32_e32 v4, v4
	v_ldexp_f32 v4, v4, v5
	s_wait_alu 0xfffd
	s_delay_alu instid0(VALU_DEP_1) | instskip(SKIP_2) | instid1(VALU_DEP_2)
	v_cndmask_b32_e32 v4, 0, v4, vcc_lo
	v_cmp_nlt_f32_e32 vcc_lo, 0x42b17218, v3
	s_wait_alu 0xfffd
	v_cndmask_b32_e32 v5, 0x7f800000, v4, vcc_lo
	s_delay_alu instid0(VALU_DEP_1) | instskip(NEXT) | instid1(VALU_DEP_1)
	v_add_f32_e32 v28, 1.0, v5
	v_cvt_f64_f32_e32 v[3:4], v28
	s_delay_alu instid0(VALU_DEP_1) | instskip(SKIP_1) | instid1(VALU_DEP_1)
	v_frexp_exp_i32_f64_e32 v3, v[3:4]
	v_frexp_mant_f32_e32 v4, v28
	v_cmp_gt_f32_e32 vcc_lo, 0x3f2aaaab, v4
	v_add_f32_e32 v4, -1.0, v28
	s_delay_alu instid0(VALU_DEP_1) | instskip(SKIP_1) | instid1(VALU_DEP_2)
	v_sub_f32_e32 v32, v4, v28
	v_sub_f32_e32 v4, v5, v4
	v_add_f32_e32 v32, 1.0, v32
	s_delay_alu instid0(VALU_DEP_1) | instskip(SKIP_2) | instid1(VALU_DEP_1)
	v_add_f32_e32 v4, v4, v32
	s_wait_alu 0xfffd
	v_subrev_co_ci_u32_e64 v3, null, 0, v3, vcc_lo
	v_sub_nc_u32_e32 v30, 0, v3
	v_cvt_f32_i32_e32 v3, v3
	s_delay_alu instid0(VALU_DEP_2) | instskip(SKIP_1) | instid1(VALU_DEP_2)
	v_ldexp_f32 v28, v28, v30
	v_ldexp_f32 v4, v4, v30
	v_add_f32_e32 v33, 1.0, v28
	v_add_f32_e32 v30, -1.0, v28
	s_delay_alu instid0(VALU_DEP_2) | instskip(NEXT) | instid1(VALU_DEP_2)
	v_add_f32_e32 v32, -1.0, v33
	v_add_f32_e32 v34, 1.0, v30
	v_cmp_neq_f32_e32 vcc_lo, 0x7f800000, v5
	s_delay_alu instid0(VALU_DEP_3) | instskip(NEXT) | instid1(VALU_DEP_3)
	v_sub_f32_e32 v32, v28, v32
	v_sub_f32_e32 v28, v28, v34
	s_delay_alu instid0(VALU_DEP_2) | instskip(NEXT) | instid1(VALU_DEP_2)
	v_add_f32_e32 v32, v4, v32
	v_add_f32_e32 v4, v4, v28
	s_delay_alu instid0(VALU_DEP_2) | instskip(NEXT) | instid1(VALU_DEP_2)
	v_add_f32_e32 v34, v33, v32
	v_add_f32_e32 v35, v30, v4
	s_delay_alu instid0(VALU_DEP_2) | instskip(NEXT) | instid1(VALU_DEP_1)
	v_rcp_f32_e32 v28, v34
	v_dual_sub_f32 v33, v33, v34 :: v_dual_sub_f32 v30, v30, v35
	s_delay_alu instid0(VALU_DEP_1) | instskip(NEXT) | instid1(VALU_DEP_2)
	v_add_f32_e32 v32, v32, v33
	v_add_f32_e32 v4, v4, v30
	s_delay_alu instid0(TRANS32_DEP_1) | instskip(NEXT) | instid1(VALU_DEP_1)
	v_mul_f32_e32 v36, v35, v28
	v_mul_f32_e32 v37, v34, v36
	s_delay_alu instid0(VALU_DEP_1) | instskip(NEXT) | instid1(VALU_DEP_1)
	v_fma_f32 v33, v36, v34, -v37
	v_fmac_f32_e32 v33, v36, v32
	s_delay_alu instid0(VALU_DEP_1) | instskip(NEXT) | instid1(VALU_DEP_1)
	v_add_f32_e32 v38, v37, v33
	v_dual_sub_f32 v39, v35, v38 :: v_dual_sub_f32 v30, v38, v37
	s_delay_alu instid0(VALU_DEP_1) | instskip(NEXT) | instid1(VALU_DEP_1)
	v_dual_sub_f32 v35, v35, v39 :: v_dual_sub_f32 v30, v30, v33
	v_sub_f32_e32 v35, v35, v38
	s_delay_alu instid0(VALU_DEP_1) | instskip(NEXT) | instid1(VALU_DEP_1)
	v_add_f32_e32 v4, v4, v35
	v_add_f32_e32 v4, v30, v4
	s_delay_alu instid0(VALU_DEP_1) | instskip(NEXT) | instid1(VALU_DEP_1)
	v_add_f32_e32 v30, v39, v4
	v_mul_f32_e32 v33, v28, v30
	s_delay_alu instid0(VALU_DEP_1) | instskip(NEXT) | instid1(VALU_DEP_1)
	v_dual_sub_f32 v38, v39, v30 :: v_dual_mul_f32 v35, v34, v33
	v_add_f32_e32 v4, v4, v38
	s_delay_alu instid0(VALU_DEP_2) | instskip(NEXT) | instid1(VALU_DEP_1)
	v_fma_f32 v34, v33, v34, -v35
	v_fmac_f32_e32 v34, v33, v32
	s_delay_alu instid0(VALU_DEP_1) | instskip(NEXT) | instid1(VALU_DEP_1)
	v_add_f32_e32 v32, v35, v34
	v_sub_f32_e32 v37, v30, v32
	s_delay_alu instid0(VALU_DEP_1) | instskip(NEXT) | instid1(VALU_DEP_1)
	v_dual_sub_f32 v35, v32, v35 :: v_dual_sub_f32 v30, v30, v37
	v_sub_f32_e32 v30, v30, v32
	s_delay_alu instid0(VALU_DEP_2) | instskip(NEXT) | instid1(VALU_DEP_2)
	v_sub_f32_e32 v32, v35, v34
	v_add_f32_e32 v4, v4, v30
	v_add_f32_e32 v30, v36, v33
	s_delay_alu instid0(VALU_DEP_2) | instskip(NEXT) | instid1(VALU_DEP_2)
	v_add_f32_e32 v4, v32, v4
	v_sub_f32_e32 v32, v30, v36
	s_delay_alu instid0(VALU_DEP_2) | instskip(NEXT) | instid1(VALU_DEP_2)
	v_add_f32_e32 v4, v37, v4
	v_sub_f32_e32 v32, v33, v32
	s_delay_alu instid0(VALU_DEP_2) | instskip(NEXT) | instid1(VALU_DEP_1)
	v_mul_f32_e32 v4, v28, v4
	v_add_f32_e32 v4, v32, v4
	s_delay_alu instid0(VALU_DEP_1) | instskip(NEXT) | instid1(VALU_DEP_1)
	v_add_f32_e32 v28, v30, v4
	v_mul_f32_e32 v32, v28, v28
	s_wait_alu 0xfffe
	s_delay_alu instid0(VALU_DEP_1) | instskip(SKIP_1) | instid1(VALU_DEP_2)
	v_fmaak_f32 v33, s9, v32, 0x3ecc95a3
	v_mul_f32_e32 v34, v28, v32
	v_fmaak_f32 v32, v32, v33, 0x3f2aaada
	v_ldexp_f32 v33, v28, 1
	v_sub_f32_e32 v28, v28, v30
	s_delay_alu instid0(VALU_DEP_3) | instskip(SKIP_1) | instid1(VALU_DEP_3)
	v_mul_f32_e32 v32, v34, v32
	v_mul_f32_e32 v34, 0x3f317218, v3
	v_sub_f32_e32 v4, v4, v28
	s_delay_alu instid0(VALU_DEP_3) | instskip(NEXT) | instid1(VALU_DEP_2)
	v_add_f32_e32 v30, v33, v32
	v_ldexp_f32 v4, v4, 1
	s_delay_alu instid0(VALU_DEP_2) | instskip(SKIP_1) | instid1(VALU_DEP_1)
	v_sub_f32_e32 v28, v30, v33
	v_fma_f32 v33, 0x3f317218, v3, -v34
	v_dual_sub_f32 v28, v32, v28 :: v_dual_fmamk_f32 v3, v3, 0xb102e308, v33
	s_delay_alu instid0(VALU_DEP_1) | instskip(NEXT) | instid1(VALU_DEP_2)
	v_add_f32_e32 v4, v4, v28
	v_add_f32_e32 v28, v34, v3
	s_delay_alu instid0(VALU_DEP_2) | instskip(NEXT) | instid1(VALU_DEP_2)
	v_add_f32_e32 v32, v30, v4
	v_sub_f32_e32 v34, v28, v34
	s_delay_alu instid0(VALU_DEP_2) | instskip(SKIP_1) | instid1(VALU_DEP_3)
	v_add_f32_e32 v33, v28, v32
	v_sub_f32_e32 v30, v32, v30
	v_sub_f32_e32 v3, v3, v34
	s_delay_alu instid0(VALU_DEP_2) | instskip(NEXT) | instid1(VALU_DEP_1)
	v_dual_sub_f32 v35, v33, v28 :: v_dual_sub_f32 v4, v4, v30
	v_sub_f32_e32 v36, v33, v35
	v_sub_f32_e32 v30, v32, v35
	s_delay_alu instid0(VALU_DEP_3) | instskip(NEXT) | instid1(VALU_DEP_3)
	v_add_f32_e32 v32, v3, v4
	v_sub_f32_e32 v28, v28, v36
	s_delay_alu instid0(VALU_DEP_1) | instskip(NEXT) | instid1(VALU_DEP_3)
	v_add_f32_e32 v28, v30, v28
	v_sub_f32_e32 v30, v32, v3
	s_delay_alu instid0(VALU_DEP_2) | instskip(NEXT) | instid1(VALU_DEP_2)
	v_add_f32_e32 v28, v32, v28
	v_sub_f32_e32 v32, v32, v30
	v_sub_f32_e32 v4, v4, v30
	s_delay_alu instid0(VALU_DEP_3) | instskip(NEXT) | instid1(VALU_DEP_1)
	v_add_f32_e32 v34, v33, v28
	v_dual_sub_f32 v3, v3, v32 :: v_dual_sub_f32 v30, v34, v33
	s_delay_alu instid0(VALU_DEP_1) | instskip(NEXT) | instid1(VALU_DEP_2)
	v_add_f32_e32 v3, v4, v3
	v_sub_f32_e32 v4, v28, v30
	s_delay_alu instid0(VALU_DEP_1) | instskip(NEXT) | instid1(VALU_DEP_1)
	v_add_f32_e32 v3, v3, v4
	v_add_f32_e32 v3, v34, v3
	s_wait_alu 0xfffd
	s_delay_alu instid0(VALU_DEP_1) | instskip(SKIP_2) | instid1(VALU_DEP_2)
	v_cndmask_b32_e32 v3, 0x7f800000, v3, vcc_lo
	v_cmp_gt_f32_e64 vcc_lo, 0x33800000, |v5|
	s_wait_alu 0xfffd
	v_cndmask_b32_e32 v3, v3, v5, vcc_lo
	s_delay_alu instid0(VALU_DEP_1)
	v_add_f32_e32 v3, v2, v3
.LBB443_41:
	s_wait_alu 0xfffe
	s_or_b32 exec_lo, exec_lo, s8
	s_delay_alu instid0(VALU_DEP_1) | instskip(SKIP_2) | instid1(VALU_DEP_3)
	v_bfe_u32 v2, v3, 16, 1
	v_cmp_o_f32_e32 vcc_lo, v3, v3
	v_lshlrev_b32_e32 v28, 16, v13
	v_add3_u32 v2, v3, v2, 0x7fff
	s_delay_alu instid0(VALU_DEP_1) | instskip(SKIP_1) | instid1(VALU_DEP_1)
	v_dual_max_num_f32 v33, v28, v28 :: v_dual_and_b32 v2, 0xffff0000, v2
	s_wait_alu 0xfffd
	v_cndmask_b32_e32 v3, 0x7fc00000, v2, vcc_lo
	v_cmp_u_f32_e64 s8, v28, v28
	s_delay_alu instid0(VALU_DEP_2) | instskip(SKIP_1) | instid1(VALU_DEP_2)
	v_max_num_f32_e32 v2, v3, v3
	v_cmp_u_f32_e32 vcc_lo, v3, v3
	v_min_num_f32_e32 v4, v2, v33
	v_max_num_f32_e32 v2, v2, v33
	s_wait_alu 0xfffd
	s_delay_alu instid0(VALU_DEP_2) | instskip(NEXT) | instid1(VALU_DEP_2)
	v_cndmask_b32_e32 v4, v4, v3, vcc_lo
	v_cndmask_b32_e32 v2, v2, v3, vcc_lo
	s_wait_alu 0xf1ff
	s_delay_alu instid0(VALU_DEP_2) | instskip(NEXT) | instid1(VALU_DEP_2)
	v_cndmask_b32_e64 v4, v4, v28, s8
	v_cndmask_b32_e64 v2, v2, v28, s8
	s_delay_alu instid0(VALU_DEP_2) | instskip(NEXT) | instid1(VALU_DEP_2)
	v_cmp_class_f32_e64 s9, v4, 0x1f8
	v_cmp_neq_f32_e32 vcc_lo, v4, v2
	s_or_b32 s10, vcc_lo, s9
	s_delay_alu instid0(SALU_CYCLE_1)
	s_and_saveexec_b32 s9, s10
	s_cbranch_execz .LBB443_43
; %bb.42:
	v_sub_f32_e32 v3, v4, v2
	s_mov_b32 s10, 0x3e9b6dac
	s_delay_alu instid0(VALU_DEP_1) | instskip(SKIP_1) | instid1(VALU_DEP_2)
	v_mul_f32_e32 v4, 0x3fb8aa3b, v3
	v_cmp_ngt_f32_e32 vcc_lo, 0xc2ce8ed0, v3
	v_fma_f32 v5, 0x3fb8aa3b, v3, -v4
	v_rndne_f32_e32 v30, v4
	s_delay_alu instid0(VALU_DEP_1) | instskip(NEXT) | instid1(VALU_DEP_1)
	v_dual_fmamk_f32 v5, v3, 0x32a5705f, v5 :: v_dual_sub_f32 v4, v4, v30
	v_add_f32_e32 v4, v4, v5
	v_cvt_i32_f32_e32 v5, v30
	s_delay_alu instid0(VALU_DEP_2) | instskip(NEXT) | instid1(TRANS32_DEP_1)
	v_exp_f32_e32 v4, v4
	v_ldexp_f32 v4, v4, v5
	s_wait_alu 0xfffd
	s_delay_alu instid0(VALU_DEP_1) | instskip(SKIP_2) | instid1(VALU_DEP_2)
	v_cndmask_b32_e32 v4, 0, v4, vcc_lo
	v_cmp_nlt_f32_e32 vcc_lo, 0x42b17218, v3
	s_wait_alu 0xfffd
	v_cndmask_b32_e32 v5, 0x7f800000, v4, vcc_lo
	s_delay_alu instid0(VALU_DEP_1) | instskip(NEXT) | instid1(VALU_DEP_1)
	v_add_f32_e32 v30, 1.0, v5
	v_cvt_f64_f32_e32 v[3:4], v30
	s_delay_alu instid0(VALU_DEP_1) | instskip(SKIP_1) | instid1(VALU_DEP_1)
	v_frexp_exp_i32_f64_e32 v3, v[3:4]
	v_frexp_mant_f32_e32 v4, v30
	v_cmp_gt_f32_e32 vcc_lo, 0x3f2aaaab, v4
	v_add_f32_e32 v4, -1.0, v30
	s_delay_alu instid0(VALU_DEP_1) | instskip(SKIP_1) | instid1(VALU_DEP_2)
	v_sub_f32_e32 v34, v4, v30
	v_sub_f32_e32 v4, v5, v4
	v_add_f32_e32 v34, 1.0, v34
	s_delay_alu instid0(VALU_DEP_1) | instskip(SKIP_3) | instid1(VALU_DEP_2)
	v_add_f32_e32 v4, v4, v34
	s_wait_alu 0xfffd
	v_subrev_co_ci_u32_e64 v3, null, 0, v3, vcc_lo
	v_cmp_neq_f32_e32 vcc_lo, 0x7f800000, v5
	v_sub_nc_u32_e32 v32, 0, v3
	v_cvt_f32_i32_e32 v3, v3
	s_delay_alu instid0(VALU_DEP_2) | instskip(SKIP_1) | instid1(VALU_DEP_2)
	v_ldexp_f32 v30, v30, v32
	v_ldexp_f32 v4, v4, v32
	v_add_f32_e32 v35, 1.0, v30
	v_add_f32_e32 v32, -1.0, v30
	s_delay_alu instid0(VALU_DEP_2) | instskip(NEXT) | instid1(VALU_DEP_2)
	v_add_f32_e32 v34, -1.0, v35
	v_add_f32_e32 v36, 1.0, v32
	s_delay_alu instid0(VALU_DEP_2) | instskip(NEXT) | instid1(VALU_DEP_2)
	v_sub_f32_e32 v34, v30, v34
	v_sub_f32_e32 v30, v30, v36
	s_delay_alu instid0(VALU_DEP_2) | instskip(NEXT) | instid1(VALU_DEP_2)
	v_add_f32_e32 v34, v4, v34
	v_add_f32_e32 v4, v4, v30
	s_delay_alu instid0(VALU_DEP_1) | instskip(NEXT) | instid1(VALU_DEP_1)
	v_dual_add_f32 v36, v35, v34 :: v_dual_add_f32 v37, v32, v4
	v_rcp_f32_e32 v30, v36
	s_delay_alu instid0(VALU_DEP_1) | instskip(NEXT) | instid1(VALU_DEP_1)
	v_dual_sub_f32 v35, v35, v36 :: v_dual_sub_f32 v32, v32, v37
	v_add_f32_e32 v34, v34, v35
	s_delay_alu instid0(VALU_DEP_2) | instskip(NEXT) | instid1(TRANS32_DEP_1)
	v_add_f32_e32 v4, v4, v32
	v_mul_f32_e32 v38, v37, v30
	s_delay_alu instid0(VALU_DEP_1) | instskip(NEXT) | instid1(VALU_DEP_1)
	v_mul_f32_e32 v39, v36, v38
	v_fma_f32 v35, v38, v36, -v39
	s_delay_alu instid0(VALU_DEP_1) | instskip(NEXT) | instid1(VALU_DEP_1)
	v_fmac_f32_e32 v35, v38, v34
	v_add_f32_e32 v42, v39, v35
	s_delay_alu instid0(VALU_DEP_1) | instskip(NEXT) | instid1(VALU_DEP_1)
	v_dual_sub_f32 v43, v37, v42 :: v_dual_sub_f32 v32, v42, v39
	v_sub_f32_e32 v37, v37, v43
	s_delay_alu instid0(VALU_DEP_1) | instskip(NEXT) | instid1(VALU_DEP_1)
	v_dual_sub_f32 v32, v32, v35 :: v_dual_sub_f32 v37, v37, v42
	v_add_f32_e32 v4, v4, v37
	s_delay_alu instid0(VALU_DEP_1) | instskip(NEXT) | instid1(VALU_DEP_1)
	v_add_f32_e32 v4, v32, v4
	v_add_f32_e32 v32, v43, v4
	s_delay_alu instid0(VALU_DEP_1) | instskip(NEXT) | instid1(VALU_DEP_1)
	v_mul_f32_e32 v35, v30, v32
	v_dual_sub_f32 v42, v43, v32 :: v_dual_mul_f32 v37, v36, v35
	s_delay_alu instid0(VALU_DEP_1) | instskip(NEXT) | instid1(VALU_DEP_2)
	v_add_f32_e32 v4, v4, v42
	v_fma_f32 v36, v35, v36, -v37
	s_delay_alu instid0(VALU_DEP_1) | instskip(NEXT) | instid1(VALU_DEP_1)
	v_fmac_f32_e32 v36, v35, v34
	v_add_f32_e32 v34, v37, v36
	s_delay_alu instid0(VALU_DEP_1) | instskip(NEXT) | instid1(VALU_DEP_1)
	v_sub_f32_e32 v39, v32, v34
	v_dual_sub_f32 v37, v34, v37 :: v_dual_sub_f32 v32, v32, v39
	s_delay_alu instid0(VALU_DEP_1) | instskip(NEXT) | instid1(VALU_DEP_2)
	v_sub_f32_e32 v32, v32, v34
	v_sub_f32_e32 v34, v37, v36
	s_delay_alu instid0(VALU_DEP_2) | instskip(SKIP_1) | instid1(VALU_DEP_2)
	v_add_f32_e32 v4, v4, v32
	v_add_f32_e32 v32, v38, v35
	;; [unrolled: 1-line block ×3, first 2 shown]
	s_delay_alu instid0(VALU_DEP_2) | instskip(NEXT) | instid1(VALU_DEP_2)
	v_sub_f32_e32 v34, v32, v38
	v_add_f32_e32 v4, v39, v4
	s_delay_alu instid0(VALU_DEP_2) | instskip(NEXT) | instid1(VALU_DEP_2)
	v_sub_f32_e32 v34, v35, v34
	v_mul_f32_e32 v4, v30, v4
	s_delay_alu instid0(VALU_DEP_1) | instskip(NEXT) | instid1(VALU_DEP_1)
	v_add_f32_e32 v4, v34, v4
	v_add_f32_e32 v30, v32, v4
	s_delay_alu instid0(VALU_DEP_1) | instskip(NEXT) | instid1(VALU_DEP_1)
	v_mul_f32_e32 v34, v30, v30
	v_fmaak_f32 v35, s10, v34, 0x3ecc95a3
	v_mul_f32_e32 v36, v30, v34
	s_delay_alu instid0(VALU_DEP_2) | instskip(SKIP_2) | instid1(VALU_DEP_3)
	v_fmaak_f32 v34, v34, v35, 0x3f2aaada
	v_ldexp_f32 v35, v30, 1
	v_sub_f32_e32 v30, v30, v32
	v_mul_f32_e32 v34, v36, v34
	v_mul_f32_e32 v36, 0x3f317218, v3
	s_delay_alu instid0(VALU_DEP_3) | instskip(NEXT) | instid1(VALU_DEP_3)
	v_sub_f32_e32 v4, v4, v30
	v_add_f32_e32 v32, v35, v34
	s_delay_alu instid0(VALU_DEP_2) | instskip(NEXT) | instid1(VALU_DEP_2)
	v_ldexp_f32 v4, v4, 1
	v_sub_f32_e32 v30, v32, v35
	v_fma_f32 v35, 0x3f317218, v3, -v36
	s_delay_alu instid0(VALU_DEP_1) | instskip(NEXT) | instid1(VALU_DEP_1)
	v_dual_sub_f32 v30, v34, v30 :: v_dual_fmamk_f32 v3, v3, 0xb102e308, v35
	v_add_f32_e32 v4, v4, v30
	s_delay_alu instid0(VALU_DEP_2) | instskip(NEXT) | instid1(VALU_DEP_2)
	v_add_f32_e32 v30, v36, v3
	v_add_f32_e32 v34, v32, v4
	s_delay_alu instid0(VALU_DEP_2) | instskip(NEXT) | instid1(VALU_DEP_2)
	v_sub_f32_e32 v36, v30, v36
	v_add_f32_e32 v35, v30, v34
	v_sub_f32_e32 v32, v34, v32
	s_delay_alu instid0(VALU_DEP_3) | instskip(NEXT) | instid1(VALU_DEP_2)
	v_sub_f32_e32 v3, v3, v36
	v_dual_sub_f32 v37, v35, v30 :: v_dual_sub_f32 v4, v4, v32
	s_delay_alu instid0(VALU_DEP_1) | instskip(SKIP_1) | instid1(VALU_DEP_3)
	v_sub_f32_e32 v38, v35, v37
	v_sub_f32_e32 v32, v34, v37
	v_add_f32_e32 v34, v3, v4
	s_delay_alu instid0(VALU_DEP_3) | instskip(NEXT) | instid1(VALU_DEP_1)
	v_sub_f32_e32 v30, v30, v38
	v_add_f32_e32 v30, v32, v30
	s_delay_alu instid0(VALU_DEP_3) | instskip(NEXT) | instid1(VALU_DEP_2)
	v_sub_f32_e32 v32, v34, v3
	v_add_f32_e32 v30, v34, v30
	s_delay_alu instid0(VALU_DEP_2) | instskip(SKIP_1) | instid1(VALU_DEP_3)
	v_sub_f32_e32 v34, v34, v32
	v_sub_f32_e32 v4, v4, v32
	v_add_f32_e32 v36, v35, v30
	s_delay_alu instid0(VALU_DEP_1) | instskip(NEXT) | instid1(VALU_DEP_1)
	v_dual_sub_f32 v3, v3, v34 :: v_dual_sub_f32 v32, v36, v35
	v_dual_add_f32 v3, v4, v3 :: v_dual_sub_f32 v4, v30, v32
	s_delay_alu instid0(VALU_DEP_1) | instskip(NEXT) | instid1(VALU_DEP_1)
	v_add_f32_e32 v3, v3, v4
	v_add_f32_e32 v3, v36, v3
	s_wait_alu 0xfffd
	s_delay_alu instid0(VALU_DEP_1) | instskip(SKIP_2) | instid1(VALU_DEP_2)
	v_cndmask_b32_e32 v3, 0x7f800000, v3, vcc_lo
	v_cmp_gt_f32_e64 vcc_lo, 0x33800000, |v5|
	s_wait_alu 0xfffd
	v_cndmask_b32_e32 v3, v3, v5, vcc_lo
	s_delay_alu instid0(VALU_DEP_1)
	v_add_f32_e32 v3, v2, v3
.LBB443_43:
	s_wait_alu 0xfffe
	s_or_b32 exec_lo, exec_lo, s9
	s_delay_alu instid0(VALU_DEP_1) | instskip(SKIP_1) | instid1(VALU_DEP_2)
	v_bfe_u32 v2, v3, 16, 1
	v_cmp_o_f32_e32 vcc_lo, v3, v3
	v_add3_u32 v2, v3, v2, 0x7fff
	s_delay_alu instid0(VALU_DEP_1) | instskip(SKIP_1) | instid1(VALU_DEP_1)
	v_and_b32_e32 v2, 0xffff0000, v2
	s_wait_alu 0xfffd
	v_dual_cndmask_b32 v3, 0x7fc00000, v2 :: v_dual_lshlrev_b32 v30, 16, v12
	s_delay_alu instid0(VALU_DEP_1) | instskip(SKIP_1) | instid1(VALU_DEP_3)
	v_max_num_f32_e32 v35, v30, v30
	v_cmp_u_f32_e64 s9, v30, v30
	v_max_num_f32_e32 v2, v3, v3
	v_cmp_u_f32_e32 vcc_lo, v3, v3
	s_delay_alu instid0(VALU_DEP_2) | instskip(SKIP_2) | instid1(VALU_DEP_2)
	v_min_num_f32_e32 v4, v2, v35
	v_max_num_f32_e32 v2, v2, v35
	s_wait_alu 0xfffd
	v_cndmask_b32_e32 v4, v4, v3, vcc_lo
	s_delay_alu instid0(VALU_DEP_2) | instskip(SKIP_1) | instid1(VALU_DEP_2)
	v_cndmask_b32_e32 v2, v2, v3, vcc_lo
	s_wait_alu 0xf1ff
	v_cndmask_b32_e64 v4, v4, v30, s9
	s_delay_alu instid0(VALU_DEP_2) | instskip(NEXT) | instid1(VALU_DEP_2)
	v_cndmask_b32_e64 v2, v2, v30, s9
	v_cmp_class_f32_e64 s10, v4, 0x1f8
	s_delay_alu instid0(VALU_DEP_2)
	v_cmp_neq_f32_e32 vcc_lo, v4, v2
	s_or_b32 s11, vcc_lo, s10
	s_wait_alu 0xfffe
	s_and_saveexec_b32 s10, s11
	s_cbranch_execz .LBB443_45
; %bb.44:
	v_sub_f32_e32 v3, v4, v2
	s_mov_b32 s11, 0x3e9b6dac
	s_delay_alu instid0(VALU_DEP_1) | instskip(SKIP_1) | instid1(VALU_DEP_2)
	v_mul_f32_e32 v4, 0x3fb8aa3b, v3
	v_cmp_ngt_f32_e32 vcc_lo, 0xc2ce8ed0, v3
	v_fma_f32 v5, 0x3fb8aa3b, v3, -v4
	v_rndne_f32_e32 v32, v4
	s_delay_alu instid0(VALU_DEP_1) | instskip(NEXT) | instid1(VALU_DEP_1)
	v_dual_fmamk_f32 v5, v3, 0x32a5705f, v5 :: v_dual_sub_f32 v4, v4, v32
	v_add_f32_e32 v4, v4, v5
	v_cvt_i32_f32_e32 v5, v32
	s_delay_alu instid0(VALU_DEP_2) | instskip(NEXT) | instid1(TRANS32_DEP_1)
	v_exp_f32_e32 v4, v4
	v_ldexp_f32 v4, v4, v5
	s_wait_alu 0xfffd
	s_delay_alu instid0(VALU_DEP_1) | instskip(SKIP_2) | instid1(VALU_DEP_2)
	v_cndmask_b32_e32 v4, 0, v4, vcc_lo
	v_cmp_nlt_f32_e32 vcc_lo, 0x42b17218, v3
	s_wait_alu 0xfffd
	v_cndmask_b32_e32 v5, 0x7f800000, v4, vcc_lo
	s_delay_alu instid0(VALU_DEP_1) | instskip(NEXT) | instid1(VALU_DEP_1)
	v_add_f32_e32 v32, 1.0, v5
	v_cvt_f64_f32_e32 v[3:4], v32
	s_delay_alu instid0(VALU_DEP_1) | instskip(SKIP_1) | instid1(VALU_DEP_1)
	v_frexp_exp_i32_f64_e32 v3, v[3:4]
	v_frexp_mant_f32_e32 v4, v32
	v_cmp_gt_f32_e32 vcc_lo, 0x3f2aaaab, v4
	v_add_f32_e32 v4, -1.0, v32
	s_delay_alu instid0(VALU_DEP_1) | instskip(SKIP_1) | instid1(VALU_DEP_2)
	v_sub_f32_e32 v36, v4, v32
	v_sub_f32_e32 v4, v5, v4
	v_add_f32_e32 v36, 1.0, v36
	s_wait_alu 0xfffd
	v_subrev_co_ci_u32_e64 v3, null, 0, v3, vcc_lo
	s_delay_alu instid0(VALU_DEP_1) | instskip(SKIP_2) | instid1(VALU_DEP_3)
	v_sub_nc_u32_e32 v34, 0, v3
	v_cvt_f32_i32_e32 v3, v3
	v_add_f32_e32 v4, v4, v36
	v_ldexp_f32 v32, v32, v34
	s_delay_alu instid0(VALU_DEP_2) | instskip(NEXT) | instid1(VALU_DEP_2)
	v_ldexp_f32 v4, v4, v34
	v_add_f32_e32 v37, 1.0, v32
	v_add_f32_e32 v34, -1.0, v32
	s_delay_alu instid0(VALU_DEP_2) | instskip(NEXT) | instid1(VALU_DEP_2)
	v_add_f32_e32 v36, -1.0, v37
	v_add_f32_e32 v38, 1.0, v34
	v_cmp_neq_f32_e32 vcc_lo, 0x7f800000, v5
	s_delay_alu instid0(VALU_DEP_3) | instskip(NEXT) | instid1(VALU_DEP_3)
	v_sub_f32_e32 v36, v32, v36
	v_sub_f32_e32 v32, v32, v38
	s_delay_alu instid0(VALU_DEP_2) | instskip(NEXT) | instid1(VALU_DEP_2)
	v_add_f32_e32 v36, v4, v36
	v_add_f32_e32 v4, v4, v32
	s_delay_alu instid0(VALU_DEP_2) | instskip(NEXT) | instid1(VALU_DEP_2)
	v_add_f32_e32 v38, v37, v36
	v_add_f32_e32 v39, v34, v4
	s_delay_alu instid0(VALU_DEP_2) | instskip(NEXT) | instid1(VALU_DEP_1)
	v_rcp_f32_e32 v32, v38
	v_dual_sub_f32 v37, v37, v38 :: v_dual_sub_f32 v34, v34, v39
	s_delay_alu instid0(VALU_DEP_1) | instskip(NEXT) | instid1(VALU_DEP_2)
	v_add_f32_e32 v36, v36, v37
	v_add_f32_e32 v4, v4, v34
	s_delay_alu instid0(TRANS32_DEP_1) | instskip(NEXT) | instid1(VALU_DEP_1)
	v_mul_f32_e32 v42, v39, v32
	v_mul_f32_e32 v43, v38, v42
	s_delay_alu instid0(VALU_DEP_1) | instskip(NEXT) | instid1(VALU_DEP_1)
	v_fma_f32 v37, v42, v38, -v43
	v_fmac_f32_e32 v37, v42, v36
	s_delay_alu instid0(VALU_DEP_1) | instskip(NEXT) | instid1(VALU_DEP_1)
	v_add_f32_e32 v44, v43, v37
	v_dual_sub_f32 v45, v39, v44 :: v_dual_sub_f32 v34, v44, v43
	s_delay_alu instid0(VALU_DEP_1) | instskip(NEXT) | instid1(VALU_DEP_1)
	v_sub_f32_e32 v39, v39, v45
	v_dual_sub_f32 v34, v34, v37 :: v_dual_sub_f32 v39, v39, v44
	s_delay_alu instid0(VALU_DEP_1) | instskip(NEXT) | instid1(VALU_DEP_1)
	v_add_f32_e32 v4, v4, v39
	v_add_f32_e32 v4, v34, v4
	s_delay_alu instid0(VALU_DEP_1) | instskip(NEXT) | instid1(VALU_DEP_1)
	v_add_f32_e32 v34, v45, v4
	v_mul_f32_e32 v37, v32, v34
	s_delay_alu instid0(VALU_DEP_1) | instskip(NEXT) | instid1(VALU_DEP_1)
	v_dual_sub_f32 v44, v45, v34 :: v_dual_mul_f32 v39, v38, v37
	v_add_f32_e32 v4, v4, v44
	s_delay_alu instid0(VALU_DEP_2) | instskip(NEXT) | instid1(VALU_DEP_1)
	v_fma_f32 v38, v37, v38, -v39
	v_fmac_f32_e32 v38, v37, v36
	s_delay_alu instid0(VALU_DEP_1) | instskip(NEXT) | instid1(VALU_DEP_1)
	v_add_f32_e32 v36, v39, v38
	v_sub_f32_e32 v43, v34, v36
	v_sub_f32_e32 v39, v36, v39
	s_delay_alu instid0(VALU_DEP_2) | instskip(NEXT) | instid1(VALU_DEP_1)
	v_sub_f32_e32 v34, v34, v43
	v_sub_f32_e32 v34, v34, v36
	s_delay_alu instid0(VALU_DEP_3) | instskip(NEXT) | instid1(VALU_DEP_2)
	v_sub_f32_e32 v36, v39, v38
	v_add_f32_e32 v4, v4, v34
	v_add_f32_e32 v34, v42, v37
	s_delay_alu instid0(VALU_DEP_2) | instskip(NEXT) | instid1(VALU_DEP_2)
	v_add_f32_e32 v4, v36, v4
	v_sub_f32_e32 v36, v34, v42
	s_delay_alu instid0(VALU_DEP_2) | instskip(NEXT) | instid1(VALU_DEP_2)
	v_add_f32_e32 v4, v43, v4
	v_sub_f32_e32 v36, v37, v36
	s_delay_alu instid0(VALU_DEP_2) | instskip(NEXT) | instid1(VALU_DEP_1)
	v_mul_f32_e32 v4, v32, v4
	v_add_f32_e32 v4, v36, v4
	s_delay_alu instid0(VALU_DEP_1) | instskip(NEXT) | instid1(VALU_DEP_1)
	v_add_f32_e32 v32, v34, v4
	v_mul_f32_e32 v36, v32, v32
	s_wait_alu 0xfffe
	s_delay_alu instid0(VALU_DEP_1) | instskip(SKIP_1) | instid1(VALU_DEP_2)
	v_fmaak_f32 v37, s11, v36, 0x3ecc95a3
	v_mul_f32_e32 v38, v32, v36
	v_fmaak_f32 v36, v36, v37, 0x3f2aaada
	v_ldexp_f32 v37, v32, 1
	v_sub_f32_e32 v32, v32, v34
	s_delay_alu instid0(VALU_DEP_3) | instskip(SKIP_1) | instid1(VALU_DEP_3)
	v_mul_f32_e32 v36, v38, v36
	v_mul_f32_e32 v38, 0x3f317218, v3
	v_sub_f32_e32 v4, v4, v32
	s_delay_alu instid0(VALU_DEP_3) | instskip(NEXT) | instid1(VALU_DEP_2)
	v_add_f32_e32 v34, v37, v36
	v_ldexp_f32 v4, v4, 1
	s_delay_alu instid0(VALU_DEP_2) | instskip(SKIP_1) | instid1(VALU_DEP_1)
	v_sub_f32_e32 v32, v34, v37
	v_fma_f32 v37, 0x3f317218, v3, -v38
	v_dual_sub_f32 v32, v36, v32 :: v_dual_fmamk_f32 v3, v3, 0xb102e308, v37
	s_delay_alu instid0(VALU_DEP_1) | instskip(NEXT) | instid1(VALU_DEP_2)
	v_add_f32_e32 v4, v4, v32
	v_add_f32_e32 v32, v38, v3
	s_delay_alu instid0(VALU_DEP_2) | instskip(NEXT) | instid1(VALU_DEP_2)
	v_add_f32_e32 v36, v34, v4
	v_sub_f32_e32 v38, v32, v38
	s_delay_alu instid0(VALU_DEP_2) | instskip(SKIP_1) | instid1(VALU_DEP_3)
	v_add_f32_e32 v37, v32, v36
	v_sub_f32_e32 v34, v36, v34
	v_sub_f32_e32 v3, v3, v38
	s_delay_alu instid0(VALU_DEP_2) | instskip(NEXT) | instid1(VALU_DEP_1)
	v_dual_sub_f32 v39, v37, v32 :: v_dual_sub_f32 v4, v4, v34
	v_sub_f32_e32 v42, v37, v39
	v_sub_f32_e32 v34, v36, v39
	s_delay_alu instid0(VALU_DEP_3) | instskip(NEXT) | instid1(VALU_DEP_3)
	v_add_f32_e32 v36, v3, v4
	v_sub_f32_e32 v32, v32, v42
	s_delay_alu instid0(VALU_DEP_1) | instskip(NEXT) | instid1(VALU_DEP_3)
	v_add_f32_e32 v32, v34, v32
	v_sub_f32_e32 v34, v36, v3
	s_delay_alu instid0(VALU_DEP_2) | instskip(NEXT) | instid1(VALU_DEP_2)
	v_add_f32_e32 v32, v36, v32
	v_sub_f32_e32 v36, v36, v34
	v_sub_f32_e32 v4, v4, v34
	s_delay_alu instid0(VALU_DEP_3) | instskip(NEXT) | instid1(VALU_DEP_1)
	v_add_f32_e32 v38, v37, v32
	v_dual_sub_f32 v3, v3, v36 :: v_dual_sub_f32 v34, v38, v37
	s_delay_alu instid0(VALU_DEP_1) | instskip(NEXT) | instid1(VALU_DEP_2)
	v_add_f32_e32 v3, v4, v3
	v_sub_f32_e32 v4, v32, v34
	s_delay_alu instid0(VALU_DEP_1) | instskip(NEXT) | instid1(VALU_DEP_1)
	v_add_f32_e32 v3, v3, v4
	v_add_f32_e32 v3, v38, v3
	s_wait_alu 0xfffd
	s_delay_alu instid0(VALU_DEP_1) | instskip(SKIP_2) | instid1(VALU_DEP_2)
	v_cndmask_b32_e32 v3, 0x7f800000, v3, vcc_lo
	v_cmp_gt_f32_e64 vcc_lo, 0x33800000, |v5|
	s_wait_alu 0xfffd
	v_cndmask_b32_e32 v3, v3, v5, vcc_lo
	s_delay_alu instid0(VALU_DEP_1)
	v_add_f32_e32 v3, v2, v3
.LBB443_45:
	s_wait_alu 0xfffe
	s_or_b32 exec_lo, exec_lo, s10
	s_delay_alu instid0(VALU_DEP_1) | instskip(SKIP_2) | instid1(VALU_DEP_3)
	v_bfe_u32 v2, v3, 16, 1
	v_cmp_o_f32_e32 vcc_lo, v3, v3
	v_lshlrev_b32_e32 v32, 16, v11
	v_add3_u32 v2, v3, v2, 0x7fff
	s_delay_alu instid0(VALU_DEP_1) | instskip(SKIP_1) | instid1(VALU_DEP_1)
	v_dual_max_num_f32 v37, v32, v32 :: v_dual_and_b32 v2, 0xffff0000, v2
	s_wait_alu 0xfffd
	v_cndmask_b32_e32 v3, 0x7fc00000, v2, vcc_lo
	v_cmp_u_f32_e64 s10, v32, v32
	s_delay_alu instid0(VALU_DEP_2) | instskip(SKIP_1) | instid1(VALU_DEP_2)
	v_max_num_f32_e32 v2, v3, v3
	v_cmp_u_f32_e32 vcc_lo, v3, v3
	v_min_num_f32_e32 v4, v2, v37
	v_max_num_f32_e32 v2, v2, v37
	s_wait_alu 0xfffd
	s_delay_alu instid0(VALU_DEP_2) | instskip(NEXT) | instid1(VALU_DEP_2)
	v_cndmask_b32_e32 v4, v4, v3, vcc_lo
	v_cndmask_b32_e32 v2, v2, v3, vcc_lo
	s_wait_alu 0xf1ff
	s_delay_alu instid0(VALU_DEP_2) | instskip(NEXT) | instid1(VALU_DEP_2)
	v_cndmask_b32_e64 v4, v4, v32, s10
	v_cndmask_b32_e64 v2, v2, v32, s10
	s_delay_alu instid0(VALU_DEP_2) | instskip(NEXT) | instid1(VALU_DEP_2)
	v_cmp_class_f32_e64 s11, v4, 0x1f8
	v_cmp_neq_f32_e32 vcc_lo, v4, v2
	s_or_b32 s12, vcc_lo, s11
	s_wait_alu 0xfffe
	s_and_saveexec_b32 s11, s12
	s_cbranch_execz .LBB443_47
; %bb.46:
	v_sub_f32_e32 v3, v4, v2
	s_mov_b32 s12, 0x3e9b6dac
	s_delay_alu instid0(VALU_DEP_1) | instskip(SKIP_1) | instid1(VALU_DEP_2)
	v_mul_f32_e32 v4, 0x3fb8aa3b, v3
	v_cmp_ngt_f32_e32 vcc_lo, 0xc2ce8ed0, v3
	v_fma_f32 v5, 0x3fb8aa3b, v3, -v4
	v_rndne_f32_e32 v34, v4
	s_delay_alu instid0(VALU_DEP_1) | instskip(NEXT) | instid1(VALU_DEP_1)
	v_dual_fmamk_f32 v5, v3, 0x32a5705f, v5 :: v_dual_sub_f32 v4, v4, v34
	v_add_f32_e32 v4, v4, v5
	v_cvt_i32_f32_e32 v5, v34
	s_delay_alu instid0(VALU_DEP_2) | instskip(NEXT) | instid1(TRANS32_DEP_1)
	v_exp_f32_e32 v4, v4
	v_ldexp_f32 v4, v4, v5
	s_wait_alu 0xfffd
	s_delay_alu instid0(VALU_DEP_1) | instskip(SKIP_2) | instid1(VALU_DEP_2)
	v_cndmask_b32_e32 v4, 0, v4, vcc_lo
	v_cmp_nlt_f32_e32 vcc_lo, 0x42b17218, v3
	s_wait_alu 0xfffd
	v_cndmask_b32_e32 v5, 0x7f800000, v4, vcc_lo
	s_delay_alu instid0(VALU_DEP_1) | instskip(NEXT) | instid1(VALU_DEP_1)
	v_add_f32_e32 v34, 1.0, v5
	v_cvt_f64_f32_e32 v[3:4], v34
	s_delay_alu instid0(VALU_DEP_1) | instskip(SKIP_1) | instid1(VALU_DEP_1)
	v_frexp_exp_i32_f64_e32 v3, v[3:4]
	v_frexp_mant_f32_e32 v4, v34
	v_cmp_gt_f32_e32 vcc_lo, 0x3f2aaaab, v4
	v_add_f32_e32 v4, -1.0, v34
	s_delay_alu instid0(VALU_DEP_1) | instskip(SKIP_1) | instid1(VALU_DEP_2)
	v_sub_f32_e32 v38, v4, v34
	v_sub_f32_e32 v4, v5, v4
	v_add_f32_e32 v38, 1.0, v38
	s_delay_alu instid0(VALU_DEP_1) | instskip(SKIP_3) | instid1(VALU_DEP_2)
	v_add_f32_e32 v4, v4, v38
	s_wait_alu 0xfffd
	v_subrev_co_ci_u32_e64 v3, null, 0, v3, vcc_lo
	v_cmp_neq_f32_e32 vcc_lo, 0x7f800000, v5
	v_sub_nc_u32_e32 v36, 0, v3
	v_cvt_f32_i32_e32 v3, v3
	s_delay_alu instid0(VALU_DEP_2) | instskip(SKIP_1) | instid1(VALU_DEP_2)
	v_ldexp_f32 v34, v34, v36
	v_ldexp_f32 v4, v4, v36
	v_add_f32_e32 v39, 1.0, v34
	v_add_f32_e32 v36, -1.0, v34
	s_delay_alu instid0(VALU_DEP_2) | instskip(NEXT) | instid1(VALU_DEP_2)
	v_add_f32_e32 v38, -1.0, v39
	v_add_f32_e32 v42, 1.0, v36
	s_delay_alu instid0(VALU_DEP_2) | instskip(NEXT) | instid1(VALU_DEP_2)
	v_sub_f32_e32 v38, v34, v38
	v_sub_f32_e32 v34, v34, v42
	s_delay_alu instid0(VALU_DEP_2) | instskip(NEXT) | instid1(VALU_DEP_2)
	v_add_f32_e32 v38, v4, v38
	v_add_f32_e32 v4, v4, v34
	s_delay_alu instid0(VALU_DEP_1) | instskip(NEXT) | instid1(VALU_DEP_1)
	v_dual_add_f32 v42, v39, v38 :: v_dual_add_f32 v43, v36, v4
	v_rcp_f32_e32 v34, v42
	s_delay_alu instid0(VALU_DEP_1) | instskip(NEXT) | instid1(VALU_DEP_1)
	v_dual_sub_f32 v39, v39, v42 :: v_dual_sub_f32 v36, v36, v43
	v_add_f32_e32 v38, v38, v39
	s_delay_alu instid0(VALU_DEP_2) | instskip(NEXT) | instid1(TRANS32_DEP_1)
	v_add_f32_e32 v4, v4, v36
	v_mul_f32_e32 v44, v43, v34
	s_delay_alu instid0(VALU_DEP_1) | instskip(NEXT) | instid1(VALU_DEP_1)
	v_mul_f32_e32 v45, v42, v44
	v_fma_f32 v39, v44, v42, -v45
	s_delay_alu instid0(VALU_DEP_1) | instskip(NEXT) | instid1(VALU_DEP_1)
	v_fmac_f32_e32 v39, v44, v38
	v_add_f32_e32 v46, v45, v39
	s_delay_alu instid0(VALU_DEP_1) | instskip(NEXT) | instid1(VALU_DEP_1)
	v_dual_sub_f32 v47, v43, v46 :: v_dual_sub_f32 v36, v46, v45
	v_sub_f32_e32 v43, v43, v47
	s_delay_alu instid0(VALU_DEP_1) | instskip(NEXT) | instid1(VALU_DEP_1)
	v_dual_sub_f32 v36, v36, v39 :: v_dual_sub_f32 v43, v43, v46
	v_add_f32_e32 v4, v4, v43
	s_delay_alu instid0(VALU_DEP_1) | instskip(NEXT) | instid1(VALU_DEP_1)
	v_add_f32_e32 v4, v36, v4
	v_add_f32_e32 v36, v47, v4
	s_delay_alu instid0(VALU_DEP_1) | instskip(NEXT) | instid1(VALU_DEP_1)
	v_mul_f32_e32 v39, v34, v36
	v_dual_sub_f32 v46, v47, v36 :: v_dual_mul_f32 v43, v42, v39
	s_delay_alu instid0(VALU_DEP_1) | instskip(NEXT) | instid1(VALU_DEP_2)
	v_add_f32_e32 v4, v4, v46
	v_fma_f32 v42, v39, v42, -v43
	s_delay_alu instid0(VALU_DEP_1) | instskip(NEXT) | instid1(VALU_DEP_1)
	v_fmac_f32_e32 v42, v39, v38
	v_add_f32_e32 v38, v43, v42
	s_delay_alu instid0(VALU_DEP_1) | instskip(NEXT) | instid1(VALU_DEP_1)
	v_sub_f32_e32 v45, v36, v38
	v_dual_sub_f32 v43, v38, v43 :: v_dual_sub_f32 v36, v36, v45
	s_delay_alu instid0(VALU_DEP_1) | instskip(NEXT) | instid1(VALU_DEP_2)
	v_sub_f32_e32 v36, v36, v38
	v_sub_f32_e32 v38, v43, v42
	s_delay_alu instid0(VALU_DEP_2) | instskip(SKIP_1) | instid1(VALU_DEP_2)
	v_add_f32_e32 v4, v4, v36
	v_add_f32_e32 v36, v44, v39
	;; [unrolled: 1-line block ×3, first 2 shown]
	s_delay_alu instid0(VALU_DEP_2) | instskip(NEXT) | instid1(VALU_DEP_2)
	v_sub_f32_e32 v38, v36, v44
	v_add_f32_e32 v4, v45, v4
	s_delay_alu instid0(VALU_DEP_2) | instskip(NEXT) | instid1(VALU_DEP_2)
	v_sub_f32_e32 v38, v39, v38
	v_mul_f32_e32 v4, v34, v4
	s_delay_alu instid0(VALU_DEP_1) | instskip(NEXT) | instid1(VALU_DEP_1)
	v_add_f32_e32 v4, v38, v4
	v_add_f32_e32 v34, v36, v4
	s_delay_alu instid0(VALU_DEP_1) | instskip(SKIP_1) | instid1(VALU_DEP_1)
	v_mul_f32_e32 v38, v34, v34
	s_wait_alu 0xfffe
	v_fmaak_f32 v39, s12, v38, 0x3ecc95a3
	v_mul_f32_e32 v42, v34, v38
	s_delay_alu instid0(VALU_DEP_2) | instskip(SKIP_2) | instid1(VALU_DEP_3)
	v_fmaak_f32 v38, v38, v39, 0x3f2aaada
	v_ldexp_f32 v39, v34, 1
	v_sub_f32_e32 v34, v34, v36
	v_mul_f32_e32 v38, v42, v38
	v_mul_f32_e32 v42, 0x3f317218, v3
	s_delay_alu instid0(VALU_DEP_3) | instskip(NEXT) | instid1(VALU_DEP_3)
	v_sub_f32_e32 v4, v4, v34
	v_add_f32_e32 v36, v39, v38
	s_delay_alu instid0(VALU_DEP_2) | instskip(NEXT) | instid1(VALU_DEP_2)
	v_ldexp_f32 v4, v4, 1
	v_sub_f32_e32 v34, v36, v39
	v_fma_f32 v39, 0x3f317218, v3, -v42
	s_delay_alu instid0(VALU_DEP_1) | instskip(NEXT) | instid1(VALU_DEP_1)
	v_dual_sub_f32 v34, v38, v34 :: v_dual_fmamk_f32 v3, v3, 0xb102e308, v39
	v_add_f32_e32 v4, v4, v34
	s_delay_alu instid0(VALU_DEP_2) | instskip(NEXT) | instid1(VALU_DEP_2)
	v_add_f32_e32 v34, v42, v3
	v_add_f32_e32 v38, v36, v4
	s_delay_alu instid0(VALU_DEP_2) | instskip(NEXT) | instid1(VALU_DEP_2)
	v_sub_f32_e32 v42, v34, v42
	v_add_f32_e32 v39, v34, v38
	s_delay_alu instid0(VALU_DEP_2) | instskip(NEXT) | instid1(VALU_DEP_1)
	v_dual_sub_f32 v36, v38, v36 :: v_dual_sub_f32 v3, v3, v42
	v_dual_sub_f32 v43, v39, v34 :: v_dual_sub_f32 v4, v4, v36
	s_delay_alu instid0(VALU_DEP_1) | instskip(SKIP_1) | instid1(VALU_DEP_3)
	v_sub_f32_e32 v44, v39, v43
	v_sub_f32_e32 v36, v38, v43
	v_add_f32_e32 v38, v3, v4
	s_delay_alu instid0(VALU_DEP_3) | instskip(NEXT) | instid1(VALU_DEP_1)
	v_sub_f32_e32 v34, v34, v44
	v_add_f32_e32 v34, v36, v34
	s_delay_alu instid0(VALU_DEP_3) | instskip(NEXT) | instid1(VALU_DEP_2)
	v_sub_f32_e32 v36, v38, v3
	v_add_f32_e32 v34, v38, v34
	s_delay_alu instid0(VALU_DEP_2) | instskip(SKIP_1) | instid1(VALU_DEP_3)
	v_sub_f32_e32 v38, v38, v36
	v_sub_f32_e32 v4, v4, v36
	v_add_f32_e32 v42, v39, v34
	s_delay_alu instid0(VALU_DEP_1) | instskip(NEXT) | instid1(VALU_DEP_1)
	v_dual_sub_f32 v3, v3, v38 :: v_dual_sub_f32 v36, v42, v39
	v_dual_add_f32 v3, v4, v3 :: v_dual_sub_f32 v4, v34, v36
	s_delay_alu instid0(VALU_DEP_1) | instskip(NEXT) | instid1(VALU_DEP_1)
	v_add_f32_e32 v3, v3, v4
	v_add_f32_e32 v3, v42, v3
	s_wait_alu 0xfffd
	s_delay_alu instid0(VALU_DEP_1) | instskip(SKIP_2) | instid1(VALU_DEP_2)
	v_cndmask_b32_e32 v3, 0x7f800000, v3, vcc_lo
	v_cmp_gt_f32_e64 vcc_lo, 0x33800000, |v5|
	s_wait_alu 0xfffd
	v_cndmask_b32_e32 v3, v3, v5, vcc_lo
	s_delay_alu instid0(VALU_DEP_1)
	v_add_f32_e32 v3, v2, v3
.LBB443_47:
	s_wait_alu 0xfffe
	s_or_b32 exec_lo, exec_lo, s11
	s_delay_alu instid0(VALU_DEP_1) | instskip(SKIP_2) | instid1(VALU_DEP_3)
	v_bfe_u32 v2, v3, 16, 1
	v_cmp_o_f32_e32 vcc_lo, v3, v3
	v_lshlrev_b32_e32 v34, 16, v10
	v_add3_u32 v2, v3, v2, 0x7fff
	s_delay_alu instid0(VALU_DEP_2) | instskip(SKIP_1) | instid1(VALU_DEP_3)
	v_max_num_f32_e32 v38, v34, v34
	v_cmp_u_f32_e64 s11, v34, v34
	v_and_b32_e32 v2, 0xffff0000, v2
	s_wait_alu 0xfffd
	s_delay_alu instid0(VALU_DEP_1) | instskip(NEXT) | instid1(VALU_DEP_1)
	v_cndmask_b32_e32 v3, 0x7fc00000, v2, vcc_lo
	v_max_num_f32_e32 v2, v3, v3
	v_cmp_u_f32_e32 vcc_lo, v3, v3
	s_delay_alu instid0(VALU_DEP_2) | instskip(SKIP_2) | instid1(VALU_DEP_2)
	v_min_num_f32_e32 v4, v2, v38
	v_max_num_f32_e32 v2, v2, v38
	s_wait_alu 0xfffd
	v_cndmask_b32_e32 v4, v4, v3, vcc_lo
	s_delay_alu instid0(VALU_DEP_2) | instskip(SKIP_1) | instid1(VALU_DEP_2)
	v_cndmask_b32_e32 v2, v2, v3, vcc_lo
	s_wait_alu 0xf1ff
	v_cndmask_b32_e64 v4, v4, v34, s11
	s_delay_alu instid0(VALU_DEP_2) | instskip(NEXT) | instid1(VALU_DEP_2)
	v_cndmask_b32_e64 v2, v2, v34, s11
	v_cmp_class_f32_e64 s12, v4, 0x1f8
	s_delay_alu instid0(VALU_DEP_2) | instskip(SKIP_1) | instid1(SALU_CYCLE_1)
	v_cmp_neq_f32_e32 vcc_lo, v4, v2
	s_or_b32 s14, vcc_lo, s12
	s_and_saveexec_b32 s12, s14
	s_cbranch_execz .LBB443_49
; %bb.48:
	v_sub_f32_e32 v3, v4, v2
	s_mov_b32 s14, 0x3e9b6dac
	s_delay_alu instid0(VALU_DEP_1) | instskip(SKIP_1) | instid1(VALU_DEP_2)
	v_mul_f32_e32 v4, 0x3fb8aa3b, v3
	v_cmp_ngt_f32_e32 vcc_lo, 0xc2ce8ed0, v3
	v_fma_f32 v5, 0x3fb8aa3b, v3, -v4
	v_rndne_f32_e32 v36, v4
	s_delay_alu instid0(VALU_DEP_1) | instskip(NEXT) | instid1(VALU_DEP_1)
	v_dual_fmamk_f32 v5, v3, 0x32a5705f, v5 :: v_dual_sub_f32 v4, v4, v36
	v_add_f32_e32 v4, v4, v5
	v_cvt_i32_f32_e32 v5, v36
	s_delay_alu instid0(VALU_DEP_2) | instskip(NEXT) | instid1(TRANS32_DEP_1)
	v_exp_f32_e32 v4, v4
	v_ldexp_f32 v4, v4, v5
	s_wait_alu 0xfffd
	s_delay_alu instid0(VALU_DEP_1) | instskip(SKIP_2) | instid1(VALU_DEP_2)
	v_cndmask_b32_e32 v4, 0, v4, vcc_lo
	v_cmp_nlt_f32_e32 vcc_lo, 0x42b17218, v3
	s_wait_alu 0xfffd
	v_cndmask_b32_e32 v5, 0x7f800000, v4, vcc_lo
	s_delay_alu instid0(VALU_DEP_1) | instskip(NEXT) | instid1(VALU_DEP_1)
	v_add_f32_e32 v36, 1.0, v5
	v_cvt_f64_f32_e32 v[3:4], v36
	s_delay_alu instid0(VALU_DEP_1) | instskip(SKIP_1) | instid1(VALU_DEP_1)
	v_frexp_exp_i32_f64_e32 v3, v[3:4]
	v_frexp_mant_f32_e32 v4, v36
	v_cmp_gt_f32_e32 vcc_lo, 0x3f2aaaab, v4
	v_add_f32_e32 v4, -1.0, v36
	s_delay_alu instid0(VALU_DEP_1) | instskip(NEXT) | instid1(VALU_DEP_1)
	v_sub_f32_e32 v42, v4, v36
	v_add_f32_e32 v42, 1.0, v42
	v_sub_f32_e32 v4, v5, v4
	s_wait_alu 0xfffd
	v_subrev_co_ci_u32_e64 v3, null, 0, v3, vcc_lo
	v_cmp_neq_f32_e32 vcc_lo, 0x7f800000, v5
	s_delay_alu instid0(VALU_DEP_2) | instskip(SKIP_1) | instid1(VALU_DEP_2)
	v_sub_nc_u32_e32 v39, 0, v3
	v_cvt_f32_i32_e32 v3, v3
	v_ldexp_f32 v36, v36, v39
	s_delay_alu instid0(VALU_DEP_1) | instskip(NEXT) | instid1(VALU_DEP_1)
	v_dual_add_f32 v43, 1.0, v36 :: v_dual_add_f32 v4, v4, v42
	v_add_f32_e32 v42, -1.0, v43
	s_delay_alu instid0(VALU_DEP_2) | instskip(NEXT) | instid1(VALU_DEP_2)
	v_ldexp_f32 v4, v4, v39
	v_dual_add_f32 v39, -1.0, v36 :: v_dual_sub_f32 v42, v36, v42
	s_delay_alu instid0(VALU_DEP_1) | instskip(NEXT) | instid1(VALU_DEP_2)
	v_add_f32_e32 v44, 1.0, v39
	v_add_f32_e32 v42, v4, v42
	s_delay_alu instid0(VALU_DEP_2) | instskip(NEXT) | instid1(VALU_DEP_2)
	v_sub_f32_e32 v36, v36, v44
	v_add_f32_e32 v44, v43, v42
	s_delay_alu instid0(VALU_DEP_2) | instskip(NEXT) | instid1(VALU_DEP_2)
	v_add_f32_e32 v4, v4, v36
	v_rcp_f32_e32 v36, v44
	v_sub_f32_e32 v43, v43, v44
	s_delay_alu instid0(VALU_DEP_1)
	v_dual_add_f32 v45, v39, v4 :: v_dual_add_f32 v42, v42, v43
	s_delay_alu instid0(TRANS32_DEP_1) | instid1(VALU_DEP_1)
	v_dual_sub_f32 v39, v39, v45 :: v_dual_mul_f32 v46, v45, v36
	s_delay_alu instid0(VALU_DEP_1) | instskip(NEXT) | instid1(VALU_DEP_2)
	v_add_f32_e32 v4, v4, v39
	v_mul_f32_e32 v47, v44, v46
	s_delay_alu instid0(VALU_DEP_1) | instskip(NEXT) | instid1(VALU_DEP_1)
	v_fma_f32 v43, v46, v44, -v47
	v_fmac_f32_e32 v43, v46, v42
	s_delay_alu instid0(VALU_DEP_1) | instskip(NEXT) | instid1(VALU_DEP_1)
	v_add_f32_e32 v48, v47, v43
	v_sub_f32_e32 v49, v45, v48
	v_sub_f32_e32 v39, v48, v47
	s_delay_alu instid0(VALU_DEP_2) | instskip(NEXT) | instid1(VALU_DEP_2)
	v_sub_f32_e32 v45, v45, v49
	v_sub_f32_e32 v39, v39, v43
	s_delay_alu instid0(VALU_DEP_2) | instskip(NEXT) | instid1(VALU_DEP_1)
	v_sub_f32_e32 v45, v45, v48
	v_add_f32_e32 v4, v4, v45
	s_delay_alu instid0(VALU_DEP_1) | instskip(NEXT) | instid1(VALU_DEP_1)
	v_add_f32_e32 v4, v39, v4
	v_add_f32_e32 v39, v49, v4
	s_delay_alu instid0(VALU_DEP_1) | instskip(SKIP_1) | instid1(VALU_DEP_2)
	v_mul_f32_e32 v43, v36, v39
	v_sub_f32_e32 v48, v49, v39
	v_mul_f32_e32 v45, v44, v43
	s_delay_alu instid0(VALU_DEP_2) | instskip(NEXT) | instid1(VALU_DEP_2)
	v_add_f32_e32 v4, v4, v48
	v_fma_f32 v44, v43, v44, -v45
	s_delay_alu instid0(VALU_DEP_1) | instskip(NEXT) | instid1(VALU_DEP_1)
	v_fmac_f32_e32 v44, v43, v42
	v_add_f32_e32 v42, v45, v44
	s_delay_alu instid0(VALU_DEP_1) | instskip(SKIP_1) | instid1(VALU_DEP_2)
	v_sub_f32_e32 v47, v39, v42
	v_sub_f32_e32 v45, v42, v45
	;; [unrolled: 1-line block ×3, first 2 shown]
	s_delay_alu instid0(VALU_DEP_1) | instskip(NEXT) | instid1(VALU_DEP_1)
	v_dual_sub_f32 v39, v39, v42 :: v_dual_sub_f32 v42, v45, v44
	v_add_f32_e32 v4, v4, v39
	v_add_f32_e32 v39, v46, v43
	s_delay_alu instid0(VALU_DEP_2) | instskip(NEXT) | instid1(VALU_DEP_2)
	v_add_f32_e32 v4, v42, v4
	v_sub_f32_e32 v42, v39, v46
	s_delay_alu instid0(VALU_DEP_2) | instskip(NEXT) | instid1(VALU_DEP_2)
	v_add_f32_e32 v4, v47, v4
	v_sub_f32_e32 v42, v43, v42
	s_delay_alu instid0(VALU_DEP_2) | instskip(NEXT) | instid1(VALU_DEP_1)
	v_mul_f32_e32 v4, v36, v4
	v_add_f32_e32 v4, v42, v4
	s_delay_alu instid0(VALU_DEP_1) | instskip(NEXT) | instid1(VALU_DEP_1)
	v_add_f32_e32 v36, v39, v4
	v_mul_f32_e32 v42, v36, v36
	s_delay_alu instid0(VALU_DEP_1) | instskip(SKIP_1) | instid1(VALU_DEP_2)
	v_fmaak_f32 v43, s14, v42, 0x3ecc95a3
	v_mul_f32_e32 v44, v36, v42
	v_fmaak_f32 v42, v42, v43, 0x3f2aaada
	v_ldexp_f32 v43, v36, 1
	v_sub_f32_e32 v36, v36, v39
	s_delay_alu instid0(VALU_DEP_3) | instskip(SKIP_1) | instid1(VALU_DEP_2)
	v_mul_f32_e32 v42, v44, v42
	v_mul_f32_e32 v44, 0x3f317218, v3
	v_dual_sub_f32 v4, v4, v36 :: v_dual_add_f32 v39, v43, v42
	s_delay_alu instid0(VALU_DEP_1) | instskip(NEXT) | instid1(VALU_DEP_2)
	v_ldexp_f32 v4, v4, 1
	v_sub_f32_e32 v36, v39, v43
	s_delay_alu instid0(VALU_DEP_4) | instskip(NEXT) | instid1(VALU_DEP_1)
	v_fma_f32 v43, 0x3f317218, v3, -v44
	v_dual_sub_f32 v36, v42, v36 :: v_dual_fmamk_f32 v3, v3, 0xb102e308, v43
	s_delay_alu instid0(VALU_DEP_1) | instskip(NEXT) | instid1(VALU_DEP_2)
	v_add_f32_e32 v4, v4, v36
	v_add_f32_e32 v36, v44, v3
	s_delay_alu instid0(VALU_DEP_2) | instskip(NEXT) | instid1(VALU_DEP_2)
	v_add_f32_e32 v42, v39, v4
	v_sub_f32_e32 v44, v36, v44
	s_delay_alu instid0(VALU_DEP_2) | instskip(SKIP_1) | instid1(VALU_DEP_3)
	v_add_f32_e32 v43, v36, v42
	v_sub_f32_e32 v39, v42, v39
	v_sub_f32_e32 v3, v3, v44
	s_delay_alu instid0(VALU_DEP_2) | instskip(NEXT) | instid1(VALU_DEP_1)
	v_dual_sub_f32 v45, v43, v36 :: v_dual_sub_f32 v4, v4, v39
	v_sub_f32_e32 v46, v43, v45
	s_delay_alu instid0(VALU_DEP_2) | instskip(NEXT) | instid1(VALU_DEP_2)
	v_dual_sub_f32 v39, v42, v45 :: v_dual_add_f32 v42, v3, v4
	v_sub_f32_e32 v36, v36, v46
	s_delay_alu instid0(VALU_DEP_1) | instskip(NEXT) | instid1(VALU_DEP_1)
	v_dual_add_f32 v36, v39, v36 :: v_dual_sub_f32 v39, v42, v3
	v_add_f32_e32 v36, v42, v36
	s_delay_alu instid0(VALU_DEP_2) | instskip(SKIP_1) | instid1(VALU_DEP_3)
	v_sub_f32_e32 v42, v42, v39
	v_sub_f32_e32 v4, v4, v39
	v_add_f32_e32 v44, v43, v36
	s_delay_alu instid0(VALU_DEP_3) | instskip(NEXT) | instid1(VALU_DEP_2)
	v_sub_f32_e32 v3, v3, v42
	v_sub_f32_e32 v39, v44, v43
	s_delay_alu instid0(VALU_DEP_2) | instskip(NEXT) | instid1(VALU_DEP_2)
	v_add_f32_e32 v3, v4, v3
	v_sub_f32_e32 v4, v36, v39
	s_delay_alu instid0(VALU_DEP_1) | instskip(NEXT) | instid1(VALU_DEP_1)
	v_add_f32_e32 v3, v3, v4
	v_add_f32_e32 v3, v44, v3
	s_wait_alu 0xfffd
	s_delay_alu instid0(VALU_DEP_1) | instskip(SKIP_2) | instid1(VALU_DEP_2)
	v_cndmask_b32_e32 v3, 0x7f800000, v3, vcc_lo
	v_cmp_gt_f32_e64 vcc_lo, 0x33800000, |v5|
	s_wait_alu 0xfffd
	v_cndmask_b32_e32 v3, v3, v5, vcc_lo
	s_delay_alu instid0(VALU_DEP_1)
	v_add_f32_e32 v3, v2, v3
.LBB443_49:
	s_wait_alu 0xfffe
	s_or_b32 exec_lo, exec_lo, s12
	s_delay_alu instid0(VALU_DEP_1) | instskip(SKIP_2) | instid1(VALU_DEP_3)
	v_bfe_u32 v2, v3, 16, 1
	v_cmp_o_f32_e32 vcc_lo, v3, v3
	v_lshlrev_b32_e32 v36, 16, v9
	v_add3_u32 v2, v3, v2, 0x7fff
	s_delay_alu instid0(VALU_DEP_1) | instskip(SKIP_1) | instid1(VALU_DEP_1)
	v_dual_max_num_f32 v39, v36, v36 :: v_dual_and_b32 v2, 0xffff0000, v2
	s_wait_alu 0xfffd
	v_cndmask_b32_e32 v3, 0x7fc00000, v2, vcc_lo
	v_cmp_u_f32_e64 s12, v36, v36
	s_delay_alu instid0(VALU_DEP_2) | instskip(SKIP_1) | instid1(VALU_DEP_2)
	v_max_num_f32_e32 v2, v3, v3
	v_cmp_u_f32_e32 vcc_lo, v3, v3
	v_min_num_f32_e32 v4, v2, v39
	v_max_num_f32_e32 v2, v2, v39
	s_wait_alu 0xfffd
	s_delay_alu instid0(VALU_DEP_2) | instskip(NEXT) | instid1(VALU_DEP_2)
	v_cndmask_b32_e32 v4, v4, v3, vcc_lo
	v_cndmask_b32_e32 v2, v2, v3, vcc_lo
	s_wait_alu 0xf1ff
	s_delay_alu instid0(VALU_DEP_2) | instskip(NEXT) | instid1(VALU_DEP_2)
	v_cndmask_b32_e64 v4, v4, v36, s12
	v_cndmask_b32_e64 v2, v2, v36, s12
	s_delay_alu instid0(VALU_DEP_2) | instskip(NEXT) | instid1(VALU_DEP_2)
	v_cmp_class_f32_e64 s14, v4, 0x1f8
	v_cmp_neq_f32_e32 vcc_lo, v4, v2
	s_or_b32 s15, vcc_lo, s14
	s_wait_alu 0xfffe
	s_and_saveexec_b32 s14, s15
	s_cbranch_execz .LBB443_51
; %bb.50:
	v_sub_f32_e32 v3, v4, v2
	s_mov_b32 s15, 0x3e9b6dac
	s_delay_alu instid0(VALU_DEP_1) | instskip(SKIP_1) | instid1(VALU_DEP_2)
	v_mul_f32_e32 v4, 0x3fb8aa3b, v3
	v_cmp_ngt_f32_e32 vcc_lo, 0xc2ce8ed0, v3
	v_fma_f32 v5, 0x3fb8aa3b, v3, -v4
	v_rndne_f32_e32 v42, v4
	s_delay_alu instid0(VALU_DEP_1) | instskip(NEXT) | instid1(VALU_DEP_1)
	v_dual_fmamk_f32 v5, v3, 0x32a5705f, v5 :: v_dual_sub_f32 v4, v4, v42
	v_add_f32_e32 v4, v4, v5
	v_cvt_i32_f32_e32 v5, v42
	s_delay_alu instid0(VALU_DEP_2) | instskip(NEXT) | instid1(TRANS32_DEP_1)
	v_exp_f32_e32 v4, v4
	v_ldexp_f32 v4, v4, v5
	s_wait_alu 0xfffd
	s_delay_alu instid0(VALU_DEP_1) | instskip(SKIP_2) | instid1(VALU_DEP_2)
	v_cndmask_b32_e32 v4, 0, v4, vcc_lo
	v_cmp_nlt_f32_e32 vcc_lo, 0x42b17218, v3
	s_wait_alu 0xfffd
	v_cndmask_b32_e32 v5, 0x7f800000, v4, vcc_lo
	s_delay_alu instid0(VALU_DEP_1) | instskip(NEXT) | instid1(VALU_DEP_1)
	v_add_f32_e32 v42, 1.0, v5
	v_cvt_f64_f32_e32 v[3:4], v42
	s_delay_alu instid0(VALU_DEP_1) | instskip(SKIP_1) | instid1(VALU_DEP_1)
	v_frexp_exp_i32_f64_e32 v3, v[3:4]
	v_frexp_mant_f32_e32 v4, v42
	v_cmp_gt_f32_e32 vcc_lo, 0x3f2aaaab, v4
	v_add_f32_e32 v4, -1.0, v42
	s_delay_alu instid0(VALU_DEP_1) | instskip(SKIP_4) | instid1(VALU_DEP_2)
	v_sub_f32_e32 v44, v4, v42
	v_sub_f32_e32 v4, v5, v4
	s_wait_alu 0xfffd
	v_subrev_co_ci_u32_e64 v3, null, 0, v3, vcc_lo
	v_cmp_neq_f32_e32 vcc_lo, 0x7f800000, v5
	v_sub_nc_u32_e32 v43, 0, v3
	v_cvt_f32_i32_e32 v3, v3
	s_delay_alu instid0(VALU_DEP_2) | instskip(NEXT) | instid1(VALU_DEP_1)
	v_ldexp_f32 v42, v42, v43
	v_dual_add_f32 v45, 1.0, v42 :: v_dual_add_f32 v44, 1.0, v44
	s_delay_alu instid0(VALU_DEP_1) | instskip(NEXT) | instid1(VALU_DEP_2)
	v_add_f32_e32 v4, v4, v44
	v_add_f32_e32 v44, -1.0, v45
	s_delay_alu instid0(VALU_DEP_2) | instskip(NEXT) | instid1(VALU_DEP_2)
	v_ldexp_f32 v4, v4, v43
	v_dual_add_f32 v43, -1.0, v42 :: v_dual_sub_f32 v44, v42, v44
	s_delay_alu instid0(VALU_DEP_1) | instskip(NEXT) | instid1(VALU_DEP_2)
	v_add_f32_e32 v46, 1.0, v43
	v_add_f32_e32 v44, v4, v44
	s_delay_alu instid0(VALU_DEP_2) | instskip(NEXT) | instid1(VALU_DEP_2)
	v_sub_f32_e32 v42, v42, v46
	v_add_f32_e32 v46, v45, v44
	s_delay_alu instid0(VALU_DEP_2) | instskip(NEXT) | instid1(VALU_DEP_2)
	v_add_f32_e32 v4, v4, v42
	v_rcp_f32_e32 v42, v46
	v_sub_f32_e32 v45, v45, v46
	s_delay_alu instid0(VALU_DEP_1) | instskip(NEXT) | instid1(VALU_DEP_1)
	v_dual_add_f32 v47, v43, v4 :: v_dual_add_f32 v44, v44, v45
	v_sub_f32_e32 v43, v43, v47
	s_delay_alu instid0(TRANS32_DEP_1) | instskip(NEXT) | instid1(VALU_DEP_1)
	v_mul_f32_e32 v48, v47, v42
	v_dual_add_f32 v4, v4, v43 :: v_dual_mul_f32 v49, v46, v48
	s_delay_alu instid0(VALU_DEP_1) | instskip(NEXT) | instid1(VALU_DEP_1)
	v_fma_f32 v45, v48, v46, -v49
	v_fmac_f32_e32 v45, v48, v44
	s_delay_alu instid0(VALU_DEP_1) | instskip(NEXT) | instid1(VALU_DEP_1)
	v_add_f32_e32 v50, v49, v45
	v_sub_f32_e32 v51, v47, v50
	v_sub_f32_e32 v43, v50, v49
	s_delay_alu instid0(VALU_DEP_2) | instskip(NEXT) | instid1(VALU_DEP_2)
	v_sub_f32_e32 v47, v47, v51
	v_sub_f32_e32 v43, v43, v45
	s_delay_alu instid0(VALU_DEP_2) | instskip(NEXT) | instid1(VALU_DEP_1)
	v_sub_f32_e32 v47, v47, v50
	v_add_f32_e32 v4, v4, v47
	s_delay_alu instid0(VALU_DEP_1) | instskip(NEXT) | instid1(VALU_DEP_1)
	v_add_f32_e32 v4, v43, v4
	v_add_f32_e32 v43, v51, v4
	s_delay_alu instid0(VALU_DEP_1) | instskip(NEXT) | instid1(VALU_DEP_1)
	v_mul_f32_e32 v45, v42, v43
	v_dual_sub_f32 v50, v51, v43 :: v_dual_mul_f32 v47, v46, v45
	s_delay_alu instid0(VALU_DEP_1) | instskip(NEXT) | instid1(VALU_DEP_2)
	v_add_f32_e32 v4, v4, v50
	v_fma_f32 v46, v45, v46, -v47
	s_delay_alu instid0(VALU_DEP_1) | instskip(NEXT) | instid1(VALU_DEP_1)
	v_fmac_f32_e32 v46, v45, v44
	v_add_f32_e32 v44, v47, v46
	s_delay_alu instid0(VALU_DEP_1) | instskip(SKIP_1) | instid1(VALU_DEP_2)
	v_sub_f32_e32 v49, v43, v44
	v_sub_f32_e32 v47, v44, v47
	;; [unrolled: 1-line block ×3, first 2 shown]
	s_delay_alu instid0(VALU_DEP_1) | instskip(NEXT) | instid1(VALU_DEP_3)
	v_sub_f32_e32 v43, v43, v44
	v_sub_f32_e32 v44, v47, v46
	s_delay_alu instid0(VALU_DEP_2) | instskip(SKIP_1) | instid1(VALU_DEP_2)
	v_add_f32_e32 v4, v4, v43
	v_add_f32_e32 v43, v48, v45
	;; [unrolled: 1-line block ×3, first 2 shown]
	s_delay_alu instid0(VALU_DEP_2) | instskip(NEXT) | instid1(VALU_DEP_2)
	v_sub_f32_e32 v44, v43, v48
	v_add_f32_e32 v4, v49, v4
	s_delay_alu instid0(VALU_DEP_2) | instskip(NEXT) | instid1(VALU_DEP_2)
	v_sub_f32_e32 v44, v45, v44
	v_mul_f32_e32 v4, v42, v4
	s_delay_alu instid0(VALU_DEP_1) | instskip(NEXT) | instid1(VALU_DEP_1)
	v_add_f32_e32 v4, v44, v4
	v_add_f32_e32 v42, v43, v4
	s_delay_alu instid0(VALU_DEP_1) | instskip(SKIP_1) | instid1(VALU_DEP_1)
	v_mul_f32_e32 v44, v42, v42
	s_wait_alu 0xfffe
	v_fmaak_f32 v45, s15, v44, 0x3ecc95a3
	v_mul_f32_e32 v46, v42, v44
	s_delay_alu instid0(VALU_DEP_2) | instskip(SKIP_2) | instid1(VALU_DEP_3)
	v_fmaak_f32 v44, v44, v45, 0x3f2aaada
	v_ldexp_f32 v45, v42, 1
	v_sub_f32_e32 v42, v42, v43
	v_mul_f32_e32 v44, v46, v44
	v_mul_f32_e32 v46, 0x3f317218, v3
	s_delay_alu instid0(VALU_DEP_2) | instskip(NEXT) | instid1(VALU_DEP_1)
	v_dual_sub_f32 v4, v4, v42 :: v_dual_add_f32 v43, v45, v44
	v_ldexp_f32 v4, v4, 1
	s_delay_alu instid0(VALU_DEP_2) | instskip(NEXT) | instid1(VALU_DEP_4)
	v_sub_f32_e32 v42, v43, v45
	v_fma_f32 v45, 0x3f317218, v3, -v46
	s_delay_alu instid0(VALU_DEP_1) | instskip(NEXT) | instid1(VALU_DEP_1)
	v_dual_sub_f32 v42, v44, v42 :: v_dual_fmamk_f32 v3, v3, 0xb102e308, v45
	v_add_f32_e32 v4, v4, v42
	s_delay_alu instid0(VALU_DEP_2) | instskip(NEXT) | instid1(VALU_DEP_2)
	v_add_f32_e32 v42, v46, v3
	v_add_f32_e32 v44, v43, v4
	s_delay_alu instid0(VALU_DEP_2) | instskip(NEXT) | instid1(VALU_DEP_2)
	v_sub_f32_e32 v46, v42, v46
	v_add_f32_e32 v45, v42, v44
	v_sub_f32_e32 v43, v44, v43
	s_delay_alu instid0(VALU_DEP_3) | instskip(NEXT) | instid1(VALU_DEP_2)
	v_sub_f32_e32 v3, v3, v46
	v_dual_sub_f32 v47, v45, v42 :: v_dual_sub_f32 v4, v4, v43
	s_delay_alu instid0(VALU_DEP_1) | instskip(NEXT) | instid1(VALU_DEP_2)
	v_sub_f32_e32 v48, v45, v47
	v_dual_sub_f32 v43, v44, v47 :: v_dual_add_f32 v44, v3, v4
	s_delay_alu instid0(VALU_DEP_2) | instskip(NEXT) | instid1(VALU_DEP_1)
	v_sub_f32_e32 v42, v42, v48
	v_dual_add_f32 v42, v43, v42 :: v_dual_sub_f32 v43, v44, v3
	s_delay_alu instid0(VALU_DEP_1) | instskip(NEXT) | instid1(VALU_DEP_2)
	v_add_f32_e32 v42, v44, v42
	v_sub_f32_e32 v44, v44, v43
	v_sub_f32_e32 v4, v4, v43
	s_delay_alu instid0(VALU_DEP_2) | instskip(NEXT) | instid1(VALU_DEP_1)
	v_dual_add_f32 v46, v45, v42 :: v_dual_sub_f32 v3, v3, v44
	v_sub_f32_e32 v43, v46, v45
	s_delay_alu instid0(VALU_DEP_2) | instskip(NEXT) | instid1(VALU_DEP_2)
	v_add_f32_e32 v3, v4, v3
	v_sub_f32_e32 v4, v42, v43
	s_delay_alu instid0(VALU_DEP_1) | instskip(NEXT) | instid1(VALU_DEP_1)
	v_add_f32_e32 v3, v3, v4
	v_add_f32_e32 v3, v46, v3
	s_wait_alu 0xfffd
	s_delay_alu instid0(VALU_DEP_1) | instskip(SKIP_2) | instid1(VALU_DEP_2)
	v_cndmask_b32_e32 v3, 0x7f800000, v3, vcc_lo
	v_cmp_gt_f32_e64 vcc_lo, 0x33800000, |v5|
	s_wait_alu 0xfffd
	v_cndmask_b32_e32 v3, v3, v5, vcc_lo
	s_delay_alu instid0(VALU_DEP_1)
	v_add_f32_e32 v3, v2, v3
.LBB443_51:
	s_wait_alu 0xfffe
	s_or_b32 exec_lo, exec_lo, s14
	s_delay_alu instid0(VALU_DEP_1) | instskip(SKIP_2) | instid1(VALU_DEP_3)
	v_bfe_u32 v2, v3, 16, 1
	v_lshrrev_b32_e32 v4, 4, v0
	v_cmp_o_f32_e32 vcc_lo, v3, v3
	v_add3_u32 v2, v3, v2, 0x7fff
	s_delay_alu instid0(VALU_DEP_3) | instskip(NEXT) | instid1(VALU_DEP_2)
	v_and_b32_e32 v4, 14, v4
	v_lshrrev_b32_e32 v2, 16, v2
	s_delay_alu instid0(VALU_DEP_2) | instskip(SKIP_1) | instid1(VALU_DEP_2)
	v_lshl_add_u32 v4, v0, 1, v4
	s_wait_alu 0xfffd
	v_cndmask_b32_e32 v42, 0x7fc0, v2, vcc_lo
	v_cmp_gt_u32_e32 vcc_lo, 32, v0
	ds_store_b16 v4, v42
	s_wait_loadcnt_dscnt 0x0
	s_barrier_signal -1
	s_barrier_wait -1
	global_inv scope:SCOPE_SE
	s_and_saveexec_b32 s16, vcc_lo
	s_cbranch_execz .LBB443_103
; %bb.52:
	v_lshrrev_b32_e32 v2, 1, v0
	v_lshlrev_b32_e32 v3, 4, v0
	s_delay_alu instid0(VALU_DEP_2) | instskip(NEXT) | instid1(VALU_DEP_1)
	v_and_b32_e32 v2, 0x7e, v2
	v_add_nc_u32_e32 v2, v2, v3
	ds_load_u16 v3, v2 offset:2
	ds_load_u16 v4, v2
	s_wait_dscnt 0x1
	v_lshlrev_b32_e32 v5, 16, v3
	s_wait_dscnt 0x0
	v_lshlrev_b32_e32 v3, 16, v4
	s_delay_alu instid0(VALU_DEP_1) | instskip(SKIP_2) | instid1(VALU_DEP_3)
	v_dual_max_num_f32 v43, v5, v5 :: v_dual_max_num_f32 v4, v3, v3
	v_cmp_u_f32_e64 s14, v3, v3
	v_cmp_u_f32_e64 s15, v5, v5
	v_min_num_f32_e32 v44, v4, v43
	v_max_num_f32_e32 v43, v4, v43
	s_wait_alu 0xf1ff
	s_delay_alu instid0(VALU_DEP_2) | instskip(NEXT) | instid1(VALU_DEP_2)
	v_cndmask_b32_e64 v44, v44, v3, s14
	v_cndmask_b32_e64 v43, v43, v3, s14
	s_delay_alu instid0(VALU_DEP_2) | instskip(NEXT) | instid1(VALU_DEP_2)
	v_cndmask_b32_e64 v44, v44, v5, s15
	v_cndmask_b32_e64 v5, v43, v5, s15
	v_mov_b32_e32 v43, v3
	s_delay_alu instid0(VALU_DEP_3) | instskip(NEXT) | instid1(VALU_DEP_3)
	v_cmp_class_f32_e64 s22, v44, 0x1f8
	v_cmp_neq_f32_e64 s15, v44, v5
	s_or_b32 s15, s15, s22
	s_wait_alu 0xfffe
	s_and_saveexec_b32 s22, s15
	s_cbranch_execz .LBB443_54
; %bb.53:
	v_sub_f32_e32 v43, v44, v5
	s_delay_alu instid0(VALU_DEP_1) | instskip(SKIP_1) | instid1(VALU_DEP_2)
	v_mul_f32_e32 v44, 0x3fb8aa3b, v43
	v_cmp_ngt_f32_e64 s15, 0xc2ce8ed0, v43
	v_fma_f32 v45, 0x3fb8aa3b, v43, -v44
	v_rndne_f32_e32 v46, v44
	s_delay_alu instid0(VALU_DEP_1) | instskip(NEXT) | instid1(VALU_DEP_1)
	v_dual_fmamk_f32 v45, v43, 0x32a5705f, v45 :: v_dual_sub_f32 v44, v44, v46
	v_add_f32_e32 v44, v44, v45
	v_cvt_i32_f32_e32 v45, v46
	s_delay_alu instid0(VALU_DEP_2) | instskip(NEXT) | instid1(TRANS32_DEP_1)
	v_exp_f32_e32 v44, v44
	v_ldexp_f32 v44, v44, v45
	s_wait_alu 0xf1ff
	s_delay_alu instid0(VALU_DEP_1) | instskip(SKIP_2) | instid1(VALU_DEP_1)
	v_cndmask_b32_e64 v44, 0, v44, s15
	v_cmp_nlt_f32_e64 s15, 0x42b17218, v43
	s_wait_alu 0xf1ff
	v_cndmask_b32_e64 v45, 0x7f800000, v44, s15
	s_delay_alu instid0(VALU_DEP_1) | instskip(NEXT) | instid1(VALU_DEP_1)
	v_add_f32_e32 v46, 1.0, v45
	v_cvt_f64_f32_e32 v[43:44], v46
	s_delay_alu instid0(VALU_DEP_1) | instskip(SKIP_1) | instid1(VALU_DEP_1)
	v_frexp_exp_i32_f64_e32 v43, v[43:44]
	v_frexp_mant_f32_e32 v44, v46
	v_cmp_gt_f32_e64 s15, 0x3f2aaaab, v44
	v_add_f32_e32 v44, -1.0, v46
	s_delay_alu instid0(VALU_DEP_1)
	v_sub_f32_e32 v48, v44, v46
	v_sub_f32_e32 v44, v45, v44
	s_wait_alu 0xf1ff
	v_subrev_co_ci_u32_e64 v43, null, 0, v43, s15
	s_mov_b32 s15, 0x3e9b6dac
	v_sub_nc_u32_e32 v47, 0, v43
	v_cvt_f32_i32_e32 v43, v43
	s_delay_alu instid0(VALU_DEP_2) | instskip(NEXT) | instid1(VALU_DEP_1)
	v_ldexp_f32 v46, v46, v47
	v_dual_add_f32 v49, 1.0, v46 :: v_dual_add_f32 v48, 1.0, v48
	s_delay_alu instid0(VALU_DEP_1) | instskip(NEXT) | instid1(VALU_DEP_2)
	v_add_f32_e32 v44, v44, v48
	v_add_f32_e32 v48, -1.0, v49
	s_delay_alu instid0(VALU_DEP_2) | instskip(NEXT) | instid1(VALU_DEP_2)
	v_ldexp_f32 v44, v44, v47
	v_dual_add_f32 v47, -1.0, v46 :: v_dual_sub_f32 v48, v46, v48
	s_delay_alu instid0(VALU_DEP_1) | instskip(NEXT) | instid1(VALU_DEP_2)
	v_add_f32_e32 v50, 1.0, v47
	v_add_f32_e32 v48, v44, v48
	s_delay_alu instid0(VALU_DEP_2) | instskip(NEXT) | instid1(VALU_DEP_2)
	v_sub_f32_e32 v46, v46, v50
	v_add_f32_e32 v50, v49, v48
	s_delay_alu instid0(VALU_DEP_2) | instskip(NEXT) | instid1(VALU_DEP_2)
	v_add_f32_e32 v44, v44, v46
	v_rcp_f32_e32 v46, v50
	v_sub_f32_e32 v49, v49, v50
	s_delay_alu instid0(VALU_DEP_1) | instskip(NEXT) | instid1(VALU_DEP_1)
	v_dual_add_f32 v51, v47, v44 :: v_dual_add_f32 v48, v48, v49
	v_sub_f32_e32 v47, v47, v51
	s_delay_alu instid0(TRANS32_DEP_1) | instskip(NEXT) | instid1(VALU_DEP_1)
	v_mul_f32_e32 v52, v51, v46
	v_dual_add_f32 v44, v44, v47 :: v_dual_mul_f32 v53, v50, v52
	s_delay_alu instid0(VALU_DEP_1) | instskip(NEXT) | instid1(VALU_DEP_1)
	v_fma_f32 v49, v52, v50, -v53
	v_fmac_f32_e32 v49, v52, v48
	s_delay_alu instid0(VALU_DEP_1) | instskip(NEXT) | instid1(VALU_DEP_1)
	v_add_f32_e32 v54, v53, v49
	v_sub_f32_e32 v55, v51, v54
	v_sub_f32_e32 v47, v54, v53
	s_delay_alu instid0(VALU_DEP_2) | instskip(NEXT) | instid1(VALU_DEP_2)
	v_sub_f32_e32 v51, v51, v55
	v_sub_f32_e32 v47, v47, v49
	s_delay_alu instid0(VALU_DEP_2) | instskip(NEXT) | instid1(VALU_DEP_1)
	v_sub_f32_e32 v51, v51, v54
	v_add_f32_e32 v44, v44, v51
	s_delay_alu instid0(VALU_DEP_1) | instskip(NEXT) | instid1(VALU_DEP_1)
	v_add_f32_e32 v44, v47, v44
	v_add_f32_e32 v47, v55, v44
	s_delay_alu instid0(VALU_DEP_1) | instskip(NEXT) | instid1(VALU_DEP_1)
	v_mul_f32_e32 v49, v46, v47
	v_dual_sub_f32 v54, v55, v47 :: v_dual_mul_f32 v51, v50, v49
	s_delay_alu instid0(VALU_DEP_1) | instskip(NEXT) | instid1(VALU_DEP_2)
	v_add_f32_e32 v44, v44, v54
	v_fma_f32 v50, v49, v50, -v51
	s_delay_alu instid0(VALU_DEP_1) | instskip(NEXT) | instid1(VALU_DEP_1)
	v_fmac_f32_e32 v50, v49, v48
	v_add_f32_e32 v48, v51, v50
	s_delay_alu instid0(VALU_DEP_1) | instskip(SKIP_1) | instid1(VALU_DEP_2)
	v_sub_f32_e32 v53, v47, v48
	v_sub_f32_e32 v51, v48, v51
	;; [unrolled: 1-line block ×3, first 2 shown]
	s_delay_alu instid0(VALU_DEP_1) | instskip(NEXT) | instid1(VALU_DEP_3)
	v_sub_f32_e32 v47, v47, v48
	v_sub_f32_e32 v48, v51, v50
	s_delay_alu instid0(VALU_DEP_2) | instskip(SKIP_1) | instid1(VALU_DEP_2)
	v_add_f32_e32 v44, v44, v47
	v_add_f32_e32 v47, v52, v49
	;; [unrolled: 1-line block ×3, first 2 shown]
	s_delay_alu instid0(VALU_DEP_2) | instskip(NEXT) | instid1(VALU_DEP_2)
	v_sub_f32_e32 v48, v47, v52
	v_add_f32_e32 v44, v53, v44
	s_delay_alu instid0(VALU_DEP_2) | instskip(NEXT) | instid1(VALU_DEP_2)
	v_sub_f32_e32 v48, v49, v48
	v_mul_f32_e32 v44, v46, v44
	s_delay_alu instid0(VALU_DEP_1) | instskip(NEXT) | instid1(VALU_DEP_1)
	v_add_f32_e32 v44, v48, v44
	v_add_f32_e32 v46, v47, v44
	s_delay_alu instid0(VALU_DEP_1) | instskip(SKIP_1) | instid1(VALU_DEP_1)
	v_mul_f32_e32 v48, v46, v46
	s_wait_alu 0xfffe
	v_fmaak_f32 v49, s15, v48, 0x3ecc95a3
	v_mul_f32_e32 v50, v46, v48
	v_cmp_neq_f32_e64 s15, 0x7f800000, v45
	s_delay_alu instid0(VALU_DEP_3) | instskip(SKIP_2) | instid1(VALU_DEP_3)
	v_fmaak_f32 v48, v48, v49, 0x3f2aaada
	v_ldexp_f32 v49, v46, 1
	v_sub_f32_e32 v46, v46, v47
	v_mul_f32_e32 v48, v50, v48
	v_mul_f32_e32 v50, 0x3f317218, v43
	s_delay_alu instid0(VALU_DEP_2) | instskip(NEXT) | instid1(VALU_DEP_1)
	v_dual_sub_f32 v44, v44, v46 :: v_dual_add_f32 v47, v49, v48
	v_ldexp_f32 v44, v44, 1
	s_delay_alu instid0(VALU_DEP_2) | instskip(NEXT) | instid1(VALU_DEP_4)
	v_sub_f32_e32 v46, v47, v49
	v_fma_f32 v49, 0x3f317218, v43, -v50
	s_delay_alu instid0(VALU_DEP_1) | instskip(NEXT) | instid1(VALU_DEP_1)
	v_dual_sub_f32 v46, v48, v46 :: v_dual_fmamk_f32 v43, v43, 0xb102e308, v49
	v_add_f32_e32 v44, v44, v46
	s_delay_alu instid0(VALU_DEP_2) | instskip(NEXT) | instid1(VALU_DEP_2)
	v_add_f32_e32 v46, v50, v43
	v_add_f32_e32 v48, v47, v44
	s_delay_alu instid0(VALU_DEP_2) | instskip(NEXT) | instid1(VALU_DEP_2)
	v_sub_f32_e32 v50, v46, v50
	v_add_f32_e32 v49, v46, v48
	v_sub_f32_e32 v47, v48, v47
	s_delay_alu instid0(VALU_DEP_3) | instskip(NEXT) | instid1(VALU_DEP_2)
	v_sub_f32_e32 v43, v43, v50
	v_dual_sub_f32 v51, v49, v46 :: v_dual_sub_f32 v44, v44, v47
	s_delay_alu instid0(VALU_DEP_1) | instskip(NEXT) | instid1(VALU_DEP_2)
	v_sub_f32_e32 v52, v49, v51
	v_dual_sub_f32 v47, v48, v51 :: v_dual_add_f32 v48, v43, v44
	s_delay_alu instid0(VALU_DEP_2) | instskip(NEXT) | instid1(VALU_DEP_1)
	v_sub_f32_e32 v46, v46, v52
	v_dual_add_f32 v46, v47, v46 :: v_dual_sub_f32 v47, v48, v43
	s_delay_alu instid0(VALU_DEP_1) | instskip(NEXT) | instid1(VALU_DEP_2)
	v_add_f32_e32 v46, v48, v46
	v_sub_f32_e32 v48, v48, v47
	v_sub_f32_e32 v44, v44, v47
	s_delay_alu instid0(VALU_DEP_2) | instskip(NEXT) | instid1(VALU_DEP_1)
	v_dual_add_f32 v50, v49, v46 :: v_dual_sub_f32 v43, v43, v48
	v_sub_f32_e32 v47, v50, v49
	s_delay_alu instid0(VALU_DEP_2) | instskip(NEXT) | instid1(VALU_DEP_2)
	v_add_f32_e32 v43, v44, v43
	v_sub_f32_e32 v44, v46, v47
	s_delay_alu instid0(VALU_DEP_1) | instskip(NEXT) | instid1(VALU_DEP_1)
	v_add_f32_e32 v43, v43, v44
	v_add_f32_e32 v43, v50, v43
	s_wait_alu 0xf1ff
	s_delay_alu instid0(VALU_DEP_1) | instskip(SKIP_2) | instid1(VALU_DEP_1)
	v_cndmask_b32_e64 v43, 0x7f800000, v43, s15
	v_cmp_gt_f32_e64 s15, 0x33800000, |v45|
	s_wait_alu 0xf1ff
	v_cndmask_b32_e64 v43, v43, v45, s15
	s_delay_alu instid0(VALU_DEP_1)
	v_add_f32_e32 v43, v5, v43
.LBB443_54:
	s_or_b32 exec_lo, exec_lo, s22
	ds_load_u16 v5, v2 offset:4
	v_bfe_u32 v44, v43, 16, 1
	v_cmp_o_f32_e64 s15, v43, v43
	s_delay_alu instid0(VALU_DEP_2) | instskip(SKIP_2) | instid1(VALU_DEP_1)
	v_add3_u32 v44, v43, v44, 0x7fff
	s_wait_dscnt 0x0
	v_lshlrev_b32_e32 v5, 16, v5
	v_dual_max_num_f32 v45, v5, v5 :: v_dual_and_b32 v44, 0xffff0000, v44
	s_wait_alu 0xf1ff
	s_delay_alu instid0(VALU_DEP_1) | instskip(NEXT) | instid1(VALU_DEP_1)
	v_cndmask_b32_e64 v43, 0x7fc00000, v44, s15
	v_max_num_f32_e32 v44, v43, v43
	v_cmp_u_f32_e64 s15, v43, v43
	s_delay_alu instid0(VALU_DEP_2) | instskip(SKIP_2) | instid1(VALU_DEP_2)
	v_min_num_f32_e32 v46, v44, v45
	v_max_num_f32_e32 v44, v44, v45
	s_wait_alu 0xf1ff
	v_cndmask_b32_e64 v45, v46, v43, s15
	s_delay_alu instid0(VALU_DEP_2) | instskip(SKIP_2) | instid1(VALU_DEP_1)
	v_cndmask_b32_e64 v46, v44, v43, s15
	v_cmp_u_f32_e64 s15, v5, v5
	s_wait_alu 0xf1ff
	v_cndmask_b32_e64 v44, v45, v5, s15
	s_delay_alu instid0(VALU_DEP_3) | instskip(NEXT) | instid1(VALU_DEP_2)
	v_cndmask_b32_e64 v5, v46, v5, s15
	v_cmp_class_f32_e64 s22, v44, 0x1f8
	s_delay_alu instid0(VALU_DEP_2)
	v_cmp_neq_f32_e64 s15, v44, v5
	s_or_b32 s15, s15, s22
	s_wait_alu 0xfffe
	s_and_saveexec_b32 s22, s15
	s_cbranch_execz .LBB443_56
; %bb.55:
	v_sub_f32_e32 v43, v44, v5
	s_delay_alu instid0(VALU_DEP_1) | instskip(SKIP_1) | instid1(VALU_DEP_2)
	v_mul_f32_e32 v44, 0x3fb8aa3b, v43
	v_cmp_ngt_f32_e64 s15, 0xc2ce8ed0, v43
	v_fma_f32 v45, 0x3fb8aa3b, v43, -v44
	v_rndne_f32_e32 v46, v44
	s_delay_alu instid0(VALU_DEP_1) | instskip(NEXT) | instid1(VALU_DEP_1)
	v_dual_fmamk_f32 v45, v43, 0x32a5705f, v45 :: v_dual_sub_f32 v44, v44, v46
	v_add_f32_e32 v44, v44, v45
	v_cvt_i32_f32_e32 v45, v46
	s_delay_alu instid0(VALU_DEP_2) | instskip(NEXT) | instid1(TRANS32_DEP_1)
	v_exp_f32_e32 v44, v44
	v_ldexp_f32 v44, v44, v45
	s_wait_alu 0xf1ff
	s_delay_alu instid0(VALU_DEP_1) | instskip(SKIP_2) | instid1(VALU_DEP_1)
	v_cndmask_b32_e64 v44, 0, v44, s15
	v_cmp_nlt_f32_e64 s15, 0x42b17218, v43
	s_wait_alu 0xf1ff
	v_cndmask_b32_e64 v45, 0x7f800000, v44, s15
	s_delay_alu instid0(VALU_DEP_1) | instskip(NEXT) | instid1(VALU_DEP_1)
	v_add_f32_e32 v46, 1.0, v45
	v_cvt_f64_f32_e32 v[43:44], v46
	s_delay_alu instid0(VALU_DEP_1) | instskip(SKIP_1) | instid1(VALU_DEP_1)
	v_frexp_exp_i32_f64_e32 v43, v[43:44]
	v_frexp_mant_f32_e32 v44, v46
	v_cmp_gt_f32_e64 s15, 0x3f2aaaab, v44
	v_add_f32_e32 v44, -1.0, v46
	s_delay_alu instid0(VALU_DEP_1)
	v_sub_f32_e32 v48, v44, v46
	v_sub_f32_e32 v44, v45, v44
	s_wait_alu 0xf1ff
	v_subrev_co_ci_u32_e64 v43, null, 0, v43, s15
	s_mov_b32 s15, 0x3e9b6dac
	v_sub_nc_u32_e32 v47, 0, v43
	v_cvt_f32_i32_e32 v43, v43
	s_delay_alu instid0(VALU_DEP_2) | instskip(NEXT) | instid1(VALU_DEP_1)
	v_ldexp_f32 v46, v46, v47
	v_dual_add_f32 v49, 1.0, v46 :: v_dual_add_f32 v48, 1.0, v48
	s_delay_alu instid0(VALU_DEP_1) | instskip(NEXT) | instid1(VALU_DEP_2)
	v_add_f32_e32 v44, v44, v48
	v_add_f32_e32 v48, -1.0, v49
	s_delay_alu instid0(VALU_DEP_2) | instskip(NEXT) | instid1(VALU_DEP_2)
	v_ldexp_f32 v44, v44, v47
	v_dual_add_f32 v47, -1.0, v46 :: v_dual_sub_f32 v48, v46, v48
	s_delay_alu instid0(VALU_DEP_1) | instskip(NEXT) | instid1(VALU_DEP_2)
	v_add_f32_e32 v50, 1.0, v47
	v_add_f32_e32 v48, v44, v48
	s_delay_alu instid0(VALU_DEP_2) | instskip(NEXT) | instid1(VALU_DEP_2)
	v_sub_f32_e32 v46, v46, v50
	v_add_f32_e32 v50, v49, v48
	s_delay_alu instid0(VALU_DEP_2) | instskip(NEXT) | instid1(VALU_DEP_2)
	v_add_f32_e32 v44, v44, v46
	v_rcp_f32_e32 v46, v50
	v_sub_f32_e32 v49, v49, v50
	s_delay_alu instid0(VALU_DEP_1) | instskip(NEXT) | instid1(VALU_DEP_1)
	v_dual_add_f32 v51, v47, v44 :: v_dual_add_f32 v48, v48, v49
	v_sub_f32_e32 v47, v47, v51
	s_delay_alu instid0(TRANS32_DEP_1) | instskip(NEXT) | instid1(VALU_DEP_1)
	v_mul_f32_e32 v52, v51, v46
	v_dual_add_f32 v44, v44, v47 :: v_dual_mul_f32 v53, v50, v52
	s_delay_alu instid0(VALU_DEP_1) | instskip(NEXT) | instid1(VALU_DEP_1)
	v_fma_f32 v49, v52, v50, -v53
	v_fmac_f32_e32 v49, v52, v48
	s_delay_alu instid0(VALU_DEP_1) | instskip(NEXT) | instid1(VALU_DEP_1)
	v_add_f32_e32 v54, v53, v49
	v_sub_f32_e32 v55, v51, v54
	v_sub_f32_e32 v47, v54, v53
	s_delay_alu instid0(VALU_DEP_2) | instskip(NEXT) | instid1(VALU_DEP_2)
	v_sub_f32_e32 v51, v51, v55
	v_sub_f32_e32 v47, v47, v49
	s_delay_alu instid0(VALU_DEP_2) | instskip(NEXT) | instid1(VALU_DEP_1)
	v_sub_f32_e32 v51, v51, v54
	v_add_f32_e32 v44, v44, v51
	s_delay_alu instid0(VALU_DEP_1) | instskip(NEXT) | instid1(VALU_DEP_1)
	v_add_f32_e32 v44, v47, v44
	v_add_f32_e32 v47, v55, v44
	s_delay_alu instid0(VALU_DEP_1) | instskip(NEXT) | instid1(VALU_DEP_1)
	v_mul_f32_e32 v49, v46, v47
	v_dual_sub_f32 v54, v55, v47 :: v_dual_mul_f32 v51, v50, v49
	s_delay_alu instid0(VALU_DEP_1) | instskip(NEXT) | instid1(VALU_DEP_2)
	v_add_f32_e32 v44, v44, v54
	v_fma_f32 v50, v49, v50, -v51
	s_delay_alu instid0(VALU_DEP_1) | instskip(NEXT) | instid1(VALU_DEP_1)
	v_fmac_f32_e32 v50, v49, v48
	v_add_f32_e32 v48, v51, v50
	s_delay_alu instid0(VALU_DEP_1) | instskip(SKIP_1) | instid1(VALU_DEP_2)
	v_sub_f32_e32 v53, v47, v48
	v_sub_f32_e32 v51, v48, v51
	;; [unrolled: 1-line block ×3, first 2 shown]
	s_delay_alu instid0(VALU_DEP_1) | instskip(NEXT) | instid1(VALU_DEP_3)
	v_sub_f32_e32 v47, v47, v48
	v_sub_f32_e32 v48, v51, v50
	s_delay_alu instid0(VALU_DEP_2) | instskip(SKIP_1) | instid1(VALU_DEP_2)
	v_add_f32_e32 v44, v44, v47
	v_add_f32_e32 v47, v52, v49
	;; [unrolled: 1-line block ×3, first 2 shown]
	s_delay_alu instid0(VALU_DEP_2) | instskip(NEXT) | instid1(VALU_DEP_2)
	v_sub_f32_e32 v48, v47, v52
	v_add_f32_e32 v44, v53, v44
	s_delay_alu instid0(VALU_DEP_2) | instskip(NEXT) | instid1(VALU_DEP_2)
	v_sub_f32_e32 v48, v49, v48
	v_mul_f32_e32 v44, v46, v44
	s_delay_alu instid0(VALU_DEP_1) | instskip(NEXT) | instid1(VALU_DEP_1)
	v_add_f32_e32 v44, v48, v44
	v_add_f32_e32 v46, v47, v44
	s_delay_alu instid0(VALU_DEP_1) | instskip(SKIP_1) | instid1(VALU_DEP_1)
	v_mul_f32_e32 v48, v46, v46
	s_wait_alu 0xfffe
	v_fmaak_f32 v49, s15, v48, 0x3ecc95a3
	v_mul_f32_e32 v50, v46, v48
	v_cmp_neq_f32_e64 s15, 0x7f800000, v45
	s_delay_alu instid0(VALU_DEP_3) | instskip(SKIP_2) | instid1(VALU_DEP_3)
	v_fmaak_f32 v48, v48, v49, 0x3f2aaada
	v_ldexp_f32 v49, v46, 1
	v_sub_f32_e32 v46, v46, v47
	v_mul_f32_e32 v48, v50, v48
	v_mul_f32_e32 v50, 0x3f317218, v43
	s_delay_alu instid0(VALU_DEP_2) | instskip(NEXT) | instid1(VALU_DEP_1)
	v_dual_sub_f32 v44, v44, v46 :: v_dual_add_f32 v47, v49, v48
	v_ldexp_f32 v44, v44, 1
	s_delay_alu instid0(VALU_DEP_2) | instskip(NEXT) | instid1(VALU_DEP_4)
	v_sub_f32_e32 v46, v47, v49
	v_fma_f32 v49, 0x3f317218, v43, -v50
	s_delay_alu instid0(VALU_DEP_1) | instskip(NEXT) | instid1(VALU_DEP_1)
	v_dual_sub_f32 v46, v48, v46 :: v_dual_fmamk_f32 v43, v43, 0xb102e308, v49
	v_add_f32_e32 v44, v44, v46
	s_delay_alu instid0(VALU_DEP_2) | instskip(NEXT) | instid1(VALU_DEP_2)
	v_add_f32_e32 v46, v50, v43
	v_add_f32_e32 v48, v47, v44
	s_delay_alu instid0(VALU_DEP_2) | instskip(NEXT) | instid1(VALU_DEP_2)
	v_sub_f32_e32 v50, v46, v50
	v_add_f32_e32 v49, v46, v48
	v_sub_f32_e32 v47, v48, v47
	s_delay_alu instid0(VALU_DEP_3) | instskip(NEXT) | instid1(VALU_DEP_2)
	v_sub_f32_e32 v43, v43, v50
	v_dual_sub_f32 v51, v49, v46 :: v_dual_sub_f32 v44, v44, v47
	s_delay_alu instid0(VALU_DEP_1) | instskip(NEXT) | instid1(VALU_DEP_2)
	v_sub_f32_e32 v52, v49, v51
	v_dual_sub_f32 v47, v48, v51 :: v_dual_add_f32 v48, v43, v44
	s_delay_alu instid0(VALU_DEP_2) | instskip(NEXT) | instid1(VALU_DEP_1)
	v_sub_f32_e32 v46, v46, v52
	v_dual_add_f32 v46, v47, v46 :: v_dual_sub_f32 v47, v48, v43
	s_delay_alu instid0(VALU_DEP_1) | instskip(NEXT) | instid1(VALU_DEP_2)
	v_add_f32_e32 v46, v48, v46
	v_sub_f32_e32 v48, v48, v47
	v_sub_f32_e32 v44, v44, v47
	s_delay_alu instid0(VALU_DEP_2) | instskip(NEXT) | instid1(VALU_DEP_1)
	v_dual_add_f32 v50, v49, v46 :: v_dual_sub_f32 v43, v43, v48
	v_sub_f32_e32 v47, v50, v49
	s_delay_alu instid0(VALU_DEP_2) | instskip(NEXT) | instid1(VALU_DEP_2)
	v_add_f32_e32 v43, v44, v43
	v_sub_f32_e32 v44, v46, v47
	s_delay_alu instid0(VALU_DEP_1) | instskip(NEXT) | instid1(VALU_DEP_1)
	v_add_f32_e32 v43, v43, v44
	v_add_f32_e32 v43, v50, v43
	s_wait_alu 0xf1ff
	s_delay_alu instid0(VALU_DEP_1) | instskip(SKIP_2) | instid1(VALU_DEP_1)
	v_cndmask_b32_e64 v43, 0x7f800000, v43, s15
	v_cmp_gt_f32_e64 s15, 0x33800000, |v45|
	s_wait_alu 0xf1ff
	v_cndmask_b32_e64 v43, v43, v45, s15
	s_delay_alu instid0(VALU_DEP_1)
	v_add_f32_e32 v43, v5, v43
.LBB443_56:
	s_or_b32 exec_lo, exec_lo, s22
	ds_load_u16 v5, v2 offset:6
	v_bfe_u32 v44, v43, 16, 1
	v_cmp_o_f32_e64 s15, v43, v43
	s_delay_alu instid0(VALU_DEP_2) | instskip(SKIP_2) | instid1(VALU_DEP_1)
	v_add3_u32 v44, v43, v44, 0x7fff
	s_wait_dscnt 0x0
	v_lshlrev_b32_e32 v5, 16, v5
	v_dual_max_num_f32 v45, v5, v5 :: v_dual_and_b32 v44, 0xffff0000, v44
	s_wait_alu 0xf1ff
	s_delay_alu instid0(VALU_DEP_1) | instskip(NEXT) | instid1(VALU_DEP_1)
	v_cndmask_b32_e64 v43, 0x7fc00000, v44, s15
	v_max_num_f32_e32 v44, v43, v43
	v_cmp_u_f32_e64 s15, v43, v43
	s_delay_alu instid0(VALU_DEP_2) | instskip(SKIP_2) | instid1(VALU_DEP_2)
	v_min_num_f32_e32 v46, v44, v45
	v_max_num_f32_e32 v44, v44, v45
	s_wait_alu 0xf1ff
	v_cndmask_b32_e64 v45, v46, v43, s15
	s_delay_alu instid0(VALU_DEP_2) | instskip(SKIP_2) | instid1(VALU_DEP_1)
	v_cndmask_b32_e64 v46, v44, v43, s15
	v_cmp_u_f32_e64 s15, v5, v5
	s_wait_alu 0xf1ff
	v_cndmask_b32_e64 v44, v45, v5, s15
	s_delay_alu instid0(VALU_DEP_3) | instskip(NEXT) | instid1(VALU_DEP_2)
	v_cndmask_b32_e64 v5, v46, v5, s15
	v_cmp_class_f32_e64 s22, v44, 0x1f8
	s_delay_alu instid0(VALU_DEP_2)
	v_cmp_neq_f32_e64 s15, v44, v5
	s_or_b32 s15, s15, s22
	s_wait_alu 0xfffe
	s_and_saveexec_b32 s22, s15
	s_cbranch_execz .LBB443_58
; %bb.57:
	v_sub_f32_e32 v43, v44, v5
	s_delay_alu instid0(VALU_DEP_1) | instskip(SKIP_1) | instid1(VALU_DEP_2)
	v_mul_f32_e32 v44, 0x3fb8aa3b, v43
	v_cmp_ngt_f32_e64 s15, 0xc2ce8ed0, v43
	v_fma_f32 v45, 0x3fb8aa3b, v43, -v44
	v_rndne_f32_e32 v46, v44
	s_delay_alu instid0(VALU_DEP_1) | instskip(NEXT) | instid1(VALU_DEP_1)
	v_dual_fmamk_f32 v45, v43, 0x32a5705f, v45 :: v_dual_sub_f32 v44, v44, v46
	v_add_f32_e32 v44, v44, v45
	v_cvt_i32_f32_e32 v45, v46
	s_delay_alu instid0(VALU_DEP_2) | instskip(NEXT) | instid1(TRANS32_DEP_1)
	v_exp_f32_e32 v44, v44
	v_ldexp_f32 v44, v44, v45
	s_wait_alu 0xf1ff
	s_delay_alu instid0(VALU_DEP_1) | instskip(SKIP_2) | instid1(VALU_DEP_1)
	v_cndmask_b32_e64 v44, 0, v44, s15
	v_cmp_nlt_f32_e64 s15, 0x42b17218, v43
	s_wait_alu 0xf1ff
	v_cndmask_b32_e64 v45, 0x7f800000, v44, s15
	s_delay_alu instid0(VALU_DEP_1) | instskip(NEXT) | instid1(VALU_DEP_1)
	v_add_f32_e32 v46, 1.0, v45
	v_cvt_f64_f32_e32 v[43:44], v46
	s_delay_alu instid0(VALU_DEP_1) | instskip(SKIP_1) | instid1(VALU_DEP_1)
	v_frexp_exp_i32_f64_e32 v43, v[43:44]
	v_frexp_mant_f32_e32 v44, v46
	v_cmp_gt_f32_e64 s15, 0x3f2aaaab, v44
	v_add_f32_e32 v44, -1.0, v46
	s_delay_alu instid0(VALU_DEP_1)
	v_sub_f32_e32 v48, v44, v46
	v_sub_f32_e32 v44, v45, v44
	s_wait_alu 0xf1ff
	v_subrev_co_ci_u32_e64 v43, null, 0, v43, s15
	s_mov_b32 s15, 0x3e9b6dac
	v_sub_nc_u32_e32 v47, 0, v43
	v_cvt_f32_i32_e32 v43, v43
	s_delay_alu instid0(VALU_DEP_2) | instskip(NEXT) | instid1(VALU_DEP_1)
	v_ldexp_f32 v46, v46, v47
	v_dual_add_f32 v49, 1.0, v46 :: v_dual_add_f32 v48, 1.0, v48
	s_delay_alu instid0(VALU_DEP_1) | instskip(NEXT) | instid1(VALU_DEP_2)
	v_add_f32_e32 v44, v44, v48
	v_add_f32_e32 v48, -1.0, v49
	s_delay_alu instid0(VALU_DEP_2) | instskip(NEXT) | instid1(VALU_DEP_2)
	v_ldexp_f32 v44, v44, v47
	v_dual_add_f32 v47, -1.0, v46 :: v_dual_sub_f32 v48, v46, v48
	s_delay_alu instid0(VALU_DEP_1) | instskip(NEXT) | instid1(VALU_DEP_2)
	v_add_f32_e32 v50, 1.0, v47
	v_add_f32_e32 v48, v44, v48
	s_delay_alu instid0(VALU_DEP_2) | instskip(NEXT) | instid1(VALU_DEP_2)
	v_sub_f32_e32 v46, v46, v50
	v_add_f32_e32 v50, v49, v48
	s_delay_alu instid0(VALU_DEP_2) | instskip(NEXT) | instid1(VALU_DEP_2)
	v_add_f32_e32 v44, v44, v46
	v_rcp_f32_e32 v46, v50
	v_sub_f32_e32 v49, v49, v50
	s_delay_alu instid0(VALU_DEP_1) | instskip(NEXT) | instid1(VALU_DEP_1)
	v_dual_add_f32 v51, v47, v44 :: v_dual_add_f32 v48, v48, v49
	v_sub_f32_e32 v47, v47, v51
	s_delay_alu instid0(TRANS32_DEP_1) | instskip(NEXT) | instid1(VALU_DEP_1)
	v_mul_f32_e32 v52, v51, v46
	v_dual_add_f32 v44, v44, v47 :: v_dual_mul_f32 v53, v50, v52
	s_delay_alu instid0(VALU_DEP_1) | instskip(NEXT) | instid1(VALU_DEP_1)
	v_fma_f32 v49, v52, v50, -v53
	v_fmac_f32_e32 v49, v52, v48
	s_delay_alu instid0(VALU_DEP_1) | instskip(NEXT) | instid1(VALU_DEP_1)
	v_add_f32_e32 v54, v53, v49
	v_sub_f32_e32 v55, v51, v54
	v_sub_f32_e32 v47, v54, v53
	s_delay_alu instid0(VALU_DEP_2) | instskip(NEXT) | instid1(VALU_DEP_2)
	v_sub_f32_e32 v51, v51, v55
	v_sub_f32_e32 v47, v47, v49
	s_delay_alu instid0(VALU_DEP_2) | instskip(NEXT) | instid1(VALU_DEP_1)
	v_sub_f32_e32 v51, v51, v54
	v_add_f32_e32 v44, v44, v51
	s_delay_alu instid0(VALU_DEP_1) | instskip(NEXT) | instid1(VALU_DEP_1)
	v_add_f32_e32 v44, v47, v44
	v_add_f32_e32 v47, v55, v44
	s_delay_alu instid0(VALU_DEP_1) | instskip(NEXT) | instid1(VALU_DEP_1)
	v_mul_f32_e32 v49, v46, v47
	v_dual_sub_f32 v54, v55, v47 :: v_dual_mul_f32 v51, v50, v49
	s_delay_alu instid0(VALU_DEP_1) | instskip(NEXT) | instid1(VALU_DEP_2)
	v_add_f32_e32 v44, v44, v54
	v_fma_f32 v50, v49, v50, -v51
	s_delay_alu instid0(VALU_DEP_1) | instskip(NEXT) | instid1(VALU_DEP_1)
	v_fmac_f32_e32 v50, v49, v48
	v_add_f32_e32 v48, v51, v50
	s_delay_alu instid0(VALU_DEP_1) | instskip(SKIP_1) | instid1(VALU_DEP_2)
	v_sub_f32_e32 v53, v47, v48
	v_sub_f32_e32 v51, v48, v51
	;; [unrolled: 1-line block ×3, first 2 shown]
	s_delay_alu instid0(VALU_DEP_1) | instskip(NEXT) | instid1(VALU_DEP_3)
	v_sub_f32_e32 v47, v47, v48
	v_sub_f32_e32 v48, v51, v50
	s_delay_alu instid0(VALU_DEP_2) | instskip(SKIP_1) | instid1(VALU_DEP_2)
	v_add_f32_e32 v44, v44, v47
	v_add_f32_e32 v47, v52, v49
	;; [unrolled: 1-line block ×3, first 2 shown]
	s_delay_alu instid0(VALU_DEP_2) | instskip(NEXT) | instid1(VALU_DEP_2)
	v_sub_f32_e32 v48, v47, v52
	v_add_f32_e32 v44, v53, v44
	s_delay_alu instid0(VALU_DEP_2) | instskip(NEXT) | instid1(VALU_DEP_2)
	v_sub_f32_e32 v48, v49, v48
	v_mul_f32_e32 v44, v46, v44
	s_delay_alu instid0(VALU_DEP_1) | instskip(NEXT) | instid1(VALU_DEP_1)
	v_add_f32_e32 v44, v48, v44
	v_add_f32_e32 v46, v47, v44
	s_delay_alu instid0(VALU_DEP_1) | instskip(SKIP_1) | instid1(VALU_DEP_1)
	v_mul_f32_e32 v48, v46, v46
	s_wait_alu 0xfffe
	v_fmaak_f32 v49, s15, v48, 0x3ecc95a3
	v_mul_f32_e32 v50, v46, v48
	v_cmp_neq_f32_e64 s15, 0x7f800000, v45
	s_delay_alu instid0(VALU_DEP_3) | instskip(SKIP_2) | instid1(VALU_DEP_3)
	v_fmaak_f32 v48, v48, v49, 0x3f2aaada
	v_ldexp_f32 v49, v46, 1
	v_sub_f32_e32 v46, v46, v47
	v_mul_f32_e32 v48, v50, v48
	v_mul_f32_e32 v50, 0x3f317218, v43
	s_delay_alu instid0(VALU_DEP_2) | instskip(NEXT) | instid1(VALU_DEP_1)
	v_dual_sub_f32 v44, v44, v46 :: v_dual_add_f32 v47, v49, v48
	v_ldexp_f32 v44, v44, 1
	s_delay_alu instid0(VALU_DEP_2) | instskip(NEXT) | instid1(VALU_DEP_4)
	v_sub_f32_e32 v46, v47, v49
	v_fma_f32 v49, 0x3f317218, v43, -v50
	s_delay_alu instid0(VALU_DEP_1) | instskip(NEXT) | instid1(VALU_DEP_1)
	v_dual_sub_f32 v46, v48, v46 :: v_dual_fmamk_f32 v43, v43, 0xb102e308, v49
	v_add_f32_e32 v44, v44, v46
	s_delay_alu instid0(VALU_DEP_2) | instskip(NEXT) | instid1(VALU_DEP_2)
	v_add_f32_e32 v46, v50, v43
	v_add_f32_e32 v48, v47, v44
	s_delay_alu instid0(VALU_DEP_2) | instskip(NEXT) | instid1(VALU_DEP_2)
	v_sub_f32_e32 v50, v46, v50
	v_add_f32_e32 v49, v46, v48
	v_sub_f32_e32 v47, v48, v47
	s_delay_alu instid0(VALU_DEP_3) | instskip(NEXT) | instid1(VALU_DEP_2)
	v_sub_f32_e32 v43, v43, v50
	v_dual_sub_f32 v51, v49, v46 :: v_dual_sub_f32 v44, v44, v47
	s_delay_alu instid0(VALU_DEP_1) | instskip(NEXT) | instid1(VALU_DEP_2)
	v_sub_f32_e32 v52, v49, v51
	v_dual_sub_f32 v47, v48, v51 :: v_dual_add_f32 v48, v43, v44
	s_delay_alu instid0(VALU_DEP_2) | instskip(NEXT) | instid1(VALU_DEP_1)
	v_sub_f32_e32 v46, v46, v52
	v_dual_add_f32 v46, v47, v46 :: v_dual_sub_f32 v47, v48, v43
	s_delay_alu instid0(VALU_DEP_1) | instskip(NEXT) | instid1(VALU_DEP_2)
	v_add_f32_e32 v46, v48, v46
	v_sub_f32_e32 v48, v48, v47
	v_sub_f32_e32 v44, v44, v47
	s_delay_alu instid0(VALU_DEP_2) | instskip(NEXT) | instid1(VALU_DEP_1)
	v_dual_add_f32 v50, v49, v46 :: v_dual_sub_f32 v43, v43, v48
	v_sub_f32_e32 v47, v50, v49
	s_delay_alu instid0(VALU_DEP_2) | instskip(NEXT) | instid1(VALU_DEP_2)
	v_add_f32_e32 v43, v44, v43
	v_sub_f32_e32 v44, v46, v47
	s_delay_alu instid0(VALU_DEP_1) | instskip(NEXT) | instid1(VALU_DEP_1)
	v_add_f32_e32 v43, v43, v44
	v_add_f32_e32 v43, v50, v43
	s_wait_alu 0xf1ff
	s_delay_alu instid0(VALU_DEP_1) | instskip(SKIP_2) | instid1(VALU_DEP_1)
	v_cndmask_b32_e64 v43, 0x7f800000, v43, s15
	v_cmp_gt_f32_e64 s15, 0x33800000, |v45|
	s_wait_alu 0xf1ff
	v_cndmask_b32_e64 v43, v43, v45, s15
	s_delay_alu instid0(VALU_DEP_1)
	v_add_f32_e32 v43, v5, v43
.LBB443_58:
	s_or_b32 exec_lo, exec_lo, s22
	ds_load_u16 v5, v2 offset:8
	v_bfe_u32 v44, v43, 16, 1
	v_cmp_o_f32_e64 s15, v43, v43
	s_delay_alu instid0(VALU_DEP_2) | instskip(SKIP_2) | instid1(VALU_DEP_1)
	v_add3_u32 v44, v43, v44, 0x7fff
	s_wait_dscnt 0x0
	v_lshlrev_b32_e32 v5, 16, v5
	v_dual_max_num_f32 v45, v5, v5 :: v_dual_and_b32 v44, 0xffff0000, v44
	s_wait_alu 0xf1ff
	s_delay_alu instid0(VALU_DEP_1) | instskip(NEXT) | instid1(VALU_DEP_1)
	v_cndmask_b32_e64 v43, 0x7fc00000, v44, s15
	v_max_num_f32_e32 v44, v43, v43
	v_cmp_u_f32_e64 s15, v43, v43
	s_delay_alu instid0(VALU_DEP_2) | instskip(SKIP_2) | instid1(VALU_DEP_2)
	v_min_num_f32_e32 v46, v44, v45
	v_max_num_f32_e32 v44, v44, v45
	s_wait_alu 0xf1ff
	v_cndmask_b32_e64 v45, v46, v43, s15
	s_delay_alu instid0(VALU_DEP_2) | instskip(SKIP_2) | instid1(VALU_DEP_1)
	v_cndmask_b32_e64 v46, v44, v43, s15
	v_cmp_u_f32_e64 s15, v5, v5
	s_wait_alu 0xf1ff
	v_cndmask_b32_e64 v44, v45, v5, s15
	s_delay_alu instid0(VALU_DEP_3) | instskip(NEXT) | instid1(VALU_DEP_2)
	v_cndmask_b32_e64 v5, v46, v5, s15
	v_cmp_class_f32_e64 s22, v44, 0x1f8
	s_delay_alu instid0(VALU_DEP_2)
	v_cmp_neq_f32_e64 s15, v44, v5
	s_or_b32 s15, s15, s22
	s_wait_alu 0xfffe
	s_and_saveexec_b32 s22, s15
	s_cbranch_execz .LBB443_60
; %bb.59:
	v_sub_f32_e32 v43, v44, v5
	s_delay_alu instid0(VALU_DEP_1) | instskip(SKIP_1) | instid1(VALU_DEP_2)
	v_mul_f32_e32 v44, 0x3fb8aa3b, v43
	v_cmp_ngt_f32_e64 s15, 0xc2ce8ed0, v43
	v_fma_f32 v45, 0x3fb8aa3b, v43, -v44
	v_rndne_f32_e32 v46, v44
	s_delay_alu instid0(VALU_DEP_1) | instskip(NEXT) | instid1(VALU_DEP_1)
	v_dual_fmamk_f32 v45, v43, 0x32a5705f, v45 :: v_dual_sub_f32 v44, v44, v46
	v_add_f32_e32 v44, v44, v45
	v_cvt_i32_f32_e32 v45, v46
	s_delay_alu instid0(VALU_DEP_2) | instskip(NEXT) | instid1(TRANS32_DEP_1)
	v_exp_f32_e32 v44, v44
	v_ldexp_f32 v44, v44, v45
	s_wait_alu 0xf1ff
	s_delay_alu instid0(VALU_DEP_1) | instskip(SKIP_2) | instid1(VALU_DEP_1)
	v_cndmask_b32_e64 v44, 0, v44, s15
	v_cmp_nlt_f32_e64 s15, 0x42b17218, v43
	s_wait_alu 0xf1ff
	v_cndmask_b32_e64 v45, 0x7f800000, v44, s15
	s_delay_alu instid0(VALU_DEP_1) | instskip(NEXT) | instid1(VALU_DEP_1)
	v_add_f32_e32 v46, 1.0, v45
	v_cvt_f64_f32_e32 v[43:44], v46
	s_delay_alu instid0(VALU_DEP_1) | instskip(SKIP_1) | instid1(VALU_DEP_1)
	v_frexp_exp_i32_f64_e32 v43, v[43:44]
	v_frexp_mant_f32_e32 v44, v46
	v_cmp_gt_f32_e64 s15, 0x3f2aaaab, v44
	v_add_f32_e32 v44, -1.0, v46
	s_delay_alu instid0(VALU_DEP_1)
	v_sub_f32_e32 v48, v44, v46
	v_sub_f32_e32 v44, v45, v44
	s_wait_alu 0xf1ff
	v_subrev_co_ci_u32_e64 v43, null, 0, v43, s15
	s_mov_b32 s15, 0x3e9b6dac
	v_sub_nc_u32_e32 v47, 0, v43
	v_cvt_f32_i32_e32 v43, v43
	s_delay_alu instid0(VALU_DEP_2) | instskip(NEXT) | instid1(VALU_DEP_1)
	v_ldexp_f32 v46, v46, v47
	v_dual_add_f32 v49, 1.0, v46 :: v_dual_add_f32 v48, 1.0, v48
	s_delay_alu instid0(VALU_DEP_1) | instskip(NEXT) | instid1(VALU_DEP_2)
	v_add_f32_e32 v44, v44, v48
	v_add_f32_e32 v48, -1.0, v49
	s_delay_alu instid0(VALU_DEP_2) | instskip(NEXT) | instid1(VALU_DEP_2)
	v_ldexp_f32 v44, v44, v47
	v_dual_add_f32 v47, -1.0, v46 :: v_dual_sub_f32 v48, v46, v48
	s_delay_alu instid0(VALU_DEP_1) | instskip(NEXT) | instid1(VALU_DEP_2)
	v_add_f32_e32 v50, 1.0, v47
	v_add_f32_e32 v48, v44, v48
	s_delay_alu instid0(VALU_DEP_2) | instskip(NEXT) | instid1(VALU_DEP_2)
	v_sub_f32_e32 v46, v46, v50
	v_add_f32_e32 v50, v49, v48
	s_delay_alu instid0(VALU_DEP_2) | instskip(NEXT) | instid1(VALU_DEP_2)
	v_add_f32_e32 v44, v44, v46
	v_rcp_f32_e32 v46, v50
	v_sub_f32_e32 v49, v49, v50
	s_delay_alu instid0(VALU_DEP_1) | instskip(NEXT) | instid1(VALU_DEP_1)
	v_dual_add_f32 v51, v47, v44 :: v_dual_add_f32 v48, v48, v49
	v_sub_f32_e32 v47, v47, v51
	s_delay_alu instid0(TRANS32_DEP_1) | instskip(NEXT) | instid1(VALU_DEP_1)
	v_mul_f32_e32 v52, v51, v46
	v_dual_add_f32 v44, v44, v47 :: v_dual_mul_f32 v53, v50, v52
	s_delay_alu instid0(VALU_DEP_1) | instskip(NEXT) | instid1(VALU_DEP_1)
	v_fma_f32 v49, v52, v50, -v53
	v_fmac_f32_e32 v49, v52, v48
	s_delay_alu instid0(VALU_DEP_1) | instskip(NEXT) | instid1(VALU_DEP_1)
	v_add_f32_e32 v54, v53, v49
	v_sub_f32_e32 v55, v51, v54
	v_sub_f32_e32 v47, v54, v53
	s_delay_alu instid0(VALU_DEP_2) | instskip(NEXT) | instid1(VALU_DEP_2)
	v_sub_f32_e32 v51, v51, v55
	v_sub_f32_e32 v47, v47, v49
	s_delay_alu instid0(VALU_DEP_2) | instskip(NEXT) | instid1(VALU_DEP_1)
	v_sub_f32_e32 v51, v51, v54
	v_add_f32_e32 v44, v44, v51
	s_delay_alu instid0(VALU_DEP_1) | instskip(NEXT) | instid1(VALU_DEP_1)
	v_add_f32_e32 v44, v47, v44
	v_add_f32_e32 v47, v55, v44
	s_delay_alu instid0(VALU_DEP_1) | instskip(NEXT) | instid1(VALU_DEP_1)
	v_mul_f32_e32 v49, v46, v47
	v_dual_sub_f32 v54, v55, v47 :: v_dual_mul_f32 v51, v50, v49
	s_delay_alu instid0(VALU_DEP_1) | instskip(NEXT) | instid1(VALU_DEP_2)
	v_add_f32_e32 v44, v44, v54
	v_fma_f32 v50, v49, v50, -v51
	s_delay_alu instid0(VALU_DEP_1) | instskip(NEXT) | instid1(VALU_DEP_1)
	v_fmac_f32_e32 v50, v49, v48
	v_add_f32_e32 v48, v51, v50
	s_delay_alu instid0(VALU_DEP_1) | instskip(SKIP_1) | instid1(VALU_DEP_2)
	v_sub_f32_e32 v53, v47, v48
	v_sub_f32_e32 v51, v48, v51
	;; [unrolled: 1-line block ×3, first 2 shown]
	s_delay_alu instid0(VALU_DEP_1) | instskip(NEXT) | instid1(VALU_DEP_3)
	v_sub_f32_e32 v47, v47, v48
	v_sub_f32_e32 v48, v51, v50
	s_delay_alu instid0(VALU_DEP_2) | instskip(SKIP_1) | instid1(VALU_DEP_2)
	v_add_f32_e32 v44, v44, v47
	v_add_f32_e32 v47, v52, v49
	;; [unrolled: 1-line block ×3, first 2 shown]
	s_delay_alu instid0(VALU_DEP_2) | instskip(NEXT) | instid1(VALU_DEP_2)
	v_sub_f32_e32 v48, v47, v52
	v_add_f32_e32 v44, v53, v44
	s_delay_alu instid0(VALU_DEP_2) | instskip(NEXT) | instid1(VALU_DEP_2)
	v_sub_f32_e32 v48, v49, v48
	v_mul_f32_e32 v44, v46, v44
	s_delay_alu instid0(VALU_DEP_1) | instskip(NEXT) | instid1(VALU_DEP_1)
	v_add_f32_e32 v44, v48, v44
	v_add_f32_e32 v46, v47, v44
	s_delay_alu instid0(VALU_DEP_1) | instskip(SKIP_1) | instid1(VALU_DEP_1)
	v_mul_f32_e32 v48, v46, v46
	s_wait_alu 0xfffe
	v_fmaak_f32 v49, s15, v48, 0x3ecc95a3
	v_mul_f32_e32 v50, v46, v48
	v_cmp_neq_f32_e64 s15, 0x7f800000, v45
	s_delay_alu instid0(VALU_DEP_3) | instskip(SKIP_2) | instid1(VALU_DEP_3)
	v_fmaak_f32 v48, v48, v49, 0x3f2aaada
	v_ldexp_f32 v49, v46, 1
	v_sub_f32_e32 v46, v46, v47
	v_mul_f32_e32 v48, v50, v48
	v_mul_f32_e32 v50, 0x3f317218, v43
	s_delay_alu instid0(VALU_DEP_2) | instskip(NEXT) | instid1(VALU_DEP_1)
	v_dual_sub_f32 v44, v44, v46 :: v_dual_add_f32 v47, v49, v48
	v_ldexp_f32 v44, v44, 1
	s_delay_alu instid0(VALU_DEP_2) | instskip(NEXT) | instid1(VALU_DEP_4)
	v_sub_f32_e32 v46, v47, v49
	v_fma_f32 v49, 0x3f317218, v43, -v50
	s_delay_alu instid0(VALU_DEP_1) | instskip(NEXT) | instid1(VALU_DEP_1)
	v_dual_sub_f32 v46, v48, v46 :: v_dual_fmamk_f32 v43, v43, 0xb102e308, v49
	v_add_f32_e32 v44, v44, v46
	s_delay_alu instid0(VALU_DEP_2) | instskip(NEXT) | instid1(VALU_DEP_2)
	v_add_f32_e32 v46, v50, v43
	v_add_f32_e32 v48, v47, v44
	s_delay_alu instid0(VALU_DEP_2) | instskip(NEXT) | instid1(VALU_DEP_2)
	v_sub_f32_e32 v50, v46, v50
	v_add_f32_e32 v49, v46, v48
	v_sub_f32_e32 v47, v48, v47
	s_delay_alu instid0(VALU_DEP_3) | instskip(NEXT) | instid1(VALU_DEP_2)
	v_sub_f32_e32 v43, v43, v50
	v_dual_sub_f32 v51, v49, v46 :: v_dual_sub_f32 v44, v44, v47
	s_delay_alu instid0(VALU_DEP_1) | instskip(NEXT) | instid1(VALU_DEP_2)
	v_sub_f32_e32 v52, v49, v51
	v_dual_sub_f32 v47, v48, v51 :: v_dual_add_f32 v48, v43, v44
	s_delay_alu instid0(VALU_DEP_2) | instskip(NEXT) | instid1(VALU_DEP_1)
	v_sub_f32_e32 v46, v46, v52
	v_dual_add_f32 v46, v47, v46 :: v_dual_sub_f32 v47, v48, v43
	s_delay_alu instid0(VALU_DEP_1) | instskip(NEXT) | instid1(VALU_DEP_2)
	v_add_f32_e32 v46, v48, v46
	v_sub_f32_e32 v48, v48, v47
	v_sub_f32_e32 v44, v44, v47
	s_delay_alu instid0(VALU_DEP_2) | instskip(NEXT) | instid1(VALU_DEP_1)
	v_dual_add_f32 v50, v49, v46 :: v_dual_sub_f32 v43, v43, v48
	v_sub_f32_e32 v47, v50, v49
	s_delay_alu instid0(VALU_DEP_2) | instskip(NEXT) | instid1(VALU_DEP_2)
	v_add_f32_e32 v43, v44, v43
	v_sub_f32_e32 v44, v46, v47
	s_delay_alu instid0(VALU_DEP_1) | instskip(NEXT) | instid1(VALU_DEP_1)
	v_add_f32_e32 v43, v43, v44
	v_add_f32_e32 v43, v50, v43
	s_wait_alu 0xf1ff
	s_delay_alu instid0(VALU_DEP_1) | instskip(SKIP_2) | instid1(VALU_DEP_1)
	v_cndmask_b32_e64 v43, 0x7f800000, v43, s15
	v_cmp_gt_f32_e64 s15, 0x33800000, |v45|
	s_wait_alu 0xf1ff
	v_cndmask_b32_e64 v43, v43, v45, s15
	s_delay_alu instid0(VALU_DEP_1)
	v_add_f32_e32 v43, v5, v43
.LBB443_60:
	s_or_b32 exec_lo, exec_lo, s22
	ds_load_u16 v5, v2 offset:10
	v_bfe_u32 v44, v43, 16, 1
	v_cmp_o_f32_e64 s15, v43, v43
	s_delay_alu instid0(VALU_DEP_2) | instskip(SKIP_2) | instid1(VALU_DEP_1)
	v_add3_u32 v44, v43, v44, 0x7fff
	s_wait_dscnt 0x0
	v_lshlrev_b32_e32 v5, 16, v5
	v_dual_max_num_f32 v45, v5, v5 :: v_dual_and_b32 v44, 0xffff0000, v44
	s_wait_alu 0xf1ff
	s_delay_alu instid0(VALU_DEP_1) | instskip(NEXT) | instid1(VALU_DEP_1)
	v_cndmask_b32_e64 v43, 0x7fc00000, v44, s15
	v_max_num_f32_e32 v44, v43, v43
	v_cmp_u_f32_e64 s15, v43, v43
	s_delay_alu instid0(VALU_DEP_2) | instskip(SKIP_2) | instid1(VALU_DEP_2)
	v_min_num_f32_e32 v46, v44, v45
	v_max_num_f32_e32 v44, v44, v45
	s_wait_alu 0xf1ff
	v_cndmask_b32_e64 v45, v46, v43, s15
	s_delay_alu instid0(VALU_DEP_2) | instskip(SKIP_2) | instid1(VALU_DEP_1)
	v_cndmask_b32_e64 v46, v44, v43, s15
	v_cmp_u_f32_e64 s15, v5, v5
	s_wait_alu 0xf1ff
	v_cndmask_b32_e64 v44, v45, v5, s15
	s_delay_alu instid0(VALU_DEP_3) | instskip(NEXT) | instid1(VALU_DEP_2)
	v_cndmask_b32_e64 v5, v46, v5, s15
	v_cmp_class_f32_e64 s22, v44, 0x1f8
	s_delay_alu instid0(VALU_DEP_2)
	v_cmp_neq_f32_e64 s15, v44, v5
	s_or_b32 s15, s15, s22
	s_wait_alu 0xfffe
	s_and_saveexec_b32 s22, s15
	s_cbranch_execz .LBB443_62
; %bb.61:
	v_sub_f32_e32 v43, v44, v5
	s_delay_alu instid0(VALU_DEP_1) | instskip(SKIP_1) | instid1(VALU_DEP_2)
	v_mul_f32_e32 v44, 0x3fb8aa3b, v43
	v_cmp_ngt_f32_e64 s15, 0xc2ce8ed0, v43
	v_fma_f32 v45, 0x3fb8aa3b, v43, -v44
	v_rndne_f32_e32 v46, v44
	s_delay_alu instid0(VALU_DEP_1) | instskip(NEXT) | instid1(VALU_DEP_1)
	v_dual_fmamk_f32 v45, v43, 0x32a5705f, v45 :: v_dual_sub_f32 v44, v44, v46
	v_add_f32_e32 v44, v44, v45
	v_cvt_i32_f32_e32 v45, v46
	s_delay_alu instid0(VALU_DEP_2) | instskip(NEXT) | instid1(TRANS32_DEP_1)
	v_exp_f32_e32 v44, v44
	v_ldexp_f32 v44, v44, v45
	s_wait_alu 0xf1ff
	s_delay_alu instid0(VALU_DEP_1) | instskip(SKIP_2) | instid1(VALU_DEP_1)
	v_cndmask_b32_e64 v44, 0, v44, s15
	v_cmp_nlt_f32_e64 s15, 0x42b17218, v43
	s_wait_alu 0xf1ff
	v_cndmask_b32_e64 v45, 0x7f800000, v44, s15
	s_delay_alu instid0(VALU_DEP_1) | instskip(NEXT) | instid1(VALU_DEP_1)
	v_add_f32_e32 v46, 1.0, v45
	v_cvt_f64_f32_e32 v[43:44], v46
	s_delay_alu instid0(VALU_DEP_1) | instskip(SKIP_1) | instid1(VALU_DEP_1)
	v_frexp_exp_i32_f64_e32 v43, v[43:44]
	v_frexp_mant_f32_e32 v44, v46
	v_cmp_gt_f32_e64 s15, 0x3f2aaaab, v44
	v_add_f32_e32 v44, -1.0, v46
	s_delay_alu instid0(VALU_DEP_1)
	v_sub_f32_e32 v48, v44, v46
	v_sub_f32_e32 v44, v45, v44
	s_wait_alu 0xf1ff
	v_subrev_co_ci_u32_e64 v43, null, 0, v43, s15
	s_mov_b32 s15, 0x3e9b6dac
	v_sub_nc_u32_e32 v47, 0, v43
	v_cvt_f32_i32_e32 v43, v43
	s_delay_alu instid0(VALU_DEP_2) | instskip(NEXT) | instid1(VALU_DEP_1)
	v_ldexp_f32 v46, v46, v47
	v_dual_add_f32 v49, 1.0, v46 :: v_dual_add_f32 v48, 1.0, v48
	s_delay_alu instid0(VALU_DEP_1) | instskip(NEXT) | instid1(VALU_DEP_2)
	v_add_f32_e32 v44, v44, v48
	v_add_f32_e32 v48, -1.0, v49
	s_delay_alu instid0(VALU_DEP_2) | instskip(NEXT) | instid1(VALU_DEP_2)
	v_ldexp_f32 v44, v44, v47
	v_dual_add_f32 v47, -1.0, v46 :: v_dual_sub_f32 v48, v46, v48
	s_delay_alu instid0(VALU_DEP_1) | instskip(NEXT) | instid1(VALU_DEP_2)
	v_add_f32_e32 v50, 1.0, v47
	v_add_f32_e32 v48, v44, v48
	s_delay_alu instid0(VALU_DEP_2) | instskip(NEXT) | instid1(VALU_DEP_2)
	v_sub_f32_e32 v46, v46, v50
	v_add_f32_e32 v50, v49, v48
	s_delay_alu instid0(VALU_DEP_2) | instskip(NEXT) | instid1(VALU_DEP_2)
	v_add_f32_e32 v44, v44, v46
	v_rcp_f32_e32 v46, v50
	v_sub_f32_e32 v49, v49, v50
	s_delay_alu instid0(VALU_DEP_1) | instskip(NEXT) | instid1(VALU_DEP_1)
	v_dual_add_f32 v51, v47, v44 :: v_dual_add_f32 v48, v48, v49
	v_sub_f32_e32 v47, v47, v51
	s_delay_alu instid0(TRANS32_DEP_1) | instskip(NEXT) | instid1(VALU_DEP_1)
	v_mul_f32_e32 v52, v51, v46
	v_dual_add_f32 v44, v44, v47 :: v_dual_mul_f32 v53, v50, v52
	s_delay_alu instid0(VALU_DEP_1) | instskip(NEXT) | instid1(VALU_DEP_1)
	v_fma_f32 v49, v52, v50, -v53
	v_fmac_f32_e32 v49, v52, v48
	s_delay_alu instid0(VALU_DEP_1) | instskip(NEXT) | instid1(VALU_DEP_1)
	v_add_f32_e32 v54, v53, v49
	v_sub_f32_e32 v55, v51, v54
	v_sub_f32_e32 v47, v54, v53
	s_delay_alu instid0(VALU_DEP_2) | instskip(NEXT) | instid1(VALU_DEP_2)
	v_sub_f32_e32 v51, v51, v55
	v_sub_f32_e32 v47, v47, v49
	s_delay_alu instid0(VALU_DEP_2) | instskip(NEXT) | instid1(VALU_DEP_1)
	v_sub_f32_e32 v51, v51, v54
	v_add_f32_e32 v44, v44, v51
	s_delay_alu instid0(VALU_DEP_1) | instskip(NEXT) | instid1(VALU_DEP_1)
	v_add_f32_e32 v44, v47, v44
	v_add_f32_e32 v47, v55, v44
	s_delay_alu instid0(VALU_DEP_1) | instskip(NEXT) | instid1(VALU_DEP_1)
	v_mul_f32_e32 v49, v46, v47
	v_dual_sub_f32 v54, v55, v47 :: v_dual_mul_f32 v51, v50, v49
	s_delay_alu instid0(VALU_DEP_1) | instskip(NEXT) | instid1(VALU_DEP_2)
	v_add_f32_e32 v44, v44, v54
	v_fma_f32 v50, v49, v50, -v51
	s_delay_alu instid0(VALU_DEP_1) | instskip(NEXT) | instid1(VALU_DEP_1)
	v_fmac_f32_e32 v50, v49, v48
	v_add_f32_e32 v48, v51, v50
	s_delay_alu instid0(VALU_DEP_1) | instskip(SKIP_1) | instid1(VALU_DEP_2)
	v_sub_f32_e32 v53, v47, v48
	v_sub_f32_e32 v51, v48, v51
	;; [unrolled: 1-line block ×3, first 2 shown]
	s_delay_alu instid0(VALU_DEP_1) | instskip(NEXT) | instid1(VALU_DEP_3)
	v_sub_f32_e32 v47, v47, v48
	v_sub_f32_e32 v48, v51, v50
	s_delay_alu instid0(VALU_DEP_2) | instskip(SKIP_1) | instid1(VALU_DEP_2)
	v_add_f32_e32 v44, v44, v47
	v_add_f32_e32 v47, v52, v49
	;; [unrolled: 1-line block ×3, first 2 shown]
	s_delay_alu instid0(VALU_DEP_2) | instskip(NEXT) | instid1(VALU_DEP_2)
	v_sub_f32_e32 v48, v47, v52
	v_add_f32_e32 v44, v53, v44
	s_delay_alu instid0(VALU_DEP_2) | instskip(NEXT) | instid1(VALU_DEP_2)
	v_sub_f32_e32 v48, v49, v48
	v_mul_f32_e32 v44, v46, v44
	s_delay_alu instid0(VALU_DEP_1) | instskip(NEXT) | instid1(VALU_DEP_1)
	v_add_f32_e32 v44, v48, v44
	v_add_f32_e32 v46, v47, v44
	s_delay_alu instid0(VALU_DEP_1) | instskip(SKIP_1) | instid1(VALU_DEP_1)
	v_mul_f32_e32 v48, v46, v46
	s_wait_alu 0xfffe
	v_fmaak_f32 v49, s15, v48, 0x3ecc95a3
	v_mul_f32_e32 v50, v46, v48
	v_cmp_neq_f32_e64 s15, 0x7f800000, v45
	s_delay_alu instid0(VALU_DEP_3) | instskip(SKIP_2) | instid1(VALU_DEP_3)
	v_fmaak_f32 v48, v48, v49, 0x3f2aaada
	v_ldexp_f32 v49, v46, 1
	v_sub_f32_e32 v46, v46, v47
	v_mul_f32_e32 v48, v50, v48
	v_mul_f32_e32 v50, 0x3f317218, v43
	s_delay_alu instid0(VALU_DEP_2) | instskip(NEXT) | instid1(VALU_DEP_1)
	v_dual_sub_f32 v44, v44, v46 :: v_dual_add_f32 v47, v49, v48
	v_ldexp_f32 v44, v44, 1
	s_delay_alu instid0(VALU_DEP_2) | instskip(NEXT) | instid1(VALU_DEP_4)
	v_sub_f32_e32 v46, v47, v49
	v_fma_f32 v49, 0x3f317218, v43, -v50
	s_delay_alu instid0(VALU_DEP_1) | instskip(NEXT) | instid1(VALU_DEP_1)
	v_dual_sub_f32 v46, v48, v46 :: v_dual_fmamk_f32 v43, v43, 0xb102e308, v49
	v_add_f32_e32 v44, v44, v46
	s_delay_alu instid0(VALU_DEP_2) | instskip(NEXT) | instid1(VALU_DEP_2)
	v_add_f32_e32 v46, v50, v43
	v_add_f32_e32 v48, v47, v44
	s_delay_alu instid0(VALU_DEP_2) | instskip(NEXT) | instid1(VALU_DEP_2)
	v_sub_f32_e32 v50, v46, v50
	v_add_f32_e32 v49, v46, v48
	v_sub_f32_e32 v47, v48, v47
	s_delay_alu instid0(VALU_DEP_3) | instskip(NEXT) | instid1(VALU_DEP_2)
	v_sub_f32_e32 v43, v43, v50
	v_dual_sub_f32 v51, v49, v46 :: v_dual_sub_f32 v44, v44, v47
	s_delay_alu instid0(VALU_DEP_1) | instskip(NEXT) | instid1(VALU_DEP_2)
	v_sub_f32_e32 v52, v49, v51
	v_dual_sub_f32 v47, v48, v51 :: v_dual_add_f32 v48, v43, v44
	s_delay_alu instid0(VALU_DEP_2) | instskip(NEXT) | instid1(VALU_DEP_1)
	v_sub_f32_e32 v46, v46, v52
	v_dual_add_f32 v46, v47, v46 :: v_dual_sub_f32 v47, v48, v43
	s_delay_alu instid0(VALU_DEP_1) | instskip(NEXT) | instid1(VALU_DEP_2)
	v_add_f32_e32 v46, v48, v46
	v_sub_f32_e32 v48, v48, v47
	v_sub_f32_e32 v44, v44, v47
	s_delay_alu instid0(VALU_DEP_2) | instskip(NEXT) | instid1(VALU_DEP_1)
	v_dual_add_f32 v50, v49, v46 :: v_dual_sub_f32 v43, v43, v48
	v_sub_f32_e32 v47, v50, v49
	s_delay_alu instid0(VALU_DEP_2) | instskip(NEXT) | instid1(VALU_DEP_2)
	v_add_f32_e32 v43, v44, v43
	v_sub_f32_e32 v44, v46, v47
	s_delay_alu instid0(VALU_DEP_1) | instskip(NEXT) | instid1(VALU_DEP_1)
	v_add_f32_e32 v43, v43, v44
	v_add_f32_e32 v43, v50, v43
	s_wait_alu 0xf1ff
	s_delay_alu instid0(VALU_DEP_1) | instskip(SKIP_2) | instid1(VALU_DEP_1)
	v_cndmask_b32_e64 v43, 0x7f800000, v43, s15
	v_cmp_gt_f32_e64 s15, 0x33800000, |v45|
	s_wait_alu 0xf1ff
	v_cndmask_b32_e64 v43, v43, v45, s15
	s_delay_alu instid0(VALU_DEP_1)
	v_add_f32_e32 v43, v5, v43
.LBB443_62:
	s_or_b32 exec_lo, exec_lo, s22
	ds_load_u16 v5, v2 offset:12
	v_bfe_u32 v44, v43, 16, 1
	v_cmp_o_f32_e64 s15, v43, v43
	s_delay_alu instid0(VALU_DEP_2) | instskip(SKIP_2) | instid1(VALU_DEP_1)
	v_add3_u32 v44, v43, v44, 0x7fff
	s_wait_dscnt 0x0
	v_lshlrev_b32_e32 v5, 16, v5
	v_dual_max_num_f32 v45, v5, v5 :: v_dual_and_b32 v44, 0xffff0000, v44
	s_wait_alu 0xf1ff
	s_delay_alu instid0(VALU_DEP_1) | instskip(NEXT) | instid1(VALU_DEP_1)
	v_cndmask_b32_e64 v43, 0x7fc00000, v44, s15
	v_max_num_f32_e32 v44, v43, v43
	v_cmp_u_f32_e64 s15, v43, v43
	s_delay_alu instid0(VALU_DEP_2) | instskip(SKIP_2) | instid1(VALU_DEP_2)
	v_min_num_f32_e32 v46, v44, v45
	v_max_num_f32_e32 v44, v44, v45
	s_wait_alu 0xf1ff
	v_cndmask_b32_e64 v45, v46, v43, s15
	s_delay_alu instid0(VALU_DEP_2) | instskip(SKIP_2) | instid1(VALU_DEP_1)
	v_cndmask_b32_e64 v46, v44, v43, s15
	v_cmp_u_f32_e64 s15, v5, v5
	s_wait_alu 0xf1ff
	v_cndmask_b32_e64 v44, v45, v5, s15
	s_delay_alu instid0(VALU_DEP_3) | instskip(NEXT) | instid1(VALU_DEP_2)
	v_cndmask_b32_e64 v5, v46, v5, s15
	v_cmp_class_f32_e64 s22, v44, 0x1f8
	s_delay_alu instid0(VALU_DEP_2)
	v_cmp_neq_f32_e64 s15, v44, v5
	s_or_b32 s15, s15, s22
	s_wait_alu 0xfffe
	s_and_saveexec_b32 s22, s15
	s_cbranch_execz .LBB443_64
; %bb.63:
	v_sub_f32_e32 v43, v44, v5
	s_delay_alu instid0(VALU_DEP_1) | instskip(SKIP_1) | instid1(VALU_DEP_2)
	v_mul_f32_e32 v44, 0x3fb8aa3b, v43
	v_cmp_ngt_f32_e64 s15, 0xc2ce8ed0, v43
	v_fma_f32 v45, 0x3fb8aa3b, v43, -v44
	v_rndne_f32_e32 v46, v44
	s_delay_alu instid0(VALU_DEP_1) | instskip(NEXT) | instid1(VALU_DEP_1)
	v_dual_fmamk_f32 v45, v43, 0x32a5705f, v45 :: v_dual_sub_f32 v44, v44, v46
	v_add_f32_e32 v44, v44, v45
	v_cvt_i32_f32_e32 v45, v46
	s_delay_alu instid0(VALU_DEP_2) | instskip(NEXT) | instid1(TRANS32_DEP_1)
	v_exp_f32_e32 v44, v44
	v_ldexp_f32 v44, v44, v45
	s_wait_alu 0xf1ff
	s_delay_alu instid0(VALU_DEP_1) | instskip(SKIP_2) | instid1(VALU_DEP_1)
	v_cndmask_b32_e64 v44, 0, v44, s15
	v_cmp_nlt_f32_e64 s15, 0x42b17218, v43
	s_wait_alu 0xf1ff
	v_cndmask_b32_e64 v45, 0x7f800000, v44, s15
	s_delay_alu instid0(VALU_DEP_1) | instskip(NEXT) | instid1(VALU_DEP_1)
	v_add_f32_e32 v46, 1.0, v45
	v_cvt_f64_f32_e32 v[43:44], v46
	s_delay_alu instid0(VALU_DEP_1) | instskip(SKIP_1) | instid1(VALU_DEP_1)
	v_frexp_exp_i32_f64_e32 v43, v[43:44]
	v_frexp_mant_f32_e32 v44, v46
	v_cmp_gt_f32_e64 s15, 0x3f2aaaab, v44
	v_add_f32_e32 v44, -1.0, v46
	s_delay_alu instid0(VALU_DEP_1)
	v_sub_f32_e32 v48, v44, v46
	v_sub_f32_e32 v44, v45, v44
	s_wait_alu 0xf1ff
	v_subrev_co_ci_u32_e64 v43, null, 0, v43, s15
	s_mov_b32 s15, 0x3e9b6dac
	v_sub_nc_u32_e32 v47, 0, v43
	v_cvt_f32_i32_e32 v43, v43
	s_delay_alu instid0(VALU_DEP_2) | instskip(NEXT) | instid1(VALU_DEP_1)
	v_ldexp_f32 v46, v46, v47
	v_dual_add_f32 v49, 1.0, v46 :: v_dual_add_f32 v48, 1.0, v48
	s_delay_alu instid0(VALU_DEP_1) | instskip(NEXT) | instid1(VALU_DEP_2)
	v_add_f32_e32 v44, v44, v48
	v_add_f32_e32 v48, -1.0, v49
	s_delay_alu instid0(VALU_DEP_2) | instskip(NEXT) | instid1(VALU_DEP_2)
	v_ldexp_f32 v44, v44, v47
	v_dual_add_f32 v47, -1.0, v46 :: v_dual_sub_f32 v48, v46, v48
	s_delay_alu instid0(VALU_DEP_1) | instskip(NEXT) | instid1(VALU_DEP_2)
	v_add_f32_e32 v50, 1.0, v47
	v_add_f32_e32 v48, v44, v48
	s_delay_alu instid0(VALU_DEP_2) | instskip(NEXT) | instid1(VALU_DEP_2)
	v_sub_f32_e32 v46, v46, v50
	v_add_f32_e32 v50, v49, v48
	s_delay_alu instid0(VALU_DEP_2) | instskip(NEXT) | instid1(VALU_DEP_2)
	v_add_f32_e32 v44, v44, v46
	v_rcp_f32_e32 v46, v50
	v_sub_f32_e32 v49, v49, v50
	s_delay_alu instid0(VALU_DEP_1) | instskip(NEXT) | instid1(VALU_DEP_1)
	v_dual_add_f32 v51, v47, v44 :: v_dual_add_f32 v48, v48, v49
	v_sub_f32_e32 v47, v47, v51
	s_delay_alu instid0(TRANS32_DEP_1) | instskip(NEXT) | instid1(VALU_DEP_1)
	v_mul_f32_e32 v52, v51, v46
	v_dual_add_f32 v44, v44, v47 :: v_dual_mul_f32 v53, v50, v52
	s_delay_alu instid0(VALU_DEP_1) | instskip(NEXT) | instid1(VALU_DEP_1)
	v_fma_f32 v49, v52, v50, -v53
	v_fmac_f32_e32 v49, v52, v48
	s_delay_alu instid0(VALU_DEP_1) | instskip(NEXT) | instid1(VALU_DEP_1)
	v_add_f32_e32 v54, v53, v49
	v_sub_f32_e32 v55, v51, v54
	v_sub_f32_e32 v47, v54, v53
	s_delay_alu instid0(VALU_DEP_2) | instskip(NEXT) | instid1(VALU_DEP_2)
	v_sub_f32_e32 v51, v51, v55
	v_sub_f32_e32 v47, v47, v49
	s_delay_alu instid0(VALU_DEP_2) | instskip(NEXT) | instid1(VALU_DEP_1)
	v_sub_f32_e32 v51, v51, v54
	v_add_f32_e32 v44, v44, v51
	s_delay_alu instid0(VALU_DEP_1) | instskip(NEXT) | instid1(VALU_DEP_1)
	v_add_f32_e32 v44, v47, v44
	v_add_f32_e32 v47, v55, v44
	s_delay_alu instid0(VALU_DEP_1) | instskip(NEXT) | instid1(VALU_DEP_1)
	v_mul_f32_e32 v49, v46, v47
	v_dual_sub_f32 v54, v55, v47 :: v_dual_mul_f32 v51, v50, v49
	s_delay_alu instid0(VALU_DEP_1) | instskip(NEXT) | instid1(VALU_DEP_2)
	v_add_f32_e32 v44, v44, v54
	v_fma_f32 v50, v49, v50, -v51
	s_delay_alu instid0(VALU_DEP_1) | instskip(NEXT) | instid1(VALU_DEP_1)
	v_fmac_f32_e32 v50, v49, v48
	v_add_f32_e32 v48, v51, v50
	s_delay_alu instid0(VALU_DEP_1) | instskip(SKIP_1) | instid1(VALU_DEP_2)
	v_sub_f32_e32 v53, v47, v48
	v_sub_f32_e32 v51, v48, v51
	;; [unrolled: 1-line block ×3, first 2 shown]
	s_delay_alu instid0(VALU_DEP_1) | instskip(NEXT) | instid1(VALU_DEP_3)
	v_sub_f32_e32 v47, v47, v48
	v_sub_f32_e32 v48, v51, v50
	s_delay_alu instid0(VALU_DEP_2) | instskip(SKIP_1) | instid1(VALU_DEP_2)
	v_add_f32_e32 v44, v44, v47
	v_add_f32_e32 v47, v52, v49
	;; [unrolled: 1-line block ×3, first 2 shown]
	s_delay_alu instid0(VALU_DEP_2) | instskip(NEXT) | instid1(VALU_DEP_2)
	v_sub_f32_e32 v48, v47, v52
	v_add_f32_e32 v44, v53, v44
	s_delay_alu instid0(VALU_DEP_2) | instskip(NEXT) | instid1(VALU_DEP_2)
	v_sub_f32_e32 v48, v49, v48
	v_mul_f32_e32 v44, v46, v44
	s_delay_alu instid0(VALU_DEP_1) | instskip(NEXT) | instid1(VALU_DEP_1)
	v_add_f32_e32 v44, v48, v44
	v_add_f32_e32 v46, v47, v44
	s_delay_alu instid0(VALU_DEP_1) | instskip(SKIP_1) | instid1(VALU_DEP_1)
	v_mul_f32_e32 v48, v46, v46
	s_wait_alu 0xfffe
	v_fmaak_f32 v49, s15, v48, 0x3ecc95a3
	v_mul_f32_e32 v50, v46, v48
	v_cmp_neq_f32_e64 s15, 0x7f800000, v45
	s_delay_alu instid0(VALU_DEP_3) | instskip(SKIP_2) | instid1(VALU_DEP_3)
	v_fmaak_f32 v48, v48, v49, 0x3f2aaada
	v_ldexp_f32 v49, v46, 1
	v_sub_f32_e32 v46, v46, v47
	v_mul_f32_e32 v48, v50, v48
	v_mul_f32_e32 v50, 0x3f317218, v43
	s_delay_alu instid0(VALU_DEP_2) | instskip(NEXT) | instid1(VALU_DEP_1)
	v_dual_sub_f32 v44, v44, v46 :: v_dual_add_f32 v47, v49, v48
	v_ldexp_f32 v44, v44, 1
	s_delay_alu instid0(VALU_DEP_2) | instskip(NEXT) | instid1(VALU_DEP_4)
	v_sub_f32_e32 v46, v47, v49
	v_fma_f32 v49, 0x3f317218, v43, -v50
	s_delay_alu instid0(VALU_DEP_1) | instskip(NEXT) | instid1(VALU_DEP_1)
	v_dual_sub_f32 v46, v48, v46 :: v_dual_fmamk_f32 v43, v43, 0xb102e308, v49
	v_add_f32_e32 v44, v44, v46
	s_delay_alu instid0(VALU_DEP_2) | instskip(NEXT) | instid1(VALU_DEP_2)
	v_add_f32_e32 v46, v50, v43
	v_add_f32_e32 v48, v47, v44
	s_delay_alu instid0(VALU_DEP_2) | instskip(NEXT) | instid1(VALU_DEP_2)
	v_sub_f32_e32 v50, v46, v50
	v_add_f32_e32 v49, v46, v48
	v_sub_f32_e32 v47, v48, v47
	s_delay_alu instid0(VALU_DEP_3) | instskip(NEXT) | instid1(VALU_DEP_2)
	v_sub_f32_e32 v43, v43, v50
	v_dual_sub_f32 v51, v49, v46 :: v_dual_sub_f32 v44, v44, v47
	s_delay_alu instid0(VALU_DEP_1) | instskip(NEXT) | instid1(VALU_DEP_2)
	v_sub_f32_e32 v52, v49, v51
	v_dual_sub_f32 v47, v48, v51 :: v_dual_add_f32 v48, v43, v44
	s_delay_alu instid0(VALU_DEP_2) | instskip(NEXT) | instid1(VALU_DEP_1)
	v_sub_f32_e32 v46, v46, v52
	v_dual_add_f32 v46, v47, v46 :: v_dual_sub_f32 v47, v48, v43
	s_delay_alu instid0(VALU_DEP_1) | instskip(NEXT) | instid1(VALU_DEP_2)
	v_add_f32_e32 v46, v48, v46
	v_sub_f32_e32 v48, v48, v47
	v_sub_f32_e32 v44, v44, v47
	s_delay_alu instid0(VALU_DEP_2) | instskip(NEXT) | instid1(VALU_DEP_1)
	v_dual_add_f32 v50, v49, v46 :: v_dual_sub_f32 v43, v43, v48
	v_sub_f32_e32 v47, v50, v49
	s_delay_alu instid0(VALU_DEP_2) | instskip(NEXT) | instid1(VALU_DEP_2)
	v_add_f32_e32 v43, v44, v43
	v_sub_f32_e32 v44, v46, v47
	s_delay_alu instid0(VALU_DEP_1) | instskip(NEXT) | instid1(VALU_DEP_1)
	v_add_f32_e32 v43, v43, v44
	v_add_f32_e32 v43, v50, v43
	s_wait_alu 0xf1ff
	s_delay_alu instid0(VALU_DEP_1) | instskip(SKIP_2) | instid1(VALU_DEP_1)
	v_cndmask_b32_e64 v43, 0x7f800000, v43, s15
	v_cmp_gt_f32_e64 s15, 0x33800000, |v45|
	s_wait_alu 0xf1ff
	v_cndmask_b32_e64 v43, v43, v45, s15
	s_delay_alu instid0(VALU_DEP_1)
	v_add_f32_e32 v43, v5, v43
.LBB443_64:
	s_or_b32 exec_lo, exec_lo, s22
	ds_load_u16 v5, v2 offset:14
	v_bfe_u32 v44, v43, 16, 1
	v_cmp_o_f32_e64 s15, v43, v43
	s_delay_alu instid0(VALU_DEP_2) | instskip(SKIP_2) | instid1(VALU_DEP_1)
	v_add3_u32 v44, v43, v44, 0x7fff
	s_wait_dscnt 0x0
	v_lshlrev_b32_e32 v5, 16, v5
	v_dual_max_num_f32 v45, v5, v5 :: v_dual_and_b32 v44, 0xffff0000, v44
	s_wait_alu 0xf1ff
	s_delay_alu instid0(VALU_DEP_1) | instskip(NEXT) | instid1(VALU_DEP_1)
	v_cndmask_b32_e64 v43, 0x7fc00000, v44, s15
	v_max_num_f32_e32 v44, v43, v43
	v_cmp_u_f32_e64 s15, v43, v43
	s_delay_alu instid0(VALU_DEP_2) | instskip(SKIP_2) | instid1(VALU_DEP_2)
	v_min_num_f32_e32 v46, v44, v45
	v_max_num_f32_e32 v44, v44, v45
	s_wait_alu 0xf1ff
	v_cndmask_b32_e64 v45, v46, v43, s15
	s_delay_alu instid0(VALU_DEP_2) | instskip(SKIP_2) | instid1(VALU_DEP_1)
	v_cndmask_b32_e64 v46, v44, v43, s15
	v_cmp_u_f32_e64 s15, v5, v5
	s_wait_alu 0xf1ff
	v_cndmask_b32_e64 v44, v45, v5, s15
	s_delay_alu instid0(VALU_DEP_3) | instskip(NEXT) | instid1(VALU_DEP_2)
	v_cndmask_b32_e64 v5, v46, v5, s15
	v_cmp_class_f32_e64 s22, v44, 0x1f8
	s_delay_alu instid0(VALU_DEP_2)
	v_cmp_neq_f32_e64 s15, v44, v5
	s_or_b32 s15, s15, s22
	s_wait_alu 0xfffe
	s_and_saveexec_b32 s22, s15
	s_cbranch_execz .LBB443_66
; %bb.65:
	v_sub_f32_e32 v43, v44, v5
	s_delay_alu instid0(VALU_DEP_1) | instskip(SKIP_1) | instid1(VALU_DEP_2)
	v_mul_f32_e32 v44, 0x3fb8aa3b, v43
	v_cmp_ngt_f32_e64 s15, 0xc2ce8ed0, v43
	v_fma_f32 v45, 0x3fb8aa3b, v43, -v44
	v_rndne_f32_e32 v46, v44
	s_delay_alu instid0(VALU_DEP_1) | instskip(NEXT) | instid1(VALU_DEP_1)
	v_dual_fmamk_f32 v45, v43, 0x32a5705f, v45 :: v_dual_sub_f32 v44, v44, v46
	v_add_f32_e32 v44, v44, v45
	v_cvt_i32_f32_e32 v45, v46
	s_delay_alu instid0(VALU_DEP_2) | instskip(NEXT) | instid1(TRANS32_DEP_1)
	v_exp_f32_e32 v44, v44
	v_ldexp_f32 v44, v44, v45
	s_wait_alu 0xf1ff
	s_delay_alu instid0(VALU_DEP_1) | instskip(SKIP_2) | instid1(VALU_DEP_1)
	v_cndmask_b32_e64 v44, 0, v44, s15
	v_cmp_nlt_f32_e64 s15, 0x42b17218, v43
	s_wait_alu 0xf1ff
	v_cndmask_b32_e64 v45, 0x7f800000, v44, s15
	s_delay_alu instid0(VALU_DEP_1) | instskip(NEXT) | instid1(VALU_DEP_1)
	v_add_f32_e32 v46, 1.0, v45
	v_cvt_f64_f32_e32 v[43:44], v46
	s_delay_alu instid0(VALU_DEP_1) | instskip(SKIP_1) | instid1(VALU_DEP_1)
	v_frexp_exp_i32_f64_e32 v43, v[43:44]
	v_frexp_mant_f32_e32 v44, v46
	v_cmp_gt_f32_e64 s15, 0x3f2aaaab, v44
	v_add_f32_e32 v44, -1.0, v46
	s_delay_alu instid0(VALU_DEP_1)
	v_sub_f32_e32 v48, v44, v46
	v_sub_f32_e32 v44, v45, v44
	s_wait_alu 0xf1ff
	v_subrev_co_ci_u32_e64 v43, null, 0, v43, s15
	s_mov_b32 s15, 0x3e9b6dac
	v_sub_nc_u32_e32 v47, 0, v43
	v_cvt_f32_i32_e32 v43, v43
	s_delay_alu instid0(VALU_DEP_2) | instskip(NEXT) | instid1(VALU_DEP_1)
	v_ldexp_f32 v46, v46, v47
	v_dual_add_f32 v49, 1.0, v46 :: v_dual_add_f32 v48, 1.0, v48
	s_delay_alu instid0(VALU_DEP_1) | instskip(NEXT) | instid1(VALU_DEP_2)
	v_add_f32_e32 v44, v44, v48
	v_add_f32_e32 v48, -1.0, v49
	s_delay_alu instid0(VALU_DEP_2) | instskip(NEXT) | instid1(VALU_DEP_2)
	v_ldexp_f32 v44, v44, v47
	v_dual_add_f32 v47, -1.0, v46 :: v_dual_sub_f32 v48, v46, v48
	s_delay_alu instid0(VALU_DEP_1) | instskip(NEXT) | instid1(VALU_DEP_2)
	v_add_f32_e32 v50, 1.0, v47
	v_add_f32_e32 v48, v44, v48
	s_delay_alu instid0(VALU_DEP_2) | instskip(NEXT) | instid1(VALU_DEP_2)
	v_sub_f32_e32 v46, v46, v50
	v_add_f32_e32 v50, v49, v48
	s_delay_alu instid0(VALU_DEP_2) | instskip(NEXT) | instid1(VALU_DEP_2)
	v_add_f32_e32 v44, v44, v46
	v_rcp_f32_e32 v46, v50
	v_sub_f32_e32 v49, v49, v50
	s_delay_alu instid0(VALU_DEP_1) | instskip(NEXT) | instid1(VALU_DEP_1)
	v_dual_add_f32 v51, v47, v44 :: v_dual_add_f32 v48, v48, v49
	v_sub_f32_e32 v47, v47, v51
	s_delay_alu instid0(TRANS32_DEP_1) | instskip(NEXT) | instid1(VALU_DEP_1)
	v_mul_f32_e32 v52, v51, v46
	v_dual_add_f32 v44, v44, v47 :: v_dual_mul_f32 v53, v50, v52
	s_delay_alu instid0(VALU_DEP_1) | instskip(NEXT) | instid1(VALU_DEP_1)
	v_fma_f32 v49, v52, v50, -v53
	v_fmac_f32_e32 v49, v52, v48
	s_delay_alu instid0(VALU_DEP_1) | instskip(NEXT) | instid1(VALU_DEP_1)
	v_add_f32_e32 v54, v53, v49
	v_sub_f32_e32 v55, v51, v54
	v_sub_f32_e32 v47, v54, v53
	s_delay_alu instid0(VALU_DEP_2) | instskip(NEXT) | instid1(VALU_DEP_2)
	v_sub_f32_e32 v51, v51, v55
	v_sub_f32_e32 v47, v47, v49
	s_delay_alu instid0(VALU_DEP_2) | instskip(NEXT) | instid1(VALU_DEP_1)
	v_sub_f32_e32 v51, v51, v54
	v_add_f32_e32 v44, v44, v51
	s_delay_alu instid0(VALU_DEP_1) | instskip(NEXT) | instid1(VALU_DEP_1)
	v_add_f32_e32 v44, v47, v44
	v_add_f32_e32 v47, v55, v44
	s_delay_alu instid0(VALU_DEP_1) | instskip(NEXT) | instid1(VALU_DEP_1)
	v_mul_f32_e32 v49, v46, v47
	v_dual_sub_f32 v54, v55, v47 :: v_dual_mul_f32 v51, v50, v49
	s_delay_alu instid0(VALU_DEP_1) | instskip(NEXT) | instid1(VALU_DEP_2)
	v_add_f32_e32 v44, v44, v54
	v_fma_f32 v50, v49, v50, -v51
	s_delay_alu instid0(VALU_DEP_1) | instskip(NEXT) | instid1(VALU_DEP_1)
	v_fmac_f32_e32 v50, v49, v48
	v_add_f32_e32 v48, v51, v50
	s_delay_alu instid0(VALU_DEP_1) | instskip(SKIP_1) | instid1(VALU_DEP_2)
	v_sub_f32_e32 v53, v47, v48
	v_sub_f32_e32 v51, v48, v51
	;; [unrolled: 1-line block ×3, first 2 shown]
	s_delay_alu instid0(VALU_DEP_1) | instskip(NEXT) | instid1(VALU_DEP_3)
	v_sub_f32_e32 v47, v47, v48
	v_sub_f32_e32 v48, v51, v50
	s_delay_alu instid0(VALU_DEP_2) | instskip(SKIP_1) | instid1(VALU_DEP_2)
	v_add_f32_e32 v44, v44, v47
	v_add_f32_e32 v47, v52, v49
	;; [unrolled: 1-line block ×3, first 2 shown]
	s_delay_alu instid0(VALU_DEP_2) | instskip(NEXT) | instid1(VALU_DEP_2)
	v_sub_f32_e32 v48, v47, v52
	v_add_f32_e32 v44, v53, v44
	s_delay_alu instid0(VALU_DEP_2) | instskip(NEXT) | instid1(VALU_DEP_2)
	v_sub_f32_e32 v48, v49, v48
	v_mul_f32_e32 v44, v46, v44
	s_delay_alu instid0(VALU_DEP_1) | instskip(NEXT) | instid1(VALU_DEP_1)
	v_add_f32_e32 v44, v48, v44
	v_add_f32_e32 v46, v47, v44
	s_delay_alu instid0(VALU_DEP_1) | instskip(SKIP_1) | instid1(VALU_DEP_1)
	v_mul_f32_e32 v48, v46, v46
	s_wait_alu 0xfffe
	v_fmaak_f32 v49, s15, v48, 0x3ecc95a3
	v_mul_f32_e32 v50, v46, v48
	v_cmp_neq_f32_e64 s15, 0x7f800000, v45
	s_delay_alu instid0(VALU_DEP_3) | instskip(SKIP_2) | instid1(VALU_DEP_3)
	v_fmaak_f32 v48, v48, v49, 0x3f2aaada
	v_ldexp_f32 v49, v46, 1
	v_sub_f32_e32 v46, v46, v47
	v_mul_f32_e32 v48, v50, v48
	v_mul_f32_e32 v50, 0x3f317218, v43
	s_delay_alu instid0(VALU_DEP_2) | instskip(NEXT) | instid1(VALU_DEP_1)
	v_dual_sub_f32 v44, v44, v46 :: v_dual_add_f32 v47, v49, v48
	v_ldexp_f32 v44, v44, 1
	s_delay_alu instid0(VALU_DEP_2) | instskip(NEXT) | instid1(VALU_DEP_4)
	v_sub_f32_e32 v46, v47, v49
	v_fma_f32 v49, 0x3f317218, v43, -v50
	s_delay_alu instid0(VALU_DEP_1) | instskip(NEXT) | instid1(VALU_DEP_1)
	v_dual_sub_f32 v46, v48, v46 :: v_dual_fmamk_f32 v43, v43, 0xb102e308, v49
	v_add_f32_e32 v44, v44, v46
	s_delay_alu instid0(VALU_DEP_2) | instskip(NEXT) | instid1(VALU_DEP_2)
	v_add_f32_e32 v46, v50, v43
	v_add_f32_e32 v48, v47, v44
	s_delay_alu instid0(VALU_DEP_2) | instskip(NEXT) | instid1(VALU_DEP_2)
	v_sub_f32_e32 v50, v46, v50
	v_add_f32_e32 v49, v46, v48
	v_sub_f32_e32 v47, v48, v47
	s_delay_alu instid0(VALU_DEP_3) | instskip(NEXT) | instid1(VALU_DEP_2)
	v_sub_f32_e32 v43, v43, v50
	v_dual_sub_f32 v51, v49, v46 :: v_dual_sub_f32 v44, v44, v47
	s_delay_alu instid0(VALU_DEP_1) | instskip(NEXT) | instid1(VALU_DEP_2)
	v_sub_f32_e32 v52, v49, v51
	v_dual_sub_f32 v47, v48, v51 :: v_dual_add_f32 v48, v43, v44
	s_delay_alu instid0(VALU_DEP_2) | instskip(NEXT) | instid1(VALU_DEP_1)
	v_sub_f32_e32 v46, v46, v52
	v_dual_add_f32 v46, v47, v46 :: v_dual_sub_f32 v47, v48, v43
	s_delay_alu instid0(VALU_DEP_1) | instskip(NEXT) | instid1(VALU_DEP_2)
	v_add_f32_e32 v46, v48, v46
	v_sub_f32_e32 v48, v48, v47
	v_sub_f32_e32 v44, v44, v47
	s_delay_alu instid0(VALU_DEP_2) | instskip(NEXT) | instid1(VALU_DEP_1)
	v_dual_add_f32 v50, v49, v46 :: v_dual_sub_f32 v43, v43, v48
	v_sub_f32_e32 v47, v50, v49
	s_delay_alu instid0(VALU_DEP_2) | instskip(NEXT) | instid1(VALU_DEP_2)
	v_add_f32_e32 v43, v44, v43
	v_sub_f32_e32 v44, v46, v47
	s_delay_alu instid0(VALU_DEP_1) | instskip(NEXT) | instid1(VALU_DEP_1)
	v_add_f32_e32 v43, v43, v44
	v_add_f32_e32 v43, v50, v43
	s_wait_alu 0xf1ff
	s_delay_alu instid0(VALU_DEP_1) | instskip(SKIP_2) | instid1(VALU_DEP_1)
	v_cndmask_b32_e64 v43, 0x7f800000, v43, s15
	v_cmp_gt_f32_e64 s15, 0x33800000, |v45|
	s_wait_alu 0xf1ff
	v_cndmask_b32_e64 v43, v43, v45, s15
	s_delay_alu instid0(VALU_DEP_1)
	v_add_f32_e32 v43, v5, v43
.LBB443_66:
	s_or_b32 exec_lo, exec_lo, s22
	s_delay_alu instid0(VALU_DEP_1) | instskip(SKIP_3) | instid1(VALU_DEP_1)
	v_bfe_u32 v5, v43, 16, 1
	v_cmp_o_f32_e64 s15, v43, v43
	s_mov_b32 s22, exec_lo
	v_add3_u32 v5, v43, v5, 0x7fff
	v_lshrrev_b32_e32 v5, 16, v5
	s_wait_alu 0xf1ff
	s_delay_alu instid0(VALU_DEP_1) | instskip(SKIP_1) | instid1(VALU_DEP_2)
	v_cndmask_b32_e64 v44, 0x7fc0, v5, s15
	v_mbcnt_lo_u32_b32 v5, -1, 0
	v_and_b32_e32 v45, 0xffff, v44
	s_delay_alu instid0(VALU_DEP_2) | instskip(NEXT) | instid1(VALU_DEP_2)
	v_and_b32_e32 v43, 15, v5
	v_mov_b32_dpp v46, v45 row_shr:1 row_mask:0xf bank_mask:0xf
	s_delay_alu instid0(VALU_DEP_2)
	v_cmpx_ne_u32_e32 0, v43
	s_xor_b32 s22, exec_lo, s22
	s_cbranch_execz .LBB443_70
; %bb.67:
	v_lshlrev_b32_e32 v44, 16, v45
	s_delay_alu instid0(VALU_DEP_1) | instskip(NEXT) | instid1(VALU_DEP_1)
	v_dual_max_num_f32 v46, v44, v44 :: v_dual_lshlrev_b32 v45, 16, v46
	v_max_num_f32_e32 v47, v45, v45
	v_cmp_u_f32_e64 s15, v45, v45
	s_delay_alu instid0(VALU_DEP_2) | instskip(SKIP_2) | instid1(VALU_DEP_2)
	v_min_num_f32_e32 v48, v47, v46
	v_max_num_f32_e32 v46, v47, v46
	s_wait_alu 0xf1ff
	v_cndmask_b32_e64 v47, v48, v45, s15
	s_delay_alu instid0(VALU_DEP_2) | instskip(SKIP_2) | instid1(VALU_DEP_1)
	v_cndmask_b32_e64 v48, v46, v45, s15
	v_cmp_u_f32_e64 s15, v44, v44
	s_wait_alu 0xf1ff
	v_cndmask_b32_e64 v46, v47, v44, s15
	s_delay_alu instid0(VALU_DEP_3) | instskip(NEXT) | instid1(VALU_DEP_2)
	v_cndmask_b32_e64 v44, v48, v44, s15
	v_cmp_class_f32_e64 s23, v46, 0x1f8
	s_delay_alu instid0(VALU_DEP_2)
	v_cmp_neq_f32_e64 s15, v46, v44
	s_or_b32 s15, s15, s23
	s_wait_alu 0xfffe
	s_and_saveexec_b32 s23, s15
	s_cbranch_execz .LBB443_69
; %bb.68:
	v_sub_f32_e32 v45, v46, v44
	s_delay_alu instid0(VALU_DEP_1) | instskip(SKIP_1) | instid1(VALU_DEP_2)
	v_mul_f32_e32 v46, 0x3fb8aa3b, v45
	v_cmp_ngt_f32_e64 s15, 0xc2ce8ed0, v45
	v_fma_f32 v47, 0x3fb8aa3b, v45, -v46
	v_rndne_f32_e32 v48, v46
	s_delay_alu instid0(VALU_DEP_1) | instskip(NEXT) | instid1(VALU_DEP_1)
	v_dual_fmamk_f32 v47, v45, 0x32a5705f, v47 :: v_dual_sub_f32 v46, v46, v48
	v_add_f32_e32 v46, v46, v47
	v_cvt_i32_f32_e32 v47, v48
	s_delay_alu instid0(VALU_DEP_2) | instskip(NEXT) | instid1(TRANS32_DEP_1)
	v_exp_f32_e32 v46, v46
	v_ldexp_f32 v46, v46, v47
	s_wait_alu 0xf1ff
	s_delay_alu instid0(VALU_DEP_1) | instskip(SKIP_2) | instid1(VALU_DEP_1)
	v_cndmask_b32_e64 v46, 0, v46, s15
	v_cmp_nlt_f32_e64 s15, 0x42b17218, v45
	s_wait_alu 0xf1ff
	v_cndmask_b32_e64 v47, 0x7f800000, v46, s15
	s_delay_alu instid0(VALU_DEP_1) | instskip(NEXT) | instid1(VALU_DEP_1)
	v_add_f32_e32 v48, 1.0, v47
	v_cvt_f64_f32_e32 v[45:46], v48
	s_delay_alu instid0(VALU_DEP_1) | instskip(SKIP_1) | instid1(VALU_DEP_1)
	v_frexp_exp_i32_f64_e32 v45, v[45:46]
	v_frexp_mant_f32_e32 v46, v48
	v_cmp_gt_f32_e64 s15, 0x3f2aaaab, v46
	v_add_f32_e32 v46, -1.0, v48
	s_delay_alu instid0(VALU_DEP_1)
	v_sub_f32_e32 v50, v46, v48
	v_sub_f32_e32 v46, v47, v46
	s_wait_alu 0xf1ff
	v_subrev_co_ci_u32_e64 v45, null, 0, v45, s15
	s_mov_b32 s15, 0x3e9b6dac
	v_sub_nc_u32_e32 v49, 0, v45
	v_cvt_f32_i32_e32 v45, v45
	s_delay_alu instid0(VALU_DEP_2) | instskip(NEXT) | instid1(VALU_DEP_1)
	v_ldexp_f32 v48, v48, v49
	v_dual_add_f32 v51, 1.0, v48 :: v_dual_add_f32 v50, 1.0, v50
	s_delay_alu instid0(VALU_DEP_1) | instskip(NEXT) | instid1(VALU_DEP_2)
	v_add_f32_e32 v46, v46, v50
	v_add_f32_e32 v50, -1.0, v51
	s_delay_alu instid0(VALU_DEP_2) | instskip(NEXT) | instid1(VALU_DEP_2)
	v_ldexp_f32 v46, v46, v49
	v_dual_add_f32 v49, -1.0, v48 :: v_dual_sub_f32 v50, v48, v50
	s_delay_alu instid0(VALU_DEP_1) | instskip(NEXT) | instid1(VALU_DEP_2)
	v_add_f32_e32 v52, 1.0, v49
	v_add_f32_e32 v50, v46, v50
	s_delay_alu instid0(VALU_DEP_2) | instskip(NEXT) | instid1(VALU_DEP_2)
	v_sub_f32_e32 v48, v48, v52
	v_add_f32_e32 v52, v51, v50
	s_delay_alu instid0(VALU_DEP_2) | instskip(NEXT) | instid1(VALU_DEP_2)
	v_add_f32_e32 v46, v46, v48
	v_rcp_f32_e32 v48, v52
	v_sub_f32_e32 v51, v51, v52
	s_delay_alu instid0(VALU_DEP_1) | instskip(NEXT) | instid1(VALU_DEP_1)
	v_dual_add_f32 v53, v49, v46 :: v_dual_add_f32 v50, v50, v51
	v_sub_f32_e32 v49, v49, v53
	s_delay_alu instid0(TRANS32_DEP_1) | instskip(NEXT) | instid1(VALU_DEP_1)
	v_mul_f32_e32 v54, v53, v48
	v_dual_add_f32 v46, v46, v49 :: v_dual_mul_f32 v55, v52, v54
	s_delay_alu instid0(VALU_DEP_1) | instskip(NEXT) | instid1(VALU_DEP_1)
	v_fma_f32 v51, v54, v52, -v55
	v_fmac_f32_e32 v51, v54, v50
	s_delay_alu instid0(VALU_DEP_1) | instskip(NEXT) | instid1(VALU_DEP_1)
	v_add_f32_e32 v56, v55, v51
	v_sub_f32_e32 v57, v53, v56
	v_sub_f32_e32 v49, v56, v55
	s_delay_alu instid0(VALU_DEP_2) | instskip(NEXT) | instid1(VALU_DEP_2)
	v_sub_f32_e32 v53, v53, v57
	v_sub_f32_e32 v49, v49, v51
	s_delay_alu instid0(VALU_DEP_2) | instskip(NEXT) | instid1(VALU_DEP_1)
	v_sub_f32_e32 v53, v53, v56
	v_add_f32_e32 v46, v46, v53
	s_delay_alu instid0(VALU_DEP_1) | instskip(NEXT) | instid1(VALU_DEP_1)
	v_add_f32_e32 v46, v49, v46
	v_add_f32_e32 v49, v57, v46
	s_delay_alu instid0(VALU_DEP_1) | instskip(NEXT) | instid1(VALU_DEP_1)
	v_mul_f32_e32 v51, v48, v49
	v_dual_sub_f32 v56, v57, v49 :: v_dual_mul_f32 v53, v52, v51
	s_delay_alu instid0(VALU_DEP_1) | instskip(NEXT) | instid1(VALU_DEP_2)
	v_add_f32_e32 v46, v46, v56
	v_fma_f32 v52, v51, v52, -v53
	s_delay_alu instid0(VALU_DEP_1) | instskip(NEXT) | instid1(VALU_DEP_1)
	v_fmac_f32_e32 v52, v51, v50
	v_add_f32_e32 v50, v53, v52
	s_delay_alu instid0(VALU_DEP_1) | instskip(SKIP_1) | instid1(VALU_DEP_2)
	v_sub_f32_e32 v55, v49, v50
	v_sub_f32_e32 v53, v50, v53
	;; [unrolled: 1-line block ×3, first 2 shown]
	s_delay_alu instid0(VALU_DEP_1) | instskip(NEXT) | instid1(VALU_DEP_3)
	v_sub_f32_e32 v49, v49, v50
	v_sub_f32_e32 v50, v53, v52
	s_delay_alu instid0(VALU_DEP_2) | instskip(SKIP_1) | instid1(VALU_DEP_2)
	v_add_f32_e32 v46, v46, v49
	v_add_f32_e32 v49, v54, v51
	;; [unrolled: 1-line block ×3, first 2 shown]
	s_delay_alu instid0(VALU_DEP_2) | instskip(NEXT) | instid1(VALU_DEP_2)
	v_sub_f32_e32 v50, v49, v54
	v_add_f32_e32 v46, v55, v46
	s_delay_alu instid0(VALU_DEP_2) | instskip(NEXT) | instid1(VALU_DEP_2)
	v_sub_f32_e32 v50, v51, v50
	v_mul_f32_e32 v46, v48, v46
	s_delay_alu instid0(VALU_DEP_1) | instskip(NEXT) | instid1(VALU_DEP_1)
	v_add_f32_e32 v46, v50, v46
	v_add_f32_e32 v48, v49, v46
	s_delay_alu instid0(VALU_DEP_1) | instskip(SKIP_1) | instid1(VALU_DEP_1)
	v_mul_f32_e32 v50, v48, v48
	s_wait_alu 0xfffe
	v_fmaak_f32 v51, s15, v50, 0x3ecc95a3
	v_mul_f32_e32 v52, v48, v50
	v_cmp_neq_f32_e64 s15, 0x7f800000, v47
	s_delay_alu instid0(VALU_DEP_3) | instskip(SKIP_2) | instid1(VALU_DEP_3)
	v_fmaak_f32 v50, v50, v51, 0x3f2aaada
	v_ldexp_f32 v51, v48, 1
	v_sub_f32_e32 v48, v48, v49
	v_mul_f32_e32 v50, v52, v50
	v_mul_f32_e32 v52, 0x3f317218, v45
	s_delay_alu instid0(VALU_DEP_2) | instskip(NEXT) | instid1(VALU_DEP_1)
	v_dual_sub_f32 v46, v46, v48 :: v_dual_add_f32 v49, v51, v50
	v_ldexp_f32 v46, v46, 1
	s_delay_alu instid0(VALU_DEP_2) | instskip(NEXT) | instid1(VALU_DEP_4)
	v_sub_f32_e32 v48, v49, v51
	v_fma_f32 v51, 0x3f317218, v45, -v52
	s_delay_alu instid0(VALU_DEP_1) | instskip(NEXT) | instid1(VALU_DEP_1)
	v_dual_sub_f32 v48, v50, v48 :: v_dual_fmamk_f32 v45, v45, 0xb102e308, v51
	v_add_f32_e32 v46, v46, v48
	s_delay_alu instid0(VALU_DEP_2) | instskip(NEXT) | instid1(VALU_DEP_2)
	v_add_f32_e32 v48, v52, v45
	v_add_f32_e32 v50, v49, v46
	s_delay_alu instid0(VALU_DEP_2) | instskip(NEXT) | instid1(VALU_DEP_2)
	v_sub_f32_e32 v52, v48, v52
	v_add_f32_e32 v51, v48, v50
	v_sub_f32_e32 v49, v50, v49
	s_delay_alu instid0(VALU_DEP_3) | instskip(NEXT) | instid1(VALU_DEP_2)
	v_sub_f32_e32 v45, v45, v52
	v_dual_sub_f32 v53, v51, v48 :: v_dual_sub_f32 v46, v46, v49
	s_delay_alu instid0(VALU_DEP_1) | instskip(NEXT) | instid1(VALU_DEP_2)
	v_sub_f32_e32 v54, v51, v53
	v_dual_sub_f32 v49, v50, v53 :: v_dual_add_f32 v50, v45, v46
	s_delay_alu instid0(VALU_DEP_2) | instskip(NEXT) | instid1(VALU_DEP_1)
	v_sub_f32_e32 v48, v48, v54
	v_dual_add_f32 v48, v49, v48 :: v_dual_sub_f32 v49, v50, v45
	s_delay_alu instid0(VALU_DEP_1) | instskip(NEXT) | instid1(VALU_DEP_2)
	v_add_f32_e32 v48, v50, v48
	v_sub_f32_e32 v50, v50, v49
	v_sub_f32_e32 v46, v46, v49
	s_delay_alu instid0(VALU_DEP_2) | instskip(NEXT) | instid1(VALU_DEP_1)
	v_dual_add_f32 v52, v51, v48 :: v_dual_sub_f32 v45, v45, v50
	v_sub_f32_e32 v49, v52, v51
	s_delay_alu instid0(VALU_DEP_2) | instskip(NEXT) | instid1(VALU_DEP_2)
	v_add_f32_e32 v45, v46, v45
	v_sub_f32_e32 v46, v48, v49
	s_delay_alu instid0(VALU_DEP_1) | instskip(NEXT) | instid1(VALU_DEP_1)
	v_add_f32_e32 v45, v45, v46
	v_add_f32_e32 v45, v52, v45
	s_wait_alu 0xf1ff
	s_delay_alu instid0(VALU_DEP_1) | instskip(SKIP_2) | instid1(VALU_DEP_1)
	v_cndmask_b32_e64 v45, 0x7f800000, v45, s15
	v_cmp_gt_f32_e64 s15, 0x33800000, |v47|
	s_wait_alu 0xf1ff
	v_cndmask_b32_e64 v45, v45, v47, s15
	s_delay_alu instid0(VALU_DEP_1)
	v_add_f32_e32 v45, v44, v45
.LBB443_69:
	s_or_b32 exec_lo, exec_lo, s23
	s_delay_alu instid0(VALU_DEP_1) | instskip(SKIP_1) | instid1(VALU_DEP_2)
	v_bfe_u32 v44, v45, 16, 1
	v_cmp_o_f32_e64 s15, v45, v45
	v_add3_u32 v44, v45, v44, 0x7fff
	s_delay_alu instid0(VALU_DEP_1) | instskip(SKIP_1) | instid1(VALU_DEP_1)
	v_lshrrev_b32_e32 v44, 16, v44
	s_wait_alu 0xf1ff
	v_cndmask_b32_e64 v44, 0x7fc0, v44, s15
	s_delay_alu instid0(VALU_DEP_1)
	v_and_b32_e32 v45, 0xffff, v44
.LBB443_70:
	s_or_b32 exec_lo, exec_lo, s22
	s_delay_alu instid0(VALU_DEP_1)
	v_mov_b32_dpp v46, v45 row_shr:2 row_mask:0xf bank_mask:0xf
	s_mov_b32 s22, exec_lo
	v_cmpx_lt_u32_e32 1, v43
	s_cbranch_execz .LBB443_74
; %bb.71:
	v_lshlrev_b32_e32 v44, 16, v45
	s_delay_alu instid0(VALU_DEP_1) | instskip(NEXT) | instid1(VALU_DEP_1)
	v_dual_max_num_f32 v46, v44, v44 :: v_dual_lshlrev_b32 v45, 16, v46
	v_max_num_f32_e32 v47, v45, v45
	v_cmp_u_f32_e64 s15, v45, v45
	s_delay_alu instid0(VALU_DEP_2) | instskip(SKIP_2) | instid1(VALU_DEP_2)
	v_min_num_f32_e32 v48, v47, v46
	v_max_num_f32_e32 v46, v47, v46
	s_wait_alu 0xf1ff
	v_cndmask_b32_e64 v47, v48, v45, s15
	s_delay_alu instid0(VALU_DEP_2) | instskip(SKIP_2) | instid1(VALU_DEP_1)
	v_cndmask_b32_e64 v48, v46, v45, s15
	v_cmp_u_f32_e64 s15, v44, v44
	s_wait_alu 0xf1ff
	v_cndmask_b32_e64 v46, v47, v44, s15
	s_delay_alu instid0(VALU_DEP_3) | instskip(NEXT) | instid1(VALU_DEP_2)
	v_cndmask_b32_e64 v44, v48, v44, s15
	v_cmp_class_f32_e64 s23, v46, 0x1f8
	s_delay_alu instid0(VALU_DEP_2)
	v_cmp_neq_f32_e64 s15, v46, v44
	s_or_b32 s15, s15, s23
	s_wait_alu 0xfffe
	s_and_saveexec_b32 s23, s15
	s_cbranch_execz .LBB443_73
; %bb.72:
	v_sub_f32_e32 v45, v46, v44
	s_delay_alu instid0(VALU_DEP_1) | instskip(SKIP_1) | instid1(VALU_DEP_2)
	v_mul_f32_e32 v46, 0x3fb8aa3b, v45
	v_cmp_ngt_f32_e64 s15, 0xc2ce8ed0, v45
	v_fma_f32 v47, 0x3fb8aa3b, v45, -v46
	v_rndne_f32_e32 v48, v46
	s_delay_alu instid0(VALU_DEP_1) | instskip(NEXT) | instid1(VALU_DEP_1)
	v_dual_fmamk_f32 v47, v45, 0x32a5705f, v47 :: v_dual_sub_f32 v46, v46, v48
	v_add_f32_e32 v46, v46, v47
	v_cvt_i32_f32_e32 v47, v48
	s_delay_alu instid0(VALU_DEP_2) | instskip(NEXT) | instid1(TRANS32_DEP_1)
	v_exp_f32_e32 v46, v46
	v_ldexp_f32 v46, v46, v47
	s_wait_alu 0xf1ff
	s_delay_alu instid0(VALU_DEP_1) | instskip(SKIP_2) | instid1(VALU_DEP_1)
	v_cndmask_b32_e64 v46, 0, v46, s15
	v_cmp_nlt_f32_e64 s15, 0x42b17218, v45
	s_wait_alu 0xf1ff
	v_cndmask_b32_e64 v47, 0x7f800000, v46, s15
	s_delay_alu instid0(VALU_DEP_1) | instskip(NEXT) | instid1(VALU_DEP_1)
	v_add_f32_e32 v48, 1.0, v47
	v_cvt_f64_f32_e32 v[45:46], v48
	s_delay_alu instid0(VALU_DEP_1) | instskip(SKIP_1) | instid1(VALU_DEP_1)
	v_frexp_exp_i32_f64_e32 v45, v[45:46]
	v_frexp_mant_f32_e32 v46, v48
	v_cmp_gt_f32_e64 s15, 0x3f2aaaab, v46
	v_add_f32_e32 v46, -1.0, v48
	s_delay_alu instid0(VALU_DEP_1)
	v_sub_f32_e32 v50, v46, v48
	v_sub_f32_e32 v46, v47, v46
	s_wait_alu 0xf1ff
	v_subrev_co_ci_u32_e64 v45, null, 0, v45, s15
	s_mov_b32 s15, 0x3e9b6dac
	v_sub_nc_u32_e32 v49, 0, v45
	v_cvt_f32_i32_e32 v45, v45
	s_delay_alu instid0(VALU_DEP_2) | instskip(NEXT) | instid1(VALU_DEP_1)
	v_ldexp_f32 v48, v48, v49
	v_dual_add_f32 v51, 1.0, v48 :: v_dual_add_f32 v50, 1.0, v50
	s_delay_alu instid0(VALU_DEP_1) | instskip(NEXT) | instid1(VALU_DEP_2)
	v_add_f32_e32 v46, v46, v50
	v_add_f32_e32 v50, -1.0, v51
	s_delay_alu instid0(VALU_DEP_2) | instskip(NEXT) | instid1(VALU_DEP_2)
	v_ldexp_f32 v46, v46, v49
	v_dual_add_f32 v49, -1.0, v48 :: v_dual_sub_f32 v50, v48, v50
	s_delay_alu instid0(VALU_DEP_1) | instskip(NEXT) | instid1(VALU_DEP_2)
	v_add_f32_e32 v52, 1.0, v49
	v_add_f32_e32 v50, v46, v50
	s_delay_alu instid0(VALU_DEP_2) | instskip(NEXT) | instid1(VALU_DEP_2)
	v_sub_f32_e32 v48, v48, v52
	v_add_f32_e32 v52, v51, v50
	s_delay_alu instid0(VALU_DEP_2) | instskip(NEXT) | instid1(VALU_DEP_2)
	v_add_f32_e32 v46, v46, v48
	v_rcp_f32_e32 v48, v52
	v_sub_f32_e32 v51, v51, v52
	s_delay_alu instid0(VALU_DEP_1) | instskip(NEXT) | instid1(VALU_DEP_1)
	v_dual_add_f32 v53, v49, v46 :: v_dual_add_f32 v50, v50, v51
	v_sub_f32_e32 v49, v49, v53
	s_delay_alu instid0(TRANS32_DEP_1) | instskip(NEXT) | instid1(VALU_DEP_1)
	v_mul_f32_e32 v54, v53, v48
	v_dual_add_f32 v46, v46, v49 :: v_dual_mul_f32 v55, v52, v54
	s_delay_alu instid0(VALU_DEP_1) | instskip(NEXT) | instid1(VALU_DEP_1)
	v_fma_f32 v51, v54, v52, -v55
	v_fmac_f32_e32 v51, v54, v50
	s_delay_alu instid0(VALU_DEP_1) | instskip(NEXT) | instid1(VALU_DEP_1)
	v_add_f32_e32 v56, v55, v51
	v_sub_f32_e32 v57, v53, v56
	v_sub_f32_e32 v49, v56, v55
	s_delay_alu instid0(VALU_DEP_2) | instskip(NEXT) | instid1(VALU_DEP_2)
	v_sub_f32_e32 v53, v53, v57
	v_sub_f32_e32 v49, v49, v51
	s_delay_alu instid0(VALU_DEP_2) | instskip(NEXT) | instid1(VALU_DEP_1)
	v_sub_f32_e32 v53, v53, v56
	v_add_f32_e32 v46, v46, v53
	s_delay_alu instid0(VALU_DEP_1) | instskip(NEXT) | instid1(VALU_DEP_1)
	v_add_f32_e32 v46, v49, v46
	v_add_f32_e32 v49, v57, v46
	s_delay_alu instid0(VALU_DEP_1) | instskip(NEXT) | instid1(VALU_DEP_1)
	v_mul_f32_e32 v51, v48, v49
	v_dual_sub_f32 v56, v57, v49 :: v_dual_mul_f32 v53, v52, v51
	s_delay_alu instid0(VALU_DEP_1) | instskip(NEXT) | instid1(VALU_DEP_2)
	v_add_f32_e32 v46, v46, v56
	v_fma_f32 v52, v51, v52, -v53
	s_delay_alu instid0(VALU_DEP_1) | instskip(NEXT) | instid1(VALU_DEP_1)
	v_fmac_f32_e32 v52, v51, v50
	v_add_f32_e32 v50, v53, v52
	s_delay_alu instid0(VALU_DEP_1) | instskip(SKIP_1) | instid1(VALU_DEP_2)
	v_sub_f32_e32 v55, v49, v50
	v_sub_f32_e32 v53, v50, v53
	;; [unrolled: 1-line block ×3, first 2 shown]
	s_delay_alu instid0(VALU_DEP_1) | instskip(NEXT) | instid1(VALU_DEP_3)
	v_sub_f32_e32 v49, v49, v50
	v_sub_f32_e32 v50, v53, v52
	s_delay_alu instid0(VALU_DEP_2) | instskip(SKIP_1) | instid1(VALU_DEP_2)
	v_add_f32_e32 v46, v46, v49
	v_add_f32_e32 v49, v54, v51
	;; [unrolled: 1-line block ×3, first 2 shown]
	s_delay_alu instid0(VALU_DEP_2) | instskip(NEXT) | instid1(VALU_DEP_2)
	v_sub_f32_e32 v50, v49, v54
	v_add_f32_e32 v46, v55, v46
	s_delay_alu instid0(VALU_DEP_2) | instskip(NEXT) | instid1(VALU_DEP_2)
	v_sub_f32_e32 v50, v51, v50
	v_mul_f32_e32 v46, v48, v46
	s_delay_alu instid0(VALU_DEP_1) | instskip(NEXT) | instid1(VALU_DEP_1)
	v_add_f32_e32 v46, v50, v46
	v_add_f32_e32 v48, v49, v46
	s_delay_alu instid0(VALU_DEP_1) | instskip(SKIP_1) | instid1(VALU_DEP_1)
	v_mul_f32_e32 v50, v48, v48
	s_wait_alu 0xfffe
	v_fmaak_f32 v51, s15, v50, 0x3ecc95a3
	v_mul_f32_e32 v52, v48, v50
	v_cmp_neq_f32_e64 s15, 0x7f800000, v47
	s_delay_alu instid0(VALU_DEP_3) | instskip(SKIP_2) | instid1(VALU_DEP_3)
	v_fmaak_f32 v50, v50, v51, 0x3f2aaada
	v_ldexp_f32 v51, v48, 1
	v_sub_f32_e32 v48, v48, v49
	v_mul_f32_e32 v50, v52, v50
	v_mul_f32_e32 v52, 0x3f317218, v45
	s_delay_alu instid0(VALU_DEP_2) | instskip(NEXT) | instid1(VALU_DEP_1)
	v_dual_sub_f32 v46, v46, v48 :: v_dual_add_f32 v49, v51, v50
	v_ldexp_f32 v46, v46, 1
	s_delay_alu instid0(VALU_DEP_2) | instskip(NEXT) | instid1(VALU_DEP_4)
	v_sub_f32_e32 v48, v49, v51
	v_fma_f32 v51, 0x3f317218, v45, -v52
	s_delay_alu instid0(VALU_DEP_1) | instskip(NEXT) | instid1(VALU_DEP_1)
	v_dual_sub_f32 v48, v50, v48 :: v_dual_fmamk_f32 v45, v45, 0xb102e308, v51
	v_add_f32_e32 v46, v46, v48
	s_delay_alu instid0(VALU_DEP_2) | instskip(NEXT) | instid1(VALU_DEP_2)
	v_add_f32_e32 v48, v52, v45
	v_add_f32_e32 v50, v49, v46
	s_delay_alu instid0(VALU_DEP_2) | instskip(NEXT) | instid1(VALU_DEP_2)
	v_sub_f32_e32 v52, v48, v52
	v_add_f32_e32 v51, v48, v50
	v_sub_f32_e32 v49, v50, v49
	s_delay_alu instid0(VALU_DEP_3) | instskip(NEXT) | instid1(VALU_DEP_2)
	v_sub_f32_e32 v45, v45, v52
	v_dual_sub_f32 v53, v51, v48 :: v_dual_sub_f32 v46, v46, v49
	s_delay_alu instid0(VALU_DEP_1) | instskip(NEXT) | instid1(VALU_DEP_2)
	v_sub_f32_e32 v54, v51, v53
	v_dual_sub_f32 v49, v50, v53 :: v_dual_add_f32 v50, v45, v46
	s_delay_alu instid0(VALU_DEP_2) | instskip(NEXT) | instid1(VALU_DEP_1)
	v_sub_f32_e32 v48, v48, v54
	v_dual_add_f32 v48, v49, v48 :: v_dual_sub_f32 v49, v50, v45
	s_delay_alu instid0(VALU_DEP_1) | instskip(NEXT) | instid1(VALU_DEP_2)
	v_add_f32_e32 v48, v50, v48
	v_sub_f32_e32 v50, v50, v49
	v_sub_f32_e32 v46, v46, v49
	s_delay_alu instid0(VALU_DEP_2) | instskip(NEXT) | instid1(VALU_DEP_1)
	v_dual_add_f32 v52, v51, v48 :: v_dual_sub_f32 v45, v45, v50
	v_sub_f32_e32 v49, v52, v51
	s_delay_alu instid0(VALU_DEP_2) | instskip(NEXT) | instid1(VALU_DEP_2)
	v_add_f32_e32 v45, v46, v45
	v_sub_f32_e32 v46, v48, v49
	s_delay_alu instid0(VALU_DEP_1) | instskip(NEXT) | instid1(VALU_DEP_1)
	v_add_f32_e32 v45, v45, v46
	v_add_f32_e32 v45, v52, v45
	s_wait_alu 0xf1ff
	s_delay_alu instid0(VALU_DEP_1) | instskip(SKIP_2) | instid1(VALU_DEP_1)
	v_cndmask_b32_e64 v45, 0x7f800000, v45, s15
	v_cmp_gt_f32_e64 s15, 0x33800000, |v47|
	s_wait_alu 0xf1ff
	v_cndmask_b32_e64 v45, v45, v47, s15
	s_delay_alu instid0(VALU_DEP_1)
	v_add_f32_e32 v45, v44, v45
.LBB443_73:
	s_or_b32 exec_lo, exec_lo, s23
	s_delay_alu instid0(VALU_DEP_1) | instskip(SKIP_1) | instid1(VALU_DEP_2)
	v_bfe_u32 v44, v45, 16, 1
	v_cmp_o_f32_e64 s15, v45, v45
	v_add3_u32 v44, v45, v44, 0x7fff
	s_delay_alu instid0(VALU_DEP_1) | instskip(SKIP_1) | instid1(VALU_DEP_1)
	v_lshrrev_b32_e32 v44, 16, v44
	s_wait_alu 0xf1ff
	v_cndmask_b32_e64 v44, 0x7fc0, v44, s15
	s_delay_alu instid0(VALU_DEP_1)
	v_and_b32_e32 v45, 0xffff, v44
.LBB443_74:
	s_or_b32 exec_lo, exec_lo, s22
	s_delay_alu instid0(VALU_DEP_1)
	v_mov_b32_dpp v46, v45 row_shr:4 row_mask:0xf bank_mask:0xf
	s_mov_b32 s22, exec_lo
	v_cmpx_lt_u32_e32 3, v43
	s_cbranch_execz .LBB443_78
; %bb.75:
	v_lshlrev_b32_e32 v44, 16, v45
	s_delay_alu instid0(VALU_DEP_1) | instskip(NEXT) | instid1(VALU_DEP_1)
	v_dual_max_num_f32 v46, v44, v44 :: v_dual_lshlrev_b32 v45, 16, v46
	v_max_num_f32_e32 v47, v45, v45
	v_cmp_u_f32_e64 s15, v45, v45
	s_delay_alu instid0(VALU_DEP_2) | instskip(SKIP_2) | instid1(VALU_DEP_2)
	v_min_num_f32_e32 v48, v47, v46
	v_max_num_f32_e32 v46, v47, v46
	s_wait_alu 0xf1ff
	v_cndmask_b32_e64 v47, v48, v45, s15
	s_delay_alu instid0(VALU_DEP_2) | instskip(SKIP_2) | instid1(VALU_DEP_1)
	v_cndmask_b32_e64 v48, v46, v45, s15
	v_cmp_u_f32_e64 s15, v44, v44
	s_wait_alu 0xf1ff
	v_cndmask_b32_e64 v46, v47, v44, s15
	s_delay_alu instid0(VALU_DEP_3) | instskip(NEXT) | instid1(VALU_DEP_2)
	v_cndmask_b32_e64 v44, v48, v44, s15
	v_cmp_class_f32_e64 s23, v46, 0x1f8
	s_delay_alu instid0(VALU_DEP_2)
	v_cmp_neq_f32_e64 s15, v46, v44
	s_or_b32 s15, s15, s23
	s_wait_alu 0xfffe
	s_and_saveexec_b32 s23, s15
	s_cbranch_execz .LBB443_77
; %bb.76:
	v_sub_f32_e32 v45, v46, v44
	s_delay_alu instid0(VALU_DEP_1) | instskip(SKIP_1) | instid1(VALU_DEP_2)
	v_mul_f32_e32 v46, 0x3fb8aa3b, v45
	v_cmp_ngt_f32_e64 s15, 0xc2ce8ed0, v45
	v_fma_f32 v47, 0x3fb8aa3b, v45, -v46
	v_rndne_f32_e32 v48, v46
	s_delay_alu instid0(VALU_DEP_1) | instskip(NEXT) | instid1(VALU_DEP_1)
	v_dual_fmamk_f32 v47, v45, 0x32a5705f, v47 :: v_dual_sub_f32 v46, v46, v48
	v_add_f32_e32 v46, v46, v47
	v_cvt_i32_f32_e32 v47, v48
	s_delay_alu instid0(VALU_DEP_2) | instskip(NEXT) | instid1(TRANS32_DEP_1)
	v_exp_f32_e32 v46, v46
	v_ldexp_f32 v46, v46, v47
	s_wait_alu 0xf1ff
	s_delay_alu instid0(VALU_DEP_1) | instskip(SKIP_2) | instid1(VALU_DEP_1)
	v_cndmask_b32_e64 v46, 0, v46, s15
	v_cmp_nlt_f32_e64 s15, 0x42b17218, v45
	s_wait_alu 0xf1ff
	v_cndmask_b32_e64 v47, 0x7f800000, v46, s15
	s_delay_alu instid0(VALU_DEP_1) | instskip(NEXT) | instid1(VALU_DEP_1)
	v_add_f32_e32 v48, 1.0, v47
	v_cvt_f64_f32_e32 v[45:46], v48
	s_delay_alu instid0(VALU_DEP_1) | instskip(SKIP_1) | instid1(VALU_DEP_1)
	v_frexp_exp_i32_f64_e32 v45, v[45:46]
	v_frexp_mant_f32_e32 v46, v48
	v_cmp_gt_f32_e64 s15, 0x3f2aaaab, v46
	v_add_f32_e32 v46, -1.0, v48
	s_delay_alu instid0(VALU_DEP_1)
	v_sub_f32_e32 v50, v46, v48
	v_sub_f32_e32 v46, v47, v46
	s_wait_alu 0xf1ff
	v_subrev_co_ci_u32_e64 v45, null, 0, v45, s15
	s_mov_b32 s15, 0x3e9b6dac
	v_sub_nc_u32_e32 v49, 0, v45
	v_cvt_f32_i32_e32 v45, v45
	s_delay_alu instid0(VALU_DEP_2) | instskip(NEXT) | instid1(VALU_DEP_1)
	v_ldexp_f32 v48, v48, v49
	v_dual_add_f32 v51, 1.0, v48 :: v_dual_add_f32 v50, 1.0, v50
	s_delay_alu instid0(VALU_DEP_1) | instskip(NEXT) | instid1(VALU_DEP_2)
	v_add_f32_e32 v46, v46, v50
	v_add_f32_e32 v50, -1.0, v51
	s_delay_alu instid0(VALU_DEP_2) | instskip(NEXT) | instid1(VALU_DEP_2)
	v_ldexp_f32 v46, v46, v49
	v_dual_add_f32 v49, -1.0, v48 :: v_dual_sub_f32 v50, v48, v50
	s_delay_alu instid0(VALU_DEP_1) | instskip(NEXT) | instid1(VALU_DEP_2)
	v_add_f32_e32 v52, 1.0, v49
	v_add_f32_e32 v50, v46, v50
	s_delay_alu instid0(VALU_DEP_2) | instskip(NEXT) | instid1(VALU_DEP_2)
	v_sub_f32_e32 v48, v48, v52
	v_add_f32_e32 v52, v51, v50
	s_delay_alu instid0(VALU_DEP_2) | instskip(NEXT) | instid1(VALU_DEP_2)
	v_add_f32_e32 v46, v46, v48
	v_rcp_f32_e32 v48, v52
	v_sub_f32_e32 v51, v51, v52
	s_delay_alu instid0(VALU_DEP_1) | instskip(NEXT) | instid1(VALU_DEP_1)
	v_dual_add_f32 v53, v49, v46 :: v_dual_add_f32 v50, v50, v51
	v_sub_f32_e32 v49, v49, v53
	s_delay_alu instid0(TRANS32_DEP_1) | instskip(NEXT) | instid1(VALU_DEP_1)
	v_mul_f32_e32 v54, v53, v48
	v_dual_add_f32 v46, v46, v49 :: v_dual_mul_f32 v55, v52, v54
	s_delay_alu instid0(VALU_DEP_1) | instskip(NEXT) | instid1(VALU_DEP_1)
	v_fma_f32 v51, v54, v52, -v55
	v_fmac_f32_e32 v51, v54, v50
	s_delay_alu instid0(VALU_DEP_1) | instskip(NEXT) | instid1(VALU_DEP_1)
	v_add_f32_e32 v56, v55, v51
	v_sub_f32_e32 v57, v53, v56
	v_sub_f32_e32 v49, v56, v55
	s_delay_alu instid0(VALU_DEP_2) | instskip(NEXT) | instid1(VALU_DEP_2)
	v_sub_f32_e32 v53, v53, v57
	v_sub_f32_e32 v49, v49, v51
	s_delay_alu instid0(VALU_DEP_2) | instskip(NEXT) | instid1(VALU_DEP_1)
	v_sub_f32_e32 v53, v53, v56
	v_add_f32_e32 v46, v46, v53
	s_delay_alu instid0(VALU_DEP_1) | instskip(NEXT) | instid1(VALU_DEP_1)
	v_add_f32_e32 v46, v49, v46
	v_add_f32_e32 v49, v57, v46
	s_delay_alu instid0(VALU_DEP_1) | instskip(NEXT) | instid1(VALU_DEP_1)
	v_mul_f32_e32 v51, v48, v49
	v_dual_sub_f32 v56, v57, v49 :: v_dual_mul_f32 v53, v52, v51
	s_delay_alu instid0(VALU_DEP_1) | instskip(NEXT) | instid1(VALU_DEP_2)
	v_add_f32_e32 v46, v46, v56
	v_fma_f32 v52, v51, v52, -v53
	s_delay_alu instid0(VALU_DEP_1) | instskip(NEXT) | instid1(VALU_DEP_1)
	v_fmac_f32_e32 v52, v51, v50
	v_add_f32_e32 v50, v53, v52
	s_delay_alu instid0(VALU_DEP_1) | instskip(SKIP_1) | instid1(VALU_DEP_2)
	v_sub_f32_e32 v55, v49, v50
	v_sub_f32_e32 v53, v50, v53
	v_sub_f32_e32 v49, v49, v55
	s_delay_alu instid0(VALU_DEP_1) | instskip(NEXT) | instid1(VALU_DEP_3)
	v_sub_f32_e32 v49, v49, v50
	v_sub_f32_e32 v50, v53, v52
	s_delay_alu instid0(VALU_DEP_2) | instskip(SKIP_1) | instid1(VALU_DEP_2)
	v_add_f32_e32 v46, v46, v49
	v_add_f32_e32 v49, v54, v51
	;; [unrolled: 1-line block ×3, first 2 shown]
	s_delay_alu instid0(VALU_DEP_2) | instskip(NEXT) | instid1(VALU_DEP_2)
	v_sub_f32_e32 v50, v49, v54
	v_add_f32_e32 v46, v55, v46
	s_delay_alu instid0(VALU_DEP_2) | instskip(NEXT) | instid1(VALU_DEP_2)
	v_sub_f32_e32 v50, v51, v50
	v_mul_f32_e32 v46, v48, v46
	s_delay_alu instid0(VALU_DEP_1) | instskip(NEXT) | instid1(VALU_DEP_1)
	v_add_f32_e32 v46, v50, v46
	v_add_f32_e32 v48, v49, v46
	s_delay_alu instid0(VALU_DEP_1) | instskip(SKIP_1) | instid1(VALU_DEP_1)
	v_mul_f32_e32 v50, v48, v48
	s_wait_alu 0xfffe
	v_fmaak_f32 v51, s15, v50, 0x3ecc95a3
	v_mul_f32_e32 v52, v48, v50
	v_cmp_neq_f32_e64 s15, 0x7f800000, v47
	s_delay_alu instid0(VALU_DEP_3) | instskip(SKIP_2) | instid1(VALU_DEP_3)
	v_fmaak_f32 v50, v50, v51, 0x3f2aaada
	v_ldexp_f32 v51, v48, 1
	v_sub_f32_e32 v48, v48, v49
	v_mul_f32_e32 v50, v52, v50
	v_mul_f32_e32 v52, 0x3f317218, v45
	s_delay_alu instid0(VALU_DEP_2) | instskip(NEXT) | instid1(VALU_DEP_1)
	v_dual_sub_f32 v46, v46, v48 :: v_dual_add_f32 v49, v51, v50
	v_ldexp_f32 v46, v46, 1
	s_delay_alu instid0(VALU_DEP_2) | instskip(NEXT) | instid1(VALU_DEP_4)
	v_sub_f32_e32 v48, v49, v51
	v_fma_f32 v51, 0x3f317218, v45, -v52
	s_delay_alu instid0(VALU_DEP_1) | instskip(NEXT) | instid1(VALU_DEP_1)
	v_dual_sub_f32 v48, v50, v48 :: v_dual_fmamk_f32 v45, v45, 0xb102e308, v51
	v_add_f32_e32 v46, v46, v48
	s_delay_alu instid0(VALU_DEP_2) | instskip(NEXT) | instid1(VALU_DEP_2)
	v_add_f32_e32 v48, v52, v45
	v_add_f32_e32 v50, v49, v46
	s_delay_alu instid0(VALU_DEP_2) | instskip(NEXT) | instid1(VALU_DEP_2)
	v_sub_f32_e32 v52, v48, v52
	v_add_f32_e32 v51, v48, v50
	v_sub_f32_e32 v49, v50, v49
	s_delay_alu instid0(VALU_DEP_3) | instskip(NEXT) | instid1(VALU_DEP_2)
	v_sub_f32_e32 v45, v45, v52
	v_dual_sub_f32 v53, v51, v48 :: v_dual_sub_f32 v46, v46, v49
	s_delay_alu instid0(VALU_DEP_1) | instskip(NEXT) | instid1(VALU_DEP_2)
	v_sub_f32_e32 v54, v51, v53
	v_dual_sub_f32 v49, v50, v53 :: v_dual_add_f32 v50, v45, v46
	s_delay_alu instid0(VALU_DEP_2) | instskip(NEXT) | instid1(VALU_DEP_1)
	v_sub_f32_e32 v48, v48, v54
	v_dual_add_f32 v48, v49, v48 :: v_dual_sub_f32 v49, v50, v45
	s_delay_alu instid0(VALU_DEP_1) | instskip(NEXT) | instid1(VALU_DEP_2)
	v_add_f32_e32 v48, v50, v48
	v_sub_f32_e32 v50, v50, v49
	v_sub_f32_e32 v46, v46, v49
	s_delay_alu instid0(VALU_DEP_2) | instskip(NEXT) | instid1(VALU_DEP_1)
	v_dual_add_f32 v52, v51, v48 :: v_dual_sub_f32 v45, v45, v50
	v_sub_f32_e32 v49, v52, v51
	s_delay_alu instid0(VALU_DEP_2) | instskip(NEXT) | instid1(VALU_DEP_2)
	v_add_f32_e32 v45, v46, v45
	v_sub_f32_e32 v46, v48, v49
	s_delay_alu instid0(VALU_DEP_1) | instskip(NEXT) | instid1(VALU_DEP_1)
	v_add_f32_e32 v45, v45, v46
	v_add_f32_e32 v45, v52, v45
	s_wait_alu 0xf1ff
	s_delay_alu instid0(VALU_DEP_1) | instskip(SKIP_2) | instid1(VALU_DEP_1)
	v_cndmask_b32_e64 v45, 0x7f800000, v45, s15
	v_cmp_gt_f32_e64 s15, 0x33800000, |v47|
	s_wait_alu 0xf1ff
	v_cndmask_b32_e64 v45, v45, v47, s15
	s_delay_alu instid0(VALU_DEP_1)
	v_add_f32_e32 v45, v44, v45
.LBB443_77:
	s_or_b32 exec_lo, exec_lo, s23
	s_delay_alu instid0(VALU_DEP_1) | instskip(SKIP_1) | instid1(VALU_DEP_2)
	v_bfe_u32 v44, v45, 16, 1
	v_cmp_o_f32_e64 s15, v45, v45
	v_add3_u32 v44, v45, v44, 0x7fff
	s_delay_alu instid0(VALU_DEP_1) | instskip(SKIP_1) | instid1(VALU_DEP_1)
	v_lshrrev_b32_e32 v44, 16, v44
	s_wait_alu 0xf1ff
	v_cndmask_b32_e64 v44, 0x7fc0, v44, s15
	s_delay_alu instid0(VALU_DEP_1)
	v_and_b32_e32 v45, 0xffff, v44
.LBB443_78:
	s_or_b32 exec_lo, exec_lo, s22
	s_delay_alu instid0(VALU_DEP_1)
	v_mov_b32_dpp v46, v45 row_shr:8 row_mask:0xf bank_mask:0xf
	s_mov_b32 s22, exec_lo
	v_cmpx_lt_u32_e32 7, v43
	s_cbranch_execz .LBB443_82
; %bb.79:
	s_delay_alu instid0(VALU_DEP_2) | instskip(NEXT) | instid1(VALU_DEP_1)
	v_lshlrev_b32_e32 v44, 16, v46
	v_dual_max_num_f32 v46, v44, v44 :: v_dual_lshlrev_b32 v43, 16, v45
	s_delay_alu instid0(VALU_DEP_1) | instskip(SKIP_1) | instid1(VALU_DEP_2)
	v_max_num_f32_e32 v45, v43, v43
	v_cmp_u_f32_e64 s15, v44, v44
	v_min_num_f32_e32 v47, v46, v45
	v_max_num_f32_e32 v45, v46, v45
	s_wait_alu 0xf1ff
	s_delay_alu instid0(VALU_DEP_2) | instskip(NEXT) | instid1(VALU_DEP_2)
	v_cndmask_b32_e64 v46, v47, v44, s15
	v_cndmask_b32_e64 v47, v45, v44, s15
	v_cmp_u_f32_e64 s15, v43, v43
	s_wait_alu 0xf1ff
	s_delay_alu instid0(VALU_DEP_1) | instskip(NEXT) | instid1(VALU_DEP_3)
	v_cndmask_b32_e64 v45, v46, v43, s15
	v_cndmask_b32_e64 v43, v47, v43, s15
	s_delay_alu instid0(VALU_DEP_2) | instskip(NEXT) | instid1(VALU_DEP_2)
	v_cmp_class_f32_e64 s23, v45, 0x1f8
	v_cmp_neq_f32_e64 s15, v45, v43
	s_or_b32 s15, s15, s23
	s_wait_alu 0xfffe
	s_and_saveexec_b32 s23, s15
	s_cbranch_execz .LBB443_81
; %bb.80:
	v_sub_f32_e32 v44, v45, v43
	s_delay_alu instid0(VALU_DEP_1) | instskip(SKIP_1) | instid1(VALU_DEP_2)
	v_mul_f32_e32 v45, 0x3fb8aa3b, v44
	v_cmp_ngt_f32_e64 s15, 0xc2ce8ed0, v44
	v_fma_f32 v46, 0x3fb8aa3b, v44, -v45
	v_rndne_f32_e32 v47, v45
	s_delay_alu instid0(VALU_DEP_1) | instskip(NEXT) | instid1(VALU_DEP_1)
	v_dual_fmamk_f32 v46, v44, 0x32a5705f, v46 :: v_dual_sub_f32 v45, v45, v47
	v_add_f32_e32 v45, v45, v46
	v_cvt_i32_f32_e32 v46, v47
	s_delay_alu instid0(VALU_DEP_2) | instskip(NEXT) | instid1(TRANS32_DEP_1)
	v_exp_f32_e32 v45, v45
	v_ldexp_f32 v45, v45, v46
	s_wait_alu 0xf1ff
	s_delay_alu instid0(VALU_DEP_1) | instskip(SKIP_2) | instid1(VALU_DEP_1)
	v_cndmask_b32_e64 v45, 0, v45, s15
	v_cmp_nlt_f32_e64 s15, 0x42b17218, v44
	s_wait_alu 0xf1ff
	v_cndmask_b32_e64 v46, 0x7f800000, v45, s15
	s_delay_alu instid0(VALU_DEP_1) | instskip(NEXT) | instid1(VALU_DEP_1)
	v_add_f32_e32 v47, 1.0, v46
	v_cvt_f64_f32_e32 v[44:45], v47
	s_delay_alu instid0(VALU_DEP_1) | instskip(SKIP_1) | instid1(VALU_DEP_1)
	v_frexp_exp_i32_f64_e32 v44, v[44:45]
	v_frexp_mant_f32_e32 v45, v47
	v_cmp_gt_f32_e64 s15, 0x3f2aaaab, v45
	v_add_f32_e32 v45, -1.0, v47
	s_delay_alu instid0(VALU_DEP_1)
	v_sub_f32_e32 v49, v45, v47
	v_sub_f32_e32 v45, v46, v45
	s_wait_alu 0xf1ff
	v_subrev_co_ci_u32_e64 v44, null, 0, v44, s15
	s_mov_b32 s15, 0x3e9b6dac
	v_sub_nc_u32_e32 v48, 0, v44
	v_cvt_f32_i32_e32 v44, v44
	s_delay_alu instid0(VALU_DEP_2) | instskip(NEXT) | instid1(VALU_DEP_1)
	v_ldexp_f32 v47, v47, v48
	v_dual_add_f32 v50, 1.0, v47 :: v_dual_add_f32 v49, 1.0, v49
	s_delay_alu instid0(VALU_DEP_1) | instskip(NEXT) | instid1(VALU_DEP_2)
	v_add_f32_e32 v45, v45, v49
	v_add_f32_e32 v49, -1.0, v50
	s_delay_alu instid0(VALU_DEP_2) | instskip(NEXT) | instid1(VALU_DEP_2)
	v_ldexp_f32 v45, v45, v48
	v_dual_add_f32 v48, -1.0, v47 :: v_dual_sub_f32 v49, v47, v49
	s_delay_alu instid0(VALU_DEP_1) | instskip(NEXT) | instid1(VALU_DEP_2)
	v_add_f32_e32 v51, 1.0, v48
	v_add_f32_e32 v49, v45, v49
	s_delay_alu instid0(VALU_DEP_2) | instskip(NEXT) | instid1(VALU_DEP_2)
	v_sub_f32_e32 v47, v47, v51
	v_add_f32_e32 v51, v50, v49
	s_delay_alu instid0(VALU_DEP_2) | instskip(NEXT) | instid1(VALU_DEP_2)
	v_add_f32_e32 v45, v45, v47
	v_rcp_f32_e32 v47, v51
	v_sub_f32_e32 v50, v50, v51
	s_delay_alu instid0(VALU_DEP_1) | instskip(NEXT) | instid1(VALU_DEP_1)
	v_dual_add_f32 v52, v48, v45 :: v_dual_add_f32 v49, v49, v50
	v_sub_f32_e32 v48, v48, v52
	s_delay_alu instid0(TRANS32_DEP_1) | instskip(NEXT) | instid1(VALU_DEP_1)
	v_mul_f32_e32 v53, v52, v47
	v_dual_add_f32 v45, v45, v48 :: v_dual_mul_f32 v54, v51, v53
	s_delay_alu instid0(VALU_DEP_1) | instskip(NEXT) | instid1(VALU_DEP_1)
	v_fma_f32 v50, v53, v51, -v54
	v_fmac_f32_e32 v50, v53, v49
	s_delay_alu instid0(VALU_DEP_1) | instskip(NEXT) | instid1(VALU_DEP_1)
	v_add_f32_e32 v55, v54, v50
	v_sub_f32_e32 v56, v52, v55
	v_sub_f32_e32 v48, v55, v54
	s_delay_alu instid0(VALU_DEP_2) | instskip(NEXT) | instid1(VALU_DEP_2)
	v_sub_f32_e32 v52, v52, v56
	v_sub_f32_e32 v48, v48, v50
	s_delay_alu instid0(VALU_DEP_2) | instskip(NEXT) | instid1(VALU_DEP_1)
	v_sub_f32_e32 v52, v52, v55
	v_add_f32_e32 v45, v45, v52
	s_delay_alu instid0(VALU_DEP_1) | instskip(NEXT) | instid1(VALU_DEP_1)
	v_add_f32_e32 v45, v48, v45
	v_add_f32_e32 v48, v56, v45
	s_delay_alu instid0(VALU_DEP_1) | instskip(NEXT) | instid1(VALU_DEP_1)
	v_mul_f32_e32 v50, v47, v48
	v_dual_sub_f32 v55, v56, v48 :: v_dual_mul_f32 v52, v51, v50
	s_delay_alu instid0(VALU_DEP_1) | instskip(NEXT) | instid1(VALU_DEP_2)
	v_add_f32_e32 v45, v45, v55
	v_fma_f32 v51, v50, v51, -v52
	s_delay_alu instid0(VALU_DEP_1) | instskip(NEXT) | instid1(VALU_DEP_1)
	v_fmac_f32_e32 v51, v50, v49
	v_add_f32_e32 v49, v52, v51
	s_delay_alu instid0(VALU_DEP_1) | instskip(SKIP_1) | instid1(VALU_DEP_2)
	v_sub_f32_e32 v54, v48, v49
	v_sub_f32_e32 v52, v49, v52
	;; [unrolled: 1-line block ×3, first 2 shown]
	s_delay_alu instid0(VALU_DEP_1) | instskip(NEXT) | instid1(VALU_DEP_3)
	v_sub_f32_e32 v48, v48, v49
	v_sub_f32_e32 v49, v52, v51
	s_delay_alu instid0(VALU_DEP_2) | instskip(SKIP_1) | instid1(VALU_DEP_2)
	v_add_f32_e32 v45, v45, v48
	v_add_f32_e32 v48, v53, v50
	;; [unrolled: 1-line block ×3, first 2 shown]
	s_delay_alu instid0(VALU_DEP_2) | instskip(NEXT) | instid1(VALU_DEP_2)
	v_sub_f32_e32 v49, v48, v53
	v_add_f32_e32 v45, v54, v45
	s_delay_alu instid0(VALU_DEP_2) | instskip(NEXT) | instid1(VALU_DEP_2)
	v_sub_f32_e32 v49, v50, v49
	v_mul_f32_e32 v45, v47, v45
	s_delay_alu instid0(VALU_DEP_1) | instskip(NEXT) | instid1(VALU_DEP_1)
	v_add_f32_e32 v45, v49, v45
	v_add_f32_e32 v47, v48, v45
	s_delay_alu instid0(VALU_DEP_1) | instskip(SKIP_1) | instid1(VALU_DEP_1)
	v_mul_f32_e32 v49, v47, v47
	s_wait_alu 0xfffe
	v_fmaak_f32 v50, s15, v49, 0x3ecc95a3
	v_mul_f32_e32 v51, v47, v49
	v_cmp_neq_f32_e64 s15, 0x7f800000, v46
	s_delay_alu instid0(VALU_DEP_3) | instskip(SKIP_2) | instid1(VALU_DEP_3)
	v_fmaak_f32 v49, v49, v50, 0x3f2aaada
	v_ldexp_f32 v50, v47, 1
	v_sub_f32_e32 v47, v47, v48
	v_mul_f32_e32 v49, v51, v49
	v_mul_f32_e32 v51, 0x3f317218, v44
	s_delay_alu instid0(VALU_DEP_2) | instskip(NEXT) | instid1(VALU_DEP_1)
	v_dual_sub_f32 v45, v45, v47 :: v_dual_add_f32 v48, v50, v49
	v_ldexp_f32 v45, v45, 1
	s_delay_alu instid0(VALU_DEP_2) | instskip(NEXT) | instid1(VALU_DEP_4)
	v_sub_f32_e32 v47, v48, v50
	v_fma_f32 v50, 0x3f317218, v44, -v51
	s_delay_alu instid0(VALU_DEP_1) | instskip(NEXT) | instid1(VALU_DEP_1)
	v_dual_sub_f32 v47, v49, v47 :: v_dual_fmamk_f32 v44, v44, 0xb102e308, v50
	v_add_f32_e32 v45, v45, v47
	s_delay_alu instid0(VALU_DEP_2) | instskip(NEXT) | instid1(VALU_DEP_2)
	v_add_f32_e32 v47, v51, v44
	v_add_f32_e32 v49, v48, v45
	s_delay_alu instid0(VALU_DEP_2) | instskip(NEXT) | instid1(VALU_DEP_2)
	v_sub_f32_e32 v51, v47, v51
	v_add_f32_e32 v50, v47, v49
	v_sub_f32_e32 v48, v49, v48
	s_delay_alu instid0(VALU_DEP_3) | instskip(NEXT) | instid1(VALU_DEP_2)
	v_sub_f32_e32 v44, v44, v51
	v_dual_sub_f32 v52, v50, v47 :: v_dual_sub_f32 v45, v45, v48
	s_delay_alu instid0(VALU_DEP_1) | instskip(NEXT) | instid1(VALU_DEP_2)
	v_sub_f32_e32 v53, v50, v52
	v_dual_sub_f32 v48, v49, v52 :: v_dual_add_f32 v49, v44, v45
	s_delay_alu instid0(VALU_DEP_2) | instskip(NEXT) | instid1(VALU_DEP_1)
	v_sub_f32_e32 v47, v47, v53
	v_dual_add_f32 v47, v48, v47 :: v_dual_sub_f32 v48, v49, v44
	s_delay_alu instid0(VALU_DEP_1) | instskip(NEXT) | instid1(VALU_DEP_2)
	v_add_f32_e32 v47, v49, v47
	v_sub_f32_e32 v49, v49, v48
	v_sub_f32_e32 v45, v45, v48
	s_delay_alu instid0(VALU_DEP_2) | instskip(NEXT) | instid1(VALU_DEP_1)
	v_dual_add_f32 v51, v50, v47 :: v_dual_sub_f32 v44, v44, v49
	v_sub_f32_e32 v48, v51, v50
	s_delay_alu instid0(VALU_DEP_2) | instskip(NEXT) | instid1(VALU_DEP_2)
	v_add_f32_e32 v44, v45, v44
	v_sub_f32_e32 v45, v47, v48
	s_delay_alu instid0(VALU_DEP_1) | instskip(NEXT) | instid1(VALU_DEP_1)
	v_add_f32_e32 v44, v44, v45
	v_add_f32_e32 v44, v51, v44
	s_wait_alu 0xf1ff
	s_delay_alu instid0(VALU_DEP_1) | instskip(SKIP_2) | instid1(VALU_DEP_1)
	v_cndmask_b32_e64 v44, 0x7f800000, v44, s15
	v_cmp_gt_f32_e64 s15, 0x33800000, |v46|
	s_wait_alu 0xf1ff
	v_cndmask_b32_e64 v44, v44, v46, s15
	s_delay_alu instid0(VALU_DEP_1)
	v_add_f32_e32 v44, v43, v44
.LBB443_81:
	s_or_b32 exec_lo, exec_lo, s23
	s_delay_alu instid0(VALU_DEP_1) | instskip(SKIP_1) | instid1(VALU_DEP_2)
	v_bfe_u32 v43, v44, 16, 1
	v_cmp_o_f32_e64 s15, v44, v44
	v_add3_u32 v43, v44, v43, 0x7fff
	s_delay_alu instid0(VALU_DEP_1) | instskip(SKIP_1) | instid1(VALU_DEP_1)
	v_lshrrev_b32_e32 v43, 16, v43
	s_wait_alu 0xf1ff
	v_cndmask_b32_e64 v44, 0x7fc0, v43, s15
	s_delay_alu instid0(VALU_DEP_1)
	v_and_b32_e32 v45, 0xffff, v44
.LBB443_82:
	s_or_b32 exec_lo, exec_lo, s22
	ds_swizzle_b32 v43, v45 offset:swizzle(BROADCAST,32,15)
	v_and_b32_e32 v46, 16, v5
	s_mov_b32 s22, exec_lo
	s_delay_alu instid0(VALU_DEP_1)
	v_cmpx_ne_u32_e32 0, v46
	s_cbranch_execz .LBB443_86
; %bb.83:
	s_wait_dscnt 0x0
	v_lshlrev_b32_e32 v44, 16, v43
	s_delay_alu instid0(VALU_DEP_1) | instskip(NEXT) | instid1(VALU_DEP_1)
	v_dual_max_num_f32 v45, v44, v44 :: v_dual_lshlrev_b32 v46, 16, v45
	v_max_num_f32_e32 v43, v46, v46
	v_cmp_u_f32_e64 s15, v44, v44
	s_delay_alu instid0(VALU_DEP_2) | instskip(SKIP_2) | instid1(VALU_DEP_2)
	v_min_num_f32_e32 v47, v45, v43
	v_max_num_f32_e32 v43, v45, v43
	s_wait_alu 0xf1ff
	v_cndmask_b32_e64 v45, v47, v44, s15
	s_delay_alu instid0(VALU_DEP_2) | instskip(SKIP_2) | instid1(VALU_DEP_1)
	v_cndmask_b32_e64 v43, v43, v44, s15
	v_cmp_u_f32_e64 s15, v46, v46
	s_wait_alu 0xf1ff
	v_cndmask_b32_e64 v45, v45, v46, s15
	s_delay_alu instid0(VALU_DEP_3) | instskip(NEXT) | instid1(VALU_DEP_2)
	v_cndmask_b32_e64 v43, v43, v46, s15
	v_cmp_class_f32_e64 s23, v45, 0x1f8
	s_delay_alu instid0(VALU_DEP_2)
	v_cmp_neq_f32_e64 s15, v45, v43
	s_or_b32 s15, s15, s23
	s_wait_alu 0xfffe
	s_and_saveexec_b32 s23, s15
	s_cbranch_execz .LBB443_85
; %bb.84:
	v_sub_f32_e32 v44, v45, v43
	s_delay_alu instid0(VALU_DEP_1) | instskip(SKIP_1) | instid1(VALU_DEP_2)
	v_mul_f32_e32 v45, 0x3fb8aa3b, v44
	v_cmp_ngt_f32_e64 s15, 0xc2ce8ed0, v44
	v_fma_f32 v46, 0x3fb8aa3b, v44, -v45
	v_rndne_f32_e32 v47, v45
	s_delay_alu instid0(VALU_DEP_1) | instskip(NEXT) | instid1(VALU_DEP_1)
	v_dual_fmamk_f32 v46, v44, 0x32a5705f, v46 :: v_dual_sub_f32 v45, v45, v47
	v_add_f32_e32 v45, v45, v46
	v_cvt_i32_f32_e32 v46, v47
	s_delay_alu instid0(VALU_DEP_2) | instskip(NEXT) | instid1(TRANS32_DEP_1)
	v_exp_f32_e32 v45, v45
	v_ldexp_f32 v45, v45, v46
	s_wait_alu 0xf1ff
	s_delay_alu instid0(VALU_DEP_1) | instskip(SKIP_2) | instid1(VALU_DEP_1)
	v_cndmask_b32_e64 v45, 0, v45, s15
	v_cmp_nlt_f32_e64 s15, 0x42b17218, v44
	s_wait_alu 0xf1ff
	v_cndmask_b32_e64 v46, 0x7f800000, v45, s15
	s_delay_alu instid0(VALU_DEP_1) | instskip(NEXT) | instid1(VALU_DEP_1)
	v_add_f32_e32 v47, 1.0, v46
	v_cvt_f64_f32_e32 v[44:45], v47
	s_delay_alu instid0(VALU_DEP_1) | instskip(SKIP_1) | instid1(VALU_DEP_1)
	v_frexp_exp_i32_f64_e32 v44, v[44:45]
	v_frexp_mant_f32_e32 v45, v47
	v_cmp_gt_f32_e64 s15, 0x3f2aaaab, v45
	v_add_f32_e32 v45, -1.0, v47
	s_delay_alu instid0(VALU_DEP_1)
	v_sub_f32_e32 v49, v45, v47
	v_sub_f32_e32 v45, v46, v45
	s_wait_alu 0xf1ff
	v_subrev_co_ci_u32_e64 v44, null, 0, v44, s15
	s_mov_b32 s15, 0x3e9b6dac
	v_sub_nc_u32_e32 v48, 0, v44
	v_cvt_f32_i32_e32 v44, v44
	s_delay_alu instid0(VALU_DEP_2) | instskip(NEXT) | instid1(VALU_DEP_1)
	v_ldexp_f32 v47, v47, v48
	v_dual_add_f32 v50, 1.0, v47 :: v_dual_add_f32 v49, 1.0, v49
	s_delay_alu instid0(VALU_DEP_1) | instskip(NEXT) | instid1(VALU_DEP_2)
	v_add_f32_e32 v45, v45, v49
	v_add_f32_e32 v49, -1.0, v50
	s_delay_alu instid0(VALU_DEP_2) | instskip(NEXT) | instid1(VALU_DEP_2)
	v_ldexp_f32 v45, v45, v48
	v_dual_add_f32 v48, -1.0, v47 :: v_dual_sub_f32 v49, v47, v49
	s_delay_alu instid0(VALU_DEP_1) | instskip(NEXT) | instid1(VALU_DEP_2)
	v_add_f32_e32 v51, 1.0, v48
	v_add_f32_e32 v49, v45, v49
	s_delay_alu instid0(VALU_DEP_2) | instskip(NEXT) | instid1(VALU_DEP_2)
	v_sub_f32_e32 v47, v47, v51
	v_add_f32_e32 v51, v50, v49
	s_delay_alu instid0(VALU_DEP_2) | instskip(NEXT) | instid1(VALU_DEP_2)
	v_add_f32_e32 v45, v45, v47
	v_rcp_f32_e32 v47, v51
	v_sub_f32_e32 v50, v50, v51
	s_delay_alu instid0(VALU_DEP_1) | instskip(NEXT) | instid1(VALU_DEP_1)
	v_dual_add_f32 v52, v48, v45 :: v_dual_add_f32 v49, v49, v50
	v_sub_f32_e32 v48, v48, v52
	s_delay_alu instid0(TRANS32_DEP_1) | instskip(NEXT) | instid1(VALU_DEP_1)
	v_mul_f32_e32 v53, v52, v47
	v_dual_add_f32 v45, v45, v48 :: v_dual_mul_f32 v54, v51, v53
	s_delay_alu instid0(VALU_DEP_1) | instskip(NEXT) | instid1(VALU_DEP_1)
	v_fma_f32 v50, v53, v51, -v54
	v_fmac_f32_e32 v50, v53, v49
	s_delay_alu instid0(VALU_DEP_1) | instskip(NEXT) | instid1(VALU_DEP_1)
	v_add_f32_e32 v55, v54, v50
	v_sub_f32_e32 v56, v52, v55
	v_sub_f32_e32 v48, v55, v54
	s_delay_alu instid0(VALU_DEP_2) | instskip(NEXT) | instid1(VALU_DEP_2)
	v_sub_f32_e32 v52, v52, v56
	v_sub_f32_e32 v48, v48, v50
	s_delay_alu instid0(VALU_DEP_2) | instskip(NEXT) | instid1(VALU_DEP_1)
	v_sub_f32_e32 v52, v52, v55
	v_add_f32_e32 v45, v45, v52
	s_delay_alu instid0(VALU_DEP_1) | instskip(NEXT) | instid1(VALU_DEP_1)
	v_add_f32_e32 v45, v48, v45
	v_add_f32_e32 v48, v56, v45
	s_delay_alu instid0(VALU_DEP_1) | instskip(NEXT) | instid1(VALU_DEP_1)
	v_mul_f32_e32 v50, v47, v48
	v_dual_sub_f32 v55, v56, v48 :: v_dual_mul_f32 v52, v51, v50
	s_delay_alu instid0(VALU_DEP_1) | instskip(NEXT) | instid1(VALU_DEP_2)
	v_add_f32_e32 v45, v45, v55
	v_fma_f32 v51, v50, v51, -v52
	s_delay_alu instid0(VALU_DEP_1) | instskip(NEXT) | instid1(VALU_DEP_1)
	v_fmac_f32_e32 v51, v50, v49
	v_add_f32_e32 v49, v52, v51
	s_delay_alu instid0(VALU_DEP_1) | instskip(SKIP_1) | instid1(VALU_DEP_2)
	v_sub_f32_e32 v54, v48, v49
	v_sub_f32_e32 v52, v49, v52
	;; [unrolled: 1-line block ×3, first 2 shown]
	s_delay_alu instid0(VALU_DEP_1) | instskip(NEXT) | instid1(VALU_DEP_3)
	v_sub_f32_e32 v48, v48, v49
	v_sub_f32_e32 v49, v52, v51
	s_delay_alu instid0(VALU_DEP_2) | instskip(SKIP_1) | instid1(VALU_DEP_2)
	v_add_f32_e32 v45, v45, v48
	v_add_f32_e32 v48, v53, v50
	;; [unrolled: 1-line block ×3, first 2 shown]
	s_delay_alu instid0(VALU_DEP_2) | instskip(NEXT) | instid1(VALU_DEP_2)
	v_sub_f32_e32 v49, v48, v53
	v_add_f32_e32 v45, v54, v45
	s_delay_alu instid0(VALU_DEP_2) | instskip(NEXT) | instid1(VALU_DEP_2)
	v_sub_f32_e32 v49, v50, v49
	v_mul_f32_e32 v45, v47, v45
	s_delay_alu instid0(VALU_DEP_1) | instskip(NEXT) | instid1(VALU_DEP_1)
	v_add_f32_e32 v45, v49, v45
	v_add_f32_e32 v47, v48, v45
	s_delay_alu instid0(VALU_DEP_1) | instskip(SKIP_1) | instid1(VALU_DEP_1)
	v_mul_f32_e32 v49, v47, v47
	s_wait_alu 0xfffe
	v_fmaak_f32 v50, s15, v49, 0x3ecc95a3
	v_mul_f32_e32 v51, v47, v49
	v_cmp_neq_f32_e64 s15, 0x7f800000, v46
	s_delay_alu instid0(VALU_DEP_3) | instskip(SKIP_2) | instid1(VALU_DEP_3)
	v_fmaak_f32 v49, v49, v50, 0x3f2aaada
	v_ldexp_f32 v50, v47, 1
	v_sub_f32_e32 v47, v47, v48
	v_mul_f32_e32 v49, v51, v49
	v_mul_f32_e32 v51, 0x3f317218, v44
	s_delay_alu instid0(VALU_DEP_2) | instskip(NEXT) | instid1(VALU_DEP_1)
	v_dual_sub_f32 v45, v45, v47 :: v_dual_add_f32 v48, v50, v49
	v_ldexp_f32 v45, v45, 1
	s_delay_alu instid0(VALU_DEP_2) | instskip(NEXT) | instid1(VALU_DEP_4)
	v_sub_f32_e32 v47, v48, v50
	v_fma_f32 v50, 0x3f317218, v44, -v51
	s_delay_alu instid0(VALU_DEP_1) | instskip(NEXT) | instid1(VALU_DEP_1)
	v_dual_sub_f32 v47, v49, v47 :: v_dual_fmamk_f32 v44, v44, 0xb102e308, v50
	v_add_f32_e32 v45, v45, v47
	s_delay_alu instid0(VALU_DEP_2) | instskip(NEXT) | instid1(VALU_DEP_2)
	v_add_f32_e32 v47, v51, v44
	v_add_f32_e32 v49, v48, v45
	s_delay_alu instid0(VALU_DEP_2) | instskip(NEXT) | instid1(VALU_DEP_2)
	v_sub_f32_e32 v51, v47, v51
	v_add_f32_e32 v50, v47, v49
	v_sub_f32_e32 v48, v49, v48
	s_delay_alu instid0(VALU_DEP_3) | instskip(NEXT) | instid1(VALU_DEP_2)
	v_sub_f32_e32 v44, v44, v51
	v_dual_sub_f32 v52, v50, v47 :: v_dual_sub_f32 v45, v45, v48
	s_delay_alu instid0(VALU_DEP_1) | instskip(NEXT) | instid1(VALU_DEP_2)
	v_sub_f32_e32 v53, v50, v52
	v_dual_sub_f32 v48, v49, v52 :: v_dual_add_f32 v49, v44, v45
	s_delay_alu instid0(VALU_DEP_2) | instskip(NEXT) | instid1(VALU_DEP_1)
	v_sub_f32_e32 v47, v47, v53
	v_dual_add_f32 v47, v48, v47 :: v_dual_sub_f32 v48, v49, v44
	s_delay_alu instid0(VALU_DEP_1) | instskip(NEXT) | instid1(VALU_DEP_2)
	v_add_f32_e32 v47, v49, v47
	v_sub_f32_e32 v49, v49, v48
	v_sub_f32_e32 v45, v45, v48
	s_delay_alu instid0(VALU_DEP_2) | instskip(NEXT) | instid1(VALU_DEP_1)
	v_dual_add_f32 v51, v50, v47 :: v_dual_sub_f32 v44, v44, v49
	v_sub_f32_e32 v48, v51, v50
	s_delay_alu instid0(VALU_DEP_2) | instskip(NEXT) | instid1(VALU_DEP_2)
	v_add_f32_e32 v44, v45, v44
	v_sub_f32_e32 v45, v47, v48
	s_delay_alu instid0(VALU_DEP_1) | instskip(NEXT) | instid1(VALU_DEP_1)
	v_add_f32_e32 v44, v44, v45
	v_add_f32_e32 v44, v51, v44
	s_wait_alu 0xf1ff
	s_delay_alu instid0(VALU_DEP_1) | instskip(SKIP_2) | instid1(VALU_DEP_1)
	v_cndmask_b32_e64 v44, 0x7f800000, v44, s15
	v_cmp_gt_f32_e64 s15, 0x33800000, |v46|
	s_wait_alu 0xf1ff
	v_cndmask_b32_e64 v44, v44, v46, s15
	s_delay_alu instid0(VALU_DEP_1)
	v_add_f32_e32 v44, v43, v44
.LBB443_85:
	s_or_b32 exec_lo, exec_lo, s23
	s_delay_alu instid0(VALU_DEP_1) | instskip(SKIP_1) | instid1(VALU_DEP_2)
	v_bfe_u32 v43, v44, 16, 1
	v_cmp_o_f32_e64 s15, v44, v44
	v_add3_u32 v43, v44, v43, 0x7fff
	s_delay_alu instid0(VALU_DEP_1) | instskip(SKIP_1) | instid1(VALU_DEP_1)
	v_lshrrev_b32_e32 v43, 16, v43
	s_wait_alu 0xf1ff
	v_cndmask_b32_e64 v44, 0x7fc0, v43, s15
.LBB443_86:
	s_or_b32 exec_lo, exec_lo, s22
	s_wait_dscnt 0x0
	v_add_nc_u32_e32 v43, -1, v5
	s_delay_alu instid0(VALU_DEP_1) | instskip(SKIP_1) | instid1(VALU_DEP_1)
	v_cmp_gt_i32_e64 s15, 0, v43
	s_wait_alu 0xf1ff
	v_cndmask_b32_e64 v5, v43, v5, s15
	v_and_b32_e32 v43, 0xffff, v44
	s_delay_alu instid0(VALU_DEP_2) | instskip(SKIP_3) | instid1(VALU_DEP_1)
	v_lshlrev_b32_e32 v5, 2, v5
	ds_bpermute_b32 v5, v5, v43
	s_wait_dscnt 0x0
	v_lshlrev_b32_e32 v5, 16, v5
	v_max_num_f32_e32 v43, v5, v5
	s_delay_alu instid0(VALU_DEP_1) | instskip(SKIP_3) | instid1(VALU_DEP_1)
	v_min_num_f32_e32 v44, v43, v4
	v_max_num_f32_e32 v4, v43, v4
	v_cmp_u_f32_e64 s15, v5, v5
	s_wait_alu 0xf1ff
	v_cndmask_b32_e64 v43, v44, v5, s15
	s_delay_alu instid0(VALU_DEP_3) | instskip(NEXT) | instid1(VALU_DEP_2)
	v_cndmask_b32_e64 v44, v4, v5, s15
	v_cndmask_b32_e64 v4, v43, v3, s14
	s_delay_alu instid0(VALU_DEP_2) | instskip(NEXT) | instid1(VALU_DEP_2)
	v_cndmask_b32_e64 v3, v44, v3, s14
	v_cmp_class_f32_e64 s15, v4, 0x1f8
	s_delay_alu instid0(VALU_DEP_2)
	v_cmp_neq_f32_e64 s14, v4, v3
	s_or_b32 s14, s14, s15
	s_wait_alu 0xfffe
	s_and_saveexec_b32 s15, s14
	s_cbranch_execz .LBB443_88
; %bb.87:
	v_sub_f32_e32 v4, v4, v3
	s_delay_alu instid0(VALU_DEP_1) | instskip(NEXT) | instid1(VALU_DEP_1)
	v_mul_f32_e32 v5, 0x3fb8aa3b, v4
	v_fma_f32 v43, 0x3fb8aa3b, v4, -v5
	v_rndne_f32_e32 v44, v5
	s_delay_alu instid0(VALU_DEP_1) | instskip(NEXT) | instid1(VALU_DEP_3)
	v_sub_f32_e32 v5, v5, v44
	v_fmamk_f32 v43, v4, 0x32a5705f, v43
	v_cmp_ngt_f32_e64 s14, 0xc2ce8ed0, v4
	s_delay_alu instid0(VALU_DEP_2) | instskip(SKIP_1) | instid1(VALU_DEP_2)
	v_add_f32_e32 v5, v5, v43
	v_cvt_i32_f32_e32 v43, v44
	v_exp_f32_e32 v5, v5
	s_delay_alu instid0(TRANS32_DEP_1) | instskip(SKIP_1) | instid1(VALU_DEP_1)
	v_ldexp_f32 v5, v5, v43
	s_wait_alu 0xf1ff
	v_cndmask_b32_e64 v5, 0, v5, s14
	v_cmp_nlt_f32_e64 s14, 0x42b17218, v4
	s_wait_alu 0xf1ff
	s_delay_alu instid0(VALU_DEP_1) | instskip(NEXT) | instid1(VALU_DEP_1)
	v_cndmask_b32_e64 v43, 0x7f800000, v5, s14
	v_add_f32_e32 v44, 1.0, v43
	s_delay_alu instid0(VALU_DEP_1) | instskip(NEXT) | instid1(VALU_DEP_1)
	v_cvt_f64_f32_e32 v[4:5], v44
	v_frexp_exp_i32_f64_e32 v4, v[4:5]
	v_frexp_mant_f32_e32 v5, v44
	s_delay_alu instid0(VALU_DEP_1) | instskip(SKIP_1) | instid1(VALU_DEP_1)
	v_cmp_gt_f32_e64 s14, 0x3f2aaaab, v5
	v_add_f32_e32 v5, -1.0, v44
	v_sub_f32_e32 v46, v5, v44
	s_delay_alu instid0(VALU_DEP_1)
	v_add_f32_e32 v46, 1.0, v46
	s_wait_alu 0xf1ff
	v_subrev_co_ci_u32_e64 v4, null, 0, v4, s14
	s_mov_b32 s14, 0x3e9b6dac
	v_sub_nc_u32_e32 v45, 0, v4
	v_cvt_f32_i32_e32 v4, v4
	s_delay_alu instid0(VALU_DEP_2) | instskip(SKIP_1) | instid1(VALU_DEP_1)
	v_ldexp_f32 v44, v44, v45
	v_sub_f32_e32 v5, v43, v5
	v_add_f32_e32 v5, v5, v46
	s_delay_alu instid0(VALU_DEP_1) | instskip(NEXT) | instid1(VALU_DEP_4)
	v_ldexp_f32 v5, v5, v45
	v_add_f32_e32 v45, -1.0, v44
	s_delay_alu instid0(VALU_DEP_1) | instskip(NEXT) | instid1(VALU_DEP_1)
	v_dual_add_f32 v47, 1.0, v44 :: v_dual_add_f32 v48, 1.0, v45
	v_add_f32_e32 v46, -1.0, v47
	s_delay_alu instid0(VALU_DEP_1) | instskip(NEXT) | instid1(VALU_DEP_3)
	v_sub_f32_e32 v46, v44, v46
	v_sub_f32_e32 v44, v44, v48
	s_delay_alu instid0(VALU_DEP_2) | instskip(NEXT) | instid1(VALU_DEP_1)
	v_add_f32_e32 v46, v5, v46
	v_dual_add_f32 v5, v5, v44 :: v_dual_add_f32 v48, v47, v46
	s_delay_alu instid0(VALU_DEP_1) | instskip(SKIP_1) | instid1(VALU_DEP_1)
	v_rcp_f32_e32 v44, v48
	v_sub_f32_e32 v47, v47, v48
	v_dual_add_f32 v49, v45, v5 :: v_dual_add_f32 v46, v46, v47
	s_delay_alu instid0(VALU_DEP_1) | instskip(NEXT) | instid1(TRANS32_DEP_1)
	v_sub_f32_e32 v45, v45, v49
	v_mul_f32_e32 v50, v49, v44
	s_delay_alu instid0(VALU_DEP_2) | instskip(NEXT) | instid1(VALU_DEP_2)
	v_add_f32_e32 v5, v5, v45
	v_mul_f32_e32 v51, v48, v50
	s_delay_alu instid0(VALU_DEP_1) | instskip(NEXT) | instid1(VALU_DEP_1)
	v_fma_f32 v47, v50, v48, -v51
	v_fmac_f32_e32 v47, v50, v46
	s_delay_alu instid0(VALU_DEP_1) | instskip(NEXT) | instid1(VALU_DEP_1)
	v_add_f32_e32 v52, v51, v47
	v_sub_f32_e32 v53, v49, v52
	v_sub_f32_e32 v45, v52, v51
	s_delay_alu instid0(VALU_DEP_2) | instskip(NEXT) | instid1(VALU_DEP_2)
	v_sub_f32_e32 v49, v49, v53
	v_sub_f32_e32 v45, v45, v47
	s_delay_alu instid0(VALU_DEP_2) | instskip(NEXT) | instid1(VALU_DEP_1)
	v_sub_f32_e32 v49, v49, v52
	v_add_f32_e32 v5, v5, v49
	s_delay_alu instid0(VALU_DEP_1) | instskip(NEXT) | instid1(VALU_DEP_1)
	v_add_f32_e32 v5, v45, v5
	v_add_f32_e32 v45, v53, v5
	s_delay_alu instid0(VALU_DEP_1) | instskip(NEXT) | instid1(VALU_DEP_1)
	v_mul_f32_e32 v47, v44, v45
	v_mul_f32_e32 v49, v48, v47
	s_delay_alu instid0(VALU_DEP_1) | instskip(NEXT) | instid1(VALU_DEP_1)
	v_fma_f32 v48, v47, v48, -v49
	v_fmac_f32_e32 v48, v47, v46
	v_sub_f32_e32 v52, v53, v45
	s_delay_alu instid0(VALU_DEP_2) | instskip(NEXT) | instid1(VALU_DEP_2)
	v_add_f32_e32 v46, v49, v48
	v_add_f32_e32 v5, v5, v52
	s_delay_alu instid0(VALU_DEP_2) | instskip(SKIP_1) | instid1(VALU_DEP_2)
	v_sub_f32_e32 v51, v45, v46
	v_sub_f32_e32 v49, v46, v49
	;; [unrolled: 1-line block ×3, first 2 shown]
	s_delay_alu instid0(VALU_DEP_1) | instskip(NEXT) | instid1(VALU_DEP_3)
	v_sub_f32_e32 v45, v45, v46
	v_sub_f32_e32 v46, v49, v48
	s_delay_alu instid0(VALU_DEP_2) | instskip(SKIP_1) | instid1(VALU_DEP_1)
	v_add_f32_e32 v5, v5, v45
	v_add_f32_e32 v45, v50, v47
	v_dual_add_f32 v5, v46, v5 :: v_dual_sub_f32 v46, v45, v50
	s_delay_alu instid0(VALU_DEP_1) | instskip(NEXT) | instid1(VALU_DEP_1)
	v_add_f32_e32 v5, v51, v5
	v_dual_sub_f32 v46, v47, v46 :: v_dual_mul_f32 v5, v44, v5
	s_delay_alu instid0(VALU_DEP_1) | instskip(NEXT) | instid1(VALU_DEP_1)
	v_add_f32_e32 v5, v46, v5
	v_add_f32_e32 v44, v45, v5
	s_delay_alu instid0(VALU_DEP_1) | instskip(SKIP_1) | instid1(VALU_DEP_1)
	v_mul_f32_e32 v46, v44, v44
	s_wait_alu 0xfffe
	v_fmaak_f32 v47, s14, v46, 0x3ecc95a3
	v_mul_f32_e32 v48, v44, v46
	v_cmp_neq_f32_e64 s14, 0x7f800000, v43
	s_delay_alu instid0(VALU_DEP_3) | instskip(SKIP_2) | instid1(VALU_DEP_3)
	v_fmaak_f32 v46, v46, v47, 0x3f2aaada
	v_ldexp_f32 v47, v44, 1
	v_sub_f32_e32 v44, v44, v45
	v_mul_f32_e32 v46, v48, v46
	v_mul_f32_e32 v48, 0x3f317218, v4
	s_delay_alu instid0(VALU_DEP_3) | instskip(NEXT) | instid1(VALU_DEP_3)
	v_sub_f32_e32 v5, v5, v44
	v_add_f32_e32 v45, v47, v46
	s_delay_alu instid0(VALU_DEP_2) | instskip(NEXT) | instid1(VALU_DEP_2)
	v_ldexp_f32 v5, v5, 1
	v_sub_f32_e32 v44, v45, v47
	v_fma_f32 v47, 0x3f317218, v4, -v48
	s_delay_alu instid0(VALU_DEP_2) | instskip(NEXT) | instid1(VALU_DEP_1)
	v_sub_f32_e32 v44, v46, v44
	v_dual_fmamk_f32 v4, v4, 0xb102e308, v47 :: v_dual_add_f32 v5, v5, v44
	s_delay_alu instid0(VALU_DEP_1) | instskip(NEXT) | instid1(VALU_DEP_2)
	v_add_f32_e32 v44, v48, v4
	v_add_f32_e32 v46, v45, v5
	s_delay_alu instid0(VALU_DEP_2) | instskip(NEXT) | instid1(VALU_DEP_2)
	v_sub_f32_e32 v48, v44, v48
	v_add_f32_e32 v47, v44, v46
	s_delay_alu instid0(VALU_DEP_2) | instskip(NEXT) | instid1(VALU_DEP_2)
	v_dual_sub_f32 v45, v46, v45 :: v_dual_sub_f32 v4, v4, v48
	v_sub_f32_e32 v49, v47, v44
	s_delay_alu instid0(VALU_DEP_2) | instskip(NEXT) | instid1(VALU_DEP_2)
	v_sub_f32_e32 v5, v5, v45
	v_sub_f32_e32 v50, v47, v49
	;; [unrolled: 1-line block ×3, first 2 shown]
	s_delay_alu instid0(VALU_DEP_3) | instskip(NEXT) | instid1(VALU_DEP_3)
	v_add_f32_e32 v46, v4, v5
	v_sub_f32_e32 v44, v44, v50
	s_delay_alu instid0(VALU_DEP_1) | instskip(NEXT) | instid1(VALU_DEP_3)
	v_add_f32_e32 v44, v45, v44
	v_sub_f32_e32 v45, v46, v4
	s_delay_alu instid0(VALU_DEP_2) | instskip(NEXT) | instid1(VALU_DEP_2)
	v_add_f32_e32 v44, v46, v44
	v_sub_f32_e32 v46, v46, v45
	s_delay_alu instid0(VALU_DEP_1) | instskip(NEXT) | instid1(VALU_DEP_1)
	v_dual_sub_f32 v5, v5, v45 :: v_dual_sub_f32 v4, v4, v46
	v_add_f32_e32 v4, v5, v4
	s_delay_alu instid0(VALU_DEP_4) | instskip(NEXT) | instid1(VALU_DEP_1)
	v_add_f32_e32 v48, v47, v44
	v_sub_f32_e32 v45, v48, v47
	s_delay_alu instid0(VALU_DEP_1) | instskip(NEXT) | instid1(VALU_DEP_1)
	v_sub_f32_e32 v5, v44, v45
	v_add_f32_e32 v4, v4, v5
	s_delay_alu instid0(VALU_DEP_1) | instskip(SKIP_1) | instid1(VALU_DEP_1)
	v_add_f32_e32 v4, v48, v4
	s_wait_alu 0xf1ff
	v_cndmask_b32_e64 v4, 0x7f800000, v4, s14
	v_cmp_gt_f32_e64 s14, 0x33800000, |v43|
	s_wait_alu 0xf1ff
	s_delay_alu instid0(VALU_DEP_1) | instskip(NEXT) | instid1(VALU_DEP_1)
	v_cndmask_b32_e64 v4, v4, v43, s14
	v_add_f32_e32 v5, v3, v4
.LBB443_88:
	s_wait_alu 0xfffe
	s_or_b32 exec_lo, exec_lo, s15
	s_delay_alu instid0(VALU_DEP_1) | instskip(SKIP_1) | instid1(VALU_DEP_2)
	v_bfe_u32 v3, v5, 16, 1
	v_cmp_o_f32_e64 s14, v5, v5
	; wave barrier
	v_add3_u32 v3, v5, v3, 0x7fff
	s_delay_alu instid0(VALU_DEP_1) | instskip(SKIP_1) | instid1(VALU_DEP_1)
	v_lshrrev_b32_e32 v3, 16, v3
	s_wait_alu 0xf1ff
	v_cndmask_b32_e64 v3, 0x7fc0, v3, s14
	v_cmp_eq_u32_e64 s14, 0, v0
	s_wait_alu 0xf1ff
	s_delay_alu instid0(VALU_DEP_1) | instskip(SKIP_3) | instid1(VALU_DEP_1)
	v_cndmask_b32_e64 v3, v3, v42, s14
	ds_store_b16 v2, v3
	; wave barrier
	ds_load_u16 v5, v2 offset:2
	v_lshlrev_b32_e32 v4, 16, v3
	v_cmp_u_f32_e64 s14, v4, v4
	s_wait_dscnt 0x0
	v_lshlrev_b32_e32 v3, 16, v5
	v_max_num_f32_e32 v5, v4, v4
	s_delay_alu instid0(VALU_DEP_2) | instskip(NEXT) | instid1(VALU_DEP_1)
	v_max_num_f32_e32 v43, v3, v3
	v_min_num_f32_e32 v44, v5, v43
	v_max_num_f32_e32 v5, v5, v43
	s_wait_alu 0xf1ff
	s_delay_alu instid0(VALU_DEP_2) | instskip(NEXT) | instid1(VALU_DEP_2)
	v_cndmask_b32_e64 v43, v44, v4, s14
	v_cndmask_b32_e64 v44, v5, v4, s14
	v_cmp_u_f32_e64 s14, v3, v3
	s_wait_alu 0xf1ff
	s_delay_alu instid0(VALU_DEP_1) | instskip(NEXT) | instid1(VALU_DEP_3)
	v_cndmask_b32_e64 v5, v43, v3, s14
	v_cndmask_b32_e64 v3, v44, v3, s14
	s_delay_alu instid0(VALU_DEP_2) | instskip(NEXT) | instid1(VALU_DEP_2)
	v_cmp_class_f32_e64 s15, v5, 0x1f8
	v_cmp_neq_f32_e64 s14, v5, v3
	s_or_b32 s14, s14, s15
	s_wait_alu 0xfffe
	s_and_saveexec_b32 s15, s14
	s_cbranch_execz .LBB443_90
; %bb.89:
	v_sub_f32_e32 v4, v5, v3
	s_delay_alu instid0(VALU_DEP_1) | instskip(SKIP_1) | instid1(VALU_DEP_2)
	v_mul_f32_e32 v5, 0x3fb8aa3b, v4
	v_cmp_ngt_f32_e64 s14, 0xc2ce8ed0, v4
	v_fma_f32 v43, 0x3fb8aa3b, v4, -v5
	v_rndne_f32_e32 v44, v5
	s_delay_alu instid0(VALU_DEP_2) | instskip(NEXT) | instid1(VALU_DEP_2)
	v_fmamk_f32 v43, v4, 0x32a5705f, v43
	v_sub_f32_e32 v5, v5, v44
	s_delay_alu instid0(VALU_DEP_1) | instskip(SKIP_1) | instid1(VALU_DEP_2)
	v_add_f32_e32 v5, v5, v43
	v_cvt_i32_f32_e32 v43, v44
	v_exp_f32_e32 v5, v5
	s_delay_alu instid0(TRANS32_DEP_1) | instskip(SKIP_1) | instid1(VALU_DEP_1)
	v_ldexp_f32 v5, v5, v43
	s_wait_alu 0xf1ff
	v_cndmask_b32_e64 v5, 0, v5, s14
	v_cmp_nlt_f32_e64 s14, 0x42b17218, v4
	s_wait_alu 0xf1ff
	s_delay_alu instid0(VALU_DEP_1) | instskip(NEXT) | instid1(VALU_DEP_1)
	v_cndmask_b32_e64 v43, 0x7f800000, v5, s14
	v_add_f32_e32 v44, 1.0, v43
	s_delay_alu instid0(VALU_DEP_1) | instskip(NEXT) | instid1(VALU_DEP_1)
	v_cvt_f64_f32_e32 v[4:5], v44
	v_frexp_exp_i32_f64_e32 v4, v[4:5]
	v_frexp_mant_f32_e32 v5, v44
	s_delay_alu instid0(VALU_DEP_1) | instskip(SKIP_1) | instid1(VALU_DEP_1)
	v_cmp_gt_f32_e64 s14, 0x3f2aaaab, v5
	v_add_f32_e32 v5, -1.0, v44
	v_sub_f32_e32 v46, v5, v44
	s_delay_alu instid0(VALU_DEP_1)
	v_add_f32_e32 v46, 1.0, v46
	s_wait_alu 0xf1ff
	v_subrev_co_ci_u32_e64 v4, null, 0, v4, s14
	s_mov_b32 s14, 0x3e9b6dac
	v_sub_nc_u32_e32 v45, 0, v4
	v_cvt_f32_i32_e32 v4, v4
	s_delay_alu instid0(VALU_DEP_2) | instskip(NEXT) | instid1(VALU_DEP_1)
	v_ldexp_f32 v44, v44, v45
	v_add_f32_e32 v47, 1.0, v44
	v_sub_f32_e32 v5, v43, v5
	s_delay_alu instid0(VALU_DEP_1) | instskip(NEXT) | instid1(VALU_DEP_1)
	v_add_f32_e32 v5, v5, v46
	v_ldexp_f32 v5, v5, v45
	v_add_f32_e32 v45, -1.0, v44
	s_delay_alu instid0(VALU_DEP_1) | instskip(SKIP_1) | instid1(VALU_DEP_1)
	v_add_f32_e32 v48, 1.0, v45
	v_add_f32_e32 v46, -1.0, v47
	v_sub_f32_e32 v46, v44, v46
	s_delay_alu instid0(VALU_DEP_3) | instskip(NEXT) | instid1(VALU_DEP_2)
	v_sub_f32_e32 v44, v44, v48
	v_add_f32_e32 v46, v5, v46
	s_delay_alu instid0(VALU_DEP_1) | instskip(NEXT) | instid1(VALU_DEP_1)
	v_dual_add_f32 v5, v5, v44 :: v_dual_add_f32 v48, v47, v46
	v_rcp_f32_e32 v44, v48
	v_sub_f32_e32 v47, v47, v48
	s_delay_alu instid0(VALU_DEP_1) | instskip(NEXT) | instid1(VALU_DEP_1)
	v_dual_add_f32 v49, v45, v5 :: v_dual_add_f32 v46, v46, v47
	v_sub_f32_e32 v45, v45, v49
	s_delay_alu instid0(TRANS32_DEP_1) | instskip(NEXT) | instid1(VALU_DEP_2)
	v_mul_f32_e32 v50, v49, v44
	v_add_f32_e32 v5, v5, v45
	s_delay_alu instid0(VALU_DEP_2) | instskip(NEXT) | instid1(VALU_DEP_1)
	v_mul_f32_e32 v51, v48, v50
	v_fma_f32 v47, v50, v48, -v51
	s_delay_alu instid0(VALU_DEP_1) | instskip(NEXT) | instid1(VALU_DEP_1)
	v_fmac_f32_e32 v47, v50, v46
	v_add_f32_e32 v52, v51, v47
	s_delay_alu instid0(VALU_DEP_1) | instskip(SKIP_1) | instid1(VALU_DEP_2)
	v_sub_f32_e32 v53, v49, v52
	v_sub_f32_e32 v45, v52, v51
	;; [unrolled: 1-line block ×3, first 2 shown]
	s_delay_alu instid0(VALU_DEP_2) | instskip(NEXT) | instid1(VALU_DEP_2)
	v_sub_f32_e32 v45, v45, v47
	v_sub_f32_e32 v49, v49, v52
	s_delay_alu instid0(VALU_DEP_1) | instskip(NEXT) | instid1(VALU_DEP_1)
	v_add_f32_e32 v5, v5, v49
	v_add_f32_e32 v5, v45, v5
	s_delay_alu instid0(VALU_DEP_1) | instskip(NEXT) | instid1(VALU_DEP_1)
	v_add_f32_e32 v45, v53, v5
	v_mul_f32_e32 v47, v44, v45
	s_delay_alu instid0(VALU_DEP_1) | instskip(NEXT) | instid1(VALU_DEP_1)
	v_mul_f32_e32 v49, v48, v47
	v_fma_f32 v48, v47, v48, -v49
	s_delay_alu instid0(VALU_DEP_1) | instskip(SKIP_1) | instid1(VALU_DEP_2)
	v_fmac_f32_e32 v48, v47, v46
	v_sub_f32_e32 v52, v53, v45
	v_add_f32_e32 v46, v49, v48
	s_delay_alu instid0(VALU_DEP_2) | instskip(NEXT) | instid1(VALU_DEP_2)
	v_add_f32_e32 v5, v5, v52
	v_sub_f32_e32 v51, v45, v46
	v_sub_f32_e32 v49, v46, v49
	s_delay_alu instid0(VALU_DEP_2) | instskip(NEXT) | instid1(VALU_DEP_1)
	v_sub_f32_e32 v45, v45, v51
	v_sub_f32_e32 v45, v45, v46
	s_delay_alu instid0(VALU_DEP_3) | instskip(NEXT) | instid1(VALU_DEP_2)
	v_sub_f32_e32 v46, v49, v48
	v_add_f32_e32 v5, v5, v45
	v_add_f32_e32 v45, v50, v47
	s_delay_alu instid0(VALU_DEP_1) | instskip(NEXT) | instid1(VALU_DEP_1)
	v_dual_add_f32 v5, v46, v5 :: v_dual_sub_f32 v46, v45, v50
	v_add_f32_e32 v5, v51, v5
	s_delay_alu instid0(VALU_DEP_1) | instskip(NEXT) | instid1(VALU_DEP_1)
	v_dual_sub_f32 v46, v47, v46 :: v_dual_mul_f32 v5, v44, v5
	v_add_f32_e32 v5, v46, v5
	s_delay_alu instid0(VALU_DEP_1) | instskip(NEXT) | instid1(VALU_DEP_1)
	v_add_f32_e32 v44, v45, v5
	v_mul_f32_e32 v46, v44, v44
	s_wait_alu 0xfffe
	s_delay_alu instid0(VALU_DEP_1) | instskip(SKIP_2) | instid1(VALU_DEP_3)
	v_fmaak_f32 v47, s14, v46, 0x3ecc95a3
	v_mul_f32_e32 v48, v44, v46
	v_cmp_neq_f32_e64 s14, 0x7f800000, v43
	v_fmaak_f32 v46, v46, v47, 0x3f2aaada
	v_ldexp_f32 v47, v44, 1
	v_sub_f32_e32 v44, v44, v45
	s_delay_alu instid0(VALU_DEP_3) | instskip(SKIP_1) | instid1(VALU_DEP_3)
	v_mul_f32_e32 v46, v48, v46
	v_mul_f32_e32 v48, 0x3f317218, v4
	v_sub_f32_e32 v5, v5, v44
	s_delay_alu instid0(VALU_DEP_3) | instskip(NEXT) | instid1(VALU_DEP_2)
	v_add_f32_e32 v45, v47, v46
	v_ldexp_f32 v5, v5, 1
	s_delay_alu instid0(VALU_DEP_2) | instskip(SKIP_1) | instid1(VALU_DEP_2)
	v_sub_f32_e32 v44, v45, v47
	v_fma_f32 v47, 0x3f317218, v4, -v48
	v_sub_f32_e32 v44, v46, v44
	s_delay_alu instid0(VALU_DEP_1) | instskip(NEXT) | instid1(VALU_DEP_1)
	v_dual_fmamk_f32 v4, v4, 0xb102e308, v47 :: v_dual_add_f32 v5, v5, v44
	v_add_f32_e32 v44, v48, v4
	s_delay_alu instid0(VALU_DEP_2) | instskip(NEXT) | instid1(VALU_DEP_2)
	v_add_f32_e32 v46, v45, v5
	v_sub_f32_e32 v48, v44, v48
	s_delay_alu instid0(VALU_DEP_2) | instskip(NEXT) | instid1(VALU_DEP_2)
	v_add_f32_e32 v47, v44, v46
	v_dual_sub_f32 v45, v46, v45 :: v_dual_sub_f32 v4, v4, v48
	s_delay_alu instid0(VALU_DEP_2) | instskip(NEXT) | instid1(VALU_DEP_2)
	v_sub_f32_e32 v49, v47, v44
	v_sub_f32_e32 v5, v5, v45
	s_delay_alu instid0(VALU_DEP_2) | instskip(SKIP_1) | instid1(VALU_DEP_3)
	v_sub_f32_e32 v50, v47, v49
	v_sub_f32_e32 v45, v46, v49
	v_add_f32_e32 v46, v4, v5
	s_delay_alu instid0(VALU_DEP_3) | instskip(NEXT) | instid1(VALU_DEP_1)
	v_sub_f32_e32 v44, v44, v50
	v_add_f32_e32 v44, v45, v44
	s_delay_alu instid0(VALU_DEP_3) | instskip(NEXT) | instid1(VALU_DEP_2)
	v_sub_f32_e32 v45, v46, v4
	v_add_f32_e32 v44, v46, v44
	s_delay_alu instid0(VALU_DEP_2) | instskip(NEXT) | instid1(VALU_DEP_1)
	v_sub_f32_e32 v46, v46, v45
	v_dual_sub_f32 v5, v5, v45 :: v_dual_sub_f32 v4, v4, v46
	s_delay_alu instid0(VALU_DEP_1) | instskip(NEXT) | instid1(VALU_DEP_4)
	v_add_f32_e32 v4, v5, v4
	v_add_f32_e32 v48, v47, v44
	s_delay_alu instid0(VALU_DEP_1) | instskip(NEXT) | instid1(VALU_DEP_1)
	v_sub_f32_e32 v45, v48, v47
	v_sub_f32_e32 v5, v44, v45
	s_delay_alu instid0(VALU_DEP_1) | instskip(NEXT) | instid1(VALU_DEP_1)
	v_add_f32_e32 v4, v4, v5
	v_add_f32_e32 v4, v48, v4
	s_wait_alu 0xf1ff
	s_delay_alu instid0(VALU_DEP_1) | instskip(SKIP_2) | instid1(VALU_DEP_1)
	v_cndmask_b32_e64 v4, 0x7f800000, v4, s14
	v_cmp_gt_f32_e64 s14, 0x33800000, |v43|
	s_wait_alu 0xf1ff
	v_cndmask_b32_e64 v4, v4, v43, s14
	s_delay_alu instid0(VALU_DEP_1)
	v_add_f32_e32 v4, v3, v4
.LBB443_90:
	s_wait_alu 0xfffe
	s_or_b32 exec_lo, exec_lo, s15
	ds_load_u16 v5, v2 offset:4
	v_bfe_u32 v3, v4, 16, 1
	v_cmp_o_f32_e64 s14, v4, v4
	s_delay_alu instid0(VALU_DEP_2) | instskip(NEXT) | instid1(VALU_DEP_1)
	v_add3_u32 v3, v4, v3, 0x7fff
	v_lshrrev_b32_e32 v3, 16, v3
	s_wait_alu 0xf1ff
	s_delay_alu instid0(VALU_DEP_1)
	v_cndmask_b32_e64 v43, 0x7fc0, v3, s14
	s_wait_dscnt 0x0
	v_lshlrev_b32_e32 v3, 16, v5
	ds_store_b16 v2, v43 offset:2
	v_max_num_f32_e32 v44, v3, v3
	v_lshlrev_b32_e32 v4, 16, v43
	s_delay_alu instid0(VALU_DEP_1) | instskip(NEXT) | instid1(VALU_DEP_1)
	v_max_num_f32_e32 v5, v4, v4
	v_min_num_f32_e32 v45, v5, v44
	v_max_num_f32_e32 v5, v5, v44
	v_cmp_u_f32_e64 s14, v4, v4
	s_wait_alu 0xf1ff
	s_delay_alu instid0(VALU_DEP_1) | instskip(NEXT) | instid1(VALU_DEP_3)
	v_cndmask_b32_e64 v44, v45, v4, s14
	v_cndmask_b32_e64 v45, v5, v4, s14
	v_cmp_u_f32_e64 s14, v3, v3
	s_wait_alu 0xf1ff
	s_delay_alu instid0(VALU_DEP_1) | instskip(NEXT) | instid1(VALU_DEP_3)
	v_cndmask_b32_e64 v5, v44, v3, s14
	v_cndmask_b32_e64 v3, v45, v3, s14
	s_delay_alu instid0(VALU_DEP_2) | instskip(NEXT) | instid1(VALU_DEP_2)
	v_cmp_class_f32_e64 s15, v5, 0x1f8
	v_cmp_neq_f32_e64 s14, v5, v3
	s_or_b32 s14, s14, s15
	s_wait_alu 0xfffe
	s_and_saveexec_b32 s15, s14
	s_cbranch_execz .LBB443_92
; %bb.91:
	v_sub_f32_e32 v4, v5, v3
	s_delay_alu instid0(VALU_DEP_1) | instskip(SKIP_1) | instid1(VALU_DEP_2)
	v_mul_f32_e32 v5, 0x3fb8aa3b, v4
	v_cmp_ngt_f32_e64 s14, 0xc2ce8ed0, v4
	v_fma_f32 v43, 0x3fb8aa3b, v4, -v5
	v_rndne_f32_e32 v44, v5
	s_delay_alu instid0(VALU_DEP_2) | instskip(NEXT) | instid1(VALU_DEP_2)
	v_fmamk_f32 v43, v4, 0x32a5705f, v43
	v_sub_f32_e32 v5, v5, v44
	s_delay_alu instid0(VALU_DEP_1) | instskip(SKIP_1) | instid1(VALU_DEP_2)
	v_add_f32_e32 v5, v5, v43
	v_cvt_i32_f32_e32 v43, v44
	v_exp_f32_e32 v5, v5
	s_delay_alu instid0(TRANS32_DEP_1) | instskip(SKIP_1) | instid1(VALU_DEP_1)
	v_ldexp_f32 v5, v5, v43
	s_wait_alu 0xf1ff
	v_cndmask_b32_e64 v5, 0, v5, s14
	v_cmp_nlt_f32_e64 s14, 0x42b17218, v4
	s_wait_alu 0xf1ff
	s_delay_alu instid0(VALU_DEP_1) | instskip(NEXT) | instid1(VALU_DEP_1)
	v_cndmask_b32_e64 v43, 0x7f800000, v5, s14
	v_add_f32_e32 v44, 1.0, v43
	s_delay_alu instid0(VALU_DEP_1) | instskip(NEXT) | instid1(VALU_DEP_1)
	v_cvt_f64_f32_e32 v[4:5], v44
	v_frexp_exp_i32_f64_e32 v4, v[4:5]
	v_frexp_mant_f32_e32 v5, v44
	s_delay_alu instid0(VALU_DEP_1) | instskip(SKIP_1) | instid1(VALU_DEP_1)
	v_cmp_gt_f32_e64 s14, 0x3f2aaaab, v5
	v_add_f32_e32 v5, -1.0, v44
	v_sub_f32_e32 v46, v5, v44
	s_delay_alu instid0(VALU_DEP_1)
	v_add_f32_e32 v46, 1.0, v46
	s_wait_alu 0xf1ff
	v_subrev_co_ci_u32_e64 v4, null, 0, v4, s14
	s_mov_b32 s14, 0x3e9b6dac
	v_sub_nc_u32_e32 v45, 0, v4
	v_cvt_f32_i32_e32 v4, v4
	s_delay_alu instid0(VALU_DEP_2) | instskip(NEXT) | instid1(VALU_DEP_1)
	v_ldexp_f32 v44, v44, v45
	v_add_f32_e32 v47, 1.0, v44
	v_sub_f32_e32 v5, v43, v5
	s_delay_alu instid0(VALU_DEP_1) | instskip(NEXT) | instid1(VALU_DEP_1)
	v_add_f32_e32 v5, v5, v46
	v_ldexp_f32 v5, v5, v45
	v_add_f32_e32 v45, -1.0, v44
	s_delay_alu instid0(VALU_DEP_1) | instskip(SKIP_1) | instid1(VALU_DEP_1)
	v_add_f32_e32 v48, 1.0, v45
	v_add_f32_e32 v46, -1.0, v47
	v_sub_f32_e32 v46, v44, v46
	s_delay_alu instid0(VALU_DEP_3) | instskip(NEXT) | instid1(VALU_DEP_2)
	v_sub_f32_e32 v44, v44, v48
	v_add_f32_e32 v46, v5, v46
	s_delay_alu instid0(VALU_DEP_1) | instskip(NEXT) | instid1(VALU_DEP_1)
	v_dual_add_f32 v5, v5, v44 :: v_dual_add_f32 v48, v47, v46
	v_rcp_f32_e32 v44, v48
	v_sub_f32_e32 v47, v47, v48
	s_delay_alu instid0(VALU_DEP_1) | instskip(NEXT) | instid1(VALU_DEP_1)
	v_dual_add_f32 v49, v45, v5 :: v_dual_add_f32 v46, v46, v47
	v_sub_f32_e32 v45, v45, v49
	s_delay_alu instid0(TRANS32_DEP_1) | instskip(NEXT) | instid1(VALU_DEP_2)
	v_mul_f32_e32 v50, v49, v44
	v_add_f32_e32 v5, v5, v45
	s_delay_alu instid0(VALU_DEP_2) | instskip(NEXT) | instid1(VALU_DEP_1)
	v_mul_f32_e32 v51, v48, v50
	v_fma_f32 v47, v50, v48, -v51
	s_delay_alu instid0(VALU_DEP_1) | instskip(NEXT) | instid1(VALU_DEP_1)
	v_fmac_f32_e32 v47, v50, v46
	v_add_f32_e32 v52, v51, v47
	s_delay_alu instid0(VALU_DEP_1) | instskip(SKIP_1) | instid1(VALU_DEP_2)
	v_sub_f32_e32 v53, v49, v52
	v_sub_f32_e32 v45, v52, v51
	;; [unrolled: 1-line block ×3, first 2 shown]
	s_delay_alu instid0(VALU_DEP_2) | instskip(NEXT) | instid1(VALU_DEP_2)
	v_sub_f32_e32 v45, v45, v47
	v_sub_f32_e32 v49, v49, v52
	s_delay_alu instid0(VALU_DEP_1) | instskip(NEXT) | instid1(VALU_DEP_1)
	v_add_f32_e32 v5, v5, v49
	v_add_f32_e32 v5, v45, v5
	s_delay_alu instid0(VALU_DEP_1) | instskip(NEXT) | instid1(VALU_DEP_1)
	v_add_f32_e32 v45, v53, v5
	v_mul_f32_e32 v47, v44, v45
	s_delay_alu instid0(VALU_DEP_1) | instskip(NEXT) | instid1(VALU_DEP_1)
	v_mul_f32_e32 v49, v48, v47
	v_fma_f32 v48, v47, v48, -v49
	s_delay_alu instid0(VALU_DEP_1) | instskip(SKIP_1) | instid1(VALU_DEP_2)
	v_fmac_f32_e32 v48, v47, v46
	v_sub_f32_e32 v52, v53, v45
	v_add_f32_e32 v46, v49, v48
	s_delay_alu instid0(VALU_DEP_2) | instskip(NEXT) | instid1(VALU_DEP_2)
	v_add_f32_e32 v5, v5, v52
	v_sub_f32_e32 v51, v45, v46
	v_sub_f32_e32 v49, v46, v49
	s_delay_alu instid0(VALU_DEP_2) | instskip(NEXT) | instid1(VALU_DEP_1)
	v_sub_f32_e32 v45, v45, v51
	v_sub_f32_e32 v45, v45, v46
	s_delay_alu instid0(VALU_DEP_3) | instskip(NEXT) | instid1(VALU_DEP_2)
	v_sub_f32_e32 v46, v49, v48
	v_add_f32_e32 v5, v5, v45
	v_add_f32_e32 v45, v50, v47
	s_delay_alu instid0(VALU_DEP_1) | instskip(NEXT) | instid1(VALU_DEP_1)
	v_dual_add_f32 v5, v46, v5 :: v_dual_sub_f32 v46, v45, v50
	v_add_f32_e32 v5, v51, v5
	s_delay_alu instid0(VALU_DEP_1) | instskip(NEXT) | instid1(VALU_DEP_1)
	v_dual_sub_f32 v46, v47, v46 :: v_dual_mul_f32 v5, v44, v5
	v_add_f32_e32 v5, v46, v5
	s_delay_alu instid0(VALU_DEP_1) | instskip(NEXT) | instid1(VALU_DEP_1)
	v_add_f32_e32 v44, v45, v5
	v_mul_f32_e32 v46, v44, v44
	s_wait_alu 0xfffe
	s_delay_alu instid0(VALU_DEP_1) | instskip(SKIP_2) | instid1(VALU_DEP_3)
	v_fmaak_f32 v47, s14, v46, 0x3ecc95a3
	v_mul_f32_e32 v48, v44, v46
	v_cmp_neq_f32_e64 s14, 0x7f800000, v43
	v_fmaak_f32 v46, v46, v47, 0x3f2aaada
	v_ldexp_f32 v47, v44, 1
	v_sub_f32_e32 v44, v44, v45
	s_delay_alu instid0(VALU_DEP_3) | instskip(SKIP_1) | instid1(VALU_DEP_3)
	v_mul_f32_e32 v46, v48, v46
	v_mul_f32_e32 v48, 0x3f317218, v4
	v_sub_f32_e32 v5, v5, v44
	s_delay_alu instid0(VALU_DEP_3) | instskip(NEXT) | instid1(VALU_DEP_2)
	v_add_f32_e32 v45, v47, v46
	v_ldexp_f32 v5, v5, 1
	s_delay_alu instid0(VALU_DEP_2) | instskip(SKIP_1) | instid1(VALU_DEP_2)
	v_sub_f32_e32 v44, v45, v47
	v_fma_f32 v47, 0x3f317218, v4, -v48
	v_sub_f32_e32 v44, v46, v44
	s_delay_alu instid0(VALU_DEP_1) | instskip(NEXT) | instid1(VALU_DEP_1)
	v_dual_fmamk_f32 v4, v4, 0xb102e308, v47 :: v_dual_add_f32 v5, v5, v44
	v_add_f32_e32 v44, v48, v4
	s_delay_alu instid0(VALU_DEP_2) | instskip(NEXT) | instid1(VALU_DEP_2)
	v_add_f32_e32 v46, v45, v5
	v_sub_f32_e32 v48, v44, v48
	s_delay_alu instid0(VALU_DEP_2) | instskip(NEXT) | instid1(VALU_DEP_2)
	v_add_f32_e32 v47, v44, v46
	v_dual_sub_f32 v45, v46, v45 :: v_dual_sub_f32 v4, v4, v48
	s_delay_alu instid0(VALU_DEP_2) | instskip(NEXT) | instid1(VALU_DEP_2)
	v_sub_f32_e32 v49, v47, v44
	v_sub_f32_e32 v5, v5, v45
	s_delay_alu instid0(VALU_DEP_2) | instskip(SKIP_1) | instid1(VALU_DEP_3)
	v_sub_f32_e32 v50, v47, v49
	v_sub_f32_e32 v45, v46, v49
	v_add_f32_e32 v46, v4, v5
	s_delay_alu instid0(VALU_DEP_3) | instskip(NEXT) | instid1(VALU_DEP_1)
	v_sub_f32_e32 v44, v44, v50
	v_add_f32_e32 v44, v45, v44
	s_delay_alu instid0(VALU_DEP_3) | instskip(NEXT) | instid1(VALU_DEP_2)
	v_sub_f32_e32 v45, v46, v4
	v_add_f32_e32 v44, v46, v44
	s_delay_alu instid0(VALU_DEP_2) | instskip(NEXT) | instid1(VALU_DEP_1)
	v_sub_f32_e32 v46, v46, v45
	v_dual_sub_f32 v5, v5, v45 :: v_dual_sub_f32 v4, v4, v46
	s_delay_alu instid0(VALU_DEP_1) | instskip(NEXT) | instid1(VALU_DEP_4)
	v_add_f32_e32 v4, v5, v4
	v_add_f32_e32 v48, v47, v44
	s_delay_alu instid0(VALU_DEP_1) | instskip(NEXT) | instid1(VALU_DEP_1)
	v_sub_f32_e32 v45, v48, v47
	v_sub_f32_e32 v5, v44, v45
	s_delay_alu instid0(VALU_DEP_1) | instskip(NEXT) | instid1(VALU_DEP_1)
	v_add_f32_e32 v4, v4, v5
	v_add_f32_e32 v4, v48, v4
	s_wait_alu 0xf1ff
	s_delay_alu instid0(VALU_DEP_1) | instskip(SKIP_2) | instid1(VALU_DEP_1)
	v_cndmask_b32_e64 v4, 0x7f800000, v4, s14
	v_cmp_gt_f32_e64 s14, 0x33800000, |v43|
	s_wait_alu 0xf1ff
	v_cndmask_b32_e64 v4, v4, v43, s14
	s_delay_alu instid0(VALU_DEP_1)
	v_add_f32_e32 v4, v3, v4
.LBB443_92:
	s_wait_alu 0xfffe
	s_or_b32 exec_lo, exec_lo, s15
	ds_load_u16 v5, v2 offset:6
	v_bfe_u32 v3, v4, 16, 1
	v_cmp_o_f32_e64 s14, v4, v4
	s_delay_alu instid0(VALU_DEP_2) | instskip(NEXT) | instid1(VALU_DEP_1)
	v_add3_u32 v3, v4, v3, 0x7fff
	v_lshrrev_b32_e32 v3, 16, v3
	s_wait_alu 0xf1ff
	s_delay_alu instid0(VALU_DEP_1)
	v_cndmask_b32_e64 v43, 0x7fc0, v3, s14
	s_wait_dscnt 0x0
	v_lshlrev_b32_e32 v3, 16, v5
	ds_store_b16 v2, v43 offset:4
	v_max_num_f32_e32 v44, v3, v3
	v_lshlrev_b32_e32 v4, 16, v43
	s_delay_alu instid0(VALU_DEP_1) | instskip(NEXT) | instid1(VALU_DEP_1)
	v_max_num_f32_e32 v5, v4, v4
	v_min_num_f32_e32 v45, v5, v44
	v_max_num_f32_e32 v5, v5, v44
	v_cmp_u_f32_e64 s14, v4, v4
	s_wait_alu 0xf1ff
	s_delay_alu instid0(VALU_DEP_1) | instskip(NEXT) | instid1(VALU_DEP_3)
	v_cndmask_b32_e64 v44, v45, v4, s14
	v_cndmask_b32_e64 v45, v5, v4, s14
	v_cmp_u_f32_e64 s14, v3, v3
	s_wait_alu 0xf1ff
	s_delay_alu instid0(VALU_DEP_1) | instskip(NEXT) | instid1(VALU_DEP_3)
	v_cndmask_b32_e64 v5, v44, v3, s14
	v_cndmask_b32_e64 v3, v45, v3, s14
	s_delay_alu instid0(VALU_DEP_2) | instskip(NEXT) | instid1(VALU_DEP_2)
	v_cmp_class_f32_e64 s15, v5, 0x1f8
	v_cmp_neq_f32_e64 s14, v5, v3
	s_or_b32 s14, s14, s15
	s_wait_alu 0xfffe
	s_and_saveexec_b32 s15, s14
	s_cbranch_execz .LBB443_94
; %bb.93:
	v_sub_f32_e32 v4, v5, v3
	s_delay_alu instid0(VALU_DEP_1) | instskip(SKIP_1) | instid1(VALU_DEP_2)
	v_mul_f32_e32 v5, 0x3fb8aa3b, v4
	v_cmp_ngt_f32_e64 s14, 0xc2ce8ed0, v4
	v_fma_f32 v43, 0x3fb8aa3b, v4, -v5
	v_rndne_f32_e32 v44, v5
	s_delay_alu instid0(VALU_DEP_2) | instskip(NEXT) | instid1(VALU_DEP_2)
	v_fmamk_f32 v43, v4, 0x32a5705f, v43
	v_sub_f32_e32 v5, v5, v44
	s_delay_alu instid0(VALU_DEP_1) | instskip(SKIP_1) | instid1(VALU_DEP_2)
	v_add_f32_e32 v5, v5, v43
	v_cvt_i32_f32_e32 v43, v44
	v_exp_f32_e32 v5, v5
	s_delay_alu instid0(TRANS32_DEP_1) | instskip(SKIP_1) | instid1(VALU_DEP_1)
	v_ldexp_f32 v5, v5, v43
	s_wait_alu 0xf1ff
	v_cndmask_b32_e64 v5, 0, v5, s14
	v_cmp_nlt_f32_e64 s14, 0x42b17218, v4
	s_wait_alu 0xf1ff
	s_delay_alu instid0(VALU_DEP_1) | instskip(NEXT) | instid1(VALU_DEP_1)
	v_cndmask_b32_e64 v43, 0x7f800000, v5, s14
	v_add_f32_e32 v44, 1.0, v43
	s_delay_alu instid0(VALU_DEP_1) | instskip(NEXT) | instid1(VALU_DEP_1)
	v_cvt_f64_f32_e32 v[4:5], v44
	v_frexp_exp_i32_f64_e32 v4, v[4:5]
	v_frexp_mant_f32_e32 v5, v44
	s_delay_alu instid0(VALU_DEP_1) | instskip(SKIP_1) | instid1(VALU_DEP_1)
	v_cmp_gt_f32_e64 s14, 0x3f2aaaab, v5
	v_add_f32_e32 v5, -1.0, v44
	v_sub_f32_e32 v46, v5, v44
	s_delay_alu instid0(VALU_DEP_1)
	v_add_f32_e32 v46, 1.0, v46
	s_wait_alu 0xf1ff
	v_subrev_co_ci_u32_e64 v4, null, 0, v4, s14
	s_mov_b32 s14, 0x3e9b6dac
	v_sub_nc_u32_e32 v45, 0, v4
	v_cvt_f32_i32_e32 v4, v4
	s_delay_alu instid0(VALU_DEP_2) | instskip(NEXT) | instid1(VALU_DEP_1)
	v_ldexp_f32 v44, v44, v45
	v_add_f32_e32 v47, 1.0, v44
	v_sub_f32_e32 v5, v43, v5
	s_delay_alu instid0(VALU_DEP_1) | instskip(NEXT) | instid1(VALU_DEP_1)
	v_add_f32_e32 v5, v5, v46
	v_ldexp_f32 v5, v5, v45
	v_add_f32_e32 v45, -1.0, v44
	s_delay_alu instid0(VALU_DEP_1) | instskip(SKIP_1) | instid1(VALU_DEP_1)
	v_add_f32_e32 v48, 1.0, v45
	v_add_f32_e32 v46, -1.0, v47
	v_sub_f32_e32 v46, v44, v46
	s_delay_alu instid0(VALU_DEP_3) | instskip(NEXT) | instid1(VALU_DEP_2)
	v_sub_f32_e32 v44, v44, v48
	v_add_f32_e32 v46, v5, v46
	s_delay_alu instid0(VALU_DEP_1) | instskip(NEXT) | instid1(VALU_DEP_1)
	v_dual_add_f32 v5, v5, v44 :: v_dual_add_f32 v48, v47, v46
	v_rcp_f32_e32 v44, v48
	v_sub_f32_e32 v47, v47, v48
	s_delay_alu instid0(VALU_DEP_1) | instskip(NEXT) | instid1(VALU_DEP_1)
	v_dual_add_f32 v49, v45, v5 :: v_dual_add_f32 v46, v46, v47
	v_sub_f32_e32 v45, v45, v49
	s_delay_alu instid0(TRANS32_DEP_1) | instskip(NEXT) | instid1(VALU_DEP_2)
	v_mul_f32_e32 v50, v49, v44
	v_add_f32_e32 v5, v5, v45
	s_delay_alu instid0(VALU_DEP_2) | instskip(NEXT) | instid1(VALU_DEP_1)
	v_mul_f32_e32 v51, v48, v50
	v_fma_f32 v47, v50, v48, -v51
	s_delay_alu instid0(VALU_DEP_1) | instskip(NEXT) | instid1(VALU_DEP_1)
	v_fmac_f32_e32 v47, v50, v46
	v_add_f32_e32 v52, v51, v47
	s_delay_alu instid0(VALU_DEP_1) | instskip(SKIP_1) | instid1(VALU_DEP_2)
	v_sub_f32_e32 v53, v49, v52
	v_sub_f32_e32 v45, v52, v51
	;; [unrolled: 1-line block ×3, first 2 shown]
	s_delay_alu instid0(VALU_DEP_2) | instskip(NEXT) | instid1(VALU_DEP_2)
	v_sub_f32_e32 v45, v45, v47
	v_sub_f32_e32 v49, v49, v52
	s_delay_alu instid0(VALU_DEP_1) | instskip(NEXT) | instid1(VALU_DEP_1)
	v_add_f32_e32 v5, v5, v49
	v_add_f32_e32 v5, v45, v5
	s_delay_alu instid0(VALU_DEP_1) | instskip(NEXT) | instid1(VALU_DEP_1)
	v_add_f32_e32 v45, v53, v5
	v_mul_f32_e32 v47, v44, v45
	s_delay_alu instid0(VALU_DEP_1) | instskip(NEXT) | instid1(VALU_DEP_1)
	v_mul_f32_e32 v49, v48, v47
	v_fma_f32 v48, v47, v48, -v49
	s_delay_alu instid0(VALU_DEP_1) | instskip(SKIP_1) | instid1(VALU_DEP_2)
	v_fmac_f32_e32 v48, v47, v46
	v_sub_f32_e32 v52, v53, v45
	v_add_f32_e32 v46, v49, v48
	s_delay_alu instid0(VALU_DEP_2) | instskip(NEXT) | instid1(VALU_DEP_2)
	v_add_f32_e32 v5, v5, v52
	v_sub_f32_e32 v51, v45, v46
	v_sub_f32_e32 v49, v46, v49
	s_delay_alu instid0(VALU_DEP_2) | instskip(NEXT) | instid1(VALU_DEP_1)
	v_sub_f32_e32 v45, v45, v51
	v_sub_f32_e32 v45, v45, v46
	s_delay_alu instid0(VALU_DEP_3) | instskip(NEXT) | instid1(VALU_DEP_2)
	v_sub_f32_e32 v46, v49, v48
	v_add_f32_e32 v5, v5, v45
	v_add_f32_e32 v45, v50, v47
	s_delay_alu instid0(VALU_DEP_1) | instskip(NEXT) | instid1(VALU_DEP_1)
	v_dual_add_f32 v5, v46, v5 :: v_dual_sub_f32 v46, v45, v50
	v_add_f32_e32 v5, v51, v5
	s_delay_alu instid0(VALU_DEP_1) | instskip(NEXT) | instid1(VALU_DEP_1)
	v_dual_sub_f32 v46, v47, v46 :: v_dual_mul_f32 v5, v44, v5
	v_add_f32_e32 v5, v46, v5
	s_delay_alu instid0(VALU_DEP_1) | instskip(NEXT) | instid1(VALU_DEP_1)
	v_add_f32_e32 v44, v45, v5
	v_mul_f32_e32 v46, v44, v44
	s_wait_alu 0xfffe
	s_delay_alu instid0(VALU_DEP_1) | instskip(SKIP_2) | instid1(VALU_DEP_3)
	v_fmaak_f32 v47, s14, v46, 0x3ecc95a3
	v_mul_f32_e32 v48, v44, v46
	v_cmp_neq_f32_e64 s14, 0x7f800000, v43
	v_fmaak_f32 v46, v46, v47, 0x3f2aaada
	v_ldexp_f32 v47, v44, 1
	v_sub_f32_e32 v44, v44, v45
	s_delay_alu instid0(VALU_DEP_3) | instskip(SKIP_1) | instid1(VALU_DEP_3)
	v_mul_f32_e32 v46, v48, v46
	v_mul_f32_e32 v48, 0x3f317218, v4
	v_sub_f32_e32 v5, v5, v44
	s_delay_alu instid0(VALU_DEP_3) | instskip(NEXT) | instid1(VALU_DEP_2)
	v_add_f32_e32 v45, v47, v46
	v_ldexp_f32 v5, v5, 1
	s_delay_alu instid0(VALU_DEP_2) | instskip(SKIP_1) | instid1(VALU_DEP_2)
	v_sub_f32_e32 v44, v45, v47
	v_fma_f32 v47, 0x3f317218, v4, -v48
	v_sub_f32_e32 v44, v46, v44
	s_delay_alu instid0(VALU_DEP_1) | instskip(NEXT) | instid1(VALU_DEP_1)
	v_dual_fmamk_f32 v4, v4, 0xb102e308, v47 :: v_dual_add_f32 v5, v5, v44
	v_add_f32_e32 v44, v48, v4
	s_delay_alu instid0(VALU_DEP_2) | instskip(NEXT) | instid1(VALU_DEP_2)
	v_add_f32_e32 v46, v45, v5
	v_sub_f32_e32 v48, v44, v48
	s_delay_alu instid0(VALU_DEP_2) | instskip(NEXT) | instid1(VALU_DEP_2)
	v_add_f32_e32 v47, v44, v46
	v_dual_sub_f32 v45, v46, v45 :: v_dual_sub_f32 v4, v4, v48
	s_delay_alu instid0(VALU_DEP_2) | instskip(NEXT) | instid1(VALU_DEP_2)
	v_sub_f32_e32 v49, v47, v44
	v_sub_f32_e32 v5, v5, v45
	s_delay_alu instid0(VALU_DEP_2) | instskip(SKIP_1) | instid1(VALU_DEP_3)
	v_sub_f32_e32 v50, v47, v49
	v_sub_f32_e32 v45, v46, v49
	v_add_f32_e32 v46, v4, v5
	s_delay_alu instid0(VALU_DEP_3) | instskip(NEXT) | instid1(VALU_DEP_1)
	v_sub_f32_e32 v44, v44, v50
	v_add_f32_e32 v44, v45, v44
	s_delay_alu instid0(VALU_DEP_3) | instskip(NEXT) | instid1(VALU_DEP_2)
	v_sub_f32_e32 v45, v46, v4
	v_add_f32_e32 v44, v46, v44
	s_delay_alu instid0(VALU_DEP_2) | instskip(NEXT) | instid1(VALU_DEP_1)
	v_sub_f32_e32 v46, v46, v45
	v_dual_sub_f32 v5, v5, v45 :: v_dual_sub_f32 v4, v4, v46
	s_delay_alu instid0(VALU_DEP_1) | instskip(NEXT) | instid1(VALU_DEP_4)
	v_add_f32_e32 v4, v5, v4
	v_add_f32_e32 v48, v47, v44
	s_delay_alu instid0(VALU_DEP_1) | instskip(NEXT) | instid1(VALU_DEP_1)
	v_sub_f32_e32 v45, v48, v47
	v_sub_f32_e32 v5, v44, v45
	s_delay_alu instid0(VALU_DEP_1) | instskip(NEXT) | instid1(VALU_DEP_1)
	v_add_f32_e32 v4, v4, v5
	v_add_f32_e32 v4, v48, v4
	s_wait_alu 0xf1ff
	s_delay_alu instid0(VALU_DEP_1) | instskip(SKIP_2) | instid1(VALU_DEP_1)
	v_cndmask_b32_e64 v4, 0x7f800000, v4, s14
	v_cmp_gt_f32_e64 s14, 0x33800000, |v43|
	s_wait_alu 0xf1ff
	v_cndmask_b32_e64 v4, v4, v43, s14
	s_delay_alu instid0(VALU_DEP_1)
	v_add_f32_e32 v4, v3, v4
.LBB443_94:
	s_wait_alu 0xfffe
	s_or_b32 exec_lo, exec_lo, s15
	ds_load_u16 v5, v2 offset:8
	v_bfe_u32 v3, v4, 16, 1
	v_cmp_o_f32_e64 s14, v4, v4
	s_delay_alu instid0(VALU_DEP_2) | instskip(NEXT) | instid1(VALU_DEP_1)
	v_add3_u32 v3, v4, v3, 0x7fff
	v_lshrrev_b32_e32 v3, 16, v3
	s_wait_alu 0xf1ff
	s_delay_alu instid0(VALU_DEP_1)
	v_cndmask_b32_e64 v43, 0x7fc0, v3, s14
	s_wait_dscnt 0x0
	v_lshlrev_b32_e32 v3, 16, v5
	ds_store_b16 v2, v43 offset:6
	v_max_num_f32_e32 v44, v3, v3
	v_lshlrev_b32_e32 v4, 16, v43
	s_delay_alu instid0(VALU_DEP_1) | instskip(NEXT) | instid1(VALU_DEP_1)
	v_max_num_f32_e32 v5, v4, v4
	v_min_num_f32_e32 v45, v5, v44
	v_max_num_f32_e32 v5, v5, v44
	v_cmp_u_f32_e64 s14, v4, v4
	s_wait_alu 0xf1ff
	s_delay_alu instid0(VALU_DEP_1) | instskip(NEXT) | instid1(VALU_DEP_3)
	v_cndmask_b32_e64 v44, v45, v4, s14
	v_cndmask_b32_e64 v45, v5, v4, s14
	v_cmp_u_f32_e64 s14, v3, v3
	s_wait_alu 0xf1ff
	s_delay_alu instid0(VALU_DEP_1) | instskip(NEXT) | instid1(VALU_DEP_3)
	v_cndmask_b32_e64 v5, v44, v3, s14
	v_cndmask_b32_e64 v3, v45, v3, s14
	s_delay_alu instid0(VALU_DEP_2) | instskip(NEXT) | instid1(VALU_DEP_2)
	v_cmp_class_f32_e64 s15, v5, 0x1f8
	v_cmp_neq_f32_e64 s14, v5, v3
	s_or_b32 s14, s14, s15
	s_wait_alu 0xfffe
	s_and_saveexec_b32 s15, s14
	s_cbranch_execz .LBB443_96
; %bb.95:
	v_sub_f32_e32 v4, v5, v3
	s_delay_alu instid0(VALU_DEP_1) | instskip(SKIP_1) | instid1(VALU_DEP_2)
	v_mul_f32_e32 v5, 0x3fb8aa3b, v4
	v_cmp_ngt_f32_e64 s14, 0xc2ce8ed0, v4
	v_fma_f32 v43, 0x3fb8aa3b, v4, -v5
	v_rndne_f32_e32 v44, v5
	s_delay_alu instid0(VALU_DEP_2) | instskip(NEXT) | instid1(VALU_DEP_2)
	v_fmamk_f32 v43, v4, 0x32a5705f, v43
	v_sub_f32_e32 v5, v5, v44
	s_delay_alu instid0(VALU_DEP_1) | instskip(SKIP_1) | instid1(VALU_DEP_2)
	v_add_f32_e32 v5, v5, v43
	v_cvt_i32_f32_e32 v43, v44
	v_exp_f32_e32 v5, v5
	s_delay_alu instid0(TRANS32_DEP_1) | instskip(SKIP_1) | instid1(VALU_DEP_1)
	v_ldexp_f32 v5, v5, v43
	s_wait_alu 0xf1ff
	v_cndmask_b32_e64 v5, 0, v5, s14
	v_cmp_nlt_f32_e64 s14, 0x42b17218, v4
	s_wait_alu 0xf1ff
	s_delay_alu instid0(VALU_DEP_1) | instskip(NEXT) | instid1(VALU_DEP_1)
	v_cndmask_b32_e64 v43, 0x7f800000, v5, s14
	v_add_f32_e32 v44, 1.0, v43
	s_delay_alu instid0(VALU_DEP_1) | instskip(NEXT) | instid1(VALU_DEP_1)
	v_cvt_f64_f32_e32 v[4:5], v44
	v_frexp_exp_i32_f64_e32 v4, v[4:5]
	v_frexp_mant_f32_e32 v5, v44
	s_delay_alu instid0(VALU_DEP_1) | instskip(SKIP_1) | instid1(VALU_DEP_1)
	v_cmp_gt_f32_e64 s14, 0x3f2aaaab, v5
	v_add_f32_e32 v5, -1.0, v44
	v_sub_f32_e32 v46, v5, v44
	s_delay_alu instid0(VALU_DEP_1)
	v_add_f32_e32 v46, 1.0, v46
	s_wait_alu 0xf1ff
	v_subrev_co_ci_u32_e64 v4, null, 0, v4, s14
	s_mov_b32 s14, 0x3e9b6dac
	v_sub_nc_u32_e32 v45, 0, v4
	v_cvt_f32_i32_e32 v4, v4
	s_delay_alu instid0(VALU_DEP_2) | instskip(NEXT) | instid1(VALU_DEP_1)
	v_ldexp_f32 v44, v44, v45
	v_add_f32_e32 v47, 1.0, v44
	v_sub_f32_e32 v5, v43, v5
	s_delay_alu instid0(VALU_DEP_1) | instskip(NEXT) | instid1(VALU_DEP_1)
	v_add_f32_e32 v5, v5, v46
	v_ldexp_f32 v5, v5, v45
	v_add_f32_e32 v45, -1.0, v44
	s_delay_alu instid0(VALU_DEP_1) | instskip(SKIP_1) | instid1(VALU_DEP_1)
	v_add_f32_e32 v48, 1.0, v45
	v_add_f32_e32 v46, -1.0, v47
	v_sub_f32_e32 v46, v44, v46
	s_delay_alu instid0(VALU_DEP_3) | instskip(NEXT) | instid1(VALU_DEP_2)
	v_sub_f32_e32 v44, v44, v48
	v_add_f32_e32 v46, v5, v46
	s_delay_alu instid0(VALU_DEP_1) | instskip(NEXT) | instid1(VALU_DEP_1)
	v_dual_add_f32 v5, v5, v44 :: v_dual_add_f32 v48, v47, v46
	v_rcp_f32_e32 v44, v48
	v_sub_f32_e32 v47, v47, v48
	s_delay_alu instid0(VALU_DEP_1) | instskip(NEXT) | instid1(VALU_DEP_1)
	v_dual_add_f32 v49, v45, v5 :: v_dual_add_f32 v46, v46, v47
	v_sub_f32_e32 v45, v45, v49
	s_delay_alu instid0(TRANS32_DEP_1) | instskip(NEXT) | instid1(VALU_DEP_2)
	v_mul_f32_e32 v50, v49, v44
	v_add_f32_e32 v5, v5, v45
	s_delay_alu instid0(VALU_DEP_2) | instskip(NEXT) | instid1(VALU_DEP_1)
	v_mul_f32_e32 v51, v48, v50
	v_fma_f32 v47, v50, v48, -v51
	s_delay_alu instid0(VALU_DEP_1) | instskip(NEXT) | instid1(VALU_DEP_1)
	v_fmac_f32_e32 v47, v50, v46
	v_add_f32_e32 v52, v51, v47
	s_delay_alu instid0(VALU_DEP_1) | instskip(SKIP_1) | instid1(VALU_DEP_2)
	v_sub_f32_e32 v53, v49, v52
	v_sub_f32_e32 v45, v52, v51
	;; [unrolled: 1-line block ×3, first 2 shown]
	s_delay_alu instid0(VALU_DEP_2) | instskip(NEXT) | instid1(VALU_DEP_2)
	v_sub_f32_e32 v45, v45, v47
	v_sub_f32_e32 v49, v49, v52
	s_delay_alu instid0(VALU_DEP_1) | instskip(NEXT) | instid1(VALU_DEP_1)
	v_add_f32_e32 v5, v5, v49
	v_add_f32_e32 v5, v45, v5
	s_delay_alu instid0(VALU_DEP_1) | instskip(NEXT) | instid1(VALU_DEP_1)
	v_add_f32_e32 v45, v53, v5
	v_mul_f32_e32 v47, v44, v45
	s_delay_alu instid0(VALU_DEP_1) | instskip(NEXT) | instid1(VALU_DEP_1)
	v_mul_f32_e32 v49, v48, v47
	v_fma_f32 v48, v47, v48, -v49
	s_delay_alu instid0(VALU_DEP_1) | instskip(SKIP_1) | instid1(VALU_DEP_2)
	v_fmac_f32_e32 v48, v47, v46
	v_sub_f32_e32 v52, v53, v45
	v_add_f32_e32 v46, v49, v48
	s_delay_alu instid0(VALU_DEP_2) | instskip(NEXT) | instid1(VALU_DEP_2)
	v_add_f32_e32 v5, v5, v52
	v_sub_f32_e32 v51, v45, v46
	v_sub_f32_e32 v49, v46, v49
	s_delay_alu instid0(VALU_DEP_2) | instskip(NEXT) | instid1(VALU_DEP_1)
	v_sub_f32_e32 v45, v45, v51
	v_sub_f32_e32 v45, v45, v46
	s_delay_alu instid0(VALU_DEP_3) | instskip(NEXT) | instid1(VALU_DEP_2)
	v_sub_f32_e32 v46, v49, v48
	v_add_f32_e32 v5, v5, v45
	v_add_f32_e32 v45, v50, v47
	s_delay_alu instid0(VALU_DEP_1) | instskip(NEXT) | instid1(VALU_DEP_1)
	v_dual_add_f32 v5, v46, v5 :: v_dual_sub_f32 v46, v45, v50
	v_add_f32_e32 v5, v51, v5
	s_delay_alu instid0(VALU_DEP_1) | instskip(NEXT) | instid1(VALU_DEP_1)
	v_dual_sub_f32 v46, v47, v46 :: v_dual_mul_f32 v5, v44, v5
	v_add_f32_e32 v5, v46, v5
	s_delay_alu instid0(VALU_DEP_1) | instskip(NEXT) | instid1(VALU_DEP_1)
	v_add_f32_e32 v44, v45, v5
	v_mul_f32_e32 v46, v44, v44
	s_wait_alu 0xfffe
	s_delay_alu instid0(VALU_DEP_1) | instskip(SKIP_2) | instid1(VALU_DEP_3)
	v_fmaak_f32 v47, s14, v46, 0x3ecc95a3
	v_mul_f32_e32 v48, v44, v46
	v_cmp_neq_f32_e64 s14, 0x7f800000, v43
	v_fmaak_f32 v46, v46, v47, 0x3f2aaada
	v_ldexp_f32 v47, v44, 1
	v_sub_f32_e32 v44, v44, v45
	s_delay_alu instid0(VALU_DEP_3) | instskip(SKIP_1) | instid1(VALU_DEP_3)
	v_mul_f32_e32 v46, v48, v46
	v_mul_f32_e32 v48, 0x3f317218, v4
	v_sub_f32_e32 v5, v5, v44
	s_delay_alu instid0(VALU_DEP_3) | instskip(NEXT) | instid1(VALU_DEP_2)
	v_add_f32_e32 v45, v47, v46
	v_ldexp_f32 v5, v5, 1
	s_delay_alu instid0(VALU_DEP_2) | instskip(SKIP_1) | instid1(VALU_DEP_2)
	v_sub_f32_e32 v44, v45, v47
	v_fma_f32 v47, 0x3f317218, v4, -v48
	v_sub_f32_e32 v44, v46, v44
	s_delay_alu instid0(VALU_DEP_1) | instskip(NEXT) | instid1(VALU_DEP_1)
	v_dual_fmamk_f32 v4, v4, 0xb102e308, v47 :: v_dual_add_f32 v5, v5, v44
	v_add_f32_e32 v44, v48, v4
	s_delay_alu instid0(VALU_DEP_2) | instskip(NEXT) | instid1(VALU_DEP_2)
	v_add_f32_e32 v46, v45, v5
	v_sub_f32_e32 v48, v44, v48
	s_delay_alu instid0(VALU_DEP_2) | instskip(NEXT) | instid1(VALU_DEP_2)
	v_add_f32_e32 v47, v44, v46
	v_dual_sub_f32 v45, v46, v45 :: v_dual_sub_f32 v4, v4, v48
	s_delay_alu instid0(VALU_DEP_2) | instskip(NEXT) | instid1(VALU_DEP_2)
	v_sub_f32_e32 v49, v47, v44
	v_sub_f32_e32 v5, v5, v45
	s_delay_alu instid0(VALU_DEP_2) | instskip(SKIP_1) | instid1(VALU_DEP_3)
	v_sub_f32_e32 v50, v47, v49
	v_sub_f32_e32 v45, v46, v49
	v_add_f32_e32 v46, v4, v5
	s_delay_alu instid0(VALU_DEP_3) | instskip(NEXT) | instid1(VALU_DEP_1)
	v_sub_f32_e32 v44, v44, v50
	v_add_f32_e32 v44, v45, v44
	s_delay_alu instid0(VALU_DEP_3) | instskip(NEXT) | instid1(VALU_DEP_2)
	v_sub_f32_e32 v45, v46, v4
	v_add_f32_e32 v44, v46, v44
	s_delay_alu instid0(VALU_DEP_2) | instskip(NEXT) | instid1(VALU_DEP_1)
	v_sub_f32_e32 v46, v46, v45
	v_dual_sub_f32 v5, v5, v45 :: v_dual_sub_f32 v4, v4, v46
	s_delay_alu instid0(VALU_DEP_1) | instskip(NEXT) | instid1(VALU_DEP_4)
	v_add_f32_e32 v4, v5, v4
	v_add_f32_e32 v48, v47, v44
	s_delay_alu instid0(VALU_DEP_1) | instskip(NEXT) | instid1(VALU_DEP_1)
	v_sub_f32_e32 v45, v48, v47
	v_sub_f32_e32 v5, v44, v45
	s_delay_alu instid0(VALU_DEP_1) | instskip(NEXT) | instid1(VALU_DEP_1)
	v_add_f32_e32 v4, v4, v5
	v_add_f32_e32 v4, v48, v4
	s_wait_alu 0xf1ff
	s_delay_alu instid0(VALU_DEP_1) | instskip(SKIP_2) | instid1(VALU_DEP_1)
	v_cndmask_b32_e64 v4, 0x7f800000, v4, s14
	v_cmp_gt_f32_e64 s14, 0x33800000, |v43|
	s_wait_alu 0xf1ff
	v_cndmask_b32_e64 v4, v4, v43, s14
	s_delay_alu instid0(VALU_DEP_1)
	v_add_f32_e32 v4, v3, v4
.LBB443_96:
	s_wait_alu 0xfffe
	s_or_b32 exec_lo, exec_lo, s15
	ds_load_u16 v5, v2 offset:10
	v_bfe_u32 v3, v4, 16, 1
	v_cmp_o_f32_e64 s14, v4, v4
	s_delay_alu instid0(VALU_DEP_2) | instskip(NEXT) | instid1(VALU_DEP_1)
	v_add3_u32 v3, v4, v3, 0x7fff
	v_lshrrev_b32_e32 v3, 16, v3
	s_wait_alu 0xf1ff
	s_delay_alu instid0(VALU_DEP_1)
	v_cndmask_b32_e64 v43, 0x7fc0, v3, s14
	s_wait_dscnt 0x0
	v_lshlrev_b32_e32 v3, 16, v5
	ds_store_b16 v2, v43 offset:8
	v_max_num_f32_e32 v44, v3, v3
	v_lshlrev_b32_e32 v4, 16, v43
	s_delay_alu instid0(VALU_DEP_1) | instskip(NEXT) | instid1(VALU_DEP_1)
	v_max_num_f32_e32 v5, v4, v4
	v_min_num_f32_e32 v45, v5, v44
	v_max_num_f32_e32 v5, v5, v44
	v_cmp_u_f32_e64 s14, v4, v4
	s_wait_alu 0xf1ff
	s_delay_alu instid0(VALU_DEP_1) | instskip(NEXT) | instid1(VALU_DEP_3)
	v_cndmask_b32_e64 v44, v45, v4, s14
	v_cndmask_b32_e64 v45, v5, v4, s14
	v_cmp_u_f32_e64 s14, v3, v3
	s_wait_alu 0xf1ff
	s_delay_alu instid0(VALU_DEP_1) | instskip(NEXT) | instid1(VALU_DEP_3)
	v_cndmask_b32_e64 v5, v44, v3, s14
	v_cndmask_b32_e64 v3, v45, v3, s14
	s_delay_alu instid0(VALU_DEP_2) | instskip(NEXT) | instid1(VALU_DEP_2)
	v_cmp_class_f32_e64 s15, v5, 0x1f8
	v_cmp_neq_f32_e64 s14, v5, v3
	s_or_b32 s14, s14, s15
	s_wait_alu 0xfffe
	s_and_saveexec_b32 s15, s14
	s_cbranch_execz .LBB443_98
; %bb.97:
	v_sub_f32_e32 v4, v5, v3
	s_delay_alu instid0(VALU_DEP_1) | instskip(SKIP_1) | instid1(VALU_DEP_2)
	v_mul_f32_e32 v5, 0x3fb8aa3b, v4
	v_cmp_ngt_f32_e64 s14, 0xc2ce8ed0, v4
	v_fma_f32 v43, 0x3fb8aa3b, v4, -v5
	v_rndne_f32_e32 v44, v5
	s_delay_alu instid0(VALU_DEP_2) | instskip(NEXT) | instid1(VALU_DEP_2)
	v_fmamk_f32 v43, v4, 0x32a5705f, v43
	v_sub_f32_e32 v5, v5, v44
	s_delay_alu instid0(VALU_DEP_1) | instskip(SKIP_1) | instid1(VALU_DEP_2)
	v_add_f32_e32 v5, v5, v43
	v_cvt_i32_f32_e32 v43, v44
	v_exp_f32_e32 v5, v5
	s_delay_alu instid0(TRANS32_DEP_1) | instskip(SKIP_1) | instid1(VALU_DEP_1)
	v_ldexp_f32 v5, v5, v43
	s_wait_alu 0xf1ff
	v_cndmask_b32_e64 v5, 0, v5, s14
	v_cmp_nlt_f32_e64 s14, 0x42b17218, v4
	s_wait_alu 0xf1ff
	s_delay_alu instid0(VALU_DEP_1) | instskip(NEXT) | instid1(VALU_DEP_1)
	v_cndmask_b32_e64 v43, 0x7f800000, v5, s14
	v_add_f32_e32 v44, 1.0, v43
	s_delay_alu instid0(VALU_DEP_1) | instskip(NEXT) | instid1(VALU_DEP_1)
	v_cvt_f64_f32_e32 v[4:5], v44
	v_frexp_exp_i32_f64_e32 v4, v[4:5]
	v_frexp_mant_f32_e32 v5, v44
	s_delay_alu instid0(VALU_DEP_1) | instskip(SKIP_1) | instid1(VALU_DEP_1)
	v_cmp_gt_f32_e64 s14, 0x3f2aaaab, v5
	v_add_f32_e32 v5, -1.0, v44
	v_sub_f32_e32 v46, v5, v44
	s_delay_alu instid0(VALU_DEP_1)
	v_add_f32_e32 v46, 1.0, v46
	s_wait_alu 0xf1ff
	v_subrev_co_ci_u32_e64 v4, null, 0, v4, s14
	s_mov_b32 s14, 0x3e9b6dac
	v_sub_nc_u32_e32 v45, 0, v4
	v_cvt_f32_i32_e32 v4, v4
	s_delay_alu instid0(VALU_DEP_2) | instskip(NEXT) | instid1(VALU_DEP_1)
	v_ldexp_f32 v44, v44, v45
	v_add_f32_e32 v47, 1.0, v44
	v_sub_f32_e32 v5, v43, v5
	s_delay_alu instid0(VALU_DEP_1) | instskip(NEXT) | instid1(VALU_DEP_1)
	v_add_f32_e32 v5, v5, v46
	v_ldexp_f32 v5, v5, v45
	v_add_f32_e32 v45, -1.0, v44
	s_delay_alu instid0(VALU_DEP_1) | instskip(SKIP_1) | instid1(VALU_DEP_1)
	v_add_f32_e32 v48, 1.0, v45
	v_add_f32_e32 v46, -1.0, v47
	v_sub_f32_e32 v46, v44, v46
	s_delay_alu instid0(VALU_DEP_3) | instskip(NEXT) | instid1(VALU_DEP_2)
	v_sub_f32_e32 v44, v44, v48
	v_add_f32_e32 v46, v5, v46
	s_delay_alu instid0(VALU_DEP_1) | instskip(NEXT) | instid1(VALU_DEP_1)
	v_dual_add_f32 v5, v5, v44 :: v_dual_add_f32 v48, v47, v46
	v_rcp_f32_e32 v44, v48
	v_sub_f32_e32 v47, v47, v48
	s_delay_alu instid0(VALU_DEP_1) | instskip(NEXT) | instid1(VALU_DEP_1)
	v_dual_add_f32 v49, v45, v5 :: v_dual_add_f32 v46, v46, v47
	v_sub_f32_e32 v45, v45, v49
	s_delay_alu instid0(TRANS32_DEP_1) | instskip(NEXT) | instid1(VALU_DEP_2)
	v_mul_f32_e32 v50, v49, v44
	v_add_f32_e32 v5, v5, v45
	s_delay_alu instid0(VALU_DEP_2) | instskip(NEXT) | instid1(VALU_DEP_1)
	v_mul_f32_e32 v51, v48, v50
	v_fma_f32 v47, v50, v48, -v51
	s_delay_alu instid0(VALU_DEP_1) | instskip(NEXT) | instid1(VALU_DEP_1)
	v_fmac_f32_e32 v47, v50, v46
	v_add_f32_e32 v52, v51, v47
	s_delay_alu instid0(VALU_DEP_1) | instskip(SKIP_1) | instid1(VALU_DEP_2)
	v_sub_f32_e32 v53, v49, v52
	v_sub_f32_e32 v45, v52, v51
	;; [unrolled: 1-line block ×3, first 2 shown]
	s_delay_alu instid0(VALU_DEP_2) | instskip(NEXT) | instid1(VALU_DEP_2)
	v_sub_f32_e32 v45, v45, v47
	v_sub_f32_e32 v49, v49, v52
	s_delay_alu instid0(VALU_DEP_1) | instskip(NEXT) | instid1(VALU_DEP_1)
	v_add_f32_e32 v5, v5, v49
	v_add_f32_e32 v5, v45, v5
	s_delay_alu instid0(VALU_DEP_1) | instskip(NEXT) | instid1(VALU_DEP_1)
	v_add_f32_e32 v45, v53, v5
	v_mul_f32_e32 v47, v44, v45
	s_delay_alu instid0(VALU_DEP_1) | instskip(NEXT) | instid1(VALU_DEP_1)
	v_mul_f32_e32 v49, v48, v47
	v_fma_f32 v48, v47, v48, -v49
	s_delay_alu instid0(VALU_DEP_1) | instskip(SKIP_1) | instid1(VALU_DEP_2)
	v_fmac_f32_e32 v48, v47, v46
	v_sub_f32_e32 v52, v53, v45
	v_add_f32_e32 v46, v49, v48
	s_delay_alu instid0(VALU_DEP_2) | instskip(NEXT) | instid1(VALU_DEP_2)
	v_add_f32_e32 v5, v5, v52
	v_sub_f32_e32 v51, v45, v46
	v_sub_f32_e32 v49, v46, v49
	s_delay_alu instid0(VALU_DEP_2) | instskip(NEXT) | instid1(VALU_DEP_1)
	v_sub_f32_e32 v45, v45, v51
	v_sub_f32_e32 v45, v45, v46
	s_delay_alu instid0(VALU_DEP_3) | instskip(NEXT) | instid1(VALU_DEP_2)
	v_sub_f32_e32 v46, v49, v48
	v_add_f32_e32 v5, v5, v45
	v_add_f32_e32 v45, v50, v47
	s_delay_alu instid0(VALU_DEP_1) | instskip(NEXT) | instid1(VALU_DEP_1)
	v_dual_add_f32 v5, v46, v5 :: v_dual_sub_f32 v46, v45, v50
	v_add_f32_e32 v5, v51, v5
	s_delay_alu instid0(VALU_DEP_1) | instskip(NEXT) | instid1(VALU_DEP_1)
	v_dual_sub_f32 v46, v47, v46 :: v_dual_mul_f32 v5, v44, v5
	v_add_f32_e32 v5, v46, v5
	s_delay_alu instid0(VALU_DEP_1) | instskip(NEXT) | instid1(VALU_DEP_1)
	v_add_f32_e32 v44, v45, v5
	v_mul_f32_e32 v46, v44, v44
	s_wait_alu 0xfffe
	s_delay_alu instid0(VALU_DEP_1) | instskip(SKIP_2) | instid1(VALU_DEP_3)
	v_fmaak_f32 v47, s14, v46, 0x3ecc95a3
	v_mul_f32_e32 v48, v44, v46
	v_cmp_neq_f32_e64 s14, 0x7f800000, v43
	v_fmaak_f32 v46, v46, v47, 0x3f2aaada
	v_ldexp_f32 v47, v44, 1
	v_sub_f32_e32 v44, v44, v45
	s_delay_alu instid0(VALU_DEP_3) | instskip(SKIP_1) | instid1(VALU_DEP_3)
	v_mul_f32_e32 v46, v48, v46
	v_mul_f32_e32 v48, 0x3f317218, v4
	v_sub_f32_e32 v5, v5, v44
	s_delay_alu instid0(VALU_DEP_3) | instskip(NEXT) | instid1(VALU_DEP_2)
	v_add_f32_e32 v45, v47, v46
	v_ldexp_f32 v5, v5, 1
	s_delay_alu instid0(VALU_DEP_2) | instskip(SKIP_1) | instid1(VALU_DEP_2)
	v_sub_f32_e32 v44, v45, v47
	v_fma_f32 v47, 0x3f317218, v4, -v48
	v_sub_f32_e32 v44, v46, v44
	s_delay_alu instid0(VALU_DEP_1) | instskip(NEXT) | instid1(VALU_DEP_1)
	v_dual_fmamk_f32 v4, v4, 0xb102e308, v47 :: v_dual_add_f32 v5, v5, v44
	v_add_f32_e32 v44, v48, v4
	s_delay_alu instid0(VALU_DEP_2) | instskip(NEXT) | instid1(VALU_DEP_2)
	v_add_f32_e32 v46, v45, v5
	v_sub_f32_e32 v48, v44, v48
	s_delay_alu instid0(VALU_DEP_2) | instskip(NEXT) | instid1(VALU_DEP_2)
	v_add_f32_e32 v47, v44, v46
	v_dual_sub_f32 v45, v46, v45 :: v_dual_sub_f32 v4, v4, v48
	s_delay_alu instid0(VALU_DEP_2) | instskip(NEXT) | instid1(VALU_DEP_2)
	v_sub_f32_e32 v49, v47, v44
	v_sub_f32_e32 v5, v5, v45
	s_delay_alu instid0(VALU_DEP_2) | instskip(SKIP_1) | instid1(VALU_DEP_3)
	v_sub_f32_e32 v50, v47, v49
	v_sub_f32_e32 v45, v46, v49
	v_add_f32_e32 v46, v4, v5
	s_delay_alu instid0(VALU_DEP_3) | instskip(NEXT) | instid1(VALU_DEP_1)
	v_sub_f32_e32 v44, v44, v50
	v_add_f32_e32 v44, v45, v44
	s_delay_alu instid0(VALU_DEP_3) | instskip(NEXT) | instid1(VALU_DEP_2)
	v_sub_f32_e32 v45, v46, v4
	v_add_f32_e32 v44, v46, v44
	s_delay_alu instid0(VALU_DEP_2) | instskip(NEXT) | instid1(VALU_DEP_1)
	v_sub_f32_e32 v46, v46, v45
	v_dual_sub_f32 v5, v5, v45 :: v_dual_sub_f32 v4, v4, v46
	s_delay_alu instid0(VALU_DEP_1) | instskip(NEXT) | instid1(VALU_DEP_4)
	v_add_f32_e32 v4, v5, v4
	v_add_f32_e32 v48, v47, v44
	s_delay_alu instid0(VALU_DEP_1) | instskip(NEXT) | instid1(VALU_DEP_1)
	v_sub_f32_e32 v45, v48, v47
	v_sub_f32_e32 v5, v44, v45
	s_delay_alu instid0(VALU_DEP_1) | instskip(NEXT) | instid1(VALU_DEP_1)
	v_add_f32_e32 v4, v4, v5
	v_add_f32_e32 v4, v48, v4
	s_wait_alu 0xf1ff
	s_delay_alu instid0(VALU_DEP_1) | instskip(SKIP_2) | instid1(VALU_DEP_1)
	v_cndmask_b32_e64 v4, 0x7f800000, v4, s14
	v_cmp_gt_f32_e64 s14, 0x33800000, |v43|
	s_wait_alu 0xf1ff
	v_cndmask_b32_e64 v4, v4, v43, s14
	s_delay_alu instid0(VALU_DEP_1)
	v_add_f32_e32 v4, v3, v4
.LBB443_98:
	s_wait_alu 0xfffe
	s_or_b32 exec_lo, exec_lo, s15
	ds_load_u16 v5, v2 offset:12
	v_bfe_u32 v3, v4, 16, 1
	v_cmp_o_f32_e64 s14, v4, v4
	s_delay_alu instid0(VALU_DEP_2) | instskip(NEXT) | instid1(VALU_DEP_1)
	v_add3_u32 v3, v4, v3, 0x7fff
	v_lshrrev_b32_e32 v3, 16, v3
	s_wait_alu 0xf1ff
	s_delay_alu instid0(VALU_DEP_1)
	v_cndmask_b32_e64 v43, 0x7fc0, v3, s14
	s_wait_dscnt 0x0
	v_lshlrev_b32_e32 v3, 16, v5
	ds_store_b16 v2, v43 offset:10
	v_max_num_f32_e32 v44, v3, v3
	v_lshlrev_b32_e32 v4, 16, v43
	s_delay_alu instid0(VALU_DEP_1) | instskip(NEXT) | instid1(VALU_DEP_1)
	v_max_num_f32_e32 v5, v4, v4
	v_min_num_f32_e32 v45, v5, v44
	v_max_num_f32_e32 v5, v5, v44
	v_cmp_u_f32_e64 s14, v4, v4
	s_wait_alu 0xf1ff
	s_delay_alu instid0(VALU_DEP_1) | instskip(NEXT) | instid1(VALU_DEP_3)
	v_cndmask_b32_e64 v44, v45, v4, s14
	v_cndmask_b32_e64 v45, v5, v4, s14
	v_cmp_u_f32_e64 s14, v3, v3
	s_wait_alu 0xf1ff
	s_delay_alu instid0(VALU_DEP_1) | instskip(NEXT) | instid1(VALU_DEP_3)
	v_cndmask_b32_e64 v5, v44, v3, s14
	v_cndmask_b32_e64 v3, v45, v3, s14
	s_delay_alu instid0(VALU_DEP_2) | instskip(NEXT) | instid1(VALU_DEP_2)
	v_cmp_class_f32_e64 s15, v5, 0x1f8
	v_cmp_neq_f32_e64 s14, v5, v3
	s_or_b32 s14, s14, s15
	s_wait_alu 0xfffe
	s_and_saveexec_b32 s15, s14
	s_cbranch_execz .LBB443_100
; %bb.99:
	v_sub_f32_e32 v4, v5, v3
	s_delay_alu instid0(VALU_DEP_1) | instskip(SKIP_1) | instid1(VALU_DEP_2)
	v_mul_f32_e32 v5, 0x3fb8aa3b, v4
	v_cmp_ngt_f32_e64 s14, 0xc2ce8ed0, v4
	v_fma_f32 v43, 0x3fb8aa3b, v4, -v5
	v_rndne_f32_e32 v44, v5
	s_delay_alu instid0(VALU_DEP_2) | instskip(NEXT) | instid1(VALU_DEP_2)
	v_fmamk_f32 v43, v4, 0x32a5705f, v43
	v_sub_f32_e32 v5, v5, v44
	s_delay_alu instid0(VALU_DEP_1) | instskip(SKIP_1) | instid1(VALU_DEP_2)
	v_add_f32_e32 v5, v5, v43
	v_cvt_i32_f32_e32 v43, v44
	v_exp_f32_e32 v5, v5
	s_delay_alu instid0(TRANS32_DEP_1) | instskip(SKIP_1) | instid1(VALU_DEP_1)
	v_ldexp_f32 v5, v5, v43
	s_wait_alu 0xf1ff
	v_cndmask_b32_e64 v5, 0, v5, s14
	v_cmp_nlt_f32_e64 s14, 0x42b17218, v4
	s_wait_alu 0xf1ff
	s_delay_alu instid0(VALU_DEP_1) | instskip(NEXT) | instid1(VALU_DEP_1)
	v_cndmask_b32_e64 v43, 0x7f800000, v5, s14
	v_add_f32_e32 v44, 1.0, v43
	s_delay_alu instid0(VALU_DEP_1) | instskip(NEXT) | instid1(VALU_DEP_1)
	v_cvt_f64_f32_e32 v[4:5], v44
	v_frexp_exp_i32_f64_e32 v4, v[4:5]
	v_frexp_mant_f32_e32 v5, v44
	s_delay_alu instid0(VALU_DEP_1) | instskip(SKIP_1) | instid1(VALU_DEP_1)
	v_cmp_gt_f32_e64 s14, 0x3f2aaaab, v5
	v_add_f32_e32 v5, -1.0, v44
	v_sub_f32_e32 v46, v5, v44
	s_delay_alu instid0(VALU_DEP_1)
	v_add_f32_e32 v46, 1.0, v46
	s_wait_alu 0xf1ff
	v_subrev_co_ci_u32_e64 v4, null, 0, v4, s14
	s_mov_b32 s14, 0x3e9b6dac
	v_sub_nc_u32_e32 v45, 0, v4
	v_cvt_f32_i32_e32 v4, v4
	s_delay_alu instid0(VALU_DEP_2) | instskip(NEXT) | instid1(VALU_DEP_1)
	v_ldexp_f32 v44, v44, v45
	v_add_f32_e32 v47, 1.0, v44
	v_sub_f32_e32 v5, v43, v5
	s_delay_alu instid0(VALU_DEP_1) | instskip(NEXT) | instid1(VALU_DEP_1)
	v_add_f32_e32 v5, v5, v46
	v_ldexp_f32 v5, v5, v45
	v_add_f32_e32 v45, -1.0, v44
	s_delay_alu instid0(VALU_DEP_1) | instskip(SKIP_1) | instid1(VALU_DEP_1)
	v_add_f32_e32 v48, 1.0, v45
	v_add_f32_e32 v46, -1.0, v47
	v_sub_f32_e32 v46, v44, v46
	s_delay_alu instid0(VALU_DEP_3) | instskip(NEXT) | instid1(VALU_DEP_2)
	v_sub_f32_e32 v44, v44, v48
	v_add_f32_e32 v46, v5, v46
	s_delay_alu instid0(VALU_DEP_1) | instskip(NEXT) | instid1(VALU_DEP_1)
	v_dual_add_f32 v5, v5, v44 :: v_dual_add_f32 v48, v47, v46
	v_rcp_f32_e32 v44, v48
	v_sub_f32_e32 v47, v47, v48
	s_delay_alu instid0(VALU_DEP_1) | instskip(NEXT) | instid1(VALU_DEP_1)
	v_dual_add_f32 v49, v45, v5 :: v_dual_add_f32 v46, v46, v47
	v_sub_f32_e32 v45, v45, v49
	s_delay_alu instid0(TRANS32_DEP_1) | instskip(NEXT) | instid1(VALU_DEP_2)
	v_mul_f32_e32 v50, v49, v44
	v_add_f32_e32 v5, v5, v45
	s_delay_alu instid0(VALU_DEP_2) | instskip(NEXT) | instid1(VALU_DEP_1)
	v_mul_f32_e32 v51, v48, v50
	v_fma_f32 v47, v50, v48, -v51
	s_delay_alu instid0(VALU_DEP_1) | instskip(NEXT) | instid1(VALU_DEP_1)
	v_fmac_f32_e32 v47, v50, v46
	v_add_f32_e32 v52, v51, v47
	s_delay_alu instid0(VALU_DEP_1) | instskip(SKIP_1) | instid1(VALU_DEP_2)
	v_sub_f32_e32 v53, v49, v52
	v_sub_f32_e32 v45, v52, v51
	;; [unrolled: 1-line block ×3, first 2 shown]
	s_delay_alu instid0(VALU_DEP_2) | instskip(NEXT) | instid1(VALU_DEP_2)
	v_sub_f32_e32 v45, v45, v47
	v_sub_f32_e32 v49, v49, v52
	s_delay_alu instid0(VALU_DEP_1) | instskip(NEXT) | instid1(VALU_DEP_1)
	v_add_f32_e32 v5, v5, v49
	v_add_f32_e32 v5, v45, v5
	s_delay_alu instid0(VALU_DEP_1) | instskip(NEXT) | instid1(VALU_DEP_1)
	v_add_f32_e32 v45, v53, v5
	v_mul_f32_e32 v47, v44, v45
	s_delay_alu instid0(VALU_DEP_1) | instskip(NEXT) | instid1(VALU_DEP_1)
	v_mul_f32_e32 v49, v48, v47
	v_fma_f32 v48, v47, v48, -v49
	s_delay_alu instid0(VALU_DEP_1) | instskip(SKIP_1) | instid1(VALU_DEP_2)
	v_fmac_f32_e32 v48, v47, v46
	v_sub_f32_e32 v52, v53, v45
	v_add_f32_e32 v46, v49, v48
	s_delay_alu instid0(VALU_DEP_2) | instskip(NEXT) | instid1(VALU_DEP_2)
	v_add_f32_e32 v5, v5, v52
	v_sub_f32_e32 v51, v45, v46
	v_sub_f32_e32 v49, v46, v49
	s_delay_alu instid0(VALU_DEP_2) | instskip(NEXT) | instid1(VALU_DEP_1)
	v_sub_f32_e32 v45, v45, v51
	v_sub_f32_e32 v45, v45, v46
	s_delay_alu instid0(VALU_DEP_3) | instskip(NEXT) | instid1(VALU_DEP_2)
	v_sub_f32_e32 v46, v49, v48
	v_add_f32_e32 v5, v5, v45
	v_add_f32_e32 v45, v50, v47
	s_delay_alu instid0(VALU_DEP_1) | instskip(NEXT) | instid1(VALU_DEP_1)
	v_dual_add_f32 v5, v46, v5 :: v_dual_sub_f32 v46, v45, v50
	v_add_f32_e32 v5, v51, v5
	s_delay_alu instid0(VALU_DEP_1) | instskip(NEXT) | instid1(VALU_DEP_1)
	v_dual_sub_f32 v46, v47, v46 :: v_dual_mul_f32 v5, v44, v5
	v_add_f32_e32 v5, v46, v5
	s_delay_alu instid0(VALU_DEP_1) | instskip(NEXT) | instid1(VALU_DEP_1)
	v_add_f32_e32 v44, v45, v5
	v_mul_f32_e32 v46, v44, v44
	s_wait_alu 0xfffe
	s_delay_alu instid0(VALU_DEP_1) | instskip(SKIP_2) | instid1(VALU_DEP_3)
	v_fmaak_f32 v47, s14, v46, 0x3ecc95a3
	v_mul_f32_e32 v48, v44, v46
	v_cmp_neq_f32_e64 s14, 0x7f800000, v43
	v_fmaak_f32 v46, v46, v47, 0x3f2aaada
	v_ldexp_f32 v47, v44, 1
	v_sub_f32_e32 v44, v44, v45
	s_delay_alu instid0(VALU_DEP_3) | instskip(SKIP_1) | instid1(VALU_DEP_3)
	v_mul_f32_e32 v46, v48, v46
	v_mul_f32_e32 v48, 0x3f317218, v4
	v_sub_f32_e32 v5, v5, v44
	s_delay_alu instid0(VALU_DEP_3) | instskip(NEXT) | instid1(VALU_DEP_2)
	v_add_f32_e32 v45, v47, v46
	v_ldexp_f32 v5, v5, 1
	s_delay_alu instid0(VALU_DEP_2) | instskip(SKIP_1) | instid1(VALU_DEP_2)
	v_sub_f32_e32 v44, v45, v47
	v_fma_f32 v47, 0x3f317218, v4, -v48
	v_sub_f32_e32 v44, v46, v44
	s_delay_alu instid0(VALU_DEP_1) | instskip(NEXT) | instid1(VALU_DEP_1)
	v_dual_fmamk_f32 v4, v4, 0xb102e308, v47 :: v_dual_add_f32 v5, v5, v44
	v_add_f32_e32 v44, v48, v4
	s_delay_alu instid0(VALU_DEP_2) | instskip(NEXT) | instid1(VALU_DEP_2)
	v_add_f32_e32 v46, v45, v5
	v_sub_f32_e32 v48, v44, v48
	s_delay_alu instid0(VALU_DEP_2) | instskip(NEXT) | instid1(VALU_DEP_2)
	v_add_f32_e32 v47, v44, v46
	v_dual_sub_f32 v45, v46, v45 :: v_dual_sub_f32 v4, v4, v48
	s_delay_alu instid0(VALU_DEP_2) | instskip(NEXT) | instid1(VALU_DEP_2)
	v_sub_f32_e32 v49, v47, v44
	v_sub_f32_e32 v5, v5, v45
	s_delay_alu instid0(VALU_DEP_2) | instskip(SKIP_1) | instid1(VALU_DEP_3)
	v_sub_f32_e32 v50, v47, v49
	v_sub_f32_e32 v45, v46, v49
	v_add_f32_e32 v46, v4, v5
	s_delay_alu instid0(VALU_DEP_3) | instskip(NEXT) | instid1(VALU_DEP_1)
	v_sub_f32_e32 v44, v44, v50
	v_add_f32_e32 v44, v45, v44
	s_delay_alu instid0(VALU_DEP_3) | instskip(NEXT) | instid1(VALU_DEP_2)
	v_sub_f32_e32 v45, v46, v4
	v_add_f32_e32 v44, v46, v44
	s_delay_alu instid0(VALU_DEP_2) | instskip(NEXT) | instid1(VALU_DEP_1)
	v_sub_f32_e32 v46, v46, v45
	v_dual_sub_f32 v5, v5, v45 :: v_dual_sub_f32 v4, v4, v46
	s_delay_alu instid0(VALU_DEP_1) | instskip(NEXT) | instid1(VALU_DEP_4)
	v_add_f32_e32 v4, v5, v4
	v_add_f32_e32 v48, v47, v44
	s_delay_alu instid0(VALU_DEP_1) | instskip(NEXT) | instid1(VALU_DEP_1)
	v_sub_f32_e32 v45, v48, v47
	v_sub_f32_e32 v5, v44, v45
	s_delay_alu instid0(VALU_DEP_1) | instskip(NEXT) | instid1(VALU_DEP_1)
	v_add_f32_e32 v4, v4, v5
	v_add_f32_e32 v4, v48, v4
	s_wait_alu 0xf1ff
	s_delay_alu instid0(VALU_DEP_1) | instskip(SKIP_2) | instid1(VALU_DEP_1)
	v_cndmask_b32_e64 v4, 0x7f800000, v4, s14
	v_cmp_gt_f32_e64 s14, 0x33800000, |v43|
	s_wait_alu 0xf1ff
	v_cndmask_b32_e64 v4, v4, v43, s14
	s_delay_alu instid0(VALU_DEP_1)
	v_add_f32_e32 v4, v3, v4
.LBB443_100:
	s_wait_alu 0xfffe
	s_or_b32 exec_lo, exec_lo, s15
	ds_load_u16 v5, v2 offset:14
	v_bfe_u32 v3, v4, 16, 1
	v_cmp_o_f32_e64 s14, v4, v4
	s_delay_alu instid0(VALU_DEP_2) | instskip(NEXT) | instid1(VALU_DEP_1)
	v_add3_u32 v3, v4, v3, 0x7fff
	v_lshrrev_b32_e32 v3, 16, v3
	s_wait_alu 0xf1ff
	s_delay_alu instid0(VALU_DEP_1)
	v_cndmask_b32_e64 v43, 0x7fc0, v3, s14
	s_wait_dscnt 0x0
	v_lshlrev_b32_e32 v3, 16, v5
	ds_store_b16 v2, v43 offset:12
	v_max_num_f32_e32 v44, v3, v3
	v_lshlrev_b32_e32 v4, 16, v43
	s_delay_alu instid0(VALU_DEP_1) | instskip(NEXT) | instid1(VALU_DEP_1)
	v_max_num_f32_e32 v5, v4, v4
	v_min_num_f32_e32 v45, v5, v44
	v_max_num_f32_e32 v5, v5, v44
	v_cmp_u_f32_e64 s14, v4, v4
	s_wait_alu 0xf1ff
	s_delay_alu instid0(VALU_DEP_1) | instskip(NEXT) | instid1(VALU_DEP_3)
	v_cndmask_b32_e64 v44, v45, v4, s14
	v_cndmask_b32_e64 v45, v5, v4, s14
	v_cmp_u_f32_e64 s14, v3, v3
	s_wait_alu 0xf1ff
	s_delay_alu instid0(VALU_DEP_1) | instskip(NEXT) | instid1(VALU_DEP_3)
	v_cndmask_b32_e64 v5, v44, v3, s14
	v_cndmask_b32_e64 v3, v45, v3, s14
	s_delay_alu instid0(VALU_DEP_2) | instskip(NEXT) | instid1(VALU_DEP_2)
	v_cmp_class_f32_e64 s15, v5, 0x1f8
	v_cmp_neq_f32_e64 s14, v5, v3
	s_or_b32 s14, s14, s15
	s_wait_alu 0xfffe
	s_and_saveexec_b32 s15, s14
	s_cbranch_execz .LBB443_102
; %bb.101:
	v_sub_f32_e32 v4, v5, v3
	s_delay_alu instid0(VALU_DEP_1) | instskip(SKIP_1) | instid1(VALU_DEP_2)
	v_mul_f32_e32 v5, 0x3fb8aa3b, v4
	v_cmp_ngt_f32_e64 s14, 0xc2ce8ed0, v4
	v_fma_f32 v43, 0x3fb8aa3b, v4, -v5
	v_rndne_f32_e32 v44, v5
	s_delay_alu instid0(VALU_DEP_2) | instskip(NEXT) | instid1(VALU_DEP_2)
	v_fmamk_f32 v43, v4, 0x32a5705f, v43
	v_sub_f32_e32 v5, v5, v44
	s_delay_alu instid0(VALU_DEP_1) | instskip(SKIP_1) | instid1(VALU_DEP_2)
	v_add_f32_e32 v5, v5, v43
	v_cvt_i32_f32_e32 v43, v44
	v_exp_f32_e32 v5, v5
	s_delay_alu instid0(TRANS32_DEP_1) | instskip(SKIP_1) | instid1(VALU_DEP_1)
	v_ldexp_f32 v5, v5, v43
	s_wait_alu 0xf1ff
	v_cndmask_b32_e64 v5, 0, v5, s14
	v_cmp_nlt_f32_e64 s14, 0x42b17218, v4
	s_wait_alu 0xf1ff
	s_delay_alu instid0(VALU_DEP_1) | instskip(NEXT) | instid1(VALU_DEP_1)
	v_cndmask_b32_e64 v43, 0x7f800000, v5, s14
	v_add_f32_e32 v44, 1.0, v43
	s_delay_alu instid0(VALU_DEP_1) | instskip(NEXT) | instid1(VALU_DEP_1)
	v_cvt_f64_f32_e32 v[4:5], v44
	v_frexp_exp_i32_f64_e32 v4, v[4:5]
	v_frexp_mant_f32_e32 v5, v44
	s_delay_alu instid0(VALU_DEP_1) | instskip(SKIP_1) | instid1(VALU_DEP_1)
	v_cmp_gt_f32_e64 s14, 0x3f2aaaab, v5
	v_add_f32_e32 v5, -1.0, v44
	v_sub_f32_e32 v46, v5, v44
	s_delay_alu instid0(VALU_DEP_1)
	v_add_f32_e32 v46, 1.0, v46
	s_wait_alu 0xf1ff
	v_subrev_co_ci_u32_e64 v4, null, 0, v4, s14
	s_mov_b32 s14, 0x3e9b6dac
	v_sub_nc_u32_e32 v45, 0, v4
	v_cvt_f32_i32_e32 v4, v4
	s_delay_alu instid0(VALU_DEP_2) | instskip(NEXT) | instid1(VALU_DEP_1)
	v_ldexp_f32 v44, v44, v45
	v_add_f32_e32 v47, 1.0, v44
	v_sub_f32_e32 v5, v43, v5
	s_delay_alu instid0(VALU_DEP_1) | instskip(NEXT) | instid1(VALU_DEP_1)
	v_add_f32_e32 v5, v5, v46
	v_ldexp_f32 v5, v5, v45
	v_add_f32_e32 v45, -1.0, v44
	s_delay_alu instid0(VALU_DEP_1) | instskip(SKIP_1) | instid1(VALU_DEP_1)
	v_add_f32_e32 v48, 1.0, v45
	v_add_f32_e32 v46, -1.0, v47
	v_sub_f32_e32 v46, v44, v46
	s_delay_alu instid0(VALU_DEP_3) | instskip(NEXT) | instid1(VALU_DEP_2)
	v_sub_f32_e32 v44, v44, v48
	v_add_f32_e32 v46, v5, v46
	s_delay_alu instid0(VALU_DEP_1) | instskip(NEXT) | instid1(VALU_DEP_1)
	v_dual_add_f32 v5, v5, v44 :: v_dual_add_f32 v48, v47, v46
	v_rcp_f32_e32 v44, v48
	v_sub_f32_e32 v47, v47, v48
	s_delay_alu instid0(VALU_DEP_1) | instskip(NEXT) | instid1(VALU_DEP_1)
	v_dual_add_f32 v49, v45, v5 :: v_dual_add_f32 v46, v46, v47
	v_sub_f32_e32 v45, v45, v49
	s_delay_alu instid0(TRANS32_DEP_1) | instskip(NEXT) | instid1(VALU_DEP_2)
	v_mul_f32_e32 v50, v49, v44
	v_add_f32_e32 v5, v5, v45
	s_delay_alu instid0(VALU_DEP_2) | instskip(NEXT) | instid1(VALU_DEP_1)
	v_mul_f32_e32 v51, v48, v50
	v_fma_f32 v47, v50, v48, -v51
	s_delay_alu instid0(VALU_DEP_1) | instskip(NEXT) | instid1(VALU_DEP_1)
	v_fmac_f32_e32 v47, v50, v46
	v_add_f32_e32 v52, v51, v47
	s_delay_alu instid0(VALU_DEP_1) | instskip(SKIP_1) | instid1(VALU_DEP_2)
	v_sub_f32_e32 v53, v49, v52
	v_sub_f32_e32 v45, v52, v51
	;; [unrolled: 1-line block ×3, first 2 shown]
	s_delay_alu instid0(VALU_DEP_2) | instskip(NEXT) | instid1(VALU_DEP_2)
	v_sub_f32_e32 v45, v45, v47
	v_sub_f32_e32 v49, v49, v52
	s_delay_alu instid0(VALU_DEP_1) | instskip(NEXT) | instid1(VALU_DEP_1)
	v_add_f32_e32 v5, v5, v49
	v_add_f32_e32 v5, v45, v5
	s_delay_alu instid0(VALU_DEP_1) | instskip(NEXT) | instid1(VALU_DEP_1)
	v_add_f32_e32 v45, v53, v5
	v_mul_f32_e32 v47, v44, v45
	s_delay_alu instid0(VALU_DEP_1) | instskip(NEXT) | instid1(VALU_DEP_1)
	v_mul_f32_e32 v49, v48, v47
	v_fma_f32 v48, v47, v48, -v49
	s_delay_alu instid0(VALU_DEP_1) | instskip(SKIP_1) | instid1(VALU_DEP_2)
	v_fmac_f32_e32 v48, v47, v46
	v_sub_f32_e32 v52, v53, v45
	v_add_f32_e32 v46, v49, v48
	s_delay_alu instid0(VALU_DEP_2) | instskip(NEXT) | instid1(VALU_DEP_2)
	v_add_f32_e32 v5, v5, v52
	v_sub_f32_e32 v51, v45, v46
	v_sub_f32_e32 v49, v46, v49
	s_delay_alu instid0(VALU_DEP_2) | instskip(NEXT) | instid1(VALU_DEP_1)
	v_sub_f32_e32 v45, v45, v51
	v_sub_f32_e32 v45, v45, v46
	s_delay_alu instid0(VALU_DEP_3) | instskip(NEXT) | instid1(VALU_DEP_2)
	v_sub_f32_e32 v46, v49, v48
	v_add_f32_e32 v5, v5, v45
	v_add_f32_e32 v45, v50, v47
	s_delay_alu instid0(VALU_DEP_1) | instskip(NEXT) | instid1(VALU_DEP_1)
	v_dual_add_f32 v5, v46, v5 :: v_dual_sub_f32 v46, v45, v50
	v_add_f32_e32 v5, v51, v5
	s_delay_alu instid0(VALU_DEP_1) | instskip(NEXT) | instid1(VALU_DEP_1)
	v_dual_sub_f32 v46, v47, v46 :: v_dual_mul_f32 v5, v44, v5
	v_add_f32_e32 v5, v46, v5
	s_delay_alu instid0(VALU_DEP_1) | instskip(NEXT) | instid1(VALU_DEP_1)
	v_add_f32_e32 v44, v45, v5
	v_mul_f32_e32 v46, v44, v44
	s_wait_alu 0xfffe
	s_delay_alu instid0(VALU_DEP_1) | instskip(SKIP_2) | instid1(VALU_DEP_3)
	v_fmaak_f32 v47, s14, v46, 0x3ecc95a3
	v_mul_f32_e32 v48, v44, v46
	v_cmp_neq_f32_e64 s14, 0x7f800000, v43
	v_fmaak_f32 v46, v46, v47, 0x3f2aaada
	v_ldexp_f32 v47, v44, 1
	v_sub_f32_e32 v44, v44, v45
	s_delay_alu instid0(VALU_DEP_3) | instskip(SKIP_1) | instid1(VALU_DEP_3)
	v_mul_f32_e32 v46, v48, v46
	v_mul_f32_e32 v48, 0x3f317218, v4
	v_sub_f32_e32 v5, v5, v44
	s_delay_alu instid0(VALU_DEP_3) | instskip(NEXT) | instid1(VALU_DEP_2)
	v_add_f32_e32 v45, v47, v46
	v_ldexp_f32 v5, v5, 1
	s_delay_alu instid0(VALU_DEP_2) | instskip(SKIP_1) | instid1(VALU_DEP_2)
	v_sub_f32_e32 v44, v45, v47
	v_fma_f32 v47, 0x3f317218, v4, -v48
	v_sub_f32_e32 v44, v46, v44
	s_delay_alu instid0(VALU_DEP_1) | instskip(NEXT) | instid1(VALU_DEP_1)
	v_dual_fmamk_f32 v4, v4, 0xb102e308, v47 :: v_dual_add_f32 v5, v5, v44
	v_add_f32_e32 v44, v48, v4
	s_delay_alu instid0(VALU_DEP_2) | instskip(NEXT) | instid1(VALU_DEP_2)
	v_add_f32_e32 v46, v45, v5
	v_sub_f32_e32 v48, v44, v48
	s_delay_alu instid0(VALU_DEP_2) | instskip(NEXT) | instid1(VALU_DEP_2)
	v_add_f32_e32 v47, v44, v46
	v_dual_sub_f32 v45, v46, v45 :: v_dual_sub_f32 v4, v4, v48
	s_delay_alu instid0(VALU_DEP_2) | instskip(NEXT) | instid1(VALU_DEP_2)
	v_sub_f32_e32 v49, v47, v44
	v_sub_f32_e32 v5, v5, v45
	s_delay_alu instid0(VALU_DEP_2) | instskip(SKIP_1) | instid1(VALU_DEP_3)
	v_sub_f32_e32 v50, v47, v49
	v_sub_f32_e32 v45, v46, v49
	v_add_f32_e32 v46, v4, v5
	s_delay_alu instid0(VALU_DEP_3) | instskip(NEXT) | instid1(VALU_DEP_1)
	v_sub_f32_e32 v44, v44, v50
	v_add_f32_e32 v44, v45, v44
	s_delay_alu instid0(VALU_DEP_3) | instskip(NEXT) | instid1(VALU_DEP_2)
	v_sub_f32_e32 v45, v46, v4
	v_add_f32_e32 v44, v46, v44
	s_delay_alu instid0(VALU_DEP_2) | instskip(NEXT) | instid1(VALU_DEP_1)
	v_sub_f32_e32 v46, v46, v45
	v_dual_sub_f32 v5, v5, v45 :: v_dual_sub_f32 v4, v4, v46
	s_delay_alu instid0(VALU_DEP_1) | instskip(NEXT) | instid1(VALU_DEP_4)
	v_add_f32_e32 v4, v5, v4
	v_add_f32_e32 v48, v47, v44
	s_delay_alu instid0(VALU_DEP_1) | instskip(NEXT) | instid1(VALU_DEP_1)
	v_sub_f32_e32 v45, v48, v47
	v_sub_f32_e32 v5, v44, v45
	s_delay_alu instid0(VALU_DEP_1) | instskip(NEXT) | instid1(VALU_DEP_1)
	v_add_f32_e32 v4, v4, v5
	v_add_f32_e32 v4, v48, v4
	s_wait_alu 0xf1ff
	s_delay_alu instid0(VALU_DEP_1) | instskip(SKIP_2) | instid1(VALU_DEP_1)
	v_cndmask_b32_e64 v4, 0x7f800000, v4, s14
	v_cmp_gt_f32_e64 s14, 0x33800000, |v43|
	s_wait_alu 0xf1ff
	v_cndmask_b32_e64 v4, v4, v43, s14
	s_delay_alu instid0(VALU_DEP_1)
	v_add_f32_e32 v4, v3, v4
.LBB443_102:
	s_wait_alu 0xfffe
	s_or_b32 exec_lo, exec_lo, s15
	s_delay_alu instid0(VALU_DEP_1) | instskip(SKIP_1) | instid1(VALU_DEP_2)
	v_bfe_u32 v3, v4, 16, 1
	v_cmp_o_f32_e64 s14, v4, v4
	v_add3_u32 v3, v4, v3, 0x7fff
	s_delay_alu instid0(VALU_DEP_1) | instskip(SKIP_1) | instid1(VALU_DEP_1)
	v_lshrrev_b32_e32 v3, 16, v3
	s_wait_alu 0xf1ff
	v_cndmask_b32_e64 v3, 0x7fc0, v3, s14
	ds_store_b16 v2, v3 offset:14
.LBB443_103:
	s_or_b32 exec_lo, exec_lo, s16
	v_cmp_eq_u32_e64 s15, 0, v0
	v_cmp_ne_u32_e64 s14, 0, v0
	s_wait_loadcnt_dscnt 0x0
	s_barrier_signal -1
	s_barrier_wait -1
	global_inv scope:SCOPE_SE
	s_and_saveexec_b32 s16, s14
	s_cbranch_execz .LBB443_105
; %bb.104:
	v_add_nc_u32_e32 v2, -1, v0
	s_delay_alu instid0(VALU_DEP_1) | instskip(NEXT) | instid1(VALU_DEP_1)
	v_lshrrev_b32_e32 v3, 4, v2
	v_and_b32_e32 v3, 0xffffffe, v3
	s_delay_alu instid0(VALU_DEP_1)
	v_lshl_add_u32 v2, v2, 1, v3
	ds_load_u16 v42, v2
.LBB443_105:
	s_or_b32 exec_lo, exec_lo, s16
	s_and_saveexec_b32 s24, vcc_lo
	s_cbranch_execz .LBB443_169
; %bb.106:
	v_mov_b32_e32 v4, 0
	v_mbcnt_lo_u32_b32 v44, -1, 0
	s_mov_b32 s23, 0
	ds_load_u16 v43, v4 offset:524
	v_cmp_eq_u32_e64 s16, 0, v44
	s_and_saveexec_b32 s25, s16
	s_cbranch_execz .LBB443_108
; %bb.107:
	s_add_co_i32 s22, ttmp9, 32
	s_wait_dscnt 0x0
	v_or_b32_e32 v2, 0x10000, v43
	s_lshl_b64 s[22:23], s[22:23], 2
	s_wait_kmcnt 0x0
	s_add_nc_u64 s[22:23], s[38:39], s[22:23]
	global_store_b32 v4, v2, s[22:23] scope:SCOPE_DEV
.LBB443_108:
	s_or_b32 exec_lo, exec_lo, s25
	v_xad_u32 v2, v44, -1, ttmp9
	s_mov_b32 s22, exec_lo
	s_delay_alu instid0(VALU_DEP_1) | instskip(NEXT) | instid1(VALU_DEP_1)
	v_add_nc_u32_e32 v3, 32, v2
	v_lshlrev_b64_e32 v[3:4], 2, v[3:4]
	s_wait_kmcnt 0x0
	s_delay_alu instid0(VALU_DEP_1) | instskip(SKIP_1) | instid1(VALU_DEP_2)
	v_add_co_u32 v3, vcc_lo, s38, v3
	s_wait_alu 0xfffd
	v_add_co_ci_u32_e64 v4, null, s39, v4, vcc_lo
	global_load_b32 v5, v[3:4], off scope:SCOPE_DEV
	s_wait_loadcnt 0x0
	v_lshrrev_b32_e32 v45, 16, v5
	s_delay_alu instid0(VALU_DEP_1) | instskip(NEXT) | instid1(VALU_DEP_1)
	v_and_b32_e32 v46, 0xff, v45
	v_cmpx_eq_u16_e32 0, v46
	s_cbranch_execz .LBB443_112
; %bb.109:
	s_mov_b32 s23, 0
.LBB443_110:                            ; =>This Inner Loop Header: Depth=1
	global_load_b32 v5, v[3:4], off scope:SCOPE_DEV
	s_wait_loadcnt 0x0
	v_lshrrev_b32_e32 v45, 16, v5
	s_delay_alu instid0(VALU_DEP_1) | instskip(NEXT) | instid1(VALU_DEP_1)
	v_and_b32_e32 v46, 0xff, v45
	v_cmp_ne_u16_e32 vcc_lo, 0, v46
	s_or_b32 s23, vcc_lo, s23
	s_delay_alu instid0(SALU_CYCLE_1)
	s_and_not1_b32 exec_lo, exec_lo, s23
	s_cbranch_execnz .LBB443_110
; %bb.111:
	s_or_b32 exec_lo, exec_lo, s23
.LBB443_112:
	s_delay_alu instid0(SALU_CYCLE_1)
	s_or_b32 exec_lo, exec_lo, s22
	v_cmp_ne_u32_e32 vcc_lo, 31, v44
	v_and_b32_e32 v4, 0xffff, v5
	v_and_b32_e32 v47, 0xff, v45
	s_mov_b32 s22, exec_lo
	s_wait_alu 0xfffd
	v_add_co_ci_u32_e64 v3, null, 0, v44, vcc_lo
	s_delay_alu instid0(VALU_DEP_2) | instskip(SKIP_1) | instid1(VALU_DEP_3)
	v_cmp_eq_u16_e32 vcc_lo, 2, v47
	v_lshlrev_b32_e64 v47, v44, -1
	v_lshlrev_b32_e32 v46, 2, v3
	s_wait_alu 0xfffd
	s_delay_alu instid0(VALU_DEP_2) | instskip(SKIP_2) | instid1(VALU_DEP_1)
	v_and_or_b32 v3, vcc_lo, v47, 0x80000000
	ds_bpermute_b32 v48, v46, v4
	v_ctz_i32_b32_e32 v3, v3
	v_cmpx_lt_u32_e64 v44, v3
	s_cbranch_execz .LBB443_116
; %bb.113:
	s_wait_dscnt 0x0
	v_lshlrev_b32_e32 v5, 16, v48
	s_delay_alu instid0(VALU_DEP_1) | instskip(SKIP_1) | instid1(VALU_DEP_2)
	v_dual_max_num_f32 v49, v5, v5 :: v_dual_lshlrev_b32 v4, 16, v4
	v_cmp_u_f32_e32 vcc_lo, v5, v5
	v_max_num_f32_e32 v48, v4, v4
	s_delay_alu instid0(VALU_DEP_1) | instskip(SKIP_1) | instid1(VALU_DEP_1)
	v_min_num_f32_e32 v50, v49, v48
	s_wait_alu 0xfffd
	v_dual_max_num_f32 v48, v49, v48 :: v_dual_cndmask_b32 v49, v50, v5
	s_delay_alu instid0(VALU_DEP_1) | instskip(SKIP_2) | instid1(VALU_DEP_3)
	v_cndmask_b32_e32 v50, v48, v5, vcc_lo
	v_cmp_u_f32_e32 vcc_lo, v4, v4
	s_wait_alu 0xfffd
	v_cndmask_b32_e32 v48, v49, v4, vcc_lo
	s_delay_alu instid0(VALU_DEP_3) | instskip(NEXT) | instid1(VALU_DEP_2)
	v_cndmask_b32_e32 v4, v50, v4, vcc_lo
	v_cmp_class_f32_e64 s23, v48, 0x1f8
	s_delay_alu instid0(VALU_DEP_2) | instskip(SKIP_1) | instid1(SALU_CYCLE_1)
	v_cmp_neq_f32_e32 vcc_lo, v48, v4
	s_or_b32 s25, vcc_lo, s23
	s_and_saveexec_b32 s23, s25
	s_cbranch_execz .LBB443_115
; %bb.114:
	v_sub_f32_e32 v5, v48, v4
	s_mov_b32 s25, 0x3e9b6dac
	s_delay_alu instid0(VALU_DEP_1) | instskip(SKIP_1) | instid1(VALU_DEP_2)
	v_mul_f32_e32 v48, 0x3fb8aa3b, v5
	v_cmp_ngt_f32_e32 vcc_lo, 0xc2ce8ed0, v5
	v_fma_f32 v49, 0x3fb8aa3b, v5, -v48
	v_rndne_f32_e32 v50, v48
	s_delay_alu instid0(VALU_DEP_1) | instskip(NEXT) | instid1(VALU_DEP_1)
	v_dual_fmamk_f32 v49, v5, 0x32a5705f, v49 :: v_dual_sub_f32 v48, v48, v50
	v_add_f32_e32 v48, v48, v49
	v_cvt_i32_f32_e32 v49, v50
	s_delay_alu instid0(VALU_DEP_2) | instskip(NEXT) | instid1(TRANS32_DEP_1)
	v_exp_f32_e32 v48, v48
	v_ldexp_f32 v48, v48, v49
	s_wait_alu 0xfffd
	s_delay_alu instid0(VALU_DEP_1) | instskip(SKIP_2) | instid1(VALU_DEP_2)
	v_cndmask_b32_e32 v48, 0, v48, vcc_lo
	v_cmp_nlt_f32_e32 vcc_lo, 0x42b17218, v5
	s_wait_alu 0xfffd
	v_cndmask_b32_e32 v5, 0x7f800000, v48, vcc_lo
	s_delay_alu instid0(VALU_DEP_1) | instskip(NEXT) | instid1(VALU_DEP_1)
	v_add_f32_e32 v50, 1.0, v5
	v_cvt_f64_f32_e32 v[48:49], v50
	s_delay_alu instid0(VALU_DEP_1) | instskip(SKIP_1) | instid1(VALU_DEP_1)
	v_frexp_exp_i32_f64_e32 v48, v[48:49]
	v_frexp_mant_f32_e32 v49, v50
	v_cmp_gt_f32_e32 vcc_lo, 0x3f2aaaab, v49
	v_add_f32_e32 v49, -1.0, v50
	s_delay_alu instid0(VALU_DEP_1) | instskip(NEXT) | instid1(VALU_DEP_1)
	v_sub_f32_e32 v52, v49, v50
	v_dual_sub_f32 v49, v5, v49 :: v_dual_add_f32 v52, 1.0, v52
	s_delay_alu instid0(VALU_DEP_1) | instskip(SKIP_2) | instid1(VALU_DEP_1)
	v_add_f32_e32 v49, v49, v52
	s_wait_alu 0xfffd
	v_subrev_co_ci_u32_e64 v48, null, 0, v48, vcc_lo
	v_sub_nc_u32_e32 v51, 0, v48
	v_cvt_f32_i32_e32 v48, v48
	s_delay_alu instid0(VALU_DEP_2) | instskip(SKIP_1) | instid1(VALU_DEP_2)
	v_ldexp_f32 v50, v50, v51
	v_ldexp_f32 v49, v49, v51
	v_add_f32_e32 v53, 1.0, v50
	s_delay_alu instid0(VALU_DEP_1) | instskip(NEXT) | instid1(VALU_DEP_1)
	v_dual_add_f32 v51, -1.0, v50 :: v_dual_add_f32 v52, -1.0, v53
	v_add_f32_e32 v54, 1.0, v51
	v_cmp_neq_f32_e32 vcc_lo, 0x7f800000, v5
	s_delay_alu instid0(VALU_DEP_3) | instskip(NEXT) | instid1(VALU_DEP_3)
	v_sub_f32_e32 v52, v50, v52
	v_sub_f32_e32 v50, v50, v54
	s_delay_alu instid0(VALU_DEP_2) | instskip(NEXT) | instid1(VALU_DEP_2)
	v_add_f32_e32 v52, v49, v52
	v_add_f32_e32 v49, v49, v50
	s_delay_alu instid0(VALU_DEP_1) | instskip(NEXT) | instid1(VALU_DEP_1)
	v_dual_add_f32 v55, v51, v49 :: v_dual_add_f32 v54, v53, v52
	v_sub_f32_e32 v51, v51, v55
	s_delay_alu instid0(VALU_DEP_2) | instskip(SKIP_1) | instid1(VALU_DEP_1)
	v_rcp_f32_e32 v50, v54
	v_sub_f32_e32 v53, v53, v54
	v_dual_add_f32 v49, v49, v51 :: v_dual_add_f32 v52, v52, v53
	s_delay_alu instid0(TRANS32_DEP_1) | instskip(NEXT) | instid1(VALU_DEP_1)
	v_mul_f32_e32 v56, v55, v50
	v_mul_f32_e32 v57, v54, v56
	s_delay_alu instid0(VALU_DEP_1) | instskip(NEXT) | instid1(VALU_DEP_1)
	v_fma_f32 v53, v56, v54, -v57
	v_fmac_f32_e32 v53, v56, v52
	s_delay_alu instid0(VALU_DEP_1) | instskip(NEXT) | instid1(VALU_DEP_1)
	v_add_f32_e32 v58, v57, v53
	v_sub_f32_e32 v59, v55, v58
	s_delay_alu instid0(VALU_DEP_1) | instskip(SKIP_1) | instid1(VALU_DEP_2)
	v_sub_f32_e32 v55, v55, v59
	v_sub_f32_e32 v51, v58, v57
	v_sub_f32_e32 v55, v55, v58
	s_delay_alu instid0(VALU_DEP_2) | instskip(NEXT) | instid1(VALU_DEP_2)
	v_sub_f32_e32 v51, v51, v53
	v_add_f32_e32 v49, v49, v55
	s_delay_alu instid0(VALU_DEP_1) | instskip(NEXT) | instid1(VALU_DEP_1)
	v_add_f32_e32 v49, v51, v49
	v_add_f32_e32 v51, v59, v49
	s_delay_alu instid0(VALU_DEP_1) | instskip(NEXT) | instid1(VALU_DEP_1)
	v_mul_f32_e32 v53, v50, v51
	v_dual_sub_f32 v58, v59, v51 :: v_dual_mul_f32 v55, v54, v53
	s_delay_alu instid0(VALU_DEP_1) | instskip(NEXT) | instid1(VALU_DEP_2)
	v_add_f32_e32 v49, v49, v58
	v_fma_f32 v54, v53, v54, -v55
	s_delay_alu instid0(VALU_DEP_1) | instskip(NEXT) | instid1(VALU_DEP_1)
	v_fmac_f32_e32 v54, v53, v52
	v_add_f32_e32 v52, v55, v54
	s_delay_alu instid0(VALU_DEP_1) | instskip(SKIP_1) | instid1(VALU_DEP_2)
	v_sub_f32_e32 v57, v51, v52
	v_sub_f32_e32 v55, v52, v55
	;; [unrolled: 1-line block ×3, first 2 shown]
	s_delay_alu instid0(VALU_DEP_1) | instskip(NEXT) | instid1(VALU_DEP_1)
	v_sub_f32_e32 v51, v51, v52
	v_dual_sub_f32 v52, v55, v54 :: v_dual_add_f32 v49, v49, v51
	v_add_f32_e32 v51, v56, v53
	s_delay_alu instid0(VALU_DEP_1) | instskip(NEXT) | instid1(VALU_DEP_1)
	v_dual_add_f32 v49, v52, v49 :: v_dual_sub_f32 v52, v51, v56
	v_add_f32_e32 v49, v57, v49
	s_delay_alu instid0(VALU_DEP_1) | instskip(NEXT) | instid1(VALU_DEP_1)
	v_dual_sub_f32 v52, v53, v52 :: v_dual_mul_f32 v49, v50, v49
	v_add_f32_e32 v49, v52, v49
	s_delay_alu instid0(VALU_DEP_1) | instskip(NEXT) | instid1(VALU_DEP_1)
	v_add_f32_e32 v50, v51, v49
	v_mul_f32_e32 v52, v50, v50
	s_delay_alu instid0(VALU_DEP_1) | instskip(SKIP_1) | instid1(VALU_DEP_2)
	v_fmaak_f32 v53, s25, v52, 0x3ecc95a3
	v_mul_f32_e32 v54, v50, v52
	v_fmaak_f32 v52, v52, v53, 0x3f2aaada
	v_ldexp_f32 v53, v50, 1
	v_sub_f32_e32 v50, v50, v51
	s_delay_alu instid0(VALU_DEP_3) | instskip(NEXT) | instid1(VALU_DEP_2)
	v_mul_f32_e32 v52, v54, v52
	v_dual_mul_f32 v54, 0x3f317218, v48 :: v_dual_sub_f32 v49, v49, v50
	s_delay_alu instid0(VALU_DEP_2) | instskip(NEXT) | instid1(VALU_DEP_2)
	v_add_f32_e32 v51, v53, v52
	v_ldexp_f32 v49, v49, 1
	s_delay_alu instid0(VALU_DEP_2) | instskip(NEXT) | instid1(VALU_DEP_4)
	v_sub_f32_e32 v50, v51, v53
	v_fma_f32 v53, 0x3f317218, v48, -v54
	s_delay_alu instid0(VALU_DEP_2) | instskip(NEXT) | instid1(VALU_DEP_1)
	v_sub_f32_e32 v50, v52, v50
	v_dual_fmamk_f32 v48, v48, 0xb102e308, v53 :: v_dual_add_f32 v49, v49, v50
	s_delay_alu instid0(VALU_DEP_1) | instskip(NEXT) | instid1(VALU_DEP_1)
	v_add_f32_e32 v50, v54, v48
	v_sub_f32_e32 v54, v50, v54
	s_delay_alu instid0(VALU_DEP_1) | instskip(NEXT) | instid1(VALU_DEP_4)
	v_sub_f32_e32 v48, v48, v54
	v_add_f32_e32 v52, v51, v49
	s_delay_alu instid0(VALU_DEP_1) | instskip(NEXT) | instid1(VALU_DEP_1)
	v_sub_f32_e32 v51, v52, v51
	v_sub_f32_e32 v49, v49, v51
	v_add_f32_e32 v53, v50, v52
	s_delay_alu instid0(VALU_DEP_1) | instskip(NEXT) | instid1(VALU_DEP_1)
	v_sub_f32_e32 v55, v53, v50
	v_sub_f32_e32 v51, v52, v55
	s_delay_alu instid0(VALU_DEP_4) | instskip(SKIP_1) | instid1(VALU_DEP_1)
	v_add_f32_e32 v52, v48, v49
	v_sub_f32_e32 v56, v53, v55
	v_sub_f32_e32 v50, v50, v56
	s_delay_alu instid0(VALU_DEP_1) | instskip(NEXT) | instid1(VALU_DEP_1)
	v_dual_add_f32 v50, v51, v50 :: v_dual_sub_f32 v51, v52, v48
	v_dual_add_f32 v50, v52, v50 :: v_dual_sub_f32 v49, v49, v51
	v_sub_f32_e32 v52, v52, v51
	s_delay_alu instid0(VALU_DEP_2) | instskip(NEXT) | instid1(VALU_DEP_1)
	v_add_f32_e32 v54, v53, v50
	v_dual_sub_f32 v48, v48, v52 :: v_dual_sub_f32 v51, v54, v53
	s_delay_alu instid0(VALU_DEP_1) | instskip(NEXT) | instid1(VALU_DEP_1)
	v_dual_add_f32 v48, v49, v48 :: v_dual_sub_f32 v49, v50, v51
	v_add_f32_e32 v48, v48, v49
	s_delay_alu instid0(VALU_DEP_1) | instskip(SKIP_1) | instid1(VALU_DEP_1)
	v_add_f32_e32 v48, v54, v48
	s_wait_alu 0xfffd
	v_cndmask_b32_e32 v48, 0x7f800000, v48, vcc_lo
	v_cmp_gt_f32_e64 vcc_lo, 0x33800000, |v5|
	s_wait_alu 0xfffd
	s_delay_alu instid0(VALU_DEP_2) | instskip(NEXT) | instid1(VALU_DEP_1)
	v_cndmask_b32_e32 v5, v48, v5, vcc_lo
	v_add_f32_e32 v5, v4, v5
.LBB443_115:
	s_or_b32 exec_lo, exec_lo, s23
	s_delay_alu instid0(VALU_DEP_1) | instskip(SKIP_1) | instid1(VALU_DEP_2)
	v_bfe_u32 v4, v5, 16, 1
	v_cmp_o_f32_e32 vcc_lo, v5, v5
	v_add3_u32 v4, v5, v4, 0x7fff
	s_delay_alu instid0(VALU_DEP_1) | instskip(SKIP_1) | instid1(VALU_DEP_1)
	v_lshrrev_b32_e32 v4, 16, v4
	s_wait_alu 0xfffd
	v_cndmask_b32_e32 v5, 0x7fc0, v4, vcc_lo
	s_delay_alu instid0(VALU_DEP_1)
	v_and_b32_e32 v4, 0xffff, v5
.LBB443_116:
	s_or_b32 exec_lo, exec_lo, s22
	v_cmp_gt_u32_e32 vcc_lo, 30, v44
	v_add_nc_u32_e32 v49, 2, v44
	s_mov_b32 s22, exec_lo
	s_wait_dscnt 0x0
	s_wait_alu 0xfffd
	v_cndmask_b32_e64 v48, 0, 2, vcc_lo
	s_delay_alu instid0(VALU_DEP_1)
	v_add_lshl_u32 v48, v48, v44, 2
	ds_bpermute_b32 v50, v48, v4
	v_cmpx_le_u32_e64 v49, v3
	s_cbranch_execz .LBB443_120
; %bb.117:
	s_wait_dscnt 0x0
	v_lshlrev_b32_e32 v5, 16, v50
	s_delay_alu instid0(VALU_DEP_1) | instskip(NEXT) | instid1(VALU_DEP_1)
	v_dual_max_num_f32 v51, v5, v5 :: v_dual_lshlrev_b32 v4, 16, v4
	v_max_num_f32_e32 v50, v4, v4
	v_cmp_u_f32_e32 vcc_lo, v5, v5
	s_delay_alu instid0(VALU_DEP_2) | instskip(SKIP_1) | instid1(VALU_DEP_1)
	v_min_num_f32_e32 v52, v51, v50
	s_wait_alu 0xfffd
	v_dual_max_num_f32 v50, v51, v50 :: v_dual_cndmask_b32 v51, v52, v5
	s_delay_alu instid0(VALU_DEP_1) | instskip(SKIP_2) | instid1(VALU_DEP_3)
	v_cndmask_b32_e32 v52, v50, v5, vcc_lo
	v_cmp_u_f32_e32 vcc_lo, v4, v4
	s_wait_alu 0xfffd
	v_cndmask_b32_e32 v50, v51, v4, vcc_lo
	s_delay_alu instid0(VALU_DEP_3) | instskip(NEXT) | instid1(VALU_DEP_2)
	v_cndmask_b32_e32 v4, v52, v4, vcc_lo
	v_cmp_class_f32_e64 s23, v50, 0x1f8
	s_delay_alu instid0(VALU_DEP_2)
	v_cmp_neq_f32_e32 vcc_lo, v50, v4
	s_or_b32 s25, vcc_lo, s23
	s_wait_alu 0xfffe
	s_and_saveexec_b32 s23, s25
	s_cbranch_execz .LBB443_119
; %bb.118:
	v_sub_f32_e32 v5, v50, v4
	s_mov_b32 s25, 0x3e9b6dac
	s_delay_alu instid0(VALU_DEP_1) | instskip(SKIP_1) | instid1(VALU_DEP_2)
	v_mul_f32_e32 v50, 0x3fb8aa3b, v5
	v_cmp_ngt_f32_e32 vcc_lo, 0xc2ce8ed0, v5
	v_fma_f32 v51, 0x3fb8aa3b, v5, -v50
	v_rndne_f32_e32 v52, v50
	s_delay_alu instid0(VALU_DEP_1) | instskip(NEXT) | instid1(VALU_DEP_1)
	v_dual_fmamk_f32 v51, v5, 0x32a5705f, v51 :: v_dual_sub_f32 v50, v50, v52
	v_add_f32_e32 v50, v50, v51
	v_cvt_i32_f32_e32 v51, v52
	s_delay_alu instid0(VALU_DEP_2) | instskip(NEXT) | instid1(TRANS32_DEP_1)
	v_exp_f32_e32 v50, v50
	v_ldexp_f32 v50, v50, v51
	s_wait_alu 0xfffd
	s_delay_alu instid0(VALU_DEP_1) | instskip(SKIP_2) | instid1(VALU_DEP_2)
	v_cndmask_b32_e32 v50, 0, v50, vcc_lo
	v_cmp_nlt_f32_e32 vcc_lo, 0x42b17218, v5
	s_wait_alu 0xfffd
	v_cndmask_b32_e32 v5, 0x7f800000, v50, vcc_lo
	s_delay_alu instid0(VALU_DEP_1) | instskip(NEXT) | instid1(VALU_DEP_1)
	v_add_f32_e32 v52, 1.0, v5
	v_cvt_f64_f32_e32 v[50:51], v52
	s_delay_alu instid0(VALU_DEP_1) | instskip(SKIP_1) | instid1(VALU_DEP_1)
	v_frexp_exp_i32_f64_e32 v50, v[50:51]
	v_frexp_mant_f32_e32 v51, v52
	v_cmp_gt_f32_e32 vcc_lo, 0x3f2aaaab, v51
	v_add_f32_e32 v51, -1.0, v52
	s_delay_alu instid0(VALU_DEP_1) | instskip(SKIP_3) | instid1(VALU_DEP_2)
	v_dual_sub_f32 v54, v51, v52 :: v_dual_sub_f32 v51, v5, v51
	s_wait_alu 0xfffd
	v_subrev_co_ci_u32_e64 v50, null, 0, v50, vcc_lo
	v_cmp_neq_f32_e32 vcc_lo, 0x7f800000, v5
	v_sub_nc_u32_e32 v53, 0, v50
	v_cvt_f32_i32_e32 v50, v50
	s_delay_alu instid0(VALU_DEP_2) | instskip(NEXT) | instid1(VALU_DEP_1)
	v_ldexp_f32 v52, v52, v53
	v_dual_add_f32 v54, 1.0, v54 :: v_dual_add_f32 v55, 1.0, v52
	s_delay_alu instid0(VALU_DEP_1) | instskip(NEXT) | instid1(VALU_DEP_1)
	v_dual_add_f32 v51, v51, v54 :: v_dual_add_f32 v54, -1.0, v55
	v_ldexp_f32 v51, v51, v53
	s_delay_alu instid0(VALU_DEP_2) | instskip(NEXT) | instid1(VALU_DEP_1)
	v_dual_add_f32 v53, -1.0, v52 :: v_dual_sub_f32 v54, v52, v54
	v_add_f32_e32 v56, 1.0, v53
	s_delay_alu instid0(VALU_DEP_2) | instskip(NEXT) | instid1(VALU_DEP_2)
	v_add_f32_e32 v54, v51, v54
	v_sub_f32_e32 v52, v52, v56
	s_delay_alu instid0(VALU_DEP_1) | instskip(NEXT) | instid1(VALU_DEP_1)
	v_add_f32_e32 v51, v51, v52
	v_dual_add_f32 v57, v53, v51 :: v_dual_add_f32 v56, v55, v54
	s_delay_alu instid0(VALU_DEP_1) | instskip(NEXT) | instid1(VALU_DEP_2)
	v_sub_f32_e32 v53, v53, v57
	v_rcp_f32_e32 v52, v56
	v_sub_f32_e32 v55, v55, v56
	s_delay_alu instid0(VALU_DEP_1) | instskip(NEXT) | instid1(TRANS32_DEP_1)
	v_dual_add_f32 v51, v51, v53 :: v_dual_add_f32 v54, v54, v55
	v_mul_f32_e32 v58, v57, v52
	s_delay_alu instid0(VALU_DEP_1) | instskip(NEXT) | instid1(VALU_DEP_1)
	v_mul_f32_e32 v59, v56, v58
	v_fma_f32 v55, v58, v56, -v59
	s_delay_alu instid0(VALU_DEP_1) | instskip(NEXT) | instid1(VALU_DEP_1)
	v_fmac_f32_e32 v55, v58, v54
	v_add_f32_e32 v60, v59, v55
	s_delay_alu instid0(VALU_DEP_1) | instskip(NEXT) | instid1(VALU_DEP_1)
	v_sub_f32_e32 v61, v57, v60
	v_sub_f32_e32 v57, v57, v61
	;; [unrolled: 1-line block ×3, first 2 shown]
	s_delay_alu instid0(VALU_DEP_2) | instskip(NEXT) | instid1(VALU_DEP_2)
	v_sub_f32_e32 v57, v57, v60
	v_sub_f32_e32 v53, v53, v55
	s_delay_alu instid0(VALU_DEP_2) | instskip(NEXT) | instid1(VALU_DEP_1)
	v_add_f32_e32 v51, v51, v57
	v_add_f32_e32 v51, v53, v51
	s_delay_alu instid0(VALU_DEP_1) | instskip(NEXT) | instid1(VALU_DEP_1)
	v_add_f32_e32 v53, v61, v51
	v_mul_f32_e32 v55, v52, v53
	s_delay_alu instid0(VALU_DEP_1) | instskip(NEXT) | instid1(VALU_DEP_1)
	v_dual_sub_f32 v60, v61, v53 :: v_dual_mul_f32 v57, v56, v55
	v_add_f32_e32 v51, v51, v60
	s_delay_alu instid0(VALU_DEP_2) | instskip(NEXT) | instid1(VALU_DEP_1)
	v_fma_f32 v56, v55, v56, -v57
	v_fmac_f32_e32 v56, v55, v54
	s_delay_alu instid0(VALU_DEP_1) | instskip(NEXT) | instid1(VALU_DEP_1)
	v_add_f32_e32 v54, v57, v56
	v_sub_f32_e32 v59, v53, v54
	v_sub_f32_e32 v57, v54, v57
	s_delay_alu instid0(VALU_DEP_2) | instskip(NEXT) | instid1(VALU_DEP_1)
	v_sub_f32_e32 v53, v53, v59
	v_sub_f32_e32 v53, v53, v54
	s_delay_alu instid0(VALU_DEP_1) | instskip(SKIP_1) | instid1(VALU_DEP_1)
	v_dual_sub_f32 v54, v57, v56 :: v_dual_add_f32 v51, v51, v53
	v_add_f32_e32 v53, v58, v55
	v_dual_add_f32 v51, v54, v51 :: v_dual_sub_f32 v54, v53, v58
	s_delay_alu instid0(VALU_DEP_1) | instskip(NEXT) | instid1(VALU_DEP_1)
	v_add_f32_e32 v51, v59, v51
	v_dual_sub_f32 v54, v55, v54 :: v_dual_mul_f32 v51, v52, v51
	s_delay_alu instid0(VALU_DEP_1) | instskip(NEXT) | instid1(VALU_DEP_1)
	v_add_f32_e32 v51, v54, v51
	v_add_f32_e32 v52, v53, v51
	s_delay_alu instid0(VALU_DEP_1) | instskip(SKIP_1) | instid1(VALU_DEP_1)
	v_mul_f32_e32 v54, v52, v52
	s_wait_alu 0xfffe
	v_fmaak_f32 v55, s25, v54, 0x3ecc95a3
	v_mul_f32_e32 v56, v52, v54
	s_delay_alu instid0(VALU_DEP_2) | instskip(SKIP_2) | instid1(VALU_DEP_3)
	v_fmaak_f32 v54, v54, v55, 0x3f2aaada
	v_ldexp_f32 v55, v52, 1
	v_sub_f32_e32 v52, v52, v53
	v_mul_f32_e32 v54, v56, v54
	s_delay_alu instid0(VALU_DEP_2) | instskip(NEXT) | instid1(VALU_DEP_2)
	v_dual_mul_f32 v56, 0x3f317218, v50 :: v_dual_sub_f32 v51, v51, v52
	v_add_f32_e32 v53, v55, v54
	s_delay_alu instid0(VALU_DEP_2) | instskip(NEXT) | instid1(VALU_DEP_2)
	v_ldexp_f32 v51, v51, 1
	v_sub_f32_e32 v52, v53, v55
	s_delay_alu instid0(VALU_DEP_4) | instskip(NEXT) | instid1(VALU_DEP_2)
	v_fma_f32 v55, 0x3f317218, v50, -v56
	v_sub_f32_e32 v52, v54, v52
	s_delay_alu instid0(VALU_DEP_1) | instskip(NEXT) | instid1(VALU_DEP_1)
	v_dual_fmamk_f32 v50, v50, 0xb102e308, v55 :: v_dual_add_f32 v51, v51, v52
	v_add_f32_e32 v52, v56, v50
	s_delay_alu instid0(VALU_DEP_1) | instskip(NEXT) | instid1(VALU_DEP_1)
	v_sub_f32_e32 v56, v52, v56
	v_sub_f32_e32 v50, v50, v56
	s_delay_alu instid0(VALU_DEP_4) | instskip(NEXT) | instid1(VALU_DEP_1)
	v_add_f32_e32 v54, v53, v51
	v_sub_f32_e32 v53, v54, v53
	s_delay_alu instid0(VALU_DEP_1) | instskip(SKIP_1) | instid1(VALU_DEP_1)
	v_sub_f32_e32 v51, v51, v53
	v_add_f32_e32 v55, v52, v54
	v_sub_f32_e32 v57, v55, v52
	s_delay_alu instid0(VALU_DEP_1) | instskip(NEXT) | instid1(VALU_DEP_4)
	v_sub_f32_e32 v53, v54, v57
	v_add_f32_e32 v54, v50, v51
	v_sub_f32_e32 v58, v55, v57
	s_delay_alu instid0(VALU_DEP_1) | instskip(NEXT) | instid1(VALU_DEP_1)
	v_sub_f32_e32 v52, v52, v58
	v_dual_add_f32 v52, v53, v52 :: v_dual_sub_f32 v53, v54, v50
	s_delay_alu instid0(VALU_DEP_1) | instskip(SKIP_1) | instid1(VALU_DEP_2)
	v_dual_add_f32 v52, v54, v52 :: v_dual_sub_f32 v51, v51, v53
	v_sub_f32_e32 v54, v54, v53
	v_add_f32_e32 v56, v55, v52
	s_delay_alu instid0(VALU_DEP_1) | instskip(NEXT) | instid1(VALU_DEP_1)
	v_dual_sub_f32 v50, v50, v54 :: v_dual_sub_f32 v53, v56, v55
	v_dual_add_f32 v50, v51, v50 :: v_dual_sub_f32 v51, v52, v53
	s_delay_alu instid0(VALU_DEP_1) | instskip(NEXT) | instid1(VALU_DEP_1)
	v_add_f32_e32 v50, v50, v51
	v_add_f32_e32 v50, v56, v50
	s_wait_alu 0xfffd
	s_delay_alu instid0(VALU_DEP_1) | instskip(SKIP_2) | instid1(VALU_DEP_2)
	v_cndmask_b32_e32 v50, 0x7f800000, v50, vcc_lo
	v_cmp_gt_f32_e64 vcc_lo, 0x33800000, |v5|
	s_wait_alu 0xfffd
	v_cndmask_b32_e32 v5, v50, v5, vcc_lo
	s_delay_alu instid0(VALU_DEP_1)
	v_add_f32_e32 v5, v4, v5
.LBB443_119:
	s_or_b32 exec_lo, exec_lo, s23
	s_delay_alu instid0(VALU_DEP_1) | instskip(SKIP_1) | instid1(VALU_DEP_2)
	v_bfe_u32 v4, v5, 16, 1
	v_cmp_o_f32_e32 vcc_lo, v5, v5
	v_add3_u32 v4, v5, v4, 0x7fff
	s_delay_alu instid0(VALU_DEP_1) | instskip(SKIP_1) | instid1(VALU_DEP_1)
	v_lshrrev_b32_e32 v4, 16, v4
	s_wait_alu 0xfffd
	v_cndmask_b32_e32 v5, 0x7fc0, v4, vcc_lo
	s_delay_alu instid0(VALU_DEP_1)
	v_and_b32_e32 v4, 0xffff, v5
.LBB443_120:
	s_or_b32 exec_lo, exec_lo, s22
	v_cmp_gt_u32_e32 vcc_lo, 28, v44
	v_add_nc_u32_e32 v51, 4, v44
	s_mov_b32 s22, exec_lo
	s_wait_dscnt 0x0
	s_wait_alu 0xfffd
	v_cndmask_b32_e64 v50, 0, 4, vcc_lo
	s_delay_alu instid0(VALU_DEP_1)
	v_add_lshl_u32 v50, v50, v44, 2
	ds_bpermute_b32 v52, v50, v4
	v_cmpx_le_u32_e64 v51, v3
	s_cbranch_execz .LBB443_124
; %bb.121:
	s_wait_dscnt 0x0
	v_lshlrev_b32_e32 v5, 16, v52
	s_delay_alu instid0(VALU_DEP_1) | instskip(SKIP_1) | instid1(VALU_DEP_2)
	v_dual_max_num_f32 v53, v5, v5 :: v_dual_lshlrev_b32 v4, 16, v4
	v_cmp_u_f32_e32 vcc_lo, v5, v5
	v_max_num_f32_e32 v52, v4, v4
	s_delay_alu instid0(VALU_DEP_1) | instskip(SKIP_1) | instid1(VALU_DEP_1)
	v_min_num_f32_e32 v54, v53, v52
	s_wait_alu 0xfffd
	v_dual_max_num_f32 v52, v53, v52 :: v_dual_cndmask_b32 v53, v54, v5
	s_delay_alu instid0(VALU_DEP_1) | instskip(SKIP_2) | instid1(VALU_DEP_3)
	v_cndmask_b32_e32 v54, v52, v5, vcc_lo
	v_cmp_u_f32_e32 vcc_lo, v4, v4
	s_wait_alu 0xfffd
	v_cndmask_b32_e32 v52, v53, v4, vcc_lo
	s_delay_alu instid0(VALU_DEP_3) | instskip(NEXT) | instid1(VALU_DEP_2)
	v_cndmask_b32_e32 v4, v54, v4, vcc_lo
	v_cmp_class_f32_e64 s23, v52, 0x1f8
	s_delay_alu instid0(VALU_DEP_2)
	v_cmp_neq_f32_e32 vcc_lo, v52, v4
	s_or_b32 s25, vcc_lo, s23
	s_wait_alu 0xfffe
	s_and_saveexec_b32 s23, s25
	s_cbranch_execz .LBB443_123
; %bb.122:
	v_sub_f32_e32 v5, v52, v4
	s_mov_b32 s25, 0x3e9b6dac
	s_delay_alu instid0(VALU_DEP_1) | instskip(SKIP_1) | instid1(VALU_DEP_2)
	v_mul_f32_e32 v52, 0x3fb8aa3b, v5
	v_cmp_ngt_f32_e32 vcc_lo, 0xc2ce8ed0, v5
	v_fma_f32 v53, 0x3fb8aa3b, v5, -v52
	v_rndne_f32_e32 v54, v52
	s_delay_alu instid0(VALU_DEP_1) | instskip(NEXT) | instid1(VALU_DEP_1)
	v_dual_fmamk_f32 v53, v5, 0x32a5705f, v53 :: v_dual_sub_f32 v52, v52, v54
	v_add_f32_e32 v52, v52, v53
	v_cvt_i32_f32_e32 v53, v54
	s_delay_alu instid0(VALU_DEP_2) | instskip(NEXT) | instid1(TRANS32_DEP_1)
	v_exp_f32_e32 v52, v52
	v_ldexp_f32 v52, v52, v53
	s_wait_alu 0xfffd
	s_delay_alu instid0(VALU_DEP_1) | instskip(SKIP_2) | instid1(VALU_DEP_2)
	v_cndmask_b32_e32 v52, 0, v52, vcc_lo
	v_cmp_nlt_f32_e32 vcc_lo, 0x42b17218, v5
	s_wait_alu 0xfffd
	v_cndmask_b32_e32 v5, 0x7f800000, v52, vcc_lo
	s_delay_alu instid0(VALU_DEP_1) | instskip(NEXT) | instid1(VALU_DEP_1)
	v_add_f32_e32 v54, 1.0, v5
	v_cvt_f64_f32_e32 v[52:53], v54
	s_delay_alu instid0(VALU_DEP_1) | instskip(SKIP_1) | instid1(VALU_DEP_1)
	v_frexp_exp_i32_f64_e32 v52, v[52:53]
	v_frexp_mant_f32_e32 v53, v54
	v_cmp_gt_f32_e32 vcc_lo, 0x3f2aaaab, v53
	v_add_f32_e32 v53, -1.0, v54
	s_delay_alu instid0(VALU_DEP_1) | instskip(NEXT) | instid1(VALU_DEP_1)
	v_sub_f32_e32 v56, v53, v54
	v_dual_sub_f32 v53, v5, v53 :: v_dual_add_f32 v56, 1.0, v56
	s_delay_alu instid0(VALU_DEP_1) | instskip(SKIP_2) | instid1(VALU_DEP_1)
	v_add_f32_e32 v53, v53, v56
	s_wait_alu 0xfffd
	v_subrev_co_ci_u32_e64 v52, null, 0, v52, vcc_lo
	v_sub_nc_u32_e32 v55, 0, v52
	v_cvt_f32_i32_e32 v52, v52
	s_delay_alu instid0(VALU_DEP_2) | instskip(SKIP_1) | instid1(VALU_DEP_2)
	v_ldexp_f32 v54, v54, v55
	v_ldexp_f32 v53, v53, v55
	v_add_f32_e32 v57, 1.0, v54
	s_delay_alu instid0(VALU_DEP_1) | instskip(NEXT) | instid1(VALU_DEP_1)
	v_dual_add_f32 v55, -1.0, v54 :: v_dual_add_f32 v56, -1.0, v57
	v_add_f32_e32 v58, 1.0, v55
	v_cmp_neq_f32_e32 vcc_lo, 0x7f800000, v5
	s_delay_alu instid0(VALU_DEP_3) | instskip(NEXT) | instid1(VALU_DEP_3)
	v_sub_f32_e32 v56, v54, v56
	v_sub_f32_e32 v54, v54, v58
	s_delay_alu instid0(VALU_DEP_2) | instskip(NEXT) | instid1(VALU_DEP_2)
	v_add_f32_e32 v56, v53, v56
	v_add_f32_e32 v53, v53, v54
	s_delay_alu instid0(VALU_DEP_1) | instskip(NEXT) | instid1(VALU_DEP_1)
	v_dual_add_f32 v59, v55, v53 :: v_dual_add_f32 v58, v57, v56
	v_sub_f32_e32 v55, v55, v59
	s_delay_alu instid0(VALU_DEP_2) | instskip(SKIP_1) | instid1(VALU_DEP_1)
	v_rcp_f32_e32 v54, v58
	v_sub_f32_e32 v57, v57, v58
	v_dual_add_f32 v53, v53, v55 :: v_dual_add_f32 v56, v56, v57
	s_delay_alu instid0(TRANS32_DEP_1) | instskip(NEXT) | instid1(VALU_DEP_1)
	v_mul_f32_e32 v60, v59, v54
	v_mul_f32_e32 v61, v58, v60
	s_delay_alu instid0(VALU_DEP_1) | instskip(NEXT) | instid1(VALU_DEP_1)
	v_fma_f32 v57, v60, v58, -v61
	v_fmac_f32_e32 v57, v60, v56
	s_delay_alu instid0(VALU_DEP_1) | instskip(NEXT) | instid1(VALU_DEP_1)
	v_add_f32_e32 v62, v61, v57
	v_sub_f32_e32 v63, v59, v62
	s_delay_alu instid0(VALU_DEP_1) | instskip(SKIP_1) | instid1(VALU_DEP_2)
	v_sub_f32_e32 v59, v59, v63
	v_sub_f32_e32 v55, v62, v61
	;; [unrolled: 1-line block ×3, first 2 shown]
	s_delay_alu instid0(VALU_DEP_2) | instskip(NEXT) | instid1(VALU_DEP_2)
	v_sub_f32_e32 v55, v55, v57
	v_add_f32_e32 v53, v53, v59
	s_delay_alu instid0(VALU_DEP_1) | instskip(NEXT) | instid1(VALU_DEP_1)
	v_add_f32_e32 v53, v55, v53
	v_add_f32_e32 v55, v63, v53
	s_delay_alu instid0(VALU_DEP_1) | instskip(NEXT) | instid1(VALU_DEP_1)
	v_mul_f32_e32 v57, v54, v55
	v_dual_sub_f32 v62, v63, v55 :: v_dual_mul_f32 v59, v58, v57
	s_delay_alu instid0(VALU_DEP_1) | instskip(NEXT) | instid1(VALU_DEP_2)
	v_add_f32_e32 v53, v53, v62
	v_fma_f32 v58, v57, v58, -v59
	s_delay_alu instid0(VALU_DEP_1) | instskip(NEXT) | instid1(VALU_DEP_1)
	v_fmac_f32_e32 v58, v57, v56
	v_add_f32_e32 v56, v59, v58
	s_delay_alu instid0(VALU_DEP_1) | instskip(SKIP_1) | instid1(VALU_DEP_2)
	v_sub_f32_e32 v61, v55, v56
	v_sub_f32_e32 v59, v56, v59
	;; [unrolled: 1-line block ×3, first 2 shown]
	s_delay_alu instid0(VALU_DEP_1) | instskip(NEXT) | instid1(VALU_DEP_1)
	v_sub_f32_e32 v55, v55, v56
	v_dual_sub_f32 v56, v59, v58 :: v_dual_add_f32 v53, v53, v55
	v_add_f32_e32 v55, v60, v57
	s_delay_alu instid0(VALU_DEP_1) | instskip(NEXT) | instid1(VALU_DEP_1)
	v_dual_add_f32 v53, v56, v53 :: v_dual_sub_f32 v56, v55, v60
	v_add_f32_e32 v53, v61, v53
	s_delay_alu instid0(VALU_DEP_1) | instskip(NEXT) | instid1(VALU_DEP_1)
	v_dual_sub_f32 v56, v57, v56 :: v_dual_mul_f32 v53, v54, v53
	v_add_f32_e32 v53, v56, v53
	s_delay_alu instid0(VALU_DEP_1) | instskip(NEXT) | instid1(VALU_DEP_1)
	v_add_f32_e32 v54, v55, v53
	v_mul_f32_e32 v56, v54, v54
	s_wait_alu 0xfffe
	s_delay_alu instid0(VALU_DEP_1) | instskip(SKIP_1) | instid1(VALU_DEP_2)
	v_fmaak_f32 v57, s25, v56, 0x3ecc95a3
	v_mul_f32_e32 v58, v54, v56
	v_fmaak_f32 v56, v56, v57, 0x3f2aaada
	v_ldexp_f32 v57, v54, 1
	v_sub_f32_e32 v54, v54, v55
	s_delay_alu instid0(VALU_DEP_3) | instskip(NEXT) | instid1(VALU_DEP_2)
	v_mul_f32_e32 v56, v58, v56
	v_dual_mul_f32 v58, 0x3f317218, v52 :: v_dual_sub_f32 v53, v53, v54
	s_delay_alu instid0(VALU_DEP_2) | instskip(NEXT) | instid1(VALU_DEP_2)
	v_add_f32_e32 v55, v57, v56
	v_ldexp_f32 v53, v53, 1
	s_delay_alu instid0(VALU_DEP_2) | instskip(NEXT) | instid1(VALU_DEP_4)
	v_sub_f32_e32 v54, v55, v57
	v_fma_f32 v57, 0x3f317218, v52, -v58
	s_delay_alu instid0(VALU_DEP_2) | instskip(NEXT) | instid1(VALU_DEP_1)
	v_sub_f32_e32 v54, v56, v54
	v_dual_fmamk_f32 v52, v52, 0xb102e308, v57 :: v_dual_add_f32 v53, v53, v54
	s_delay_alu instid0(VALU_DEP_1) | instskip(NEXT) | instid1(VALU_DEP_1)
	v_add_f32_e32 v54, v58, v52
	v_sub_f32_e32 v58, v54, v58
	s_delay_alu instid0(VALU_DEP_1) | instskip(NEXT) | instid1(VALU_DEP_4)
	v_sub_f32_e32 v52, v52, v58
	v_add_f32_e32 v56, v55, v53
	s_delay_alu instid0(VALU_DEP_1) | instskip(NEXT) | instid1(VALU_DEP_1)
	v_sub_f32_e32 v55, v56, v55
	v_sub_f32_e32 v53, v53, v55
	v_add_f32_e32 v57, v54, v56
	s_delay_alu instid0(VALU_DEP_1) | instskip(NEXT) | instid1(VALU_DEP_1)
	v_sub_f32_e32 v59, v57, v54
	v_sub_f32_e32 v55, v56, v59
	s_delay_alu instid0(VALU_DEP_4) | instskip(SKIP_1) | instid1(VALU_DEP_1)
	v_add_f32_e32 v56, v52, v53
	v_sub_f32_e32 v60, v57, v59
	v_sub_f32_e32 v54, v54, v60
	s_delay_alu instid0(VALU_DEP_1) | instskip(NEXT) | instid1(VALU_DEP_1)
	v_dual_add_f32 v54, v55, v54 :: v_dual_sub_f32 v55, v56, v52
	v_dual_add_f32 v54, v56, v54 :: v_dual_sub_f32 v53, v53, v55
	v_sub_f32_e32 v56, v56, v55
	s_delay_alu instid0(VALU_DEP_2) | instskip(NEXT) | instid1(VALU_DEP_1)
	v_add_f32_e32 v58, v57, v54
	v_dual_sub_f32 v52, v52, v56 :: v_dual_sub_f32 v55, v58, v57
	s_delay_alu instid0(VALU_DEP_1) | instskip(NEXT) | instid1(VALU_DEP_1)
	v_dual_add_f32 v52, v53, v52 :: v_dual_sub_f32 v53, v54, v55
	v_add_f32_e32 v52, v52, v53
	s_delay_alu instid0(VALU_DEP_1) | instskip(SKIP_1) | instid1(VALU_DEP_1)
	v_add_f32_e32 v52, v58, v52
	s_wait_alu 0xfffd
	v_cndmask_b32_e32 v52, 0x7f800000, v52, vcc_lo
	v_cmp_gt_f32_e64 vcc_lo, 0x33800000, |v5|
	s_wait_alu 0xfffd
	s_delay_alu instid0(VALU_DEP_2) | instskip(NEXT) | instid1(VALU_DEP_1)
	v_cndmask_b32_e32 v5, v52, v5, vcc_lo
	v_add_f32_e32 v5, v4, v5
.LBB443_123:
	s_or_b32 exec_lo, exec_lo, s23
	s_delay_alu instid0(VALU_DEP_1) | instskip(SKIP_1) | instid1(VALU_DEP_2)
	v_bfe_u32 v4, v5, 16, 1
	v_cmp_o_f32_e32 vcc_lo, v5, v5
	v_add3_u32 v4, v5, v4, 0x7fff
	s_delay_alu instid0(VALU_DEP_1) | instskip(SKIP_1) | instid1(VALU_DEP_1)
	v_lshrrev_b32_e32 v4, 16, v4
	s_wait_alu 0xfffd
	v_cndmask_b32_e32 v5, 0x7fc0, v4, vcc_lo
	s_delay_alu instid0(VALU_DEP_1)
	v_and_b32_e32 v4, 0xffff, v5
.LBB443_124:
	s_or_b32 exec_lo, exec_lo, s22
	v_cmp_gt_u32_e32 vcc_lo, 24, v44
	v_add_nc_u32_e32 v53, 8, v44
	s_mov_b32 s22, exec_lo
	s_wait_dscnt 0x0
	s_wait_alu 0xfffd
	v_cndmask_b32_e64 v52, 0, 8, vcc_lo
	s_delay_alu instid0(VALU_DEP_1)
	v_add_lshl_u32 v52, v52, v44, 2
	ds_bpermute_b32 v54, v52, v4
	v_cmpx_le_u32_e64 v53, v3
	s_cbranch_execz .LBB443_128
; %bb.125:
	s_wait_dscnt 0x0
	v_lshlrev_b32_e32 v5, 16, v54
	s_delay_alu instid0(VALU_DEP_1) | instskip(NEXT) | instid1(VALU_DEP_1)
	v_dual_max_num_f32 v55, v5, v5 :: v_dual_lshlrev_b32 v4, 16, v4
	v_max_num_f32_e32 v54, v4, v4
	v_cmp_u_f32_e32 vcc_lo, v5, v5
	s_delay_alu instid0(VALU_DEP_2) | instskip(SKIP_1) | instid1(VALU_DEP_1)
	v_min_num_f32_e32 v56, v55, v54
	s_wait_alu 0xfffd
	v_dual_max_num_f32 v54, v55, v54 :: v_dual_cndmask_b32 v55, v56, v5
	s_delay_alu instid0(VALU_DEP_1) | instskip(SKIP_2) | instid1(VALU_DEP_3)
	v_cndmask_b32_e32 v56, v54, v5, vcc_lo
	v_cmp_u_f32_e32 vcc_lo, v4, v4
	s_wait_alu 0xfffd
	v_cndmask_b32_e32 v54, v55, v4, vcc_lo
	s_delay_alu instid0(VALU_DEP_3) | instskip(NEXT) | instid1(VALU_DEP_2)
	v_cndmask_b32_e32 v4, v56, v4, vcc_lo
	v_cmp_class_f32_e64 s23, v54, 0x1f8
	s_delay_alu instid0(VALU_DEP_2)
	v_cmp_neq_f32_e32 vcc_lo, v54, v4
	s_or_b32 s25, vcc_lo, s23
	s_wait_alu 0xfffe
	s_and_saveexec_b32 s23, s25
	s_cbranch_execz .LBB443_127
; %bb.126:
	v_sub_f32_e32 v5, v54, v4
	s_mov_b32 s25, 0x3e9b6dac
	s_delay_alu instid0(VALU_DEP_1) | instskip(SKIP_1) | instid1(VALU_DEP_2)
	v_mul_f32_e32 v54, 0x3fb8aa3b, v5
	v_cmp_ngt_f32_e32 vcc_lo, 0xc2ce8ed0, v5
	v_fma_f32 v55, 0x3fb8aa3b, v5, -v54
	v_rndne_f32_e32 v56, v54
	s_delay_alu instid0(VALU_DEP_1) | instskip(NEXT) | instid1(VALU_DEP_1)
	v_dual_fmamk_f32 v55, v5, 0x32a5705f, v55 :: v_dual_sub_f32 v54, v54, v56
	v_add_f32_e32 v54, v54, v55
	v_cvt_i32_f32_e32 v55, v56
	s_delay_alu instid0(VALU_DEP_2) | instskip(NEXT) | instid1(TRANS32_DEP_1)
	v_exp_f32_e32 v54, v54
	v_ldexp_f32 v54, v54, v55
	s_wait_alu 0xfffd
	s_delay_alu instid0(VALU_DEP_1) | instskip(SKIP_2) | instid1(VALU_DEP_2)
	v_cndmask_b32_e32 v54, 0, v54, vcc_lo
	v_cmp_nlt_f32_e32 vcc_lo, 0x42b17218, v5
	s_wait_alu 0xfffd
	v_cndmask_b32_e32 v5, 0x7f800000, v54, vcc_lo
	s_delay_alu instid0(VALU_DEP_1) | instskip(NEXT) | instid1(VALU_DEP_1)
	v_add_f32_e32 v56, 1.0, v5
	v_cvt_f64_f32_e32 v[54:55], v56
	s_delay_alu instid0(VALU_DEP_1) | instskip(SKIP_1) | instid1(VALU_DEP_1)
	v_frexp_exp_i32_f64_e32 v54, v[54:55]
	v_frexp_mant_f32_e32 v55, v56
	v_cmp_gt_f32_e32 vcc_lo, 0x3f2aaaab, v55
	v_add_f32_e32 v55, -1.0, v56
	s_delay_alu instid0(VALU_DEP_1) | instskip(SKIP_3) | instid1(VALU_DEP_2)
	v_dual_sub_f32 v58, v55, v56 :: v_dual_sub_f32 v55, v5, v55
	s_wait_alu 0xfffd
	v_subrev_co_ci_u32_e64 v54, null, 0, v54, vcc_lo
	v_cmp_neq_f32_e32 vcc_lo, 0x7f800000, v5
	v_sub_nc_u32_e32 v57, 0, v54
	v_cvt_f32_i32_e32 v54, v54
	s_delay_alu instid0(VALU_DEP_2) | instskip(NEXT) | instid1(VALU_DEP_1)
	v_ldexp_f32 v56, v56, v57
	v_dual_add_f32 v58, 1.0, v58 :: v_dual_add_f32 v59, 1.0, v56
	s_delay_alu instid0(VALU_DEP_1) | instskip(NEXT) | instid1(VALU_DEP_1)
	v_dual_add_f32 v55, v55, v58 :: v_dual_add_f32 v58, -1.0, v59
	v_ldexp_f32 v55, v55, v57
	s_delay_alu instid0(VALU_DEP_2) | instskip(NEXT) | instid1(VALU_DEP_1)
	v_dual_add_f32 v57, -1.0, v56 :: v_dual_sub_f32 v58, v56, v58
	v_add_f32_e32 v60, 1.0, v57
	s_delay_alu instid0(VALU_DEP_2) | instskip(NEXT) | instid1(VALU_DEP_2)
	v_add_f32_e32 v58, v55, v58
	v_sub_f32_e32 v56, v56, v60
	s_delay_alu instid0(VALU_DEP_1) | instskip(NEXT) | instid1(VALU_DEP_1)
	v_add_f32_e32 v55, v55, v56
	v_dual_add_f32 v61, v57, v55 :: v_dual_add_f32 v60, v59, v58
	s_delay_alu instid0(VALU_DEP_1) | instskip(NEXT) | instid1(VALU_DEP_2)
	v_sub_f32_e32 v57, v57, v61
	v_rcp_f32_e32 v56, v60
	v_sub_f32_e32 v59, v59, v60
	s_delay_alu instid0(VALU_DEP_1) | instskip(NEXT) | instid1(TRANS32_DEP_1)
	v_dual_add_f32 v55, v55, v57 :: v_dual_add_f32 v58, v58, v59
	v_mul_f32_e32 v62, v61, v56
	s_delay_alu instid0(VALU_DEP_1) | instskip(NEXT) | instid1(VALU_DEP_1)
	v_mul_f32_e32 v63, v60, v62
	v_fma_f32 v59, v62, v60, -v63
	s_delay_alu instid0(VALU_DEP_1) | instskip(NEXT) | instid1(VALU_DEP_1)
	v_fmac_f32_e32 v59, v62, v58
	v_add_f32_e32 v64, v63, v59
	s_delay_alu instid0(VALU_DEP_1) | instskip(NEXT) | instid1(VALU_DEP_1)
	v_sub_f32_e32 v65, v61, v64
	v_sub_f32_e32 v61, v61, v65
	;; [unrolled: 1-line block ×3, first 2 shown]
	s_delay_alu instid0(VALU_DEP_2) | instskip(NEXT) | instid1(VALU_DEP_2)
	v_sub_f32_e32 v61, v61, v64
	v_sub_f32_e32 v57, v57, v59
	s_delay_alu instid0(VALU_DEP_2) | instskip(NEXT) | instid1(VALU_DEP_1)
	v_add_f32_e32 v55, v55, v61
	v_add_f32_e32 v55, v57, v55
	s_delay_alu instid0(VALU_DEP_1) | instskip(NEXT) | instid1(VALU_DEP_1)
	v_add_f32_e32 v57, v65, v55
	v_mul_f32_e32 v59, v56, v57
	s_delay_alu instid0(VALU_DEP_1) | instskip(NEXT) | instid1(VALU_DEP_1)
	v_dual_sub_f32 v64, v65, v57 :: v_dual_mul_f32 v61, v60, v59
	v_add_f32_e32 v55, v55, v64
	s_delay_alu instid0(VALU_DEP_2) | instskip(NEXT) | instid1(VALU_DEP_1)
	v_fma_f32 v60, v59, v60, -v61
	v_fmac_f32_e32 v60, v59, v58
	s_delay_alu instid0(VALU_DEP_1) | instskip(NEXT) | instid1(VALU_DEP_1)
	v_add_f32_e32 v58, v61, v60
	v_sub_f32_e32 v63, v57, v58
	v_sub_f32_e32 v61, v58, v61
	s_delay_alu instid0(VALU_DEP_2) | instskip(NEXT) | instid1(VALU_DEP_1)
	v_sub_f32_e32 v57, v57, v63
	v_sub_f32_e32 v57, v57, v58
	s_delay_alu instid0(VALU_DEP_1) | instskip(SKIP_1) | instid1(VALU_DEP_1)
	v_dual_sub_f32 v58, v61, v60 :: v_dual_add_f32 v55, v55, v57
	v_add_f32_e32 v57, v62, v59
	v_dual_add_f32 v55, v58, v55 :: v_dual_sub_f32 v58, v57, v62
	s_delay_alu instid0(VALU_DEP_1) | instskip(NEXT) | instid1(VALU_DEP_1)
	v_add_f32_e32 v55, v63, v55
	v_dual_sub_f32 v58, v59, v58 :: v_dual_mul_f32 v55, v56, v55
	s_delay_alu instid0(VALU_DEP_1) | instskip(NEXT) | instid1(VALU_DEP_1)
	v_add_f32_e32 v55, v58, v55
	v_add_f32_e32 v56, v57, v55
	s_delay_alu instid0(VALU_DEP_1) | instskip(SKIP_1) | instid1(VALU_DEP_1)
	v_mul_f32_e32 v58, v56, v56
	s_wait_alu 0xfffe
	v_fmaak_f32 v59, s25, v58, 0x3ecc95a3
	v_mul_f32_e32 v60, v56, v58
	s_delay_alu instid0(VALU_DEP_2) | instskip(SKIP_2) | instid1(VALU_DEP_3)
	v_fmaak_f32 v58, v58, v59, 0x3f2aaada
	v_ldexp_f32 v59, v56, 1
	v_sub_f32_e32 v56, v56, v57
	v_mul_f32_e32 v58, v60, v58
	s_delay_alu instid0(VALU_DEP_2) | instskip(NEXT) | instid1(VALU_DEP_2)
	v_dual_mul_f32 v60, 0x3f317218, v54 :: v_dual_sub_f32 v55, v55, v56
	v_add_f32_e32 v57, v59, v58
	s_delay_alu instid0(VALU_DEP_2) | instskip(NEXT) | instid1(VALU_DEP_2)
	v_ldexp_f32 v55, v55, 1
	v_sub_f32_e32 v56, v57, v59
	s_delay_alu instid0(VALU_DEP_4) | instskip(NEXT) | instid1(VALU_DEP_2)
	v_fma_f32 v59, 0x3f317218, v54, -v60
	v_sub_f32_e32 v56, v58, v56
	s_delay_alu instid0(VALU_DEP_1) | instskip(NEXT) | instid1(VALU_DEP_1)
	v_dual_fmamk_f32 v54, v54, 0xb102e308, v59 :: v_dual_add_f32 v55, v55, v56
	v_add_f32_e32 v56, v60, v54
	s_delay_alu instid0(VALU_DEP_1) | instskip(NEXT) | instid1(VALU_DEP_1)
	v_sub_f32_e32 v60, v56, v60
	v_sub_f32_e32 v54, v54, v60
	s_delay_alu instid0(VALU_DEP_4) | instskip(NEXT) | instid1(VALU_DEP_1)
	v_add_f32_e32 v58, v57, v55
	v_sub_f32_e32 v57, v58, v57
	s_delay_alu instid0(VALU_DEP_1) | instskip(SKIP_1) | instid1(VALU_DEP_1)
	v_sub_f32_e32 v55, v55, v57
	v_add_f32_e32 v59, v56, v58
	v_sub_f32_e32 v61, v59, v56
	s_delay_alu instid0(VALU_DEP_1) | instskip(NEXT) | instid1(VALU_DEP_4)
	v_sub_f32_e32 v57, v58, v61
	v_add_f32_e32 v58, v54, v55
	v_sub_f32_e32 v62, v59, v61
	s_delay_alu instid0(VALU_DEP_1) | instskip(NEXT) | instid1(VALU_DEP_1)
	v_sub_f32_e32 v56, v56, v62
	v_dual_add_f32 v56, v57, v56 :: v_dual_sub_f32 v57, v58, v54
	s_delay_alu instid0(VALU_DEP_1) | instskip(SKIP_1) | instid1(VALU_DEP_2)
	v_dual_add_f32 v56, v58, v56 :: v_dual_sub_f32 v55, v55, v57
	v_sub_f32_e32 v58, v58, v57
	v_add_f32_e32 v60, v59, v56
	s_delay_alu instid0(VALU_DEP_1) | instskip(NEXT) | instid1(VALU_DEP_1)
	v_dual_sub_f32 v54, v54, v58 :: v_dual_sub_f32 v57, v60, v59
	v_dual_add_f32 v54, v55, v54 :: v_dual_sub_f32 v55, v56, v57
	s_delay_alu instid0(VALU_DEP_1) | instskip(NEXT) | instid1(VALU_DEP_1)
	v_add_f32_e32 v54, v54, v55
	v_add_f32_e32 v54, v60, v54
	s_wait_alu 0xfffd
	s_delay_alu instid0(VALU_DEP_1) | instskip(SKIP_2) | instid1(VALU_DEP_2)
	v_cndmask_b32_e32 v54, 0x7f800000, v54, vcc_lo
	v_cmp_gt_f32_e64 vcc_lo, 0x33800000, |v5|
	s_wait_alu 0xfffd
	v_cndmask_b32_e32 v5, v54, v5, vcc_lo
	s_delay_alu instid0(VALU_DEP_1)
	v_add_f32_e32 v5, v4, v5
.LBB443_127:
	s_or_b32 exec_lo, exec_lo, s23
	s_delay_alu instid0(VALU_DEP_1) | instskip(SKIP_1) | instid1(VALU_DEP_2)
	v_bfe_u32 v4, v5, 16, 1
	v_cmp_o_f32_e32 vcc_lo, v5, v5
	v_add3_u32 v4, v5, v4, 0x7fff
	s_delay_alu instid0(VALU_DEP_1) | instskip(SKIP_1) | instid1(VALU_DEP_1)
	v_lshrrev_b32_e32 v4, 16, v4
	s_wait_alu 0xfffd
	v_cndmask_b32_e32 v5, 0x7fc0, v4, vcc_lo
	s_delay_alu instid0(VALU_DEP_1)
	v_and_b32_e32 v4, 0xffff, v5
.LBB443_128:
	s_or_b32 exec_lo, exec_lo, s22
	v_lshl_or_b32 v55, v44, 2, 64
	v_add_nc_u32_e32 v56, 16, v44
	s_mov_b32 s22, exec_lo
	s_wait_dscnt 0x0
	ds_bpermute_b32 v54, v55, v4
	v_cmpx_le_u32_e64 v56, v3
	s_cbranch_execz .LBB443_132
; %bb.129:
	v_lshlrev_b32_e32 v3, 16, v4
	s_wait_dscnt 0x0
	s_delay_alu instid0(VALU_DEP_1) | instskip(NEXT) | instid1(VALU_DEP_1)
	v_dual_max_num_f32 v5, v3, v3 :: v_dual_lshlrev_b32 v4, 16, v54
	v_max_num_f32_e32 v54, v4, v4
	v_cmp_u_f32_e32 vcc_lo, v4, v4
	s_delay_alu instid0(VALU_DEP_2) | instskip(SKIP_1) | instid1(VALU_DEP_1)
	v_min_num_f32_e32 v57, v54, v5
	s_wait_alu 0xfffd
	v_dual_max_num_f32 v5, v54, v5 :: v_dual_cndmask_b32 v54, v57, v4
	s_delay_alu instid0(VALU_DEP_1) | instskip(SKIP_2) | instid1(VALU_DEP_3)
	v_cndmask_b32_e32 v57, v5, v4, vcc_lo
	v_cmp_u_f32_e32 vcc_lo, v3, v3
	s_wait_alu 0xfffd
	v_cndmask_b32_e32 v5, v54, v3, vcc_lo
	s_delay_alu instid0(VALU_DEP_3) | instskip(NEXT) | instid1(VALU_DEP_2)
	v_cndmask_b32_e32 v3, v57, v3, vcc_lo
	v_cmp_class_f32_e64 s23, v5, 0x1f8
	s_delay_alu instid0(VALU_DEP_2)
	v_cmp_neq_f32_e32 vcc_lo, v5, v3
	s_or_b32 s25, vcc_lo, s23
	s_wait_alu 0xfffe
	s_and_saveexec_b32 s23, s25
	s_cbranch_execz .LBB443_131
; %bb.130:
	v_sub_f32_e32 v4, v5, v3
	s_mov_b32 s25, 0x3e9b6dac
	s_delay_alu instid0(VALU_DEP_1) | instskip(SKIP_1) | instid1(VALU_DEP_2)
	v_mul_f32_e32 v5, 0x3fb8aa3b, v4
	v_cmp_ngt_f32_e32 vcc_lo, 0xc2ce8ed0, v4
	v_fma_f32 v54, 0x3fb8aa3b, v4, -v5
	v_rndne_f32_e32 v57, v5
	s_delay_alu instid0(VALU_DEP_1) | instskip(NEXT) | instid1(VALU_DEP_1)
	v_dual_fmamk_f32 v54, v4, 0x32a5705f, v54 :: v_dual_sub_f32 v5, v5, v57
	v_add_f32_e32 v5, v5, v54
	v_cvt_i32_f32_e32 v54, v57
	s_delay_alu instid0(VALU_DEP_2) | instskip(NEXT) | instid1(TRANS32_DEP_1)
	v_exp_f32_e32 v5, v5
	v_ldexp_f32 v5, v5, v54
	s_wait_alu 0xfffd
	s_delay_alu instid0(VALU_DEP_1) | instskip(SKIP_2) | instid1(VALU_DEP_2)
	v_cndmask_b32_e32 v5, 0, v5, vcc_lo
	v_cmp_nlt_f32_e32 vcc_lo, 0x42b17218, v4
	s_wait_alu 0xfffd
	v_cndmask_b32_e32 v54, 0x7f800000, v5, vcc_lo
	s_delay_alu instid0(VALU_DEP_1) | instskip(NEXT) | instid1(VALU_DEP_1)
	v_add_f32_e32 v57, 1.0, v54
	v_cvt_f64_f32_e32 v[4:5], v57
	s_delay_alu instid0(VALU_DEP_1) | instskip(SKIP_1) | instid1(VALU_DEP_1)
	v_frexp_exp_i32_f64_e32 v4, v[4:5]
	v_frexp_mant_f32_e32 v5, v57
	v_cmp_gt_f32_e32 vcc_lo, 0x3f2aaaab, v5
	v_add_f32_e32 v5, -1.0, v57
	s_delay_alu instid0(VALU_DEP_1) | instskip(NEXT) | instid1(VALU_DEP_1)
	v_sub_f32_e32 v59, v5, v57
	v_add_f32_e32 v59, 1.0, v59
	v_sub_f32_e32 v5, v54, v5
	s_wait_alu 0xfffd
	v_subrev_co_ci_u32_e64 v4, null, 0, v4, vcc_lo
	v_cmp_neq_f32_e32 vcc_lo, 0x7f800000, v54
	s_delay_alu instid0(VALU_DEP_2) | instskip(SKIP_1) | instid1(VALU_DEP_2)
	v_sub_nc_u32_e32 v58, 0, v4
	v_cvt_f32_i32_e32 v4, v4
	v_ldexp_f32 v57, v57, v58
	s_delay_alu instid0(VALU_DEP_1) | instskip(NEXT) | instid1(VALU_DEP_1)
	v_dual_add_f32 v60, 1.0, v57 :: v_dual_add_f32 v5, v5, v59
	v_add_f32_e32 v59, -1.0, v60
	s_delay_alu instid0(VALU_DEP_2) | instskip(NEXT) | instid1(VALU_DEP_2)
	v_ldexp_f32 v5, v5, v58
	v_dual_add_f32 v58, -1.0, v57 :: v_dual_sub_f32 v59, v57, v59
	s_delay_alu instid0(VALU_DEP_1) | instskip(NEXT) | instid1(VALU_DEP_2)
	v_add_f32_e32 v61, 1.0, v58
	v_add_f32_e32 v59, v5, v59
	s_delay_alu instid0(VALU_DEP_2) | instskip(NEXT) | instid1(VALU_DEP_2)
	v_sub_f32_e32 v57, v57, v61
	v_add_f32_e32 v61, v60, v59
	s_delay_alu instid0(VALU_DEP_2) | instskip(NEXT) | instid1(VALU_DEP_2)
	v_add_f32_e32 v5, v5, v57
	v_rcp_f32_e32 v57, v61
	v_sub_f32_e32 v60, v60, v61
	s_delay_alu instid0(VALU_DEP_1) | instskip(NEXT) | instid1(VALU_DEP_1)
	v_dual_add_f32 v62, v58, v5 :: v_dual_add_f32 v59, v59, v60
	v_sub_f32_e32 v58, v58, v62
	s_delay_alu instid0(TRANS32_DEP_1) | instskip(NEXT) | instid1(VALU_DEP_2)
	v_mul_f32_e32 v63, v62, v57
	v_add_f32_e32 v5, v5, v58
	s_delay_alu instid0(VALU_DEP_2) | instskip(NEXT) | instid1(VALU_DEP_1)
	v_mul_f32_e32 v64, v61, v63
	v_fma_f32 v60, v63, v61, -v64
	s_delay_alu instid0(VALU_DEP_1) | instskip(NEXT) | instid1(VALU_DEP_1)
	v_fmac_f32_e32 v60, v63, v59
	v_add_f32_e32 v65, v64, v60
	s_delay_alu instid0(VALU_DEP_1) | instskip(SKIP_1) | instid1(VALU_DEP_2)
	v_sub_f32_e32 v66, v62, v65
	v_sub_f32_e32 v58, v65, v64
	v_sub_f32_e32 v62, v62, v66
	s_delay_alu instid0(VALU_DEP_2) | instskip(NEXT) | instid1(VALU_DEP_2)
	v_sub_f32_e32 v58, v58, v60
	v_sub_f32_e32 v62, v62, v65
	s_delay_alu instid0(VALU_DEP_1) | instskip(NEXT) | instid1(VALU_DEP_1)
	v_add_f32_e32 v5, v5, v62
	v_add_f32_e32 v5, v58, v5
	s_delay_alu instid0(VALU_DEP_1) | instskip(NEXT) | instid1(VALU_DEP_1)
	v_add_f32_e32 v58, v66, v5
	v_mul_f32_e32 v60, v57, v58
	s_delay_alu instid0(VALU_DEP_1) | instskip(NEXT) | instid1(VALU_DEP_1)
	v_dual_sub_f32 v65, v66, v58 :: v_dual_mul_f32 v62, v61, v60
	v_add_f32_e32 v5, v5, v65
	s_delay_alu instid0(VALU_DEP_2) | instskip(NEXT) | instid1(VALU_DEP_1)
	v_fma_f32 v61, v60, v61, -v62
	v_fmac_f32_e32 v61, v60, v59
	s_delay_alu instid0(VALU_DEP_1) | instskip(NEXT) | instid1(VALU_DEP_1)
	v_add_f32_e32 v59, v62, v61
	v_sub_f32_e32 v64, v58, v59
	v_sub_f32_e32 v62, v59, v62
	s_delay_alu instid0(VALU_DEP_2) | instskip(NEXT) | instid1(VALU_DEP_1)
	v_sub_f32_e32 v58, v58, v64
	v_sub_f32_e32 v58, v58, v59
	s_delay_alu instid0(VALU_DEP_1) | instskip(NEXT) | instid1(VALU_DEP_4)
	v_dual_add_f32 v5, v5, v58 :: v_dual_add_f32 v58, v63, v60
	v_sub_f32_e32 v59, v62, v61
	s_delay_alu instid0(VALU_DEP_1) | instskip(NEXT) | instid1(VALU_DEP_3)
	v_add_f32_e32 v5, v59, v5
	v_sub_f32_e32 v59, v58, v63
	s_delay_alu instid0(VALU_DEP_2) | instskip(NEXT) | instid1(VALU_DEP_2)
	v_add_f32_e32 v5, v64, v5
	v_sub_f32_e32 v59, v60, v59
	s_delay_alu instid0(VALU_DEP_2) | instskip(NEXT) | instid1(VALU_DEP_1)
	v_mul_f32_e32 v5, v57, v5
	v_add_f32_e32 v5, v59, v5
	s_delay_alu instid0(VALU_DEP_1) | instskip(NEXT) | instid1(VALU_DEP_1)
	v_add_f32_e32 v57, v58, v5
	v_mul_f32_e32 v59, v57, v57
	s_wait_alu 0xfffe
	s_delay_alu instid0(VALU_DEP_1) | instskip(SKIP_1) | instid1(VALU_DEP_2)
	v_fmaak_f32 v60, s25, v59, 0x3ecc95a3
	v_mul_f32_e32 v61, v57, v59
	v_fmaak_f32 v59, v59, v60, 0x3f2aaada
	v_ldexp_f32 v60, v57, 1
	v_sub_f32_e32 v57, v57, v58
	s_delay_alu instid0(VALU_DEP_3) | instskip(SKIP_1) | instid1(VALU_DEP_2)
	v_mul_f32_e32 v59, v61, v59
	v_mul_f32_e32 v61, 0x3f317218, v4
	v_dual_sub_f32 v5, v5, v57 :: v_dual_add_f32 v58, v60, v59
	s_delay_alu instid0(VALU_DEP_1) | instskip(NEXT) | instid1(VALU_DEP_2)
	v_ldexp_f32 v5, v5, 1
	v_sub_f32_e32 v57, v58, v60
	s_delay_alu instid0(VALU_DEP_4) | instskip(NEXT) | instid1(VALU_DEP_1)
	v_fma_f32 v60, 0x3f317218, v4, -v61
	v_dual_sub_f32 v57, v59, v57 :: v_dual_fmamk_f32 v4, v4, 0xb102e308, v60
	s_delay_alu instid0(VALU_DEP_1) | instskip(NEXT) | instid1(VALU_DEP_2)
	v_add_f32_e32 v5, v5, v57
	v_add_f32_e32 v57, v61, v4
	s_delay_alu instid0(VALU_DEP_2) | instskip(NEXT) | instid1(VALU_DEP_2)
	v_add_f32_e32 v59, v58, v5
	v_sub_f32_e32 v61, v57, v61
	s_delay_alu instid0(VALU_DEP_2) | instskip(SKIP_1) | instid1(VALU_DEP_3)
	v_add_f32_e32 v60, v57, v59
	v_sub_f32_e32 v58, v59, v58
	v_sub_f32_e32 v4, v4, v61
	s_delay_alu instid0(VALU_DEP_2) | instskip(NEXT) | instid1(VALU_DEP_1)
	v_dual_sub_f32 v62, v60, v57 :: v_dual_sub_f32 v5, v5, v58
	v_sub_f32_e32 v63, v60, v62
	s_delay_alu instid0(VALU_DEP_2) | instskip(NEXT) | instid1(VALU_DEP_2)
	v_dual_sub_f32 v58, v59, v62 :: v_dual_add_f32 v59, v4, v5
	v_sub_f32_e32 v57, v57, v63
	s_delay_alu instid0(VALU_DEP_1) | instskip(NEXT) | instid1(VALU_DEP_1)
	v_dual_add_f32 v57, v58, v57 :: v_dual_sub_f32 v58, v59, v4
	v_add_f32_e32 v57, v59, v57
	s_delay_alu instid0(VALU_DEP_2) | instskip(SKIP_1) | instid1(VALU_DEP_3)
	v_sub_f32_e32 v59, v59, v58
	v_sub_f32_e32 v5, v5, v58
	v_add_f32_e32 v61, v60, v57
	s_delay_alu instid0(VALU_DEP_3) | instskip(NEXT) | instid1(VALU_DEP_2)
	v_sub_f32_e32 v4, v4, v59
	v_sub_f32_e32 v58, v61, v60
	s_delay_alu instid0(VALU_DEP_2) | instskip(NEXT) | instid1(VALU_DEP_2)
	v_add_f32_e32 v4, v5, v4
	v_sub_f32_e32 v5, v57, v58
	s_delay_alu instid0(VALU_DEP_1) | instskip(NEXT) | instid1(VALU_DEP_1)
	v_add_f32_e32 v4, v4, v5
	v_add_f32_e32 v4, v61, v4
	s_wait_alu 0xfffd
	s_delay_alu instid0(VALU_DEP_1) | instskip(SKIP_2) | instid1(VALU_DEP_2)
	v_cndmask_b32_e32 v4, 0x7f800000, v4, vcc_lo
	v_cmp_gt_f32_e64 vcc_lo, 0x33800000, |v54|
	s_wait_alu 0xfffd
	v_cndmask_b32_e32 v4, v4, v54, vcc_lo
	s_delay_alu instid0(VALU_DEP_1)
	v_add_f32_e32 v4, v3, v4
.LBB443_131:
	s_or_b32 exec_lo, exec_lo, s23
	s_delay_alu instid0(VALU_DEP_1) | instskip(SKIP_1) | instid1(VALU_DEP_2)
	v_bfe_u32 v3, v4, 16, 1
	v_cmp_o_f32_e32 vcc_lo, v4, v4
	v_add3_u32 v3, v4, v3, 0x7fff
	s_delay_alu instid0(VALU_DEP_1) | instskip(SKIP_1) | instid1(VALU_DEP_1)
	v_lshrrev_b32_e32 v3, 16, v3
	s_wait_alu 0xfffd
	v_cndmask_b32_e32 v5, 0x7fc0, v3, vcc_lo
.LBB443_132:
	s_or_b32 exec_lo, exec_lo, s22
	v_mov_b32_e32 v3, 0
	s_mov_b32 s22, 0x3e9b6dac
	s_branch .LBB443_135
.LBB443_133:                            ;   in Loop: Header=BB443_135 Depth=1
	s_wait_alu 0xfffe
	s_or_b32 exec_lo, exec_lo, s23
	s_delay_alu instid0(VALU_DEP_1) | instskip(SKIP_3) | instid1(VALU_DEP_3)
	v_bfe_u32 v4, v5, 16, 1
	v_cmp_o_f32_e32 vcc_lo, v5, v5
	v_subrev_nc_u32_e32 v2, 32, v2
	s_mov_b32 s23, 0
	v_add3_u32 v4, v5, v4, 0x7fff
	s_delay_alu instid0(VALU_DEP_1) | instskip(SKIP_1) | instid1(VALU_DEP_1)
	v_lshrrev_b32_e32 v4, 16, v4
	s_wait_alu 0xfffd
	v_cndmask_b32_e32 v5, 0x7fc0, v4, vcc_lo
.LBB443_134:                            ;   in Loop: Header=BB443_135 Depth=1
	s_wait_alu 0xfffe
	s_and_b32 vcc_lo, exec_lo, s23
	s_wait_alu 0xfffe
	s_cbranch_vccnz .LBB443_163
.LBB443_135:                            ; =>This Loop Header: Depth=1
                                        ;     Child Loop BB443_138 Depth 2
	v_and_b32_e32 v4, 0xff, v45
	s_wait_dscnt 0x0
	v_mov_b32_e32 v54, v5
	s_mov_b32 s23, -1
                                        ; implicit-def: $vgpr5
                                        ; implicit-def: $vgpr45
	s_delay_alu instid0(VALU_DEP_2)
	v_cmp_ne_u16_e32 vcc_lo, 2, v4
	s_cmp_lg_u32 vcc_lo, exec_lo
	s_cbranch_scc1 .LBB443_134
; %bb.136:                              ;   in Loop: Header=BB443_135 Depth=1
	v_lshlrev_b64_e32 v[4:5], 2, v[2:3]
	s_mov_b32 s23, exec_lo
	s_delay_alu instid0(VALU_DEP_1) | instskip(SKIP_1) | instid1(VALU_DEP_2)
	v_add_co_u32 v4, vcc_lo, s38, v4
	s_wait_alu 0xfffd
	v_add_co_ci_u32_e64 v5, null, s39, v5, vcc_lo
	global_load_b32 v57, v[4:5], off scope:SCOPE_DEV
	s_wait_loadcnt 0x0
	v_lshrrev_b32_e32 v45, 16, v57
	s_delay_alu instid0(VALU_DEP_1) | instskip(NEXT) | instid1(VALU_DEP_1)
	v_and_b32_e32 v58, 0xff, v45
	v_cmpx_eq_u16_e32 0, v58
	s_cbranch_execz .LBB443_140
; %bb.137:                              ;   in Loop: Header=BB443_135 Depth=1
	s_mov_b32 s25, 0
.LBB443_138:                            ;   Parent Loop BB443_135 Depth=1
                                        ; =>  This Inner Loop Header: Depth=2
	global_load_b32 v57, v[4:5], off scope:SCOPE_DEV
	s_wait_loadcnt 0x0
	v_lshrrev_b32_e32 v45, 16, v57
	s_delay_alu instid0(VALU_DEP_1) | instskip(NEXT) | instid1(VALU_DEP_1)
	v_and_b32_e32 v58, 0xff, v45
	v_cmp_ne_u16_e32 vcc_lo, 0, v58
	s_wait_alu 0xfffe
	s_or_b32 s25, vcc_lo, s25
	s_wait_alu 0xfffe
	s_and_not1_b32 exec_lo, exec_lo, s25
	s_cbranch_execnz .LBB443_138
; %bb.139:                              ;   in Loop: Header=BB443_135 Depth=1
	s_or_b32 exec_lo, exec_lo, s25
.LBB443_140:                            ;   in Loop: Header=BB443_135 Depth=1
	s_wait_alu 0xfffe
	s_or_b32 exec_lo, exec_lo, s23
	v_and_b32_e32 v5, 0xffff, v57
	v_and_b32_e32 v4, 0xff, v45
	s_mov_b32 s23, exec_lo
	ds_bpermute_b32 v58, v46, v5
	v_cmp_eq_u16_e32 vcc_lo, 2, v4
	s_wait_alu 0xfffd
	v_and_or_b32 v4, vcc_lo, v47, 0x80000000
	s_delay_alu instid0(VALU_DEP_1) | instskip(NEXT) | instid1(VALU_DEP_1)
	v_ctz_i32_b32_e32 v4, v4
	v_cmpx_lt_u32_e64 v44, v4
	s_cbranch_execz .LBB443_144
; %bb.141:                              ;   in Loop: Header=BB443_135 Depth=1
	s_wait_dscnt 0x0
	v_lshlrev_b32_e32 v57, 16, v58
	s_delay_alu instid0(VALU_DEP_1) | instskip(SKIP_1) | instid1(VALU_DEP_1)
	v_max_num_f32_e32 v59, v57, v57
	v_lshlrev_b32_e32 v5, 16, v5
	v_max_num_f32_e32 v58, v5, v5
	v_cmp_u_f32_e32 vcc_lo, v57, v57
	s_delay_alu instid0(VALU_DEP_2) | instskip(SKIP_1) | instid1(VALU_DEP_1)
	v_min_num_f32_e32 v60, v59, v58
	s_wait_alu 0xfffd
	v_dual_max_num_f32 v58, v59, v58 :: v_dual_cndmask_b32 v59, v60, v57
	s_delay_alu instid0(VALU_DEP_1) | instskip(SKIP_2) | instid1(VALU_DEP_3)
	v_cndmask_b32_e32 v60, v58, v57, vcc_lo
	v_cmp_u_f32_e32 vcc_lo, v5, v5
	s_wait_alu 0xfffd
	v_cndmask_b32_e32 v58, v59, v5, vcc_lo
	s_delay_alu instid0(VALU_DEP_3) | instskip(NEXT) | instid1(VALU_DEP_2)
	v_cndmask_b32_e32 v5, v60, v5, vcc_lo
	v_cmp_class_f32_e64 s25, v58, 0x1f8
	s_delay_alu instid0(VALU_DEP_2) | instskip(SKIP_1) | instid1(SALU_CYCLE_1)
	v_cmp_neq_f32_e32 vcc_lo, v58, v5
	s_or_b32 s26, vcc_lo, s25
	s_and_saveexec_b32 s25, s26
	s_cbranch_execz .LBB443_143
; %bb.142:                              ;   in Loop: Header=BB443_135 Depth=1
	v_sub_f32_e32 v57, v58, v5
	s_delay_alu instid0(VALU_DEP_1) | instskip(SKIP_1) | instid1(VALU_DEP_2)
	v_mul_f32_e32 v58, 0x3fb8aa3b, v57
	v_cmp_ngt_f32_e32 vcc_lo, 0xc2ce8ed0, v57
	v_fma_f32 v59, 0x3fb8aa3b, v57, -v58
	v_rndne_f32_e32 v60, v58
	s_delay_alu instid0(VALU_DEP_1) | instskip(NEXT) | instid1(VALU_DEP_1)
	v_dual_fmac_f32 v59, 0x32a5705f, v57 :: v_dual_sub_f32 v58, v58, v60
	v_add_f32_e32 v58, v58, v59
	v_cvt_i32_f32_e32 v59, v60
	s_delay_alu instid0(VALU_DEP_2) | instskip(NEXT) | instid1(TRANS32_DEP_1)
	v_exp_f32_e32 v58, v58
	v_ldexp_f32 v58, v58, v59
	s_wait_alu 0xfffd
	s_delay_alu instid0(VALU_DEP_1) | instskip(SKIP_2) | instid1(VALU_DEP_2)
	v_cndmask_b32_e32 v58, 0, v58, vcc_lo
	v_cmp_nlt_f32_e32 vcc_lo, 0x42b17218, v57
	s_wait_alu 0xfffd
	v_cndmask_b32_e32 v59, 0x7f800000, v58, vcc_lo
	s_delay_alu instid0(VALU_DEP_1) | instskip(NEXT) | instid1(VALU_DEP_1)
	v_add_f32_e32 v60, 1.0, v59
	v_cvt_f64_f32_e32 v[57:58], v60
	s_delay_alu instid0(VALU_DEP_1) | instskip(SKIP_1) | instid1(VALU_DEP_1)
	v_frexp_exp_i32_f64_e32 v57, v[57:58]
	v_frexp_mant_f32_e32 v58, v60
	v_cmp_gt_f32_e32 vcc_lo, 0x3f2aaaab, v58
	v_add_f32_e32 v58, -1.0, v60
	s_delay_alu instid0(VALU_DEP_1) | instskip(SKIP_4) | instid1(VALU_DEP_2)
	v_sub_f32_e32 v62, v58, v60
	v_sub_f32_e32 v58, v59, v58
	s_wait_alu 0xfffd
	v_subrev_co_ci_u32_e64 v57, null, 0, v57, vcc_lo
	v_cmp_neq_f32_e32 vcc_lo, 0x7f800000, v59
	v_sub_nc_u32_e32 v61, 0, v57
	v_cvt_f32_i32_e32 v57, v57
	s_delay_alu instid0(VALU_DEP_2) | instskip(NEXT) | instid1(VALU_DEP_1)
	v_ldexp_f32 v60, v60, v61
	v_dual_add_f32 v63, 1.0, v60 :: v_dual_add_f32 v62, 1.0, v62
	s_delay_alu instid0(VALU_DEP_1) | instskip(NEXT) | instid1(VALU_DEP_2)
	v_add_f32_e32 v58, v58, v62
	v_add_f32_e32 v62, -1.0, v63
	s_delay_alu instid0(VALU_DEP_2) | instskip(NEXT) | instid1(VALU_DEP_2)
	v_ldexp_f32 v58, v58, v61
	v_dual_add_f32 v61, -1.0, v60 :: v_dual_sub_f32 v62, v60, v62
	s_delay_alu instid0(VALU_DEP_1) | instskip(NEXT) | instid1(VALU_DEP_2)
	v_add_f32_e32 v64, 1.0, v61
	v_add_f32_e32 v62, v58, v62
	s_delay_alu instid0(VALU_DEP_2) | instskip(NEXT) | instid1(VALU_DEP_2)
	v_sub_f32_e32 v60, v60, v64
	v_add_f32_e32 v64, v63, v62
	s_delay_alu instid0(VALU_DEP_2) | instskip(NEXT) | instid1(VALU_DEP_2)
	v_add_f32_e32 v58, v58, v60
	v_rcp_f32_e32 v60, v64
	v_sub_f32_e32 v63, v63, v64
	s_delay_alu instid0(VALU_DEP_1) | instskip(NEXT) | instid1(VALU_DEP_1)
	v_dual_add_f32 v65, v61, v58 :: v_dual_add_f32 v62, v62, v63
	v_sub_f32_e32 v61, v61, v65
	s_delay_alu instid0(TRANS32_DEP_1) | instskip(NEXT) | instid1(VALU_DEP_1)
	v_mul_f32_e32 v66, v65, v60
	v_dual_add_f32 v58, v58, v61 :: v_dual_mul_f32 v67, v64, v66
	s_delay_alu instid0(VALU_DEP_1) | instskip(NEXT) | instid1(VALU_DEP_1)
	v_fma_f32 v63, v66, v64, -v67
	v_fmac_f32_e32 v63, v66, v62
	s_delay_alu instid0(VALU_DEP_1) | instskip(NEXT) | instid1(VALU_DEP_1)
	v_add_f32_e32 v68, v67, v63
	v_sub_f32_e32 v69, v65, v68
	v_sub_f32_e32 v61, v68, v67
	s_delay_alu instid0(VALU_DEP_2) | instskip(NEXT) | instid1(VALU_DEP_2)
	v_sub_f32_e32 v65, v65, v69
	v_sub_f32_e32 v61, v61, v63
	s_delay_alu instid0(VALU_DEP_2) | instskip(NEXT) | instid1(VALU_DEP_1)
	v_sub_f32_e32 v65, v65, v68
	v_add_f32_e32 v58, v58, v65
	s_delay_alu instid0(VALU_DEP_1) | instskip(NEXT) | instid1(VALU_DEP_1)
	v_add_f32_e32 v58, v61, v58
	v_add_f32_e32 v61, v69, v58
	s_delay_alu instid0(VALU_DEP_1) | instskip(NEXT) | instid1(VALU_DEP_1)
	v_mul_f32_e32 v63, v60, v61
	v_dual_sub_f32 v68, v69, v61 :: v_dual_mul_f32 v65, v64, v63
	s_delay_alu instid0(VALU_DEP_1) | instskip(NEXT) | instid1(VALU_DEP_2)
	v_add_f32_e32 v58, v58, v68
	v_fma_f32 v64, v63, v64, -v65
	s_delay_alu instid0(VALU_DEP_1) | instskip(NEXT) | instid1(VALU_DEP_1)
	v_fmac_f32_e32 v64, v63, v62
	v_add_f32_e32 v62, v65, v64
	s_delay_alu instid0(VALU_DEP_1) | instskip(SKIP_1) | instid1(VALU_DEP_2)
	v_sub_f32_e32 v67, v61, v62
	v_sub_f32_e32 v65, v62, v65
	;; [unrolled: 1-line block ×3, first 2 shown]
	s_delay_alu instid0(VALU_DEP_1) | instskip(NEXT) | instid1(VALU_DEP_3)
	v_sub_f32_e32 v61, v61, v62
	v_sub_f32_e32 v62, v65, v64
	s_delay_alu instid0(VALU_DEP_2) | instskip(SKIP_1) | instid1(VALU_DEP_2)
	v_add_f32_e32 v58, v58, v61
	v_add_f32_e32 v61, v66, v63
	;; [unrolled: 1-line block ×3, first 2 shown]
	s_delay_alu instid0(VALU_DEP_2) | instskip(NEXT) | instid1(VALU_DEP_2)
	v_sub_f32_e32 v62, v61, v66
	v_add_f32_e32 v58, v67, v58
	s_delay_alu instid0(VALU_DEP_2) | instskip(NEXT) | instid1(VALU_DEP_2)
	v_sub_f32_e32 v62, v63, v62
	v_mul_f32_e32 v58, v60, v58
	s_delay_alu instid0(VALU_DEP_1) | instskip(NEXT) | instid1(VALU_DEP_1)
	v_add_f32_e32 v58, v62, v58
	v_add_f32_e32 v60, v61, v58
	s_delay_alu instid0(VALU_DEP_1) | instskip(NEXT) | instid1(VALU_DEP_1)
	v_mul_f32_e32 v62, v60, v60
	v_fmaak_f32 v63, s22, v62, 0x3ecc95a3
	v_mul_f32_e32 v64, v60, v62
	s_delay_alu instid0(VALU_DEP_2) | instskip(SKIP_2) | instid1(VALU_DEP_3)
	v_fmaak_f32 v62, v62, v63, 0x3f2aaada
	v_ldexp_f32 v63, v60, 1
	v_sub_f32_e32 v60, v60, v61
	v_mul_f32_e32 v62, v64, v62
	v_mul_f32_e32 v64, 0x3f317218, v57
	s_delay_alu instid0(VALU_DEP_2) | instskip(NEXT) | instid1(VALU_DEP_1)
	v_dual_sub_f32 v58, v58, v60 :: v_dual_add_f32 v61, v63, v62
	v_ldexp_f32 v58, v58, 1
	s_delay_alu instid0(VALU_DEP_2) | instskip(NEXT) | instid1(VALU_DEP_4)
	v_sub_f32_e32 v60, v61, v63
	v_fma_f32 v63, 0x3f317218, v57, -v64
	s_delay_alu instid0(VALU_DEP_1) | instskip(NEXT) | instid1(VALU_DEP_1)
	v_dual_sub_f32 v60, v62, v60 :: v_dual_fmac_f32 v63, 0xb102e308, v57
	v_dual_add_f32 v57, v58, v60 :: v_dual_add_f32 v58, v64, v63
	s_delay_alu instid0(VALU_DEP_1) | instskip(NEXT) | instid1(VALU_DEP_2)
	v_add_f32_e32 v60, v61, v57
	v_sub_f32_e32 v64, v58, v64
	s_delay_alu instid0(VALU_DEP_2) | instskip(NEXT) | instid1(VALU_DEP_2)
	v_dual_add_f32 v62, v58, v60 :: v_dual_sub_f32 v61, v60, v61
	v_sub_f32_e32 v63, v63, v64
	s_delay_alu instid0(VALU_DEP_2) | instskip(NEXT) | instid1(VALU_DEP_3)
	v_sub_f32_e32 v65, v62, v58
	v_sub_f32_e32 v57, v57, v61
	s_delay_alu instid0(VALU_DEP_2) | instskip(SKIP_1) | instid1(VALU_DEP_2)
	v_sub_f32_e32 v66, v62, v65
	v_sub_f32_e32 v60, v60, v65
	v_dual_add_f32 v61, v63, v57 :: v_dual_sub_f32 v58, v58, v66
	s_delay_alu instid0(VALU_DEP_1) | instskip(NEXT) | instid1(VALU_DEP_2)
	v_add_f32_e32 v58, v60, v58
	v_sub_f32_e32 v60, v61, v63
	s_delay_alu instid0(VALU_DEP_2) | instskip(NEXT) | instid1(VALU_DEP_2)
	v_add_f32_e32 v58, v61, v58
	v_sub_f32_e32 v61, v61, v60
	s_delay_alu instid0(VALU_DEP_2) | instskip(NEXT) | instid1(VALU_DEP_1)
	v_dual_sub_f32 v57, v57, v60 :: v_dual_add_f32 v64, v62, v58
	v_dual_sub_f32 v61, v63, v61 :: v_dual_sub_f32 v60, v64, v62
	s_delay_alu instid0(VALU_DEP_1) | instskip(NEXT) | instid1(VALU_DEP_1)
	v_dual_add_f32 v57, v57, v61 :: v_dual_sub_f32 v58, v58, v60
	v_add_f32_e32 v57, v57, v58
	s_delay_alu instid0(VALU_DEP_1) | instskip(SKIP_1) | instid1(VALU_DEP_1)
	v_add_f32_e32 v57, v64, v57
	s_wait_alu 0xfffd
	v_cndmask_b32_e32 v57, 0x7f800000, v57, vcc_lo
	v_cmp_gt_f32_e64 vcc_lo, 0x33800000, |v59|
	s_wait_alu 0xfffd
	s_delay_alu instid0(VALU_DEP_2) | instskip(NEXT) | instid1(VALU_DEP_1)
	v_cndmask_b32_e32 v57, v57, v59, vcc_lo
	v_add_f32_e32 v57, v5, v57
.LBB443_143:                            ;   in Loop: Header=BB443_135 Depth=1
	s_wait_alu 0xfffe
	s_or_b32 exec_lo, exec_lo, s25
	s_delay_alu instid0(VALU_DEP_1) | instskip(SKIP_1) | instid1(VALU_DEP_2)
	v_bfe_u32 v5, v57, 16, 1
	v_cmp_o_f32_e32 vcc_lo, v57, v57
	v_add3_u32 v5, v57, v5, 0x7fff
	s_delay_alu instid0(VALU_DEP_1) | instskip(SKIP_1) | instid1(VALU_DEP_1)
	v_lshrrev_b32_e32 v5, 16, v5
	s_wait_alu 0xfffd
	v_cndmask_b32_e32 v57, 0x7fc0, v5, vcc_lo
	s_delay_alu instid0(VALU_DEP_1)
	v_and_b32_e32 v5, 0xffff, v57
.LBB443_144:                            ;   in Loop: Header=BB443_135 Depth=1
	s_wait_alu 0xfffe
	s_or_b32 exec_lo, exec_lo, s23
	s_wait_dscnt 0x0
	ds_bpermute_b32 v58, v48, v5
	s_mov_b32 s23, exec_lo
	v_cmpx_le_u32_e64 v49, v4
	s_cbranch_execz .LBB443_148
; %bb.145:                              ;   in Loop: Header=BB443_135 Depth=1
	s_wait_dscnt 0x0
	v_lshlrev_b32_e32 v57, 16, v58
	s_delay_alu instid0(VALU_DEP_1) | instskip(SKIP_1) | instid1(VALU_DEP_1)
	v_max_num_f32_e32 v59, v57, v57
	v_lshlrev_b32_e32 v5, 16, v5
	v_max_num_f32_e32 v58, v5, v5
	v_cmp_u_f32_e32 vcc_lo, v57, v57
	s_delay_alu instid0(VALU_DEP_2) | instskip(SKIP_1) | instid1(VALU_DEP_1)
	v_min_num_f32_e32 v60, v59, v58
	s_wait_alu 0xfffd
	v_dual_max_num_f32 v58, v59, v58 :: v_dual_cndmask_b32 v59, v60, v57
	s_delay_alu instid0(VALU_DEP_1) | instskip(SKIP_2) | instid1(VALU_DEP_3)
	v_cndmask_b32_e32 v60, v58, v57, vcc_lo
	v_cmp_u_f32_e32 vcc_lo, v5, v5
	s_wait_alu 0xfffd
	v_cndmask_b32_e32 v58, v59, v5, vcc_lo
	s_delay_alu instid0(VALU_DEP_3) | instskip(NEXT) | instid1(VALU_DEP_2)
	v_cndmask_b32_e32 v5, v60, v5, vcc_lo
	v_cmp_class_f32_e64 s25, v58, 0x1f8
	s_delay_alu instid0(VALU_DEP_2) | instskip(SKIP_1) | instid1(SALU_CYCLE_1)
	v_cmp_neq_f32_e32 vcc_lo, v58, v5
	s_or_b32 s26, vcc_lo, s25
	s_and_saveexec_b32 s25, s26
	s_cbranch_execz .LBB443_147
; %bb.146:                              ;   in Loop: Header=BB443_135 Depth=1
	v_sub_f32_e32 v57, v58, v5
	s_delay_alu instid0(VALU_DEP_1) | instskip(SKIP_1) | instid1(VALU_DEP_2)
	v_mul_f32_e32 v58, 0x3fb8aa3b, v57
	v_cmp_ngt_f32_e32 vcc_lo, 0xc2ce8ed0, v57
	v_fma_f32 v59, 0x3fb8aa3b, v57, -v58
	v_rndne_f32_e32 v60, v58
	s_delay_alu instid0(VALU_DEP_1) | instskip(NEXT) | instid1(VALU_DEP_1)
	v_dual_fmac_f32 v59, 0x32a5705f, v57 :: v_dual_sub_f32 v58, v58, v60
	v_add_f32_e32 v58, v58, v59
	v_cvt_i32_f32_e32 v59, v60
	s_delay_alu instid0(VALU_DEP_2) | instskip(NEXT) | instid1(TRANS32_DEP_1)
	v_exp_f32_e32 v58, v58
	v_ldexp_f32 v58, v58, v59
	s_wait_alu 0xfffd
	s_delay_alu instid0(VALU_DEP_1) | instskip(SKIP_2) | instid1(VALU_DEP_2)
	v_cndmask_b32_e32 v58, 0, v58, vcc_lo
	v_cmp_nlt_f32_e32 vcc_lo, 0x42b17218, v57
	s_wait_alu 0xfffd
	v_cndmask_b32_e32 v59, 0x7f800000, v58, vcc_lo
	s_delay_alu instid0(VALU_DEP_1) | instskip(NEXT) | instid1(VALU_DEP_1)
	v_add_f32_e32 v60, 1.0, v59
	v_cvt_f64_f32_e32 v[57:58], v60
	s_delay_alu instid0(VALU_DEP_1) | instskip(SKIP_1) | instid1(VALU_DEP_1)
	v_frexp_exp_i32_f64_e32 v57, v[57:58]
	v_frexp_mant_f32_e32 v58, v60
	v_cmp_gt_f32_e32 vcc_lo, 0x3f2aaaab, v58
	v_add_f32_e32 v58, -1.0, v60
	s_delay_alu instid0(VALU_DEP_1) | instskip(SKIP_4) | instid1(VALU_DEP_2)
	v_sub_f32_e32 v62, v58, v60
	v_sub_f32_e32 v58, v59, v58
	s_wait_alu 0xfffd
	v_subrev_co_ci_u32_e64 v57, null, 0, v57, vcc_lo
	v_cmp_neq_f32_e32 vcc_lo, 0x7f800000, v59
	v_sub_nc_u32_e32 v61, 0, v57
	v_cvt_f32_i32_e32 v57, v57
	s_delay_alu instid0(VALU_DEP_2) | instskip(NEXT) | instid1(VALU_DEP_1)
	v_ldexp_f32 v60, v60, v61
	v_dual_add_f32 v63, 1.0, v60 :: v_dual_add_f32 v62, 1.0, v62
	s_delay_alu instid0(VALU_DEP_1) | instskip(NEXT) | instid1(VALU_DEP_2)
	v_add_f32_e32 v58, v58, v62
	v_add_f32_e32 v62, -1.0, v63
	s_delay_alu instid0(VALU_DEP_2) | instskip(NEXT) | instid1(VALU_DEP_2)
	v_ldexp_f32 v58, v58, v61
	v_dual_add_f32 v61, -1.0, v60 :: v_dual_sub_f32 v62, v60, v62
	s_delay_alu instid0(VALU_DEP_1) | instskip(NEXT) | instid1(VALU_DEP_2)
	v_add_f32_e32 v64, 1.0, v61
	v_add_f32_e32 v62, v58, v62
	s_delay_alu instid0(VALU_DEP_2) | instskip(NEXT) | instid1(VALU_DEP_2)
	v_sub_f32_e32 v60, v60, v64
	v_add_f32_e32 v64, v63, v62
	s_delay_alu instid0(VALU_DEP_2) | instskip(NEXT) | instid1(VALU_DEP_2)
	v_add_f32_e32 v58, v58, v60
	v_rcp_f32_e32 v60, v64
	v_sub_f32_e32 v63, v63, v64
	s_delay_alu instid0(VALU_DEP_1) | instskip(NEXT) | instid1(VALU_DEP_1)
	v_dual_add_f32 v65, v61, v58 :: v_dual_add_f32 v62, v62, v63
	v_sub_f32_e32 v61, v61, v65
	s_delay_alu instid0(TRANS32_DEP_1) | instskip(NEXT) | instid1(VALU_DEP_1)
	v_mul_f32_e32 v66, v65, v60
	v_dual_add_f32 v58, v58, v61 :: v_dual_mul_f32 v67, v64, v66
	s_delay_alu instid0(VALU_DEP_1) | instskip(NEXT) | instid1(VALU_DEP_1)
	v_fma_f32 v63, v66, v64, -v67
	v_fmac_f32_e32 v63, v66, v62
	s_delay_alu instid0(VALU_DEP_1) | instskip(NEXT) | instid1(VALU_DEP_1)
	v_add_f32_e32 v68, v67, v63
	v_sub_f32_e32 v69, v65, v68
	v_sub_f32_e32 v61, v68, v67
	s_delay_alu instid0(VALU_DEP_2) | instskip(NEXT) | instid1(VALU_DEP_2)
	v_sub_f32_e32 v65, v65, v69
	v_sub_f32_e32 v61, v61, v63
	s_delay_alu instid0(VALU_DEP_2) | instskip(NEXT) | instid1(VALU_DEP_1)
	v_sub_f32_e32 v65, v65, v68
	v_add_f32_e32 v58, v58, v65
	s_delay_alu instid0(VALU_DEP_1) | instskip(NEXT) | instid1(VALU_DEP_1)
	v_add_f32_e32 v58, v61, v58
	v_add_f32_e32 v61, v69, v58
	s_delay_alu instid0(VALU_DEP_1) | instskip(NEXT) | instid1(VALU_DEP_1)
	v_mul_f32_e32 v63, v60, v61
	v_dual_sub_f32 v68, v69, v61 :: v_dual_mul_f32 v65, v64, v63
	s_delay_alu instid0(VALU_DEP_1) | instskip(NEXT) | instid1(VALU_DEP_2)
	v_add_f32_e32 v58, v58, v68
	v_fma_f32 v64, v63, v64, -v65
	s_delay_alu instid0(VALU_DEP_1) | instskip(NEXT) | instid1(VALU_DEP_1)
	v_fmac_f32_e32 v64, v63, v62
	v_add_f32_e32 v62, v65, v64
	s_delay_alu instid0(VALU_DEP_1) | instskip(SKIP_1) | instid1(VALU_DEP_2)
	v_sub_f32_e32 v67, v61, v62
	v_sub_f32_e32 v65, v62, v65
	v_sub_f32_e32 v61, v61, v67
	s_delay_alu instid0(VALU_DEP_1) | instskip(NEXT) | instid1(VALU_DEP_3)
	v_sub_f32_e32 v61, v61, v62
	v_sub_f32_e32 v62, v65, v64
	s_delay_alu instid0(VALU_DEP_2) | instskip(SKIP_1) | instid1(VALU_DEP_2)
	v_add_f32_e32 v58, v58, v61
	v_add_f32_e32 v61, v66, v63
	;; [unrolled: 1-line block ×3, first 2 shown]
	s_delay_alu instid0(VALU_DEP_2) | instskip(NEXT) | instid1(VALU_DEP_2)
	v_sub_f32_e32 v62, v61, v66
	v_add_f32_e32 v58, v67, v58
	s_delay_alu instid0(VALU_DEP_2) | instskip(NEXT) | instid1(VALU_DEP_2)
	v_sub_f32_e32 v62, v63, v62
	v_mul_f32_e32 v58, v60, v58
	s_delay_alu instid0(VALU_DEP_1) | instskip(NEXT) | instid1(VALU_DEP_1)
	v_add_f32_e32 v58, v62, v58
	v_add_f32_e32 v60, v61, v58
	s_delay_alu instid0(VALU_DEP_1) | instskip(NEXT) | instid1(VALU_DEP_1)
	v_mul_f32_e32 v62, v60, v60
	v_fmaak_f32 v63, s22, v62, 0x3ecc95a3
	v_mul_f32_e32 v64, v60, v62
	s_delay_alu instid0(VALU_DEP_2) | instskip(SKIP_2) | instid1(VALU_DEP_3)
	v_fmaak_f32 v62, v62, v63, 0x3f2aaada
	v_ldexp_f32 v63, v60, 1
	v_sub_f32_e32 v60, v60, v61
	v_mul_f32_e32 v62, v64, v62
	v_mul_f32_e32 v64, 0x3f317218, v57
	s_delay_alu instid0(VALU_DEP_2) | instskip(NEXT) | instid1(VALU_DEP_1)
	v_dual_sub_f32 v58, v58, v60 :: v_dual_add_f32 v61, v63, v62
	v_ldexp_f32 v58, v58, 1
	s_delay_alu instid0(VALU_DEP_2) | instskip(NEXT) | instid1(VALU_DEP_4)
	v_sub_f32_e32 v60, v61, v63
	v_fma_f32 v63, 0x3f317218, v57, -v64
	s_delay_alu instid0(VALU_DEP_1) | instskip(NEXT) | instid1(VALU_DEP_1)
	v_dual_sub_f32 v60, v62, v60 :: v_dual_fmac_f32 v63, 0xb102e308, v57
	v_dual_add_f32 v57, v58, v60 :: v_dual_add_f32 v58, v64, v63
	s_delay_alu instid0(VALU_DEP_1) | instskip(NEXT) | instid1(VALU_DEP_2)
	v_add_f32_e32 v60, v61, v57
	v_sub_f32_e32 v64, v58, v64
	s_delay_alu instid0(VALU_DEP_2) | instskip(NEXT) | instid1(VALU_DEP_2)
	v_dual_add_f32 v62, v58, v60 :: v_dual_sub_f32 v61, v60, v61
	v_sub_f32_e32 v63, v63, v64
	s_delay_alu instid0(VALU_DEP_2) | instskip(NEXT) | instid1(VALU_DEP_3)
	v_sub_f32_e32 v65, v62, v58
	v_sub_f32_e32 v57, v57, v61
	s_delay_alu instid0(VALU_DEP_2) | instskip(SKIP_1) | instid1(VALU_DEP_2)
	v_sub_f32_e32 v66, v62, v65
	v_sub_f32_e32 v60, v60, v65
	v_dual_add_f32 v61, v63, v57 :: v_dual_sub_f32 v58, v58, v66
	s_delay_alu instid0(VALU_DEP_1) | instskip(NEXT) | instid1(VALU_DEP_2)
	v_add_f32_e32 v58, v60, v58
	v_sub_f32_e32 v60, v61, v63
	s_delay_alu instid0(VALU_DEP_2) | instskip(NEXT) | instid1(VALU_DEP_2)
	v_add_f32_e32 v58, v61, v58
	v_sub_f32_e32 v61, v61, v60
	s_delay_alu instid0(VALU_DEP_2) | instskip(NEXT) | instid1(VALU_DEP_1)
	v_dual_sub_f32 v57, v57, v60 :: v_dual_add_f32 v64, v62, v58
	v_dual_sub_f32 v61, v63, v61 :: v_dual_sub_f32 v60, v64, v62
	s_delay_alu instid0(VALU_DEP_1) | instskip(NEXT) | instid1(VALU_DEP_1)
	v_dual_add_f32 v57, v57, v61 :: v_dual_sub_f32 v58, v58, v60
	v_add_f32_e32 v57, v57, v58
	s_delay_alu instid0(VALU_DEP_1) | instskip(SKIP_1) | instid1(VALU_DEP_1)
	v_add_f32_e32 v57, v64, v57
	s_wait_alu 0xfffd
	v_cndmask_b32_e32 v57, 0x7f800000, v57, vcc_lo
	v_cmp_gt_f32_e64 vcc_lo, 0x33800000, |v59|
	s_wait_alu 0xfffd
	s_delay_alu instid0(VALU_DEP_2) | instskip(NEXT) | instid1(VALU_DEP_1)
	v_cndmask_b32_e32 v57, v57, v59, vcc_lo
	v_add_f32_e32 v57, v5, v57
.LBB443_147:                            ;   in Loop: Header=BB443_135 Depth=1
	s_wait_alu 0xfffe
	s_or_b32 exec_lo, exec_lo, s25
	s_delay_alu instid0(VALU_DEP_1) | instskip(SKIP_1) | instid1(VALU_DEP_2)
	v_bfe_u32 v5, v57, 16, 1
	v_cmp_o_f32_e32 vcc_lo, v57, v57
	v_add3_u32 v5, v57, v5, 0x7fff
	s_delay_alu instid0(VALU_DEP_1) | instskip(SKIP_1) | instid1(VALU_DEP_1)
	v_lshrrev_b32_e32 v5, 16, v5
	s_wait_alu 0xfffd
	v_cndmask_b32_e32 v57, 0x7fc0, v5, vcc_lo
	s_delay_alu instid0(VALU_DEP_1)
	v_and_b32_e32 v5, 0xffff, v57
.LBB443_148:                            ;   in Loop: Header=BB443_135 Depth=1
	s_wait_alu 0xfffe
	s_or_b32 exec_lo, exec_lo, s23
	s_wait_dscnt 0x0
	ds_bpermute_b32 v58, v50, v5
	s_mov_b32 s23, exec_lo
	v_cmpx_le_u32_e64 v51, v4
	s_cbranch_execz .LBB443_152
; %bb.149:                              ;   in Loop: Header=BB443_135 Depth=1
	s_wait_dscnt 0x0
	v_lshlrev_b32_e32 v57, 16, v58
	s_delay_alu instid0(VALU_DEP_1) | instskip(SKIP_1) | instid1(VALU_DEP_1)
	v_max_num_f32_e32 v59, v57, v57
	v_lshlrev_b32_e32 v5, 16, v5
	v_max_num_f32_e32 v58, v5, v5
	v_cmp_u_f32_e32 vcc_lo, v57, v57
	s_delay_alu instid0(VALU_DEP_2) | instskip(SKIP_1) | instid1(VALU_DEP_1)
	v_min_num_f32_e32 v60, v59, v58
	s_wait_alu 0xfffd
	v_dual_max_num_f32 v58, v59, v58 :: v_dual_cndmask_b32 v59, v60, v57
	s_delay_alu instid0(VALU_DEP_1) | instskip(SKIP_2) | instid1(VALU_DEP_3)
	v_cndmask_b32_e32 v60, v58, v57, vcc_lo
	v_cmp_u_f32_e32 vcc_lo, v5, v5
	s_wait_alu 0xfffd
	v_cndmask_b32_e32 v58, v59, v5, vcc_lo
	s_delay_alu instid0(VALU_DEP_3) | instskip(NEXT) | instid1(VALU_DEP_2)
	v_cndmask_b32_e32 v5, v60, v5, vcc_lo
	v_cmp_class_f32_e64 s25, v58, 0x1f8
	s_delay_alu instid0(VALU_DEP_2) | instskip(SKIP_1) | instid1(SALU_CYCLE_1)
	v_cmp_neq_f32_e32 vcc_lo, v58, v5
	s_or_b32 s26, vcc_lo, s25
	s_and_saveexec_b32 s25, s26
	s_cbranch_execz .LBB443_151
; %bb.150:                              ;   in Loop: Header=BB443_135 Depth=1
	v_sub_f32_e32 v57, v58, v5
	s_delay_alu instid0(VALU_DEP_1) | instskip(SKIP_1) | instid1(VALU_DEP_2)
	v_mul_f32_e32 v58, 0x3fb8aa3b, v57
	v_cmp_ngt_f32_e32 vcc_lo, 0xc2ce8ed0, v57
	v_fma_f32 v59, 0x3fb8aa3b, v57, -v58
	v_rndne_f32_e32 v60, v58
	s_delay_alu instid0(VALU_DEP_1) | instskip(NEXT) | instid1(VALU_DEP_1)
	v_dual_fmac_f32 v59, 0x32a5705f, v57 :: v_dual_sub_f32 v58, v58, v60
	v_add_f32_e32 v58, v58, v59
	v_cvt_i32_f32_e32 v59, v60
	s_delay_alu instid0(VALU_DEP_2) | instskip(NEXT) | instid1(TRANS32_DEP_1)
	v_exp_f32_e32 v58, v58
	v_ldexp_f32 v58, v58, v59
	s_wait_alu 0xfffd
	s_delay_alu instid0(VALU_DEP_1) | instskip(SKIP_2) | instid1(VALU_DEP_2)
	v_cndmask_b32_e32 v58, 0, v58, vcc_lo
	v_cmp_nlt_f32_e32 vcc_lo, 0x42b17218, v57
	s_wait_alu 0xfffd
	v_cndmask_b32_e32 v59, 0x7f800000, v58, vcc_lo
	s_delay_alu instid0(VALU_DEP_1) | instskip(NEXT) | instid1(VALU_DEP_1)
	v_add_f32_e32 v60, 1.0, v59
	v_cvt_f64_f32_e32 v[57:58], v60
	s_delay_alu instid0(VALU_DEP_1) | instskip(SKIP_1) | instid1(VALU_DEP_1)
	v_frexp_exp_i32_f64_e32 v57, v[57:58]
	v_frexp_mant_f32_e32 v58, v60
	v_cmp_gt_f32_e32 vcc_lo, 0x3f2aaaab, v58
	v_add_f32_e32 v58, -1.0, v60
	s_delay_alu instid0(VALU_DEP_1) | instskip(SKIP_4) | instid1(VALU_DEP_2)
	v_sub_f32_e32 v62, v58, v60
	v_sub_f32_e32 v58, v59, v58
	s_wait_alu 0xfffd
	v_subrev_co_ci_u32_e64 v57, null, 0, v57, vcc_lo
	v_cmp_neq_f32_e32 vcc_lo, 0x7f800000, v59
	v_sub_nc_u32_e32 v61, 0, v57
	v_cvt_f32_i32_e32 v57, v57
	s_delay_alu instid0(VALU_DEP_2) | instskip(NEXT) | instid1(VALU_DEP_1)
	v_ldexp_f32 v60, v60, v61
	v_dual_add_f32 v63, 1.0, v60 :: v_dual_add_f32 v62, 1.0, v62
	s_delay_alu instid0(VALU_DEP_1) | instskip(NEXT) | instid1(VALU_DEP_2)
	v_add_f32_e32 v58, v58, v62
	v_add_f32_e32 v62, -1.0, v63
	s_delay_alu instid0(VALU_DEP_2) | instskip(NEXT) | instid1(VALU_DEP_2)
	v_ldexp_f32 v58, v58, v61
	v_dual_add_f32 v61, -1.0, v60 :: v_dual_sub_f32 v62, v60, v62
	s_delay_alu instid0(VALU_DEP_1) | instskip(NEXT) | instid1(VALU_DEP_2)
	v_add_f32_e32 v64, 1.0, v61
	v_add_f32_e32 v62, v58, v62
	s_delay_alu instid0(VALU_DEP_2) | instskip(NEXT) | instid1(VALU_DEP_2)
	v_sub_f32_e32 v60, v60, v64
	v_add_f32_e32 v64, v63, v62
	s_delay_alu instid0(VALU_DEP_2) | instskip(NEXT) | instid1(VALU_DEP_2)
	v_add_f32_e32 v58, v58, v60
	v_rcp_f32_e32 v60, v64
	v_sub_f32_e32 v63, v63, v64
	s_delay_alu instid0(VALU_DEP_1) | instskip(NEXT) | instid1(VALU_DEP_1)
	v_dual_add_f32 v65, v61, v58 :: v_dual_add_f32 v62, v62, v63
	v_sub_f32_e32 v61, v61, v65
	s_delay_alu instid0(TRANS32_DEP_1) | instskip(NEXT) | instid1(VALU_DEP_1)
	v_mul_f32_e32 v66, v65, v60
	v_dual_add_f32 v58, v58, v61 :: v_dual_mul_f32 v67, v64, v66
	s_delay_alu instid0(VALU_DEP_1) | instskip(NEXT) | instid1(VALU_DEP_1)
	v_fma_f32 v63, v66, v64, -v67
	v_fmac_f32_e32 v63, v66, v62
	s_delay_alu instid0(VALU_DEP_1) | instskip(NEXT) | instid1(VALU_DEP_1)
	v_add_f32_e32 v68, v67, v63
	v_sub_f32_e32 v69, v65, v68
	v_sub_f32_e32 v61, v68, v67
	s_delay_alu instid0(VALU_DEP_2) | instskip(NEXT) | instid1(VALU_DEP_2)
	v_sub_f32_e32 v65, v65, v69
	v_sub_f32_e32 v61, v61, v63
	s_delay_alu instid0(VALU_DEP_2) | instskip(NEXT) | instid1(VALU_DEP_1)
	v_sub_f32_e32 v65, v65, v68
	v_add_f32_e32 v58, v58, v65
	s_delay_alu instid0(VALU_DEP_1) | instskip(NEXT) | instid1(VALU_DEP_1)
	v_add_f32_e32 v58, v61, v58
	v_add_f32_e32 v61, v69, v58
	s_delay_alu instid0(VALU_DEP_1) | instskip(NEXT) | instid1(VALU_DEP_1)
	v_mul_f32_e32 v63, v60, v61
	v_dual_sub_f32 v68, v69, v61 :: v_dual_mul_f32 v65, v64, v63
	s_delay_alu instid0(VALU_DEP_1) | instskip(NEXT) | instid1(VALU_DEP_2)
	v_add_f32_e32 v58, v58, v68
	v_fma_f32 v64, v63, v64, -v65
	s_delay_alu instid0(VALU_DEP_1) | instskip(NEXT) | instid1(VALU_DEP_1)
	v_fmac_f32_e32 v64, v63, v62
	v_add_f32_e32 v62, v65, v64
	s_delay_alu instid0(VALU_DEP_1) | instskip(SKIP_1) | instid1(VALU_DEP_2)
	v_sub_f32_e32 v67, v61, v62
	v_sub_f32_e32 v65, v62, v65
	;; [unrolled: 1-line block ×3, first 2 shown]
	s_delay_alu instid0(VALU_DEP_1) | instskip(NEXT) | instid1(VALU_DEP_3)
	v_sub_f32_e32 v61, v61, v62
	v_sub_f32_e32 v62, v65, v64
	s_delay_alu instid0(VALU_DEP_2) | instskip(SKIP_1) | instid1(VALU_DEP_2)
	v_add_f32_e32 v58, v58, v61
	v_add_f32_e32 v61, v66, v63
	;; [unrolled: 1-line block ×3, first 2 shown]
	s_delay_alu instid0(VALU_DEP_2) | instskip(NEXT) | instid1(VALU_DEP_2)
	v_sub_f32_e32 v62, v61, v66
	v_add_f32_e32 v58, v67, v58
	s_delay_alu instid0(VALU_DEP_2) | instskip(NEXT) | instid1(VALU_DEP_2)
	v_sub_f32_e32 v62, v63, v62
	v_mul_f32_e32 v58, v60, v58
	s_delay_alu instid0(VALU_DEP_1) | instskip(NEXT) | instid1(VALU_DEP_1)
	v_add_f32_e32 v58, v62, v58
	v_add_f32_e32 v60, v61, v58
	s_delay_alu instid0(VALU_DEP_1) | instskip(NEXT) | instid1(VALU_DEP_1)
	v_mul_f32_e32 v62, v60, v60
	v_fmaak_f32 v63, s22, v62, 0x3ecc95a3
	v_mul_f32_e32 v64, v60, v62
	s_delay_alu instid0(VALU_DEP_2) | instskip(SKIP_2) | instid1(VALU_DEP_3)
	v_fmaak_f32 v62, v62, v63, 0x3f2aaada
	v_ldexp_f32 v63, v60, 1
	v_sub_f32_e32 v60, v60, v61
	v_mul_f32_e32 v62, v64, v62
	v_mul_f32_e32 v64, 0x3f317218, v57
	s_delay_alu instid0(VALU_DEP_2) | instskip(NEXT) | instid1(VALU_DEP_1)
	v_dual_sub_f32 v58, v58, v60 :: v_dual_add_f32 v61, v63, v62
	v_ldexp_f32 v58, v58, 1
	s_delay_alu instid0(VALU_DEP_2) | instskip(NEXT) | instid1(VALU_DEP_4)
	v_sub_f32_e32 v60, v61, v63
	v_fma_f32 v63, 0x3f317218, v57, -v64
	s_delay_alu instid0(VALU_DEP_1) | instskip(NEXT) | instid1(VALU_DEP_1)
	v_dual_sub_f32 v60, v62, v60 :: v_dual_fmac_f32 v63, 0xb102e308, v57
	v_dual_add_f32 v57, v58, v60 :: v_dual_add_f32 v58, v64, v63
	s_delay_alu instid0(VALU_DEP_1) | instskip(NEXT) | instid1(VALU_DEP_2)
	v_add_f32_e32 v60, v61, v57
	v_sub_f32_e32 v64, v58, v64
	s_delay_alu instid0(VALU_DEP_2) | instskip(NEXT) | instid1(VALU_DEP_2)
	v_dual_add_f32 v62, v58, v60 :: v_dual_sub_f32 v61, v60, v61
	v_sub_f32_e32 v63, v63, v64
	s_delay_alu instid0(VALU_DEP_2) | instskip(NEXT) | instid1(VALU_DEP_3)
	v_sub_f32_e32 v65, v62, v58
	v_sub_f32_e32 v57, v57, v61
	s_delay_alu instid0(VALU_DEP_2) | instskip(SKIP_1) | instid1(VALU_DEP_2)
	v_sub_f32_e32 v66, v62, v65
	v_sub_f32_e32 v60, v60, v65
	v_dual_add_f32 v61, v63, v57 :: v_dual_sub_f32 v58, v58, v66
	s_delay_alu instid0(VALU_DEP_1) | instskip(NEXT) | instid1(VALU_DEP_2)
	v_add_f32_e32 v58, v60, v58
	v_sub_f32_e32 v60, v61, v63
	s_delay_alu instid0(VALU_DEP_2) | instskip(NEXT) | instid1(VALU_DEP_2)
	v_add_f32_e32 v58, v61, v58
	v_sub_f32_e32 v61, v61, v60
	s_delay_alu instid0(VALU_DEP_2) | instskip(NEXT) | instid1(VALU_DEP_1)
	v_dual_sub_f32 v57, v57, v60 :: v_dual_add_f32 v64, v62, v58
	v_dual_sub_f32 v61, v63, v61 :: v_dual_sub_f32 v60, v64, v62
	s_delay_alu instid0(VALU_DEP_1) | instskip(NEXT) | instid1(VALU_DEP_1)
	v_dual_add_f32 v57, v57, v61 :: v_dual_sub_f32 v58, v58, v60
	v_add_f32_e32 v57, v57, v58
	s_delay_alu instid0(VALU_DEP_1) | instskip(SKIP_1) | instid1(VALU_DEP_1)
	v_add_f32_e32 v57, v64, v57
	s_wait_alu 0xfffd
	v_cndmask_b32_e32 v57, 0x7f800000, v57, vcc_lo
	v_cmp_gt_f32_e64 vcc_lo, 0x33800000, |v59|
	s_wait_alu 0xfffd
	s_delay_alu instid0(VALU_DEP_2) | instskip(NEXT) | instid1(VALU_DEP_1)
	v_cndmask_b32_e32 v57, v57, v59, vcc_lo
	v_add_f32_e32 v57, v5, v57
.LBB443_151:                            ;   in Loop: Header=BB443_135 Depth=1
	s_wait_alu 0xfffe
	s_or_b32 exec_lo, exec_lo, s25
	s_delay_alu instid0(VALU_DEP_1) | instskip(SKIP_1) | instid1(VALU_DEP_2)
	v_bfe_u32 v5, v57, 16, 1
	v_cmp_o_f32_e32 vcc_lo, v57, v57
	v_add3_u32 v5, v57, v5, 0x7fff
	s_delay_alu instid0(VALU_DEP_1) | instskip(SKIP_1) | instid1(VALU_DEP_1)
	v_lshrrev_b32_e32 v5, 16, v5
	s_wait_alu 0xfffd
	v_cndmask_b32_e32 v57, 0x7fc0, v5, vcc_lo
	s_delay_alu instid0(VALU_DEP_1)
	v_and_b32_e32 v5, 0xffff, v57
.LBB443_152:                            ;   in Loop: Header=BB443_135 Depth=1
	s_wait_alu 0xfffe
	s_or_b32 exec_lo, exec_lo, s23
	s_wait_dscnt 0x0
	ds_bpermute_b32 v58, v52, v5
	s_mov_b32 s23, exec_lo
	v_cmpx_le_u32_e64 v53, v4
	s_cbranch_execz .LBB443_156
; %bb.153:                              ;   in Loop: Header=BB443_135 Depth=1
	s_wait_dscnt 0x0
	v_lshlrev_b32_e32 v57, 16, v58
	s_delay_alu instid0(VALU_DEP_1) | instskip(SKIP_1) | instid1(VALU_DEP_1)
	v_max_num_f32_e32 v59, v57, v57
	v_lshlrev_b32_e32 v5, 16, v5
	v_max_num_f32_e32 v58, v5, v5
	v_cmp_u_f32_e32 vcc_lo, v57, v57
	s_delay_alu instid0(VALU_DEP_2) | instskip(SKIP_1) | instid1(VALU_DEP_1)
	v_min_num_f32_e32 v60, v59, v58
	s_wait_alu 0xfffd
	v_dual_max_num_f32 v58, v59, v58 :: v_dual_cndmask_b32 v59, v60, v57
	s_delay_alu instid0(VALU_DEP_1) | instskip(SKIP_2) | instid1(VALU_DEP_3)
	v_cndmask_b32_e32 v60, v58, v57, vcc_lo
	v_cmp_u_f32_e32 vcc_lo, v5, v5
	s_wait_alu 0xfffd
	v_cndmask_b32_e32 v58, v59, v5, vcc_lo
	s_delay_alu instid0(VALU_DEP_3) | instskip(NEXT) | instid1(VALU_DEP_2)
	v_cndmask_b32_e32 v5, v60, v5, vcc_lo
	v_cmp_class_f32_e64 s25, v58, 0x1f8
	s_delay_alu instid0(VALU_DEP_2) | instskip(SKIP_1) | instid1(SALU_CYCLE_1)
	v_cmp_neq_f32_e32 vcc_lo, v58, v5
	s_or_b32 s26, vcc_lo, s25
	s_and_saveexec_b32 s25, s26
	s_cbranch_execz .LBB443_155
; %bb.154:                              ;   in Loop: Header=BB443_135 Depth=1
	v_sub_f32_e32 v57, v58, v5
	s_delay_alu instid0(VALU_DEP_1) | instskip(SKIP_1) | instid1(VALU_DEP_2)
	v_mul_f32_e32 v58, 0x3fb8aa3b, v57
	v_cmp_ngt_f32_e32 vcc_lo, 0xc2ce8ed0, v57
	v_fma_f32 v59, 0x3fb8aa3b, v57, -v58
	v_rndne_f32_e32 v60, v58
	s_delay_alu instid0(VALU_DEP_1) | instskip(NEXT) | instid1(VALU_DEP_1)
	v_dual_fmac_f32 v59, 0x32a5705f, v57 :: v_dual_sub_f32 v58, v58, v60
	v_add_f32_e32 v58, v58, v59
	v_cvt_i32_f32_e32 v59, v60
	s_delay_alu instid0(VALU_DEP_2) | instskip(NEXT) | instid1(TRANS32_DEP_1)
	v_exp_f32_e32 v58, v58
	v_ldexp_f32 v58, v58, v59
	s_wait_alu 0xfffd
	s_delay_alu instid0(VALU_DEP_1) | instskip(SKIP_2) | instid1(VALU_DEP_2)
	v_cndmask_b32_e32 v58, 0, v58, vcc_lo
	v_cmp_nlt_f32_e32 vcc_lo, 0x42b17218, v57
	s_wait_alu 0xfffd
	v_cndmask_b32_e32 v59, 0x7f800000, v58, vcc_lo
	s_delay_alu instid0(VALU_DEP_1) | instskip(NEXT) | instid1(VALU_DEP_1)
	v_add_f32_e32 v60, 1.0, v59
	v_cvt_f64_f32_e32 v[57:58], v60
	s_delay_alu instid0(VALU_DEP_1) | instskip(SKIP_1) | instid1(VALU_DEP_1)
	v_frexp_exp_i32_f64_e32 v57, v[57:58]
	v_frexp_mant_f32_e32 v58, v60
	v_cmp_gt_f32_e32 vcc_lo, 0x3f2aaaab, v58
	v_add_f32_e32 v58, -1.0, v60
	s_delay_alu instid0(VALU_DEP_1) | instskip(SKIP_4) | instid1(VALU_DEP_2)
	v_sub_f32_e32 v62, v58, v60
	v_sub_f32_e32 v58, v59, v58
	s_wait_alu 0xfffd
	v_subrev_co_ci_u32_e64 v57, null, 0, v57, vcc_lo
	v_cmp_neq_f32_e32 vcc_lo, 0x7f800000, v59
	v_sub_nc_u32_e32 v61, 0, v57
	v_cvt_f32_i32_e32 v57, v57
	s_delay_alu instid0(VALU_DEP_2) | instskip(NEXT) | instid1(VALU_DEP_1)
	v_ldexp_f32 v60, v60, v61
	v_dual_add_f32 v63, 1.0, v60 :: v_dual_add_f32 v62, 1.0, v62
	s_delay_alu instid0(VALU_DEP_1) | instskip(NEXT) | instid1(VALU_DEP_2)
	v_add_f32_e32 v58, v58, v62
	v_add_f32_e32 v62, -1.0, v63
	s_delay_alu instid0(VALU_DEP_2) | instskip(NEXT) | instid1(VALU_DEP_2)
	v_ldexp_f32 v58, v58, v61
	v_dual_add_f32 v61, -1.0, v60 :: v_dual_sub_f32 v62, v60, v62
	s_delay_alu instid0(VALU_DEP_1) | instskip(NEXT) | instid1(VALU_DEP_2)
	v_add_f32_e32 v64, 1.0, v61
	v_add_f32_e32 v62, v58, v62
	s_delay_alu instid0(VALU_DEP_2) | instskip(NEXT) | instid1(VALU_DEP_2)
	v_sub_f32_e32 v60, v60, v64
	v_add_f32_e32 v64, v63, v62
	s_delay_alu instid0(VALU_DEP_2) | instskip(NEXT) | instid1(VALU_DEP_2)
	v_add_f32_e32 v58, v58, v60
	v_rcp_f32_e32 v60, v64
	v_sub_f32_e32 v63, v63, v64
	s_delay_alu instid0(VALU_DEP_1) | instskip(NEXT) | instid1(VALU_DEP_1)
	v_dual_add_f32 v65, v61, v58 :: v_dual_add_f32 v62, v62, v63
	v_sub_f32_e32 v61, v61, v65
	s_delay_alu instid0(TRANS32_DEP_1) | instskip(NEXT) | instid1(VALU_DEP_1)
	v_mul_f32_e32 v66, v65, v60
	v_dual_add_f32 v58, v58, v61 :: v_dual_mul_f32 v67, v64, v66
	s_delay_alu instid0(VALU_DEP_1) | instskip(NEXT) | instid1(VALU_DEP_1)
	v_fma_f32 v63, v66, v64, -v67
	v_fmac_f32_e32 v63, v66, v62
	s_delay_alu instid0(VALU_DEP_1) | instskip(NEXT) | instid1(VALU_DEP_1)
	v_add_f32_e32 v68, v67, v63
	v_sub_f32_e32 v69, v65, v68
	v_sub_f32_e32 v61, v68, v67
	s_delay_alu instid0(VALU_DEP_2) | instskip(NEXT) | instid1(VALU_DEP_2)
	v_sub_f32_e32 v65, v65, v69
	v_sub_f32_e32 v61, v61, v63
	s_delay_alu instid0(VALU_DEP_2) | instskip(NEXT) | instid1(VALU_DEP_1)
	v_sub_f32_e32 v65, v65, v68
	v_add_f32_e32 v58, v58, v65
	s_delay_alu instid0(VALU_DEP_1) | instskip(NEXT) | instid1(VALU_DEP_1)
	v_add_f32_e32 v58, v61, v58
	v_add_f32_e32 v61, v69, v58
	s_delay_alu instid0(VALU_DEP_1) | instskip(NEXT) | instid1(VALU_DEP_1)
	v_mul_f32_e32 v63, v60, v61
	v_dual_sub_f32 v68, v69, v61 :: v_dual_mul_f32 v65, v64, v63
	s_delay_alu instid0(VALU_DEP_1) | instskip(NEXT) | instid1(VALU_DEP_2)
	v_add_f32_e32 v58, v58, v68
	v_fma_f32 v64, v63, v64, -v65
	s_delay_alu instid0(VALU_DEP_1) | instskip(NEXT) | instid1(VALU_DEP_1)
	v_fmac_f32_e32 v64, v63, v62
	v_add_f32_e32 v62, v65, v64
	s_delay_alu instid0(VALU_DEP_1) | instskip(SKIP_1) | instid1(VALU_DEP_2)
	v_sub_f32_e32 v67, v61, v62
	v_sub_f32_e32 v65, v62, v65
	;; [unrolled: 1-line block ×3, first 2 shown]
	s_delay_alu instid0(VALU_DEP_1) | instskip(NEXT) | instid1(VALU_DEP_3)
	v_sub_f32_e32 v61, v61, v62
	v_sub_f32_e32 v62, v65, v64
	s_delay_alu instid0(VALU_DEP_2) | instskip(SKIP_1) | instid1(VALU_DEP_2)
	v_add_f32_e32 v58, v58, v61
	v_add_f32_e32 v61, v66, v63
	;; [unrolled: 1-line block ×3, first 2 shown]
	s_delay_alu instid0(VALU_DEP_2) | instskip(NEXT) | instid1(VALU_DEP_2)
	v_sub_f32_e32 v62, v61, v66
	v_add_f32_e32 v58, v67, v58
	s_delay_alu instid0(VALU_DEP_2) | instskip(NEXT) | instid1(VALU_DEP_2)
	v_sub_f32_e32 v62, v63, v62
	v_mul_f32_e32 v58, v60, v58
	s_delay_alu instid0(VALU_DEP_1) | instskip(NEXT) | instid1(VALU_DEP_1)
	v_add_f32_e32 v58, v62, v58
	v_add_f32_e32 v60, v61, v58
	s_delay_alu instid0(VALU_DEP_1) | instskip(NEXT) | instid1(VALU_DEP_1)
	v_mul_f32_e32 v62, v60, v60
	v_fmaak_f32 v63, s22, v62, 0x3ecc95a3
	v_mul_f32_e32 v64, v60, v62
	s_delay_alu instid0(VALU_DEP_2) | instskip(SKIP_2) | instid1(VALU_DEP_3)
	v_fmaak_f32 v62, v62, v63, 0x3f2aaada
	v_ldexp_f32 v63, v60, 1
	v_sub_f32_e32 v60, v60, v61
	v_mul_f32_e32 v62, v64, v62
	v_mul_f32_e32 v64, 0x3f317218, v57
	s_delay_alu instid0(VALU_DEP_2) | instskip(NEXT) | instid1(VALU_DEP_1)
	v_dual_sub_f32 v58, v58, v60 :: v_dual_add_f32 v61, v63, v62
	v_ldexp_f32 v58, v58, 1
	s_delay_alu instid0(VALU_DEP_2) | instskip(NEXT) | instid1(VALU_DEP_4)
	v_sub_f32_e32 v60, v61, v63
	v_fma_f32 v63, 0x3f317218, v57, -v64
	s_delay_alu instid0(VALU_DEP_1) | instskip(NEXT) | instid1(VALU_DEP_1)
	v_dual_sub_f32 v60, v62, v60 :: v_dual_fmac_f32 v63, 0xb102e308, v57
	v_dual_add_f32 v57, v58, v60 :: v_dual_add_f32 v58, v64, v63
	s_delay_alu instid0(VALU_DEP_1) | instskip(NEXT) | instid1(VALU_DEP_2)
	v_add_f32_e32 v60, v61, v57
	v_sub_f32_e32 v64, v58, v64
	s_delay_alu instid0(VALU_DEP_2) | instskip(NEXT) | instid1(VALU_DEP_2)
	v_dual_add_f32 v62, v58, v60 :: v_dual_sub_f32 v61, v60, v61
	v_sub_f32_e32 v63, v63, v64
	s_delay_alu instid0(VALU_DEP_2) | instskip(NEXT) | instid1(VALU_DEP_3)
	v_sub_f32_e32 v65, v62, v58
	v_sub_f32_e32 v57, v57, v61
	s_delay_alu instid0(VALU_DEP_2) | instskip(SKIP_1) | instid1(VALU_DEP_2)
	v_sub_f32_e32 v66, v62, v65
	v_sub_f32_e32 v60, v60, v65
	v_dual_add_f32 v61, v63, v57 :: v_dual_sub_f32 v58, v58, v66
	s_delay_alu instid0(VALU_DEP_1) | instskip(NEXT) | instid1(VALU_DEP_2)
	v_add_f32_e32 v58, v60, v58
	v_sub_f32_e32 v60, v61, v63
	s_delay_alu instid0(VALU_DEP_2) | instskip(NEXT) | instid1(VALU_DEP_2)
	v_add_f32_e32 v58, v61, v58
	v_sub_f32_e32 v61, v61, v60
	s_delay_alu instid0(VALU_DEP_2) | instskip(NEXT) | instid1(VALU_DEP_1)
	v_dual_sub_f32 v57, v57, v60 :: v_dual_add_f32 v64, v62, v58
	v_dual_sub_f32 v61, v63, v61 :: v_dual_sub_f32 v60, v64, v62
	s_delay_alu instid0(VALU_DEP_1) | instskip(NEXT) | instid1(VALU_DEP_1)
	v_dual_add_f32 v57, v57, v61 :: v_dual_sub_f32 v58, v58, v60
	v_add_f32_e32 v57, v57, v58
	s_delay_alu instid0(VALU_DEP_1) | instskip(SKIP_1) | instid1(VALU_DEP_1)
	v_add_f32_e32 v57, v64, v57
	s_wait_alu 0xfffd
	v_cndmask_b32_e32 v57, 0x7f800000, v57, vcc_lo
	v_cmp_gt_f32_e64 vcc_lo, 0x33800000, |v59|
	s_wait_alu 0xfffd
	s_delay_alu instid0(VALU_DEP_2) | instskip(NEXT) | instid1(VALU_DEP_1)
	v_cndmask_b32_e32 v57, v57, v59, vcc_lo
	v_add_f32_e32 v57, v5, v57
.LBB443_155:                            ;   in Loop: Header=BB443_135 Depth=1
	s_wait_alu 0xfffe
	s_or_b32 exec_lo, exec_lo, s25
	s_delay_alu instid0(VALU_DEP_1) | instskip(SKIP_1) | instid1(VALU_DEP_2)
	v_bfe_u32 v5, v57, 16, 1
	v_cmp_o_f32_e32 vcc_lo, v57, v57
	v_add3_u32 v5, v57, v5, 0x7fff
	s_delay_alu instid0(VALU_DEP_1) | instskip(SKIP_1) | instid1(VALU_DEP_1)
	v_lshrrev_b32_e32 v5, 16, v5
	s_wait_alu 0xfffd
	v_cndmask_b32_e32 v57, 0x7fc0, v5, vcc_lo
	s_delay_alu instid0(VALU_DEP_1)
	v_and_b32_e32 v5, 0xffff, v57
.LBB443_156:                            ;   in Loop: Header=BB443_135 Depth=1
	s_wait_alu 0xfffe
	s_or_b32 exec_lo, exec_lo, s23
	s_wait_dscnt 0x0
	ds_bpermute_b32 v58, v55, v5
	s_mov_b32 s23, exec_lo
	v_cmpx_le_u32_e64 v56, v4
	s_cbranch_execz .LBB443_160
; %bb.157:                              ;   in Loop: Header=BB443_135 Depth=1
	v_lshlrev_b32_e32 v4, 16, v5
	s_wait_dscnt 0x0
	v_lshlrev_b32_e32 v5, 16, v58
	s_delay_alu instid0(VALU_DEP_1) | instskip(SKIP_1) | instid1(VALU_DEP_2)
	v_dual_max_num_f32 v57, v4, v4 :: v_dual_max_num_f32 v58, v5, v5
	v_cmp_u_f32_e32 vcc_lo, v5, v5
	v_min_num_f32_e32 v59, v58, v57
	v_max_num_f32_e32 v57, v58, v57
	s_wait_alu 0xfffd
	s_delay_alu instid0(VALU_DEP_2) | instskip(NEXT) | instid1(VALU_DEP_2)
	v_cndmask_b32_e32 v58, v59, v5, vcc_lo
	v_cndmask_b32_e32 v59, v57, v5, vcc_lo
	v_cmp_u_f32_e32 vcc_lo, v4, v4
	s_wait_alu 0xfffd
	s_delay_alu instid0(VALU_DEP_3) | instskip(NEXT) | instid1(VALU_DEP_3)
	v_cndmask_b32_e32 v57, v58, v4, vcc_lo
	v_cndmask_b32_e32 v4, v59, v4, vcc_lo
	s_delay_alu instid0(VALU_DEP_2) | instskip(NEXT) | instid1(VALU_DEP_2)
	v_cmp_class_f32_e64 s25, v57, 0x1f8
	v_cmp_neq_f32_e32 vcc_lo, v57, v4
	s_or_b32 s26, vcc_lo, s25
	s_delay_alu instid0(SALU_CYCLE_1)
	s_and_saveexec_b32 s25, s26
	s_cbranch_execz .LBB443_159
; %bb.158:                              ;   in Loop: Header=BB443_135 Depth=1
	v_sub_f32_e32 v5, v57, v4
	s_delay_alu instid0(VALU_DEP_1) | instskip(SKIP_1) | instid1(VALU_DEP_2)
	v_mul_f32_e32 v57, 0x3fb8aa3b, v5
	v_cmp_ngt_f32_e32 vcc_lo, 0xc2ce8ed0, v5
	v_fma_f32 v58, 0x3fb8aa3b, v5, -v57
	v_rndne_f32_e32 v59, v57
	s_delay_alu instid0(VALU_DEP_1) | instskip(NEXT) | instid1(VALU_DEP_1)
	v_dual_fmac_f32 v58, 0x32a5705f, v5 :: v_dual_sub_f32 v57, v57, v59
	v_add_f32_e32 v57, v57, v58
	v_cvt_i32_f32_e32 v58, v59
	s_delay_alu instid0(VALU_DEP_2) | instskip(NEXT) | instid1(TRANS32_DEP_1)
	v_exp_f32_e32 v57, v57
	v_ldexp_f32 v57, v57, v58
	s_wait_alu 0xfffd
	s_delay_alu instid0(VALU_DEP_1) | instskip(SKIP_2) | instid1(VALU_DEP_2)
	v_cndmask_b32_e32 v57, 0, v57, vcc_lo
	v_cmp_nlt_f32_e32 vcc_lo, 0x42b17218, v5
	s_wait_alu 0xfffd
	v_cndmask_b32_e32 v5, 0x7f800000, v57, vcc_lo
	s_delay_alu instid0(VALU_DEP_1) | instskip(NEXT) | instid1(VALU_DEP_1)
	v_add_f32_e32 v59, 1.0, v5
	v_cvt_f64_f32_e32 v[57:58], v59
	s_delay_alu instid0(VALU_DEP_1) | instskip(SKIP_1) | instid1(VALU_DEP_1)
	v_frexp_exp_i32_f64_e32 v57, v[57:58]
	v_frexp_mant_f32_e32 v58, v59
	v_cmp_gt_f32_e32 vcc_lo, 0x3f2aaaab, v58
	v_add_f32_e32 v58, -1.0, v59
	s_delay_alu instid0(VALU_DEP_1) | instskip(SKIP_2) | instid1(VALU_DEP_1)
	v_dual_sub_f32 v61, v58, v59 :: v_dual_sub_f32 v58, v5, v58
	s_wait_alu 0xfffd
	v_subrev_co_ci_u32_e64 v57, null, 0, v57, vcc_lo
	v_sub_nc_u32_e32 v60, 0, v57
	v_cvt_f32_i32_e32 v57, v57
	s_delay_alu instid0(VALU_DEP_2) | instskip(NEXT) | instid1(VALU_DEP_1)
	v_ldexp_f32 v59, v59, v60
	v_dual_add_f32 v62, 1.0, v59 :: v_dual_add_f32 v61, 1.0, v61
	s_delay_alu instid0(VALU_DEP_1) | instskip(NEXT) | instid1(VALU_DEP_1)
	v_dual_add_f32 v58, v58, v61 :: v_dual_add_f32 v61, -1.0, v62
	v_ldexp_f32 v58, v58, v60
	s_delay_alu instid0(VALU_DEP_2) | instskip(NEXT) | instid1(VALU_DEP_1)
	v_dual_add_f32 v60, -1.0, v59 :: v_dual_sub_f32 v61, v59, v61
	v_add_f32_e32 v63, 1.0, v60
	s_delay_alu instid0(VALU_DEP_2) | instskip(NEXT) | instid1(VALU_DEP_2)
	v_add_f32_e32 v61, v58, v61
	v_sub_f32_e32 v59, v59, v63
	s_delay_alu instid0(VALU_DEP_1) | instskip(SKIP_1) | instid1(VALU_DEP_2)
	v_add_f32_e32 v58, v58, v59
	v_cmp_neq_f32_e32 vcc_lo, 0x7f800000, v5
	v_add_f32_e32 v64, v60, v58
	s_delay_alu instid0(VALU_DEP_1) | instskip(NEXT) | instid1(VALU_DEP_1)
	v_dual_sub_f32 v60, v60, v64 :: v_dual_add_f32 v63, v62, v61
	v_add_f32_e32 v58, v58, v60
	s_delay_alu instid0(VALU_DEP_2) | instskip(SKIP_1) | instid1(VALU_DEP_1)
	v_rcp_f32_e32 v59, v63
	v_sub_f32_e32 v62, v62, v63
	v_add_f32_e32 v61, v61, v62
	s_delay_alu instid0(TRANS32_DEP_1) | instskip(NEXT) | instid1(VALU_DEP_1)
	v_mul_f32_e32 v65, v64, v59
	v_mul_f32_e32 v66, v63, v65
	s_delay_alu instid0(VALU_DEP_1) | instskip(NEXT) | instid1(VALU_DEP_1)
	v_fma_f32 v62, v65, v63, -v66
	v_fmac_f32_e32 v62, v65, v61
	s_delay_alu instid0(VALU_DEP_1) | instskip(NEXT) | instid1(VALU_DEP_1)
	v_add_f32_e32 v67, v66, v62
	v_sub_f32_e32 v68, v64, v67
	v_sub_f32_e32 v60, v67, v66
	s_delay_alu instid0(VALU_DEP_2) | instskip(NEXT) | instid1(VALU_DEP_1)
	v_sub_f32_e32 v64, v64, v68
	v_sub_f32_e32 v64, v64, v67
	s_delay_alu instid0(VALU_DEP_3) | instskip(NEXT) | instid1(VALU_DEP_2)
	v_sub_f32_e32 v60, v60, v62
	v_add_f32_e32 v58, v58, v64
	s_delay_alu instid0(VALU_DEP_1) | instskip(NEXT) | instid1(VALU_DEP_1)
	v_add_f32_e32 v58, v60, v58
	v_add_f32_e32 v60, v68, v58
	s_delay_alu instid0(VALU_DEP_1) | instskip(NEXT) | instid1(VALU_DEP_1)
	v_mul_f32_e32 v62, v59, v60
	v_dual_sub_f32 v67, v68, v60 :: v_dual_mul_f32 v64, v63, v62
	s_delay_alu instid0(VALU_DEP_1) | instskip(NEXT) | instid1(VALU_DEP_2)
	v_add_f32_e32 v58, v58, v67
	v_fma_f32 v63, v62, v63, -v64
	s_delay_alu instid0(VALU_DEP_1) | instskip(NEXT) | instid1(VALU_DEP_1)
	v_fmac_f32_e32 v63, v62, v61
	v_add_f32_e32 v61, v64, v63
	s_delay_alu instid0(VALU_DEP_1) | instskip(NEXT) | instid1(VALU_DEP_1)
	v_sub_f32_e32 v66, v60, v61
	v_sub_f32_e32 v60, v60, v66
	s_delay_alu instid0(VALU_DEP_1) | instskip(NEXT) | instid1(VALU_DEP_1)
	v_sub_f32_e32 v60, v60, v61
	v_add_f32_e32 v58, v58, v60
	v_add_f32_e32 v60, v65, v62
	v_sub_f32_e32 v64, v61, v64
	s_delay_alu instid0(VALU_DEP_1) | instskip(NEXT) | instid1(VALU_DEP_1)
	v_sub_f32_e32 v61, v64, v63
	v_dual_add_f32 v58, v61, v58 :: v_dual_sub_f32 v61, v60, v65
	s_delay_alu instid0(VALU_DEP_1) | instskip(NEXT) | instid1(VALU_DEP_1)
	v_add_f32_e32 v58, v66, v58
	v_dual_sub_f32 v61, v62, v61 :: v_dual_mul_f32 v58, v59, v58
	s_delay_alu instid0(VALU_DEP_1) | instskip(NEXT) | instid1(VALU_DEP_1)
	v_add_f32_e32 v58, v61, v58
	v_add_f32_e32 v59, v60, v58
	s_delay_alu instid0(VALU_DEP_1) | instskip(NEXT) | instid1(VALU_DEP_1)
	v_mul_f32_e32 v61, v59, v59
	v_fmaak_f32 v62, s22, v61, 0x3ecc95a3
	v_mul_f32_e32 v63, v59, v61
	s_delay_alu instid0(VALU_DEP_2) | instskip(SKIP_1) | instid1(VALU_DEP_2)
	v_fmaak_f32 v61, v61, v62, 0x3f2aaada
	v_ldexp_f32 v62, v59, 1
	v_mul_f32_e32 v61, v63, v61
	v_mul_f32_e32 v63, 0x3f317218, v57
	s_delay_alu instid0(VALU_DEP_2) | instskip(NEXT) | instid1(VALU_DEP_1)
	v_dual_sub_f32 v59, v59, v60 :: v_dual_add_f32 v60, v62, v61
	v_dual_sub_f32 v58, v58, v59 :: v_dual_sub_f32 v59, v60, v62
	s_delay_alu instid0(VALU_DEP_3) | instskip(NEXT) | instid1(VALU_DEP_2)
	v_fma_f32 v62, 0x3f317218, v57, -v63
	v_ldexp_f32 v58, v58, 1
	s_delay_alu instid0(VALU_DEP_2) | instskip(NEXT) | instid1(VALU_DEP_1)
	v_dual_sub_f32 v59, v61, v59 :: v_dual_fmac_f32 v62, 0xb102e308, v57
	v_dual_add_f32 v57, v58, v59 :: v_dual_add_f32 v58, v63, v62
	s_delay_alu instid0(VALU_DEP_1) | instskip(NEXT) | instid1(VALU_DEP_1)
	v_add_f32_e32 v59, v60, v57
	v_add_f32_e32 v61, v58, v59
	s_delay_alu instid0(VALU_DEP_1) | instskip(NEXT) | instid1(VALU_DEP_1)
	v_sub_f32_e32 v64, v61, v58
	v_sub_f32_e32 v65, v61, v64
	;; [unrolled: 1-line block ×3, first 2 shown]
	s_delay_alu instid0(VALU_DEP_1) | instskip(SKIP_1) | instid1(VALU_DEP_1)
	v_sub_f32_e32 v57, v57, v60
	v_sub_f32_e32 v63, v58, v63
	v_dual_sub_f32 v59, v59, v64 :: v_dual_sub_f32 v62, v62, v63
	s_delay_alu instid0(VALU_DEP_1) | instskip(SKIP_1) | instid1(VALU_DEP_1)
	v_add_f32_e32 v60, v62, v57
	v_sub_f32_e32 v58, v58, v65
	v_add_f32_e32 v58, v59, v58
	s_delay_alu instid0(VALU_DEP_3) | instskip(NEXT) | instid1(VALU_DEP_1)
	v_sub_f32_e32 v59, v60, v62
	v_dual_sub_f32 v57, v57, v59 :: v_dual_add_f32 v58, v60, v58
	s_delay_alu instid0(VALU_DEP_1) | instskip(NEXT) | instid1(VALU_DEP_1)
	v_dual_sub_f32 v60, v60, v59 :: v_dual_add_f32 v63, v61, v58
	v_dual_sub_f32 v59, v63, v61 :: v_dual_sub_f32 v60, v62, v60
	s_delay_alu instid0(VALU_DEP_1) | instskip(NEXT) | instid1(VALU_DEP_1)
	v_dual_sub_f32 v58, v58, v59 :: v_dual_add_f32 v57, v57, v60
	v_add_f32_e32 v57, v57, v58
	s_delay_alu instid0(VALU_DEP_1) | instskip(SKIP_1) | instid1(VALU_DEP_1)
	v_add_f32_e32 v57, v63, v57
	s_wait_alu 0xfffd
	v_cndmask_b32_e32 v57, 0x7f800000, v57, vcc_lo
	v_cmp_gt_f32_e64 vcc_lo, 0x33800000, |v5|
	s_wait_alu 0xfffd
	s_delay_alu instid0(VALU_DEP_2) | instskip(NEXT) | instid1(VALU_DEP_1)
	v_cndmask_b32_e32 v5, v57, v5, vcc_lo
	v_add_f32_e32 v5, v4, v5
.LBB443_159:                            ;   in Loop: Header=BB443_135 Depth=1
	s_wait_alu 0xfffe
	s_or_b32 exec_lo, exec_lo, s25
	s_delay_alu instid0(VALU_DEP_1) | instskip(SKIP_1) | instid1(VALU_DEP_2)
	v_bfe_u32 v4, v5, 16, 1
	v_cmp_o_f32_e32 vcc_lo, v5, v5
	v_add3_u32 v4, v5, v4, 0x7fff
	s_delay_alu instid0(VALU_DEP_1) | instskip(SKIP_1) | instid1(VALU_DEP_1)
	v_lshrrev_b32_e32 v4, 16, v4
	s_wait_alu 0xfffd
	v_cndmask_b32_e32 v57, 0x7fc0, v4, vcc_lo
.LBB443_160:                            ;   in Loop: Header=BB443_135 Depth=1
	s_wait_alu 0xfffe
	s_or_b32 exec_lo, exec_lo, s23
	s_delay_alu instid0(VALU_DEP_1) | instskip(SKIP_1) | instid1(VALU_DEP_1)
	v_lshlrev_b32_e32 v5, 16, v57
	s_wait_dscnt 0x0
	v_max_num_f32_e32 v58, v5, v5
	v_lshlrev_b32_e32 v4, 16, v54
	v_cmp_u_f32_e32 vcc_lo, v5, v5
	s_delay_alu instid0(VALU_DEP_2) | instskip(NEXT) | instid1(VALU_DEP_1)
	v_max_num_f32_e32 v57, v4, v4
	v_min_num_f32_e32 v59, v58, v57
	v_max_num_f32_e32 v57, v58, v57
	s_wait_alu 0xfffd
	s_delay_alu instid0(VALU_DEP_2) | instskip(NEXT) | instid1(VALU_DEP_2)
	v_cndmask_b32_e32 v58, v59, v5, vcc_lo
	v_cndmask_b32_e32 v59, v57, v5, vcc_lo
	v_cmp_u_f32_e32 vcc_lo, v4, v4
	s_wait_alu 0xfffd
	s_delay_alu instid0(VALU_DEP_3) | instskip(NEXT) | instid1(VALU_DEP_3)
	v_cndmask_b32_e32 v57, v58, v4, vcc_lo
	v_cndmask_b32_e32 v4, v59, v4, vcc_lo
	s_delay_alu instid0(VALU_DEP_2) | instskip(NEXT) | instid1(VALU_DEP_2)
	v_cmp_class_f32_e64 s23, v57, 0x1f8
	v_cmp_neq_f32_e32 vcc_lo, v57, v4
	s_or_b32 s25, vcc_lo, s23
	s_wait_alu 0xfffe
	s_and_saveexec_b32 s23, s25
	s_cbranch_execz .LBB443_133
; %bb.161:                              ;   in Loop: Header=BB443_135 Depth=1
	v_sub_f32_e32 v5, v57, v4
	s_delay_alu instid0(VALU_DEP_1) | instskip(SKIP_1) | instid1(VALU_DEP_2)
	v_mul_f32_e32 v57, 0x3fb8aa3b, v5
	v_cmp_ngt_f32_e32 vcc_lo, 0xc2ce8ed0, v5
	v_fma_f32 v58, 0x3fb8aa3b, v5, -v57
	v_rndne_f32_e32 v59, v57
	s_delay_alu instid0(VALU_DEP_1) | instskip(NEXT) | instid1(VALU_DEP_1)
	v_dual_fmac_f32 v58, 0x32a5705f, v5 :: v_dual_sub_f32 v57, v57, v59
	v_add_f32_e32 v57, v57, v58
	v_cvt_i32_f32_e32 v58, v59
	s_delay_alu instid0(VALU_DEP_2) | instskip(NEXT) | instid1(TRANS32_DEP_1)
	v_exp_f32_e32 v57, v57
	v_ldexp_f32 v57, v57, v58
	s_wait_alu 0xfffd
	s_delay_alu instid0(VALU_DEP_1) | instskip(SKIP_2) | instid1(VALU_DEP_2)
	v_cndmask_b32_e32 v57, 0, v57, vcc_lo
	v_cmp_nlt_f32_e32 vcc_lo, 0x42b17218, v5
	s_wait_alu 0xfffd
	v_cndmask_b32_e32 v5, 0x7f800000, v57, vcc_lo
	s_delay_alu instid0(VALU_DEP_1) | instskip(NEXT) | instid1(VALU_DEP_1)
	v_add_f32_e32 v59, 1.0, v5
	v_cvt_f64_f32_e32 v[57:58], v59
	s_delay_alu instid0(VALU_DEP_1) | instskip(SKIP_1) | instid1(VALU_DEP_1)
	v_frexp_exp_i32_f64_e32 v57, v[57:58]
	v_frexp_mant_f32_e32 v58, v59
	v_cmp_gt_f32_e32 vcc_lo, 0x3f2aaaab, v58
	v_add_f32_e32 v58, -1.0, v59
	s_delay_alu instid0(VALU_DEP_1) | instskip(SKIP_2) | instid1(VALU_DEP_1)
	v_dual_sub_f32 v61, v58, v59 :: v_dual_sub_f32 v58, v5, v58
	s_wait_alu 0xfffd
	v_subrev_co_ci_u32_e64 v57, null, 0, v57, vcc_lo
	v_sub_nc_u32_e32 v60, 0, v57
	v_cvt_f32_i32_e32 v57, v57
	s_delay_alu instid0(VALU_DEP_2) | instskip(NEXT) | instid1(VALU_DEP_1)
	v_ldexp_f32 v59, v59, v60
	v_dual_add_f32 v62, 1.0, v59 :: v_dual_add_f32 v61, 1.0, v61
	s_delay_alu instid0(VALU_DEP_1) | instskip(NEXT) | instid1(VALU_DEP_1)
	v_dual_add_f32 v58, v58, v61 :: v_dual_add_f32 v61, -1.0, v62
	v_ldexp_f32 v58, v58, v60
	s_delay_alu instid0(VALU_DEP_2) | instskip(NEXT) | instid1(VALU_DEP_1)
	v_dual_add_f32 v60, -1.0, v59 :: v_dual_sub_f32 v61, v59, v61
	v_add_f32_e32 v63, 1.0, v60
	s_delay_alu instid0(VALU_DEP_2) | instskip(NEXT) | instid1(VALU_DEP_2)
	v_add_f32_e32 v61, v58, v61
	v_sub_f32_e32 v59, v59, v63
	s_delay_alu instid0(VALU_DEP_1) | instskip(SKIP_1) | instid1(VALU_DEP_2)
	v_add_f32_e32 v58, v58, v59
	v_cmp_neq_f32_e32 vcc_lo, 0x7f800000, v5
	v_add_f32_e32 v64, v60, v58
	s_delay_alu instid0(VALU_DEP_1) | instskip(NEXT) | instid1(VALU_DEP_1)
	v_dual_sub_f32 v60, v60, v64 :: v_dual_add_f32 v63, v62, v61
	v_add_f32_e32 v58, v58, v60
	s_delay_alu instid0(VALU_DEP_2) | instskip(SKIP_1) | instid1(VALU_DEP_1)
	v_rcp_f32_e32 v59, v63
	v_sub_f32_e32 v62, v62, v63
	v_add_f32_e32 v61, v61, v62
	s_delay_alu instid0(TRANS32_DEP_1) | instskip(NEXT) | instid1(VALU_DEP_1)
	v_mul_f32_e32 v65, v64, v59
	v_mul_f32_e32 v66, v63, v65
	s_delay_alu instid0(VALU_DEP_1) | instskip(NEXT) | instid1(VALU_DEP_1)
	v_fma_f32 v62, v65, v63, -v66
	v_fmac_f32_e32 v62, v65, v61
	s_delay_alu instid0(VALU_DEP_1) | instskip(NEXT) | instid1(VALU_DEP_1)
	v_add_f32_e32 v67, v66, v62
	v_sub_f32_e32 v68, v64, v67
	v_sub_f32_e32 v60, v67, v66
	s_delay_alu instid0(VALU_DEP_2) | instskip(NEXT) | instid1(VALU_DEP_1)
	v_sub_f32_e32 v64, v64, v68
	v_sub_f32_e32 v64, v64, v67
	s_delay_alu instid0(VALU_DEP_3) | instskip(NEXT) | instid1(VALU_DEP_2)
	v_sub_f32_e32 v60, v60, v62
	v_add_f32_e32 v58, v58, v64
	s_delay_alu instid0(VALU_DEP_1) | instskip(NEXT) | instid1(VALU_DEP_1)
	v_add_f32_e32 v58, v60, v58
	v_add_f32_e32 v60, v68, v58
	s_delay_alu instid0(VALU_DEP_1) | instskip(NEXT) | instid1(VALU_DEP_1)
	v_mul_f32_e32 v62, v59, v60
	v_dual_sub_f32 v67, v68, v60 :: v_dual_mul_f32 v64, v63, v62
	s_delay_alu instid0(VALU_DEP_1) | instskip(NEXT) | instid1(VALU_DEP_2)
	v_add_f32_e32 v58, v58, v67
	v_fma_f32 v63, v62, v63, -v64
	s_delay_alu instid0(VALU_DEP_1) | instskip(NEXT) | instid1(VALU_DEP_1)
	v_fmac_f32_e32 v63, v62, v61
	v_add_f32_e32 v61, v64, v63
	s_delay_alu instid0(VALU_DEP_1) | instskip(NEXT) | instid1(VALU_DEP_1)
	v_sub_f32_e32 v66, v60, v61
	v_sub_f32_e32 v60, v60, v66
	s_delay_alu instid0(VALU_DEP_1) | instskip(NEXT) | instid1(VALU_DEP_1)
	v_sub_f32_e32 v60, v60, v61
	v_add_f32_e32 v58, v58, v60
	v_add_f32_e32 v60, v65, v62
	v_sub_f32_e32 v64, v61, v64
	s_delay_alu instid0(VALU_DEP_1) | instskip(NEXT) | instid1(VALU_DEP_1)
	v_sub_f32_e32 v61, v64, v63
	v_dual_add_f32 v58, v61, v58 :: v_dual_sub_f32 v61, v60, v65
	s_delay_alu instid0(VALU_DEP_1) | instskip(NEXT) | instid1(VALU_DEP_1)
	v_add_f32_e32 v58, v66, v58
	v_dual_sub_f32 v61, v62, v61 :: v_dual_mul_f32 v58, v59, v58
	s_delay_alu instid0(VALU_DEP_1) | instskip(NEXT) | instid1(VALU_DEP_1)
	v_add_f32_e32 v58, v61, v58
	v_add_f32_e32 v59, v60, v58
	s_delay_alu instid0(VALU_DEP_1) | instskip(NEXT) | instid1(VALU_DEP_1)
	v_mul_f32_e32 v61, v59, v59
	v_fmaak_f32 v62, s22, v61, 0x3ecc95a3
	v_mul_f32_e32 v63, v59, v61
	s_delay_alu instid0(VALU_DEP_2) | instskip(SKIP_1) | instid1(VALU_DEP_2)
	v_fmaak_f32 v61, v61, v62, 0x3f2aaada
	v_ldexp_f32 v62, v59, 1
	v_mul_f32_e32 v61, v63, v61
	v_mul_f32_e32 v63, 0x3f317218, v57
	s_delay_alu instid0(VALU_DEP_2) | instskip(NEXT) | instid1(VALU_DEP_1)
	v_dual_sub_f32 v59, v59, v60 :: v_dual_add_f32 v60, v62, v61
	v_dual_sub_f32 v58, v58, v59 :: v_dual_sub_f32 v59, v60, v62
	s_delay_alu instid0(VALU_DEP_3) | instskip(NEXT) | instid1(VALU_DEP_2)
	v_fma_f32 v62, 0x3f317218, v57, -v63
	v_ldexp_f32 v58, v58, 1
	s_delay_alu instid0(VALU_DEP_2) | instskip(NEXT) | instid1(VALU_DEP_1)
	v_dual_sub_f32 v59, v61, v59 :: v_dual_fmac_f32 v62, 0xb102e308, v57
	v_dual_add_f32 v57, v58, v59 :: v_dual_add_f32 v58, v63, v62
	s_delay_alu instid0(VALU_DEP_1) | instskip(NEXT) | instid1(VALU_DEP_1)
	v_add_f32_e32 v59, v60, v57
	v_add_f32_e32 v61, v58, v59
	s_delay_alu instid0(VALU_DEP_1) | instskip(NEXT) | instid1(VALU_DEP_1)
	v_sub_f32_e32 v64, v61, v58
	v_sub_f32_e32 v65, v61, v64
	;; [unrolled: 1-line block ×3, first 2 shown]
	s_delay_alu instid0(VALU_DEP_1) | instskip(SKIP_1) | instid1(VALU_DEP_1)
	v_sub_f32_e32 v57, v57, v60
	v_sub_f32_e32 v63, v58, v63
	v_dual_sub_f32 v59, v59, v64 :: v_dual_sub_f32 v62, v62, v63
	s_delay_alu instid0(VALU_DEP_1) | instskip(SKIP_1) | instid1(VALU_DEP_1)
	v_add_f32_e32 v60, v62, v57
	v_sub_f32_e32 v58, v58, v65
	v_add_f32_e32 v58, v59, v58
	s_delay_alu instid0(VALU_DEP_3) | instskip(NEXT) | instid1(VALU_DEP_1)
	v_sub_f32_e32 v59, v60, v62
	v_dual_sub_f32 v57, v57, v59 :: v_dual_add_f32 v58, v60, v58
	s_delay_alu instid0(VALU_DEP_1) | instskip(NEXT) | instid1(VALU_DEP_1)
	v_dual_sub_f32 v60, v60, v59 :: v_dual_add_f32 v63, v61, v58
	v_dual_sub_f32 v59, v63, v61 :: v_dual_sub_f32 v60, v62, v60
	s_delay_alu instid0(VALU_DEP_1) | instskip(NEXT) | instid1(VALU_DEP_1)
	v_dual_sub_f32 v58, v58, v59 :: v_dual_add_f32 v57, v57, v60
	v_add_f32_e32 v57, v57, v58
	s_delay_alu instid0(VALU_DEP_1) | instskip(SKIP_1) | instid1(VALU_DEP_1)
	v_add_f32_e32 v57, v63, v57
	s_wait_alu 0xfffd
	v_cndmask_b32_e32 v57, 0x7f800000, v57, vcc_lo
	v_cmp_gt_f32_e64 vcc_lo, 0x33800000, |v5|
	s_wait_alu 0xfffd
	s_delay_alu instid0(VALU_DEP_2) | instskip(NEXT) | instid1(VALU_DEP_1)
	v_cndmask_b32_e32 v5, v57, v5, vcc_lo
	v_add_f32_e32 v5, v4, v5
	s_branch .LBB443_133
.LBB443_162:
                                        ; implicit-def: $vgpr3
                                        ; implicit-def: $vgpr40
                                        ; implicit-def: $vgpr5
                                        ; implicit-def: $vgpr19
                                        ; implicit-def: $vgpr4
                                        ; implicit-def: $vgpr27
                                        ; implicit-def: $vgpr2
                                        ; implicit-def: $vgpr20
                                        ; implicit-def: $vgpr21
                                        ; implicit-def: $vgpr22
                                        ; implicit-def: $vgpr23
                                        ; implicit-def: $vgpr24
	s_load_b256 s[24:31], s[0:1], 0x38
	s_cbranch_execnz .LBB443_198
	s_branch .LBB443_305
.LBB443_163:
	s_and_saveexec_b32 s22, s16
	s_cbranch_execz .LBB443_167
; %bb.164:
	v_lshlrev_b32_e32 v3, 16, v54
	s_delay_alu instid0(VALU_DEP_1) | instskip(SKIP_1) | instid1(VALU_DEP_1)
	v_max_num_f32_e32 v5, v3, v3
	v_lshlrev_b32_e32 v2, 16, v43
	v_max_num_f32_e32 v4, v2, v2
	s_delay_alu instid0(VALU_DEP_1) | instskip(SKIP_3) | instid1(VALU_DEP_3)
	v_min_num_f32_e32 v43, v5, v4
	v_max_num_f32_e32 v4, v5, v4
	v_cmp_u_f32_e32 vcc_lo, v3, v3
	s_wait_alu 0xfffd
	v_cndmask_b32_e32 v5, v43, v3, vcc_lo
	s_delay_alu instid0(VALU_DEP_3) | instskip(SKIP_2) | instid1(VALU_DEP_3)
	v_cndmask_b32_e32 v43, v4, v3, vcc_lo
	v_cmp_u_f32_e32 vcc_lo, v2, v2
	s_wait_alu 0xfffd
	v_cndmask_b32_e32 v4, v5, v2, vcc_lo
	s_delay_alu instid0(VALU_DEP_3) | instskip(NEXT) | instid1(VALU_DEP_2)
	v_cndmask_b32_e32 v2, v43, v2, vcc_lo
	v_cmp_class_f32_e64 s16, v4, 0x1f8
	s_delay_alu instid0(VALU_DEP_2)
	v_cmp_neq_f32_e32 vcc_lo, v4, v2
	s_or_b32 s23, vcc_lo, s16
	s_wait_alu 0xfffe
	s_and_saveexec_b32 s16, s23
	s_cbranch_execz .LBB443_166
; %bb.165:
	v_sub_f32_e32 v3, v4, v2
	s_mov_b32 s23, 0x3e9b6dac
	s_delay_alu instid0(VALU_DEP_1) | instskip(SKIP_1) | instid1(VALU_DEP_2)
	v_mul_f32_e32 v4, 0x3fb8aa3b, v3
	v_cmp_ngt_f32_e32 vcc_lo, 0xc2ce8ed0, v3
	v_fma_f32 v5, 0x3fb8aa3b, v3, -v4
	v_rndne_f32_e32 v43, v4
	s_delay_alu instid0(VALU_DEP_1) | instskip(NEXT) | instid1(VALU_DEP_1)
	v_dual_fmamk_f32 v5, v3, 0x32a5705f, v5 :: v_dual_sub_f32 v4, v4, v43
	v_add_f32_e32 v4, v4, v5
	v_cvt_i32_f32_e32 v5, v43
	s_delay_alu instid0(VALU_DEP_2) | instskip(NEXT) | instid1(TRANS32_DEP_1)
	v_exp_f32_e32 v4, v4
	v_ldexp_f32 v4, v4, v5
	s_wait_alu 0xfffd
	s_delay_alu instid0(VALU_DEP_1) | instskip(SKIP_2) | instid1(VALU_DEP_2)
	v_cndmask_b32_e32 v4, 0, v4, vcc_lo
	v_cmp_nlt_f32_e32 vcc_lo, 0x42b17218, v3
	s_wait_alu 0xfffd
	v_cndmask_b32_e32 v5, 0x7f800000, v4, vcc_lo
	s_delay_alu instid0(VALU_DEP_1) | instskip(NEXT) | instid1(VALU_DEP_1)
	v_add_f32_e32 v43, 1.0, v5
	v_cvt_f64_f32_e32 v[3:4], v43
	s_delay_alu instid0(VALU_DEP_1) | instskip(SKIP_1) | instid1(VALU_DEP_1)
	v_frexp_exp_i32_f64_e32 v3, v[3:4]
	v_frexp_mant_f32_e32 v4, v43
	v_cmp_gt_f32_e32 vcc_lo, 0x3f2aaaab, v4
	v_add_f32_e32 v4, -1.0, v43
	s_delay_alu instid0(VALU_DEP_1) | instskip(SKIP_3) | instid1(VALU_DEP_2)
	v_dual_sub_f32 v45, v4, v43 :: v_dual_sub_f32 v4, v5, v4
	s_wait_alu 0xfffd
	v_subrev_co_ci_u32_e64 v3, null, 0, v3, vcc_lo
	v_cmp_neq_f32_e32 vcc_lo, 0x7f800000, v5
	v_sub_nc_u32_e32 v44, 0, v3
	v_cvt_f32_i32_e32 v3, v3
	s_delay_alu instid0(VALU_DEP_2) | instskip(NEXT) | instid1(VALU_DEP_1)
	v_ldexp_f32 v43, v43, v44
	v_dual_add_f32 v45, 1.0, v45 :: v_dual_add_f32 v46, 1.0, v43
	s_delay_alu instid0(VALU_DEP_1) | instskip(NEXT) | instid1(VALU_DEP_1)
	v_dual_add_f32 v4, v4, v45 :: v_dual_add_f32 v45, -1.0, v46
	v_ldexp_f32 v4, v4, v44
	s_delay_alu instid0(VALU_DEP_2) | instskip(NEXT) | instid1(VALU_DEP_1)
	v_dual_add_f32 v44, -1.0, v43 :: v_dual_sub_f32 v45, v43, v45
	v_add_f32_e32 v47, 1.0, v44
	s_delay_alu instid0(VALU_DEP_2) | instskip(NEXT) | instid1(VALU_DEP_2)
	v_add_f32_e32 v45, v4, v45
	v_sub_f32_e32 v43, v43, v47
	s_delay_alu instid0(VALU_DEP_1) | instskip(NEXT) | instid1(VALU_DEP_1)
	v_dual_add_f32 v47, v46, v45 :: v_dual_add_f32 v4, v4, v43
	v_rcp_f32_e32 v43, v47
	v_sub_f32_e32 v46, v46, v47
	s_delay_alu instid0(VALU_DEP_1) | instskip(NEXT) | instid1(VALU_DEP_1)
	v_dual_add_f32 v48, v44, v4 :: v_dual_add_f32 v45, v45, v46
	v_sub_f32_e32 v44, v44, v48
	s_delay_alu instid0(TRANS32_DEP_1) | instskip(NEXT) | instid1(VALU_DEP_2)
	v_mul_f32_e32 v49, v48, v43
	v_add_f32_e32 v4, v4, v44
	s_delay_alu instid0(VALU_DEP_2) | instskip(NEXT) | instid1(VALU_DEP_1)
	v_mul_f32_e32 v50, v47, v49
	v_fma_f32 v46, v49, v47, -v50
	s_delay_alu instid0(VALU_DEP_1) | instskip(NEXT) | instid1(VALU_DEP_1)
	v_fmac_f32_e32 v46, v49, v45
	v_add_f32_e32 v51, v50, v46
	s_delay_alu instid0(VALU_DEP_1) | instskip(SKIP_1) | instid1(VALU_DEP_2)
	v_sub_f32_e32 v52, v48, v51
	v_sub_f32_e32 v44, v51, v50
	;; [unrolled: 1-line block ×3, first 2 shown]
	s_delay_alu instid0(VALU_DEP_2) | instskip(NEXT) | instid1(VALU_DEP_2)
	v_sub_f32_e32 v44, v44, v46
	v_sub_f32_e32 v48, v48, v51
	s_delay_alu instid0(VALU_DEP_1) | instskip(NEXT) | instid1(VALU_DEP_1)
	v_add_f32_e32 v4, v4, v48
	v_add_f32_e32 v4, v44, v4
	s_delay_alu instid0(VALU_DEP_1) | instskip(NEXT) | instid1(VALU_DEP_1)
	v_add_f32_e32 v44, v52, v4
	v_mul_f32_e32 v46, v43, v44
	s_delay_alu instid0(VALU_DEP_1) | instskip(NEXT) | instid1(VALU_DEP_1)
	v_mul_f32_e32 v48, v47, v46
	v_fma_f32 v47, v46, v47, -v48
	s_delay_alu instid0(VALU_DEP_1) | instskip(SKIP_1) | instid1(VALU_DEP_2)
	v_fmac_f32_e32 v47, v46, v45
	v_sub_f32_e32 v51, v52, v44
	v_add_f32_e32 v45, v48, v47
	s_delay_alu instid0(VALU_DEP_2) | instskip(NEXT) | instid1(VALU_DEP_2)
	v_add_f32_e32 v4, v4, v51
	v_sub_f32_e32 v50, v44, v45
	v_sub_f32_e32 v48, v45, v48
	s_delay_alu instid0(VALU_DEP_2) | instskip(NEXT) | instid1(VALU_DEP_1)
	v_sub_f32_e32 v44, v44, v50
	v_sub_f32_e32 v44, v44, v45
	s_delay_alu instid0(VALU_DEP_3) | instskip(NEXT) | instid1(VALU_DEP_2)
	v_sub_f32_e32 v45, v48, v47
	v_add_f32_e32 v4, v4, v44
	v_add_f32_e32 v44, v49, v46
	s_delay_alu instid0(VALU_DEP_1) | instskip(NEXT) | instid1(VALU_DEP_1)
	v_dual_add_f32 v4, v45, v4 :: v_dual_sub_f32 v45, v44, v49
	v_add_f32_e32 v4, v50, v4
	s_delay_alu instid0(VALU_DEP_1) | instskip(NEXT) | instid1(VALU_DEP_1)
	v_dual_sub_f32 v45, v46, v45 :: v_dual_mul_f32 v4, v43, v4
	v_add_f32_e32 v4, v45, v4
	s_delay_alu instid0(VALU_DEP_1) | instskip(NEXT) | instid1(VALU_DEP_1)
	v_add_f32_e32 v43, v44, v4
	v_mul_f32_e32 v45, v43, v43
	s_wait_alu 0xfffe
	s_delay_alu instid0(VALU_DEP_1) | instskip(SKIP_1) | instid1(VALU_DEP_2)
	v_fmaak_f32 v46, s23, v45, 0x3ecc95a3
	v_mul_f32_e32 v47, v43, v45
	v_fmaak_f32 v45, v45, v46, 0x3f2aaada
	v_ldexp_f32 v46, v43, 1
	v_sub_f32_e32 v43, v43, v44
	s_delay_alu instid0(VALU_DEP_3) | instskip(SKIP_1) | instid1(VALU_DEP_3)
	v_mul_f32_e32 v45, v47, v45
	v_mul_f32_e32 v47, 0x3f317218, v3
	v_sub_f32_e32 v4, v4, v43
	s_delay_alu instid0(VALU_DEP_3) | instskip(NEXT) | instid1(VALU_DEP_2)
	v_add_f32_e32 v44, v46, v45
	v_ldexp_f32 v4, v4, 1
	s_delay_alu instid0(VALU_DEP_2) | instskip(SKIP_1) | instid1(VALU_DEP_2)
	v_sub_f32_e32 v43, v44, v46
	v_fma_f32 v46, 0x3f317218, v3, -v47
	v_sub_f32_e32 v43, v45, v43
	s_delay_alu instid0(VALU_DEP_1) | instskip(NEXT) | instid1(VALU_DEP_1)
	v_dual_fmamk_f32 v3, v3, 0xb102e308, v46 :: v_dual_add_f32 v4, v4, v43
	v_add_f32_e32 v43, v47, v3
	s_delay_alu instid0(VALU_DEP_2) | instskip(NEXT) | instid1(VALU_DEP_2)
	v_add_f32_e32 v45, v44, v4
	v_sub_f32_e32 v47, v43, v47
	s_delay_alu instid0(VALU_DEP_2) | instskip(NEXT) | instid1(VALU_DEP_2)
	v_add_f32_e32 v46, v43, v45
	v_sub_f32_e32 v3, v3, v47
	s_delay_alu instid0(VALU_DEP_2) | instskip(SKIP_1) | instid1(VALU_DEP_2)
	v_sub_f32_e32 v48, v46, v43
	v_sub_f32_e32 v44, v45, v44
	;; [unrolled: 1-line block ×3, first 2 shown]
	s_delay_alu instid0(VALU_DEP_2) | instskip(NEXT) | instid1(VALU_DEP_2)
	v_sub_f32_e32 v4, v4, v44
	v_dual_sub_f32 v44, v45, v48 :: v_dual_sub_f32 v43, v43, v49
	s_delay_alu instid0(VALU_DEP_2) | instskip(NEXT) | instid1(VALU_DEP_2)
	v_add_f32_e32 v45, v3, v4
	v_add_f32_e32 v43, v44, v43
	s_delay_alu instid0(VALU_DEP_2) | instskip(NEXT) | instid1(VALU_DEP_2)
	v_sub_f32_e32 v44, v45, v3
	v_add_f32_e32 v43, v45, v43
	s_delay_alu instid0(VALU_DEP_2) | instskip(NEXT) | instid1(VALU_DEP_2)
	v_sub_f32_e32 v45, v45, v44
	v_dual_sub_f32 v4, v4, v44 :: v_dual_add_f32 v47, v46, v43
	s_delay_alu instid0(VALU_DEP_2) | instskip(NEXT) | instid1(VALU_DEP_1)
	v_sub_f32_e32 v3, v3, v45
	v_dual_sub_f32 v44, v47, v46 :: v_dual_add_f32 v3, v4, v3
	s_delay_alu instid0(VALU_DEP_1) | instskip(NEXT) | instid1(VALU_DEP_1)
	v_sub_f32_e32 v4, v43, v44
	v_add_f32_e32 v3, v3, v4
	s_delay_alu instid0(VALU_DEP_1) | instskip(SKIP_1) | instid1(VALU_DEP_1)
	v_add_f32_e32 v3, v47, v3
	s_wait_alu 0xfffd
	v_cndmask_b32_e32 v3, 0x7f800000, v3, vcc_lo
	v_cmp_gt_f32_e64 vcc_lo, 0x33800000, |v5|
	s_wait_alu 0xfffd
	s_delay_alu instid0(VALU_DEP_2) | instskip(NEXT) | instid1(VALU_DEP_1)
	v_cndmask_b32_e32 v3, v3, v5, vcc_lo
	v_add_f32_e32 v3, v2, v3
.LBB443_166:
	s_or_b32 exec_lo, exec_lo, s16
	s_delay_alu instid0(VALU_DEP_1)
	v_bfe_u32 v2, v3, 16, 1
	v_cmp_o_f32_e32 vcc_lo, v3, v3
	s_add_co_i32 s26, ttmp9, 32
	s_mov_b32 s27, 0
	v_mov_b32_e32 v4, 0
	v_add3_u32 v2, v3, v2, 0x7fff
	s_lshl_b64 s[26:27], s[26:27], 2
	s_delay_alu instid0(SALU_CYCLE_1) | instskip(NEXT) | instid1(VALU_DEP_1)
	s_add_nc_u64 s[26:27], s[38:39], s[26:27]
	v_lshrrev_b32_e32 v2, 16, v2
	s_delay_alu instid0(VALU_DEP_1) | instskip(SKIP_1) | instid1(VALU_DEP_1)
	v_or_b32_e32 v2, 0x20000, v2
	s_wait_alu 0xfffd
	v_cndmask_b32_e32 v2, 0x27fc0, v2, vcc_lo
	global_store_b32 v4, v2, s[26:27] scope:SCOPE_DEV
.LBB443_167:
	s_wait_alu 0xfffe
	s_or_b32 exec_lo, exec_lo, s22
	s_delay_alu instid0(SALU_CYCLE_1)
	s_and_b32 exec_lo, exec_lo, s15
; %bb.168:
	v_mov_b32_e32 v2, 0
	ds_store_b16 v2, v54
.LBB443_169:
	s_or_b32 exec_lo, exec_lo, s24
	v_mov_b32_e32 v2, 0
	s_wait_storecnt 0x0
	s_wait_loadcnt_dscnt 0x0
	s_barrier_signal -1
	s_barrier_wait -1
	global_inv scope:SCOPE_SE
	ds_load_u16 v2, v2
	s_and_saveexec_b32 s15, s14
	s_cbranch_execz .LBB443_173
; %bb.170:
	v_lshlrev_b32_e32 v4, 16, v42
	s_delay_alu instid0(VALU_DEP_1) | instskip(NEXT) | instid1(VALU_DEP_1)
	v_max_num_f32_e32 v3, v4, v4
	v_min_num_f32_e32 v5, v3, v41
	v_max_num_f32_e32 v3, v3, v41
	v_cmp_u_f32_e32 vcc_lo, v4, v4
	s_wait_alu 0xfffd
	s_delay_alu instid0(VALU_DEP_3) | instskip(NEXT) | instid1(VALU_DEP_3)
	v_cndmask_b32_e32 v5, v5, v4, vcc_lo
	v_cndmask_b32_e32 v3, v3, v4, vcc_lo
	s_delay_alu instid0(VALU_DEP_2) | instskip(NEXT) | instid1(VALU_DEP_2)
	v_cndmask_b32_e64 v5, v5, v40, s13
	v_cndmask_b32_e64 v3, v3, v40, s13
	s_delay_alu instid0(VALU_DEP_2) | instskip(NEXT) | instid1(VALU_DEP_2)
	v_cmp_class_f32_e64 s13, v5, 0x1f8
	v_cmp_neq_f32_e32 vcc_lo, v5, v3
	s_or_b32 s14, vcc_lo, s13
	s_wait_alu 0xfffe
	s_and_saveexec_b32 s13, s14
	s_cbranch_execz .LBB443_172
; %bb.171:
	v_sub_f32_e32 v4, v5, v3
	s_mov_b32 s14, 0x3e9b6dac
	s_delay_alu instid0(VALU_DEP_1) | instskip(SKIP_1) | instid1(VALU_DEP_2)
	v_mul_f32_e32 v5, 0x3fb8aa3b, v4
	v_cmp_ngt_f32_e32 vcc_lo, 0xc2ce8ed0, v4
	v_fma_f32 v40, 0x3fb8aa3b, v4, -v5
	v_rndne_f32_e32 v41, v5
	s_delay_alu instid0(VALU_DEP_1) | instskip(NEXT) | instid1(VALU_DEP_1)
	v_dual_fmamk_f32 v40, v4, 0x32a5705f, v40 :: v_dual_sub_f32 v5, v5, v41
	v_add_f32_e32 v5, v5, v40
	v_cvt_i32_f32_e32 v40, v41
	s_delay_alu instid0(VALU_DEP_2) | instskip(NEXT) | instid1(TRANS32_DEP_1)
	v_exp_f32_e32 v5, v5
	v_ldexp_f32 v5, v5, v40
	s_wait_alu 0xfffd
	s_delay_alu instid0(VALU_DEP_1) | instskip(SKIP_2) | instid1(VALU_DEP_2)
	v_cndmask_b32_e32 v5, 0, v5, vcc_lo
	v_cmp_nlt_f32_e32 vcc_lo, 0x42b17218, v4
	s_wait_alu 0xfffd
	v_cndmask_b32_e32 v40, 0x7f800000, v5, vcc_lo
	s_delay_alu instid0(VALU_DEP_1) | instskip(NEXT) | instid1(VALU_DEP_1)
	v_add_f32_e32 v41, 1.0, v40
	v_cvt_f64_f32_e32 v[4:5], v41
	s_delay_alu instid0(VALU_DEP_1) | instskip(SKIP_1) | instid1(VALU_DEP_1)
	v_frexp_exp_i32_f64_e32 v4, v[4:5]
	v_frexp_mant_f32_e32 v5, v41
	v_cmp_gt_f32_e32 vcc_lo, 0x3f2aaaab, v5
	v_add_f32_e32 v5, -1.0, v41
	s_delay_alu instid0(VALU_DEP_1) | instskip(NEXT) | instid1(VALU_DEP_1)
	v_sub_f32_e32 v43, v5, v41
	v_add_f32_e32 v43, 1.0, v43
	v_sub_f32_e32 v5, v40, v5
	s_wait_alu 0xfffd
	v_subrev_co_ci_u32_e64 v4, null, 0, v4, vcc_lo
	v_cmp_neq_f32_e32 vcc_lo, 0x7f800000, v40
	s_delay_alu instid0(VALU_DEP_2) | instskip(SKIP_1) | instid1(VALU_DEP_2)
	v_sub_nc_u32_e32 v42, 0, v4
	v_cvt_f32_i32_e32 v4, v4
	v_ldexp_f32 v41, v41, v42
	s_delay_alu instid0(VALU_DEP_1) | instskip(NEXT) | instid1(VALU_DEP_1)
	v_dual_add_f32 v44, 1.0, v41 :: v_dual_add_f32 v5, v5, v43
	v_add_f32_e32 v43, -1.0, v44
	s_delay_alu instid0(VALU_DEP_2) | instskip(NEXT) | instid1(VALU_DEP_2)
	v_ldexp_f32 v5, v5, v42
	v_dual_add_f32 v42, -1.0, v41 :: v_dual_sub_f32 v43, v41, v43
	s_delay_alu instid0(VALU_DEP_1) | instskip(NEXT) | instid1(VALU_DEP_2)
	v_add_f32_e32 v45, 1.0, v42
	v_add_f32_e32 v43, v5, v43
	s_delay_alu instid0(VALU_DEP_2) | instskip(NEXT) | instid1(VALU_DEP_2)
	v_sub_f32_e32 v41, v41, v45
	v_add_f32_e32 v45, v44, v43
	s_delay_alu instid0(VALU_DEP_2) | instskip(NEXT) | instid1(VALU_DEP_2)
	v_add_f32_e32 v5, v5, v41
	v_rcp_f32_e32 v41, v45
	v_sub_f32_e32 v44, v44, v45
	s_delay_alu instid0(VALU_DEP_1) | instskip(NEXT) | instid1(VALU_DEP_1)
	v_dual_add_f32 v46, v42, v5 :: v_dual_add_f32 v43, v43, v44
	v_sub_f32_e32 v42, v42, v46
	s_delay_alu instid0(TRANS32_DEP_1) | instskip(NEXT) | instid1(VALU_DEP_2)
	v_mul_f32_e32 v47, v46, v41
	v_add_f32_e32 v5, v5, v42
	s_delay_alu instid0(VALU_DEP_2) | instskip(NEXT) | instid1(VALU_DEP_1)
	v_mul_f32_e32 v48, v45, v47
	v_fma_f32 v44, v47, v45, -v48
	s_delay_alu instid0(VALU_DEP_1) | instskip(NEXT) | instid1(VALU_DEP_1)
	v_fmac_f32_e32 v44, v47, v43
	v_add_f32_e32 v49, v48, v44
	s_delay_alu instid0(VALU_DEP_1) | instskip(SKIP_1) | instid1(VALU_DEP_2)
	v_sub_f32_e32 v50, v46, v49
	v_sub_f32_e32 v42, v49, v48
	;; [unrolled: 1-line block ×3, first 2 shown]
	s_delay_alu instid0(VALU_DEP_2) | instskip(NEXT) | instid1(VALU_DEP_2)
	v_sub_f32_e32 v42, v42, v44
	v_sub_f32_e32 v46, v46, v49
	s_delay_alu instid0(VALU_DEP_1) | instskip(NEXT) | instid1(VALU_DEP_1)
	v_add_f32_e32 v5, v5, v46
	v_add_f32_e32 v5, v42, v5
	s_delay_alu instid0(VALU_DEP_1) | instskip(NEXT) | instid1(VALU_DEP_1)
	v_add_f32_e32 v42, v50, v5
	v_mul_f32_e32 v44, v41, v42
	s_delay_alu instid0(VALU_DEP_1) | instskip(NEXT) | instid1(VALU_DEP_1)
	v_dual_sub_f32 v49, v50, v42 :: v_dual_mul_f32 v46, v45, v44
	v_add_f32_e32 v5, v5, v49
	s_delay_alu instid0(VALU_DEP_2) | instskip(NEXT) | instid1(VALU_DEP_1)
	v_fma_f32 v45, v44, v45, -v46
	v_fmac_f32_e32 v45, v44, v43
	s_delay_alu instid0(VALU_DEP_1) | instskip(NEXT) | instid1(VALU_DEP_1)
	v_add_f32_e32 v43, v46, v45
	v_sub_f32_e32 v48, v42, v43
	v_sub_f32_e32 v46, v43, v46
	s_delay_alu instid0(VALU_DEP_2) | instskip(NEXT) | instid1(VALU_DEP_1)
	v_sub_f32_e32 v42, v42, v48
	v_sub_f32_e32 v42, v42, v43
	s_delay_alu instid0(VALU_DEP_1) | instskip(NEXT) | instid1(VALU_DEP_4)
	v_dual_add_f32 v5, v5, v42 :: v_dual_add_f32 v42, v47, v44
	v_sub_f32_e32 v43, v46, v45
	s_delay_alu instid0(VALU_DEP_1) | instskip(NEXT) | instid1(VALU_DEP_3)
	v_add_f32_e32 v5, v43, v5
	v_sub_f32_e32 v43, v42, v47
	s_delay_alu instid0(VALU_DEP_2) | instskip(NEXT) | instid1(VALU_DEP_2)
	v_add_f32_e32 v5, v48, v5
	v_sub_f32_e32 v43, v44, v43
	s_delay_alu instid0(VALU_DEP_2) | instskip(NEXT) | instid1(VALU_DEP_1)
	v_mul_f32_e32 v5, v41, v5
	v_add_f32_e32 v5, v43, v5
	s_delay_alu instid0(VALU_DEP_1) | instskip(NEXT) | instid1(VALU_DEP_1)
	v_add_f32_e32 v41, v42, v5
	v_mul_f32_e32 v43, v41, v41
	s_wait_alu 0xfffe
	s_delay_alu instid0(VALU_DEP_1) | instskip(SKIP_1) | instid1(VALU_DEP_2)
	v_fmaak_f32 v44, s14, v43, 0x3ecc95a3
	v_mul_f32_e32 v45, v41, v43
	v_fmaak_f32 v43, v43, v44, 0x3f2aaada
	v_ldexp_f32 v44, v41, 1
	v_sub_f32_e32 v41, v41, v42
	s_delay_alu instid0(VALU_DEP_3) | instskip(SKIP_1) | instid1(VALU_DEP_2)
	v_mul_f32_e32 v43, v45, v43
	v_mul_f32_e32 v45, 0x3f317218, v4
	v_dual_sub_f32 v5, v5, v41 :: v_dual_add_f32 v42, v44, v43
	s_delay_alu instid0(VALU_DEP_1) | instskip(NEXT) | instid1(VALU_DEP_2)
	v_ldexp_f32 v5, v5, 1
	v_sub_f32_e32 v41, v42, v44
	s_delay_alu instid0(VALU_DEP_4) | instskip(NEXT) | instid1(VALU_DEP_1)
	v_fma_f32 v44, 0x3f317218, v4, -v45
	v_dual_sub_f32 v41, v43, v41 :: v_dual_fmamk_f32 v4, v4, 0xb102e308, v44
	s_delay_alu instid0(VALU_DEP_1) | instskip(NEXT) | instid1(VALU_DEP_2)
	v_add_f32_e32 v5, v5, v41
	v_add_f32_e32 v41, v45, v4
	s_delay_alu instid0(VALU_DEP_2) | instskip(NEXT) | instid1(VALU_DEP_2)
	v_add_f32_e32 v43, v42, v5
	v_sub_f32_e32 v45, v41, v45
	s_delay_alu instid0(VALU_DEP_2) | instskip(SKIP_1) | instid1(VALU_DEP_3)
	v_add_f32_e32 v44, v41, v43
	v_sub_f32_e32 v42, v43, v42
	v_sub_f32_e32 v4, v4, v45
	s_delay_alu instid0(VALU_DEP_2) | instskip(NEXT) | instid1(VALU_DEP_1)
	v_dual_sub_f32 v46, v44, v41 :: v_dual_sub_f32 v5, v5, v42
	v_sub_f32_e32 v47, v44, v46
	s_delay_alu instid0(VALU_DEP_2) | instskip(NEXT) | instid1(VALU_DEP_2)
	v_dual_sub_f32 v42, v43, v46 :: v_dual_add_f32 v43, v4, v5
	v_sub_f32_e32 v41, v41, v47
	s_delay_alu instid0(VALU_DEP_1) | instskip(NEXT) | instid1(VALU_DEP_1)
	v_dual_add_f32 v41, v42, v41 :: v_dual_sub_f32 v42, v43, v4
	v_add_f32_e32 v41, v43, v41
	s_delay_alu instid0(VALU_DEP_2) | instskip(SKIP_1) | instid1(VALU_DEP_3)
	v_sub_f32_e32 v43, v43, v42
	v_sub_f32_e32 v5, v5, v42
	v_add_f32_e32 v45, v44, v41
	s_delay_alu instid0(VALU_DEP_3) | instskip(NEXT) | instid1(VALU_DEP_2)
	v_sub_f32_e32 v4, v4, v43
	v_sub_f32_e32 v42, v45, v44
	s_delay_alu instid0(VALU_DEP_2) | instskip(NEXT) | instid1(VALU_DEP_2)
	v_add_f32_e32 v4, v5, v4
	v_sub_f32_e32 v5, v41, v42
	s_delay_alu instid0(VALU_DEP_1) | instskip(NEXT) | instid1(VALU_DEP_1)
	v_add_f32_e32 v4, v4, v5
	v_add_f32_e32 v4, v45, v4
	s_wait_alu 0xfffd
	s_delay_alu instid0(VALU_DEP_1) | instskip(SKIP_2) | instid1(VALU_DEP_2)
	v_cndmask_b32_e32 v4, 0x7f800000, v4, vcc_lo
	v_cmp_gt_f32_e64 vcc_lo, 0x33800000, |v40|
	s_wait_alu 0xfffd
	v_cndmask_b32_e32 v4, v4, v40, vcc_lo
	s_delay_alu instid0(VALU_DEP_1)
	v_add_f32_e32 v4, v3, v4
.LBB443_172:
	s_wait_alu 0xfffe
	s_or_b32 exec_lo, exec_lo, s13
	s_delay_alu instid0(VALU_DEP_1) | instskip(SKIP_1) | instid1(VALU_DEP_2)
	v_bfe_u32 v3, v4, 16, 1
	v_cmp_o_f32_e32 vcc_lo, v4, v4
	v_add3_u32 v3, v4, v3, 0x7fff
	s_delay_alu instid0(VALU_DEP_1) | instskip(SKIP_1) | instid1(VALU_DEP_1)
	v_and_b32_e32 v3, 0xffff0000, v3
	s_wait_alu 0xfffd
	v_cndmask_b32_e32 v40, 0x7fc00000, v3, vcc_lo
.LBB443_173:
	s_wait_alu 0xfffe
	s_or_b32 exec_lo, exec_lo, s15
	s_wait_dscnt 0x0
	s_delay_alu instid0(VALU_DEP_1) | instskip(NEXT) | instid1(VALU_DEP_1)
	v_dual_max_num_f32 v2, v40, v40 :: v_dual_lshlrev_b32 v3, 16, v2
	v_max_num_f32_e32 v4, v3, v3
	v_cmp_u_f32_e32 vcc_lo, v3, v3
	s_delay_alu instid0(VALU_DEP_2) | instskip(SKIP_2) | instid1(VALU_DEP_1)
	v_min_num_f32_e32 v5, v4, v2
	v_max_num_f32_e32 v2, v4, v2
	s_wait_alu 0xfffd
	v_cndmask_b32_e32 v2, v2, v3, vcc_lo
	s_delay_alu instid0(VALU_DEP_3) | instskip(SKIP_2) | instid1(VALU_DEP_2)
	v_cndmask_b32_e32 v4, v5, v3, vcc_lo
	v_cmp_u_f32_e32 vcc_lo, v40, v40
	s_wait_alu 0xfffd
	v_cndmask_b32_e32 v4, v4, v40, vcc_lo
	v_cndmask_b32_e32 v2, v2, v40, vcc_lo
	s_delay_alu instid0(VALU_DEP_2) | instskip(NEXT) | instid1(VALU_DEP_2)
	v_cmp_class_f32_e64 s13, v4, 0x1f8
	v_cmp_neq_f32_e32 vcc_lo, v4, v2
	s_or_b32 s14, vcc_lo, s13
	s_wait_alu 0xfffe
	s_and_saveexec_b32 s13, s14
	s_cbranch_execz .LBB443_175
; %bb.174:
	v_sub_f32_e32 v3, v4, v2
	s_mov_b32 s14, 0x3e9b6dac
	s_delay_alu instid0(VALU_DEP_1) | instskip(SKIP_1) | instid1(VALU_DEP_2)
	v_mul_f32_e32 v4, 0x3fb8aa3b, v3
	v_cmp_ngt_f32_e32 vcc_lo, 0xc2ce8ed0, v3
	v_fma_f32 v5, 0x3fb8aa3b, v3, -v4
	v_rndne_f32_e32 v40, v4
	s_delay_alu instid0(VALU_DEP_1) | instskip(NEXT) | instid1(VALU_DEP_1)
	v_dual_fmamk_f32 v5, v3, 0x32a5705f, v5 :: v_dual_sub_f32 v4, v4, v40
	v_add_f32_e32 v4, v4, v5
	v_cvt_i32_f32_e32 v5, v40
	s_delay_alu instid0(VALU_DEP_2) | instskip(NEXT) | instid1(TRANS32_DEP_1)
	v_exp_f32_e32 v4, v4
	v_ldexp_f32 v4, v4, v5
	s_wait_alu 0xfffd
	s_delay_alu instid0(VALU_DEP_1) | instskip(SKIP_2) | instid1(VALU_DEP_2)
	v_cndmask_b32_e32 v4, 0, v4, vcc_lo
	v_cmp_nlt_f32_e32 vcc_lo, 0x42b17218, v3
	s_wait_alu 0xfffd
	v_cndmask_b32_e32 v5, 0x7f800000, v4, vcc_lo
	s_delay_alu instid0(VALU_DEP_1) | instskip(NEXT) | instid1(VALU_DEP_1)
	v_add_f32_e32 v40, 1.0, v5
	v_cvt_f64_f32_e32 v[3:4], v40
	s_delay_alu instid0(VALU_DEP_1) | instskip(SKIP_1) | instid1(VALU_DEP_1)
	v_frexp_exp_i32_f64_e32 v3, v[3:4]
	v_frexp_mant_f32_e32 v4, v40
	v_cmp_gt_f32_e32 vcc_lo, 0x3f2aaaab, v4
	v_add_f32_e32 v4, -1.0, v40
	s_delay_alu instid0(VALU_DEP_1) | instskip(NEXT) | instid1(VALU_DEP_1)
	v_sub_f32_e32 v42, v4, v40
	v_add_f32_e32 v42, 1.0, v42
	v_sub_f32_e32 v4, v5, v4
	s_wait_alu 0xfffd
	v_subrev_co_ci_u32_e64 v3, null, 0, v3, vcc_lo
	v_cmp_neq_f32_e32 vcc_lo, 0x7f800000, v5
	s_delay_alu instid0(VALU_DEP_2) | instskip(SKIP_1) | instid1(VALU_DEP_2)
	v_sub_nc_u32_e32 v41, 0, v3
	v_cvt_f32_i32_e32 v3, v3
	v_ldexp_f32 v40, v40, v41
	s_delay_alu instid0(VALU_DEP_1) | instskip(NEXT) | instid1(VALU_DEP_1)
	v_dual_add_f32 v43, 1.0, v40 :: v_dual_add_f32 v4, v4, v42
	v_add_f32_e32 v42, -1.0, v43
	s_delay_alu instid0(VALU_DEP_2) | instskip(NEXT) | instid1(VALU_DEP_2)
	v_ldexp_f32 v4, v4, v41
	v_dual_add_f32 v41, -1.0, v40 :: v_dual_sub_f32 v42, v40, v42
	s_delay_alu instid0(VALU_DEP_1) | instskip(NEXT) | instid1(VALU_DEP_2)
	v_add_f32_e32 v44, 1.0, v41
	v_add_f32_e32 v42, v4, v42
	s_delay_alu instid0(VALU_DEP_2) | instskip(NEXT) | instid1(VALU_DEP_2)
	v_sub_f32_e32 v40, v40, v44
	v_add_f32_e32 v44, v43, v42
	s_delay_alu instid0(VALU_DEP_2) | instskip(NEXT) | instid1(VALU_DEP_2)
	v_add_f32_e32 v4, v4, v40
	v_rcp_f32_e32 v40, v44
	v_sub_f32_e32 v43, v43, v44
	s_delay_alu instid0(VALU_DEP_1) | instskip(NEXT) | instid1(VALU_DEP_1)
	v_dual_add_f32 v45, v41, v4 :: v_dual_add_f32 v42, v42, v43
	v_sub_f32_e32 v41, v41, v45
	s_delay_alu instid0(TRANS32_DEP_1) | instskip(NEXT) | instid1(VALU_DEP_2)
	v_mul_f32_e32 v46, v45, v40
	v_add_f32_e32 v4, v4, v41
	s_delay_alu instid0(VALU_DEP_2) | instskip(NEXT) | instid1(VALU_DEP_1)
	v_mul_f32_e32 v47, v44, v46
	v_fma_f32 v43, v46, v44, -v47
	s_delay_alu instid0(VALU_DEP_1) | instskip(NEXT) | instid1(VALU_DEP_1)
	v_fmac_f32_e32 v43, v46, v42
	v_add_f32_e32 v48, v47, v43
	s_delay_alu instid0(VALU_DEP_1) | instskip(SKIP_1) | instid1(VALU_DEP_2)
	v_sub_f32_e32 v49, v45, v48
	v_sub_f32_e32 v41, v48, v47
	v_sub_f32_e32 v45, v45, v49
	s_delay_alu instid0(VALU_DEP_2) | instskip(NEXT) | instid1(VALU_DEP_2)
	v_sub_f32_e32 v41, v41, v43
	v_sub_f32_e32 v45, v45, v48
	s_delay_alu instid0(VALU_DEP_1) | instskip(NEXT) | instid1(VALU_DEP_1)
	v_add_f32_e32 v4, v4, v45
	v_add_f32_e32 v4, v41, v4
	s_delay_alu instid0(VALU_DEP_1) | instskip(NEXT) | instid1(VALU_DEP_1)
	v_add_f32_e32 v41, v49, v4
	v_mul_f32_e32 v43, v40, v41
	s_delay_alu instid0(VALU_DEP_1) | instskip(NEXT) | instid1(VALU_DEP_1)
	v_dual_sub_f32 v48, v49, v41 :: v_dual_mul_f32 v45, v44, v43
	v_add_f32_e32 v4, v4, v48
	s_delay_alu instid0(VALU_DEP_2) | instskip(NEXT) | instid1(VALU_DEP_1)
	v_fma_f32 v44, v43, v44, -v45
	v_fmac_f32_e32 v44, v43, v42
	s_delay_alu instid0(VALU_DEP_1) | instskip(NEXT) | instid1(VALU_DEP_1)
	v_add_f32_e32 v42, v45, v44
	v_sub_f32_e32 v47, v41, v42
	v_sub_f32_e32 v45, v42, v45
	s_delay_alu instid0(VALU_DEP_2) | instskip(NEXT) | instid1(VALU_DEP_1)
	v_sub_f32_e32 v41, v41, v47
	v_sub_f32_e32 v41, v41, v42
	s_delay_alu instid0(VALU_DEP_1) | instskip(NEXT) | instid1(VALU_DEP_4)
	v_dual_add_f32 v4, v4, v41 :: v_dual_add_f32 v41, v46, v43
	v_sub_f32_e32 v42, v45, v44
	s_delay_alu instid0(VALU_DEP_1) | instskip(NEXT) | instid1(VALU_DEP_3)
	v_add_f32_e32 v4, v42, v4
	v_sub_f32_e32 v42, v41, v46
	s_delay_alu instid0(VALU_DEP_2) | instskip(NEXT) | instid1(VALU_DEP_2)
	v_add_f32_e32 v4, v47, v4
	v_sub_f32_e32 v42, v43, v42
	s_delay_alu instid0(VALU_DEP_2) | instskip(NEXT) | instid1(VALU_DEP_1)
	v_mul_f32_e32 v4, v40, v4
	v_add_f32_e32 v4, v42, v4
	s_delay_alu instid0(VALU_DEP_1) | instskip(NEXT) | instid1(VALU_DEP_1)
	v_add_f32_e32 v40, v41, v4
	v_mul_f32_e32 v42, v40, v40
	s_wait_alu 0xfffe
	s_delay_alu instid0(VALU_DEP_1) | instskip(SKIP_1) | instid1(VALU_DEP_2)
	v_fmaak_f32 v43, s14, v42, 0x3ecc95a3
	v_mul_f32_e32 v44, v40, v42
	v_fmaak_f32 v42, v42, v43, 0x3f2aaada
	v_ldexp_f32 v43, v40, 1
	v_sub_f32_e32 v40, v40, v41
	s_delay_alu instid0(VALU_DEP_3) | instskip(SKIP_1) | instid1(VALU_DEP_2)
	v_mul_f32_e32 v42, v44, v42
	v_mul_f32_e32 v44, 0x3f317218, v3
	v_dual_sub_f32 v4, v4, v40 :: v_dual_add_f32 v41, v43, v42
	s_delay_alu instid0(VALU_DEP_1) | instskip(NEXT) | instid1(VALU_DEP_2)
	v_ldexp_f32 v4, v4, 1
	v_sub_f32_e32 v40, v41, v43
	s_delay_alu instid0(VALU_DEP_4) | instskip(NEXT) | instid1(VALU_DEP_1)
	v_fma_f32 v43, 0x3f317218, v3, -v44
	v_dual_sub_f32 v40, v42, v40 :: v_dual_fmamk_f32 v3, v3, 0xb102e308, v43
	s_delay_alu instid0(VALU_DEP_1) | instskip(NEXT) | instid1(VALU_DEP_2)
	v_add_f32_e32 v4, v4, v40
	v_add_f32_e32 v40, v44, v3
	s_delay_alu instid0(VALU_DEP_2) | instskip(NEXT) | instid1(VALU_DEP_2)
	v_add_f32_e32 v42, v41, v4
	v_sub_f32_e32 v44, v40, v44
	s_delay_alu instid0(VALU_DEP_2) | instskip(SKIP_1) | instid1(VALU_DEP_3)
	v_add_f32_e32 v43, v40, v42
	v_sub_f32_e32 v41, v42, v41
	v_sub_f32_e32 v3, v3, v44
	s_delay_alu instid0(VALU_DEP_2) | instskip(NEXT) | instid1(VALU_DEP_1)
	v_dual_sub_f32 v45, v43, v40 :: v_dual_sub_f32 v4, v4, v41
	v_sub_f32_e32 v46, v43, v45
	s_delay_alu instid0(VALU_DEP_2) | instskip(NEXT) | instid1(VALU_DEP_2)
	v_dual_sub_f32 v41, v42, v45 :: v_dual_add_f32 v42, v3, v4
	v_sub_f32_e32 v40, v40, v46
	s_delay_alu instid0(VALU_DEP_1) | instskip(NEXT) | instid1(VALU_DEP_1)
	v_dual_add_f32 v40, v41, v40 :: v_dual_sub_f32 v41, v42, v3
	v_add_f32_e32 v40, v42, v40
	s_delay_alu instid0(VALU_DEP_2) | instskip(SKIP_1) | instid1(VALU_DEP_3)
	v_sub_f32_e32 v42, v42, v41
	v_sub_f32_e32 v4, v4, v41
	v_add_f32_e32 v44, v43, v40
	s_delay_alu instid0(VALU_DEP_3) | instskip(NEXT) | instid1(VALU_DEP_2)
	v_sub_f32_e32 v3, v3, v42
	v_sub_f32_e32 v41, v44, v43
	s_delay_alu instid0(VALU_DEP_2) | instskip(NEXT) | instid1(VALU_DEP_2)
	v_add_f32_e32 v3, v4, v3
	v_sub_f32_e32 v4, v40, v41
	s_delay_alu instid0(VALU_DEP_1) | instskip(NEXT) | instid1(VALU_DEP_1)
	v_add_f32_e32 v3, v3, v4
	v_add_f32_e32 v3, v44, v3
	s_wait_alu 0xfffd
	s_delay_alu instid0(VALU_DEP_1) | instskip(SKIP_2) | instid1(VALU_DEP_2)
	v_cndmask_b32_e32 v3, 0x7f800000, v3, vcc_lo
	v_cmp_gt_f32_e64 vcc_lo, 0x33800000, |v5|
	s_wait_alu 0xfffd
	v_cndmask_b32_e32 v3, v3, v5, vcc_lo
	s_delay_alu instid0(VALU_DEP_1)
	v_add_f32_e32 v3, v2, v3
.LBB443_175:
	s_wait_alu 0xfffe
	s_or_b32 exec_lo, exec_lo, s13
	s_delay_alu instid0(VALU_DEP_1) | instskip(SKIP_1) | instid1(VALU_DEP_2)
	v_bfe_u32 v2, v3, 16, 1
	v_cmp_o_f32_e32 vcc_lo, v3, v3
	v_add3_u32 v2, v3, v2, 0x7fff
	s_delay_alu instid0(VALU_DEP_1) | instskip(SKIP_1) | instid1(VALU_DEP_1)
	v_lshrrev_b32_e32 v2, 16, v2
	s_wait_alu 0xfffd
	v_cndmask_b32_e32 v3, 0x7fc0, v2, vcc_lo
	s_delay_alu instid0(VALU_DEP_1) | instskip(NEXT) | instid1(VALU_DEP_1)
	v_lshlrev_b32_e32 v4, 16, v3
	v_max_num_f32_e32 v2, v4, v4
	s_delay_alu instid0(VALU_DEP_1) | instskip(SKIP_3) | instid1(VALU_DEP_3)
	v_min_num_f32_e32 v5, v2, v20
	v_max_num_f32_e32 v2, v2, v20
	v_cmp_u_f32_e32 vcc_lo, v4, v4
	s_wait_alu 0xfffd
	v_cndmask_b32_e32 v5, v5, v4, vcc_lo
	s_delay_alu instid0(VALU_DEP_3) | instskip(NEXT) | instid1(VALU_DEP_2)
	v_cndmask_b32_e32 v2, v2, v4, vcc_lo
	v_cndmask_b32_e64 v5, v5, v6, s2
	s_delay_alu instid0(VALU_DEP_2) | instskip(NEXT) | instid1(VALU_DEP_2)
	v_cndmask_b32_e64 v2, v2, v6, s2
	v_cmp_class_f32_e64 s2, v5, 0x1f8
	s_delay_alu instid0(VALU_DEP_2)
	v_cmp_neq_f32_e32 vcc_lo, v5, v2
	s_or_b32 s13, vcc_lo, s2
	s_wait_alu 0xfffe
	s_and_saveexec_b32 s2, s13
	s_cbranch_execz .LBB443_177
; %bb.176:
	v_sub_f32_e32 v4, v5, v2
	s_mov_b32 s13, 0x3e9b6dac
	s_delay_alu instid0(VALU_DEP_1) | instskip(SKIP_1) | instid1(VALU_DEP_2)
	v_mul_f32_e32 v5, 0x3fb8aa3b, v4
	v_cmp_ngt_f32_e32 vcc_lo, 0xc2ce8ed0, v4
	v_fma_f32 v20, 0x3fb8aa3b, v4, -v5
	v_rndne_f32_e32 v40, v5
	s_delay_alu instid0(VALU_DEP_1) | instskip(NEXT) | instid1(VALU_DEP_1)
	v_dual_fmamk_f32 v20, v4, 0x32a5705f, v20 :: v_dual_sub_f32 v5, v5, v40
	v_add_f32_e32 v5, v5, v20
	v_cvt_i32_f32_e32 v20, v40
	s_delay_alu instid0(VALU_DEP_2) | instskip(NEXT) | instid1(TRANS32_DEP_1)
	v_exp_f32_e32 v5, v5
	v_ldexp_f32 v5, v5, v20
	s_wait_alu 0xfffd
	s_delay_alu instid0(VALU_DEP_1) | instskip(SKIP_2) | instid1(VALU_DEP_2)
	v_cndmask_b32_e32 v5, 0, v5, vcc_lo
	v_cmp_nlt_f32_e32 vcc_lo, 0x42b17218, v4
	s_wait_alu 0xfffd
	v_cndmask_b32_e32 v20, 0x7f800000, v5, vcc_lo
	s_delay_alu instid0(VALU_DEP_1) | instskip(NEXT) | instid1(VALU_DEP_1)
	v_add_f32_e32 v40, 1.0, v20
	v_cvt_f64_f32_e32 v[4:5], v40
	s_delay_alu instid0(VALU_DEP_1) | instskip(SKIP_1) | instid1(VALU_DEP_1)
	v_frexp_exp_i32_f64_e32 v4, v[4:5]
	v_frexp_mant_f32_e32 v5, v40
	v_cmp_gt_f32_e32 vcc_lo, 0x3f2aaaab, v5
	v_add_f32_e32 v5, -1.0, v40
	s_delay_alu instid0(VALU_DEP_1) | instskip(NEXT) | instid1(VALU_DEP_1)
	v_dual_sub_f32 v42, v5, v40 :: v_dual_sub_f32 v5, v20, v5
	v_add_f32_e32 v42, 1.0, v42
	s_delay_alu instid0(VALU_DEP_1) | instskip(SKIP_3) | instid1(VALU_DEP_2)
	v_add_f32_e32 v5, v5, v42
	s_wait_alu 0xfffd
	v_subrev_co_ci_u32_e64 v4, null, 0, v4, vcc_lo
	v_cmp_neq_f32_e32 vcc_lo, 0x7f800000, v20
	v_sub_nc_u32_e32 v41, 0, v4
	v_cvt_f32_i32_e32 v4, v4
	s_delay_alu instid0(VALU_DEP_2) | instskip(SKIP_1) | instid1(VALU_DEP_2)
	v_ldexp_f32 v40, v40, v41
	v_ldexp_f32 v5, v5, v41
	v_add_f32_e32 v43, 1.0, v40
	s_delay_alu instid0(VALU_DEP_1) | instskip(NEXT) | instid1(VALU_DEP_1)
	v_add_f32_e32 v42, -1.0, v43
	v_dual_sub_f32 v42, v40, v42 :: v_dual_add_f32 v41, -1.0, v40
	s_delay_alu instid0(VALU_DEP_1) | instskip(NEXT) | instid1(VALU_DEP_2)
	v_add_f32_e32 v42, v5, v42
	v_add_f32_e32 v44, 1.0, v41
	s_delay_alu instid0(VALU_DEP_1) | instskip(NEXT) | instid1(VALU_DEP_1)
	v_sub_f32_e32 v40, v40, v44
	v_dual_add_f32 v44, v43, v42 :: v_dual_add_f32 v5, v5, v40
	s_delay_alu instid0(VALU_DEP_1) | instskip(SKIP_1) | instid1(VALU_DEP_1)
	v_rcp_f32_e32 v40, v44
	v_sub_f32_e32 v43, v43, v44
	v_dual_add_f32 v45, v41, v5 :: v_dual_add_f32 v42, v42, v43
	s_delay_alu instid0(VALU_DEP_1) | instskip(NEXT) | instid1(TRANS32_DEP_1)
	v_sub_f32_e32 v41, v41, v45
	v_mul_f32_e32 v46, v45, v40
	s_delay_alu instid0(VALU_DEP_2) | instskip(NEXT) | instid1(VALU_DEP_2)
	v_add_f32_e32 v5, v5, v41
	v_mul_f32_e32 v47, v44, v46
	s_delay_alu instid0(VALU_DEP_1) | instskip(NEXT) | instid1(VALU_DEP_1)
	v_fma_f32 v43, v46, v44, -v47
	v_fmac_f32_e32 v43, v46, v42
	s_delay_alu instid0(VALU_DEP_1) | instskip(NEXT) | instid1(VALU_DEP_1)
	v_add_f32_e32 v48, v47, v43
	v_sub_f32_e32 v49, v45, v48
	v_sub_f32_e32 v41, v48, v47
	s_delay_alu instid0(VALU_DEP_2) | instskip(NEXT) | instid1(VALU_DEP_2)
	v_sub_f32_e32 v45, v45, v49
	v_sub_f32_e32 v41, v41, v43
	s_delay_alu instid0(VALU_DEP_2) | instskip(NEXT) | instid1(VALU_DEP_1)
	v_sub_f32_e32 v45, v45, v48
	v_add_f32_e32 v5, v5, v45
	s_delay_alu instid0(VALU_DEP_1) | instskip(NEXT) | instid1(VALU_DEP_1)
	v_add_f32_e32 v5, v41, v5
	v_add_f32_e32 v41, v49, v5
	s_delay_alu instid0(VALU_DEP_1) | instskip(NEXT) | instid1(VALU_DEP_1)
	v_mul_f32_e32 v43, v40, v41
	v_dual_sub_f32 v48, v49, v41 :: v_dual_mul_f32 v45, v44, v43
	s_delay_alu instid0(VALU_DEP_1) | instskip(NEXT) | instid1(VALU_DEP_2)
	v_add_f32_e32 v5, v5, v48
	v_fma_f32 v44, v43, v44, -v45
	s_delay_alu instid0(VALU_DEP_1) | instskip(NEXT) | instid1(VALU_DEP_1)
	v_fmac_f32_e32 v44, v43, v42
	v_add_f32_e32 v42, v45, v44
	s_delay_alu instid0(VALU_DEP_1) | instskip(SKIP_1) | instid1(VALU_DEP_2)
	v_sub_f32_e32 v47, v41, v42
	v_sub_f32_e32 v45, v42, v45
	v_sub_f32_e32 v41, v41, v47
	s_delay_alu instid0(VALU_DEP_1) | instskip(NEXT) | instid1(VALU_DEP_3)
	v_sub_f32_e32 v41, v41, v42
	v_sub_f32_e32 v42, v45, v44
	s_delay_alu instid0(VALU_DEP_2) | instskip(SKIP_1) | instid1(VALU_DEP_1)
	v_add_f32_e32 v5, v5, v41
	v_add_f32_e32 v41, v46, v43
	v_dual_add_f32 v5, v42, v5 :: v_dual_sub_f32 v42, v41, v46
	s_delay_alu instid0(VALU_DEP_1) | instskip(NEXT) | instid1(VALU_DEP_1)
	v_add_f32_e32 v5, v47, v5
	v_dual_sub_f32 v42, v43, v42 :: v_dual_mul_f32 v5, v40, v5
	s_delay_alu instid0(VALU_DEP_1) | instskip(NEXT) | instid1(VALU_DEP_1)
	v_add_f32_e32 v5, v42, v5
	v_add_f32_e32 v40, v41, v5
	s_delay_alu instid0(VALU_DEP_1) | instskip(SKIP_1) | instid1(VALU_DEP_1)
	v_mul_f32_e32 v42, v40, v40
	s_wait_alu 0xfffe
	v_fmaak_f32 v43, s13, v42, 0x3ecc95a3
	v_mul_f32_e32 v44, v40, v42
	s_delay_alu instid0(VALU_DEP_2) | instskip(SKIP_2) | instid1(VALU_DEP_3)
	v_fmaak_f32 v42, v42, v43, 0x3f2aaada
	v_ldexp_f32 v43, v40, 1
	v_sub_f32_e32 v40, v40, v41
	v_mul_f32_e32 v42, v44, v42
	v_mul_f32_e32 v44, 0x3f317218, v4
	s_delay_alu instid0(VALU_DEP_3) | instskip(NEXT) | instid1(VALU_DEP_3)
	v_sub_f32_e32 v5, v5, v40
	v_add_f32_e32 v41, v43, v42
	s_delay_alu instid0(VALU_DEP_2) | instskip(NEXT) | instid1(VALU_DEP_2)
	v_ldexp_f32 v5, v5, 1
	v_sub_f32_e32 v40, v41, v43
	v_fma_f32 v43, 0x3f317218, v4, -v44
	s_delay_alu instid0(VALU_DEP_2) | instskip(NEXT) | instid1(VALU_DEP_1)
	v_sub_f32_e32 v40, v42, v40
	v_dual_fmamk_f32 v4, v4, 0xb102e308, v43 :: v_dual_add_f32 v5, v5, v40
	s_delay_alu instid0(VALU_DEP_1) | instskip(NEXT) | instid1(VALU_DEP_2)
	v_add_f32_e32 v40, v44, v4
	v_add_f32_e32 v42, v41, v5
	s_delay_alu instid0(VALU_DEP_2) | instskip(NEXT) | instid1(VALU_DEP_2)
	v_sub_f32_e32 v44, v40, v44
	v_add_f32_e32 v43, v40, v42
	s_delay_alu instid0(VALU_DEP_2) | instskip(NEXT) | instid1(VALU_DEP_2)
	v_sub_f32_e32 v4, v4, v44
	v_sub_f32_e32 v45, v43, v40
	;; [unrolled: 1-line block ×3, first 2 shown]
	s_delay_alu instid0(VALU_DEP_2) | instskip(NEXT) | instid1(VALU_DEP_2)
	v_sub_f32_e32 v46, v43, v45
	v_sub_f32_e32 v5, v5, v41
	s_delay_alu instid0(VALU_DEP_2) | instskip(NEXT) | instid1(VALU_DEP_2)
	v_dual_sub_f32 v41, v42, v45 :: v_dual_sub_f32 v40, v40, v46
	v_add_f32_e32 v42, v4, v5
	s_delay_alu instid0(VALU_DEP_2) | instskip(NEXT) | instid1(VALU_DEP_2)
	v_add_f32_e32 v40, v41, v40
	v_sub_f32_e32 v41, v42, v4
	s_delay_alu instid0(VALU_DEP_2) | instskip(NEXT) | instid1(VALU_DEP_2)
	v_add_f32_e32 v40, v42, v40
	v_sub_f32_e32 v42, v42, v41
	s_delay_alu instid0(VALU_DEP_2) | instskip(NEXT) | instid1(VALU_DEP_2)
	v_dual_sub_f32 v5, v5, v41 :: v_dual_add_f32 v44, v43, v40
	v_sub_f32_e32 v4, v4, v42
	s_delay_alu instid0(VALU_DEP_1) | instskip(NEXT) | instid1(VALU_DEP_1)
	v_dual_sub_f32 v41, v44, v43 :: v_dual_add_f32 v4, v5, v4
	v_sub_f32_e32 v5, v40, v41
	s_delay_alu instid0(VALU_DEP_1) | instskip(NEXT) | instid1(VALU_DEP_1)
	v_add_f32_e32 v4, v4, v5
	v_add_f32_e32 v4, v44, v4
	s_wait_alu 0xfffd
	s_delay_alu instid0(VALU_DEP_1) | instskip(SKIP_2) | instid1(VALU_DEP_2)
	v_cndmask_b32_e32 v4, 0x7f800000, v4, vcc_lo
	v_cmp_gt_f32_e64 vcc_lo, 0x33800000, |v20|
	s_wait_alu 0xfffd
	v_cndmask_b32_e32 v4, v4, v20, vcc_lo
	s_delay_alu instid0(VALU_DEP_1)
	v_add_f32_e32 v4, v2, v4
.LBB443_177:
	s_wait_alu 0xfffe
	s_or_b32 exec_lo, exec_lo, s2
	s_delay_alu instid0(VALU_DEP_1) | instskip(SKIP_1) | instid1(VALU_DEP_2)
	v_bfe_u32 v2, v4, 16, 1
	v_cmp_o_f32_e32 vcc_lo, v4, v4
	v_add3_u32 v2, v4, v2, 0x7fff
	s_delay_alu instid0(VALU_DEP_1) | instskip(SKIP_1) | instid1(VALU_DEP_1)
	v_lshrrev_b32_e32 v2, 16, v2
	s_wait_alu 0xfffd
	v_cndmask_b32_e32 v40, 0x7fc0, v2, vcc_lo
	s_delay_alu instid0(VALU_DEP_1) | instskip(NEXT) | instid1(VALU_DEP_1)
	v_lshlrev_b32_e32 v4, 16, v40
	v_max_num_f32_e32 v2, v4, v4
	v_cmp_u_f32_e32 vcc_lo, v4, v4
	s_delay_alu instid0(VALU_DEP_2) | instskip(SKIP_1) | instid1(VALU_DEP_1)
	v_min_num_f32_e32 v5, v2, v23
	s_wait_alu 0xfffd
	v_dual_max_num_f32 v2, v2, v23 :: v_dual_cndmask_b32 v5, v5, v4
	s_delay_alu instid0(VALU_DEP_1) | instskip(NEXT) | instid1(VALU_DEP_2)
	v_cndmask_b32_e32 v2, v2, v4, vcc_lo
	v_cndmask_b32_e64 v5, v5, v19, s3
	s_delay_alu instid0(VALU_DEP_2) | instskip(NEXT) | instid1(VALU_DEP_2)
	v_cndmask_b32_e64 v2, v2, v19, s3
	v_cmp_class_f32_e64 s2, v5, 0x1f8
	s_delay_alu instid0(VALU_DEP_2)
	v_cmp_neq_f32_e32 vcc_lo, v5, v2
	s_or_b32 s3, vcc_lo, s2
	s_wait_alu 0xfffe
	s_and_saveexec_b32 s2, s3
	s_cbranch_execz .LBB443_179
; %bb.178:
	v_sub_f32_e32 v4, v5, v2
	s_mov_b32 s3, 0x3e9b6dac
	s_delay_alu instid0(VALU_DEP_1) | instskip(SKIP_1) | instid1(VALU_DEP_2)
	v_mul_f32_e32 v5, 0x3fb8aa3b, v4
	v_cmp_ngt_f32_e32 vcc_lo, 0xc2ce8ed0, v4
	v_fma_f32 v19, 0x3fb8aa3b, v4, -v5
	v_rndne_f32_e32 v20, v5
	s_delay_alu instid0(VALU_DEP_2) | instskip(NEXT) | instid1(VALU_DEP_2)
	v_fmamk_f32 v19, v4, 0x32a5705f, v19
	v_sub_f32_e32 v5, v5, v20
	s_delay_alu instid0(VALU_DEP_1) | instskip(SKIP_1) | instid1(VALU_DEP_2)
	v_add_f32_e32 v5, v5, v19
	v_cvt_i32_f32_e32 v19, v20
	v_exp_f32_e32 v5, v5
	s_delay_alu instid0(TRANS32_DEP_1) | instskip(SKIP_1) | instid1(VALU_DEP_1)
	v_ldexp_f32 v5, v5, v19
	s_wait_alu 0xfffd
	v_cndmask_b32_e32 v5, 0, v5, vcc_lo
	v_cmp_nlt_f32_e32 vcc_lo, 0x42b17218, v4
	s_wait_alu 0xfffd
	s_delay_alu instid0(VALU_DEP_2) | instskip(NEXT) | instid1(VALU_DEP_1)
	v_cndmask_b32_e32 v19, 0x7f800000, v5, vcc_lo
	v_add_f32_e32 v20, 1.0, v19
	s_delay_alu instid0(VALU_DEP_1) | instskip(NEXT) | instid1(VALU_DEP_1)
	v_cvt_f64_f32_e32 v[4:5], v20
	v_frexp_exp_i32_f64_e32 v4, v[4:5]
	v_frexp_mant_f32_e32 v5, v20
	s_delay_alu instid0(VALU_DEP_1) | instskip(SKIP_1) | instid1(VALU_DEP_1)
	v_cmp_gt_f32_e32 vcc_lo, 0x3f2aaaab, v5
	v_add_f32_e32 v5, -1.0, v20
	v_sub_f32_e32 v41, v5, v20
	v_sub_f32_e32 v5, v19, v5
	s_delay_alu instid0(VALU_DEP_2) | instskip(NEXT) | instid1(VALU_DEP_1)
	v_add_f32_e32 v41, 1.0, v41
	v_add_f32_e32 v5, v5, v41
	s_wait_alu 0xfffd
	v_subrev_co_ci_u32_e64 v4, null, 0, v4, vcc_lo
	s_delay_alu instid0(VALU_DEP_1) | instskip(SKIP_1) | instid1(VALU_DEP_2)
	v_sub_nc_u32_e32 v23, 0, v4
	v_cvt_f32_i32_e32 v4, v4
	v_ldexp_f32 v20, v20, v23
	v_ldexp_f32 v5, v5, v23
	s_delay_alu instid0(VALU_DEP_2) | instskip(SKIP_1) | instid1(VALU_DEP_2)
	v_add_f32_e32 v42, 1.0, v20
	v_add_f32_e32 v23, -1.0, v20
	v_add_f32_e32 v41, -1.0, v42
	s_delay_alu instid0(VALU_DEP_2) | instskip(NEXT) | instid1(VALU_DEP_2)
	v_add_f32_e32 v43, 1.0, v23
	v_sub_f32_e32 v41, v20, v41
	s_delay_alu instid0(VALU_DEP_1) | instskip(NEXT) | instid1(VALU_DEP_1)
	v_dual_sub_f32 v20, v20, v43 :: v_dual_add_f32 v41, v5, v41
	v_add_f32_e32 v5, v5, v20
	s_delay_alu instid0(VALU_DEP_2) | instskip(NEXT) | instid1(VALU_DEP_2)
	v_add_f32_e32 v43, v42, v41
	v_add_f32_e32 v44, v23, v5
	s_delay_alu instid0(VALU_DEP_2) | instskip(NEXT) | instid1(VALU_DEP_1)
	v_rcp_f32_e32 v20, v43
	v_dual_sub_f32 v42, v42, v43 :: v_dual_sub_f32 v23, v23, v44
	v_cmp_neq_f32_e32 vcc_lo, 0x7f800000, v19
	s_delay_alu instid0(VALU_DEP_2) | instskip(NEXT) | instid1(VALU_DEP_3)
	v_add_f32_e32 v41, v41, v42
	v_add_f32_e32 v5, v5, v23
	s_delay_alu instid0(TRANS32_DEP_1) | instskip(NEXT) | instid1(VALU_DEP_1)
	v_mul_f32_e32 v45, v44, v20
	v_mul_f32_e32 v46, v43, v45
	s_delay_alu instid0(VALU_DEP_1) | instskip(NEXT) | instid1(VALU_DEP_1)
	v_fma_f32 v42, v45, v43, -v46
	v_fmac_f32_e32 v42, v45, v41
	s_delay_alu instid0(VALU_DEP_1) | instskip(NEXT) | instid1(VALU_DEP_1)
	v_add_f32_e32 v47, v46, v42
	v_dual_sub_f32 v48, v44, v47 :: v_dual_sub_f32 v23, v47, v46
	s_delay_alu instid0(VALU_DEP_1) | instskip(NEXT) | instid1(VALU_DEP_1)
	v_dual_sub_f32 v44, v44, v48 :: v_dual_sub_f32 v23, v23, v42
	v_sub_f32_e32 v44, v44, v47
	s_delay_alu instid0(VALU_DEP_1) | instskip(NEXT) | instid1(VALU_DEP_1)
	v_add_f32_e32 v5, v5, v44
	v_add_f32_e32 v5, v23, v5
	s_delay_alu instid0(VALU_DEP_1) | instskip(NEXT) | instid1(VALU_DEP_1)
	v_add_f32_e32 v23, v48, v5
	v_mul_f32_e32 v42, v20, v23
	s_delay_alu instid0(VALU_DEP_1) | instskip(NEXT) | instid1(VALU_DEP_1)
	v_dual_sub_f32 v47, v48, v23 :: v_dual_mul_f32 v44, v43, v42
	v_add_f32_e32 v5, v5, v47
	s_delay_alu instid0(VALU_DEP_2) | instskip(NEXT) | instid1(VALU_DEP_1)
	v_fma_f32 v43, v42, v43, -v44
	v_fmac_f32_e32 v43, v42, v41
	s_delay_alu instid0(VALU_DEP_1) | instskip(NEXT) | instid1(VALU_DEP_1)
	v_add_f32_e32 v41, v44, v43
	v_sub_f32_e32 v46, v23, v41
	s_delay_alu instid0(VALU_DEP_1) | instskip(NEXT) | instid1(VALU_DEP_1)
	v_dual_sub_f32 v44, v41, v44 :: v_dual_sub_f32 v23, v23, v46
	v_sub_f32_e32 v23, v23, v41
	s_delay_alu instid0(VALU_DEP_2) | instskip(NEXT) | instid1(VALU_DEP_2)
	v_sub_f32_e32 v41, v44, v43
	v_add_f32_e32 v5, v5, v23
	v_add_f32_e32 v23, v45, v42
	s_delay_alu instid0(VALU_DEP_2) | instskip(NEXT) | instid1(VALU_DEP_2)
	v_add_f32_e32 v5, v41, v5
	v_sub_f32_e32 v41, v23, v45
	s_delay_alu instid0(VALU_DEP_2) | instskip(NEXT) | instid1(VALU_DEP_2)
	v_add_f32_e32 v5, v46, v5
	v_sub_f32_e32 v41, v42, v41
	s_delay_alu instid0(VALU_DEP_2) | instskip(NEXT) | instid1(VALU_DEP_1)
	v_mul_f32_e32 v5, v20, v5
	v_add_f32_e32 v5, v41, v5
	s_delay_alu instid0(VALU_DEP_1) | instskip(NEXT) | instid1(VALU_DEP_1)
	v_add_f32_e32 v20, v23, v5
	v_mul_f32_e32 v41, v20, v20
	s_wait_alu 0xfffe
	s_delay_alu instid0(VALU_DEP_1) | instskip(SKIP_1) | instid1(VALU_DEP_2)
	v_fmaak_f32 v42, s3, v41, 0x3ecc95a3
	v_mul_f32_e32 v43, v20, v41
	v_fmaak_f32 v41, v41, v42, 0x3f2aaada
	v_ldexp_f32 v42, v20, 1
	s_delay_alu instid0(VALU_DEP_2) | instskip(SKIP_1) | instid1(VALU_DEP_2)
	v_dual_sub_f32 v20, v20, v23 :: v_dual_mul_f32 v41, v43, v41
	v_mul_f32_e32 v43, 0x3f317218, v4
	v_sub_f32_e32 v5, v5, v20
	s_delay_alu instid0(VALU_DEP_3) | instskip(NEXT) | instid1(VALU_DEP_2)
	v_add_f32_e32 v23, v42, v41
	v_ldexp_f32 v5, v5, 1
	s_delay_alu instid0(VALU_DEP_2) | instskip(SKIP_1) | instid1(VALU_DEP_2)
	v_sub_f32_e32 v20, v23, v42
	v_fma_f32 v42, 0x3f317218, v4, -v43
	v_sub_f32_e32 v20, v41, v20
	s_delay_alu instid0(VALU_DEP_1) | instskip(NEXT) | instid1(VALU_DEP_1)
	v_dual_fmamk_f32 v4, v4, 0xb102e308, v42 :: v_dual_add_f32 v5, v5, v20
	v_add_f32_e32 v20, v43, v4
	s_delay_alu instid0(VALU_DEP_2) | instskip(NEXT) | instid1(VALU_DEP_2)
	v_add_f32_e32 v41, v23, v5
	v_sub_f32_e32 v43, v20, v43
	s_delay_alu instid0(VALU_DEP_2) | instskip(NEXT) | instid1(VALU_DEP_2)
	v_dual_add_f32 v42, v20, v41 :: v_dual_sub_f32 v23, v41, v23
	v_sub_f32_e32 v4, v4, v43
	s_delay_alu instid0(VALU_DEP_2) | instskip(NEXT) | instid1(VALU_DEP_1)
	v_dual_sub_f32 v44, v42, v20 :: v_dual_sub_f32 v5, v5, v23
	v_sub_f32_e32 v45, v42, v44
	v_sub_f32_e32 v23, v41, v44
	s_delay_alu instid0(VALU_DEP_3) | instskip(NEXT) | instid1(VALU_DEP_3)
	v_add_f32_e32 v41, v4, v5
	v_sub_f32_e32 v20, v20, v45
	s_delay_alu instid0(VALU_DEP_1) | instskip(NEXT) | instid1(VALU_DEP_3)
	v_add_f32_e32 v20, v23, v20
	v_sub_f32_e32 v23, v41, v4
	s_delay_alu instid0(VALU_DEP_2) | instskip(NEXT) | instid1(VALU_DEP_2)
	v_add_f32_e32 v20, v41, v20
	v_sub_f32_e32 v41, v41, v23
	v_sub_f32_e32 v5, v5, v23
	s_delay_alu instid0(VALU_DEP_2) | instskip(NEXT) | instid1(VALU_DEP_1)
	v_dual_add_f32 v43, v42, v20 :: v_dual_sub_f32 v4, v4, v41
	v_dual_sub_f32 v23, v43, v42 :: v_dual_add_f32 v4, v5, v4
	s_delay_alu instid0(VALU_DEP_1) | instskip(NEXT) | instid1(VALU_DEP_1)
	v_sub_f32_e32 v5, v20, v23
	v_add_f32_e32 v4, v4, v5
	s_delay_alu instid0(VALU_DEP_1) | instskip(SKIP_1) | instid1(VALU_DEP_1)
	v_add_f32_e32 v4, v43, v4
	s_wait_alu 0xfffd
	v_cndmask_b32_e32 v4, 0x7f800000, v4, vcc_lo
	v_cmp_gt_f32_e64 vcc_lo, 0x33800000, |v19|
	s_wait_alu 0xfffd
	s_delay_alu instid0(VALU_DEP_2) | instskip(NEXT) | instid1(VALU_DEP_1)
	v_cndmask_b32_e32 v4, v4, v19, vcc_lo
	v_add_f32_e32 v4, v2, v4
.LBB443_179:
	s_wait_alu 0xfffe
	s_or_b32 exec_lo, exec_lo, s2
	s_delay_alu instid0(VALU_DEP_1) | instskip(SKIP_1) | instid1(VALU_DEP_2)
	v_bfe_u32 v2, v4, 16, 1
	v_cmp_o_f32_e32 vcc_lo, v4, v4
	v_add3_u32 v2, v4, v2, 0x7fff
	s_delay_alu instid0(VALU_DEP_1) | instskip(SKIP_1) | instid1(VALU_DEP_1)
	v_lshrrev_b32_e32 v2, 16, v2
	s_wait_alu 0xfffd
	v_cndmask_b32_e32 v5, 0x7fc0, v2, vcc_lo
	s_delay_alu instid0(VALU_DEP_1) | instskip(NEXT) | instid1(VALU_DEP_1)
	v_lshlrev_b32_e32 v4, 16, v5
	v_max_num_f32_e32 v2, v4, v4
	v_cmp_u_f32_e32 vcc_lo, v4, v4
	s_delay_alu instid0(VALU_DEP_2) | instskip(SKIP_1) | instid1(VALU_DEP_1)
	v_min_num_f32_e32 v19, v2, v25
	s_wait_alu 0xfffd
	v_dual_max_num_f32 v2, v2, v25 :: v_dual_cndmask_b32 v19, v19, v4
	s_delay_alu instid0(VALU_DEP_1) | instskip(NEXT) | instid1(VALU_DEP_2)
	v_cndmask_b32_e32 v2, v2, v4, vcc_lo
	v_cndmask_b32_e64 v19, v19, v21, s4
	s_delay_alu instid0(VALU_DEP_2) | instskip(NEXT) | instid1(VALU_DEP_2)
	v_cndmask_b32_e64 v2, v2, v21, s4
	v_cmp_class_f32_e64 s2, v19, 0x1f8
	s_delay_alu instid0(VALU_DEP_2)
	v_cmp_neq_f32_e32 vcc_lo, v19, v2
	s_or_b32 s3, vcc_lo, s2
	s_wait_alu 0xfffe
	s_and_saveexec_b32 s2, s3
	s_cbranch_execz .LBB443_181
; %bb.180:
	v_sub_f32_e32 v4, v19, v2
	s_mov_b32 s3, 0x3e9b6dac
	s_delay_alu instid0(VALU_DEP_1) | instskip(SKIP_1) | instid1(VALU_DEP_2)
	v_mul_f32_e32 v19, 0x3fb8aa3b, v4
	v_cmp_ngt_f32_e32 vcc_lo, 0xc2ce8ed0, v4
	v_fma_f32 v20, 0x3fb8aa3b, v4, -v19
	v_rndne_f32_e32 v21, v19
	s_delay_alu instid0(VALU_DEP_1) | instskip(NEXT) | instid1(VALU_DEP_1)
	v_dual_fmamk_f32 v20, v4, 0x32a5705f, v20 :: v_dual_sub_f32 v19, v19, v21
	v_add_f32_e32 v19, v19, v20
	v_cvt_i32_f32_e32 v20, v21
	s_delay_alu instid0(VALU_DEP_2) | instskip(NEXT) | instid1(TRANS32_DEP_1)
	v_exp_f32_e32 v19, v19
	v_ldexp_f32 v19, v19, v20
	s_wait_alu 0xfffd
	s_delay_alu instid0(VALU_DEP_1) | instskip(SKIP_2) | instid1(VALU_DEP_2)
	v_cndmask_b32_e32 v19, 0, v19, vcc_lo
	v_cmp_nlt_f32_e32 vcc_lo, 0x42b17218, v4
	s_wait_alu 0xfffd
	v_cndmask_b32_e32 v4, 0x7f800000, v19, vcc_lo
	s_delay_alu instid0(VALU_DEP_1) | instskip(NEXT) | instid1(VALU_DEP_1)
	v_add_f32_e32 v21, 1.0, v4
	v_cvt_f64_f32_e32 v[19:20], v21
	s_delay_alu instid0(VALU_DEP_1) | instskip(SKIP_1) | instid1(VALU_DEP_1)
	v_frexp_exp_i32_f64_e32 v19, v[19:20]
	v_frexp_mant_f32_e32 v20, v21
	v_cmp_gt_f32_e32 vcc_lo, 0x3f2aaaab, v20
	v_add_f32_e32 v20, -1.0, v21
	s_delay_alu instid0(VALU_DEP_1) | instskip(NEXT) | instid1(VALU_DEP_1)
	v_sub_f32_e32 v25, v20, v21
	v_dual_sub_f32 v20, v4, v20 :: v_dual_add_f32 v25, 1.0, v25
	s_delay_alu instid0(VALU_DEP_1) | instskip(SKIP_3) | instid1(VALU_DEP_2)
	v_add_f32_e32 v20, v20, v25
	s_wait_alu 0xfffd
	v_subrev_co_ci_u32_e64 v19, null, 0, v19, vcc_lo
	v_cmp_neq_f32_e32 vcc_lo, 0x7f800000, v4
	v_sub_nc_u32_e32 v23, 0, v19
	v_cvt_f32_i32_e32 v19, v19
	s_delay_alu instid0(VALU_DEP_2) | instskip(SKIP_1) | instid1(VALU_DEP_2)
	v_ldexp_f32 v21, v21, v23
	v_ldexp_f32 v20, v20, v23
	v_add_f32_e32 v41, 1.0, v21
	v_add_f32_e32 v23, -1.0, v21
	s_delay_alu instid0(VALU_DEP_1) | instskip(NEXT) | instid1(VALU_DEP_1)
	v_dual_add_f32 v25, -1.0, v41 :: v_dual_add_f32 v42, 1.0, v23
	v_sub_f32_e32 v25, v21, v25
	s_delay_alu instid0(VALU_DEP_2) | instskip(NEXT) | instid1(VALU_DEP_2)
	v_sub_f32_e32 v21, v21, v42
	v_add_f32_e32 v25, v20, v25
	s_delay_alu instid0(VALU_DEP_2) | instskip(NEXT) | instid1(VALU_DEP_1)
	v_add_f32_e32 v20, v20, v21
	v_add_f32_e32 v43, v23, v20
	s_delay_alu instid0(VALU_DEP_1) | instskip(NEXT) | instid1(VALU_DEP_1)
	v_sub_f32_e32 v23, v23, v43
	v_add_f32_e32 v20, v20, v23
	v_add_f32_e32 v42, v41, v25
	s_delay_alu instid0(VALU_DEP_1) | instskip(SKIP_1) | instid1(VALU_DEP_1)
	v_rcp_f32_e32 v21, v42
	v_sub_f32_e32 v41, v41, v42
	v_add_f32_e32 v25, v25, v41
	s_delay_alu instid0(TRANS32_DEP_1) | instskip(NEXT) | instid1(VALU_DEP_1)
	v_mul_f32_e32 v44, v43, v21
	v_mul_f32_e32 v45, v42, v44
	s_delay_alu instid0(VALU_DEP_1) | instskip(NEXT) | instid1(VALU_DEP_1)
	v_fma_f32 v41, v44, v42, -v45
	v_fmac_f32_e32 v41, v44, v25
	s_delay_alu instid0(VALU_DEP_1) | instskip(NEXT) | instid1(VALU_DEP_1)
	v_add_f32_e32 v46, v45, v41
	v_sub_f32_e32 v47, v43, v46
	v_sub_f32_e32 v23, v46, v45
	s_delay_alu instid0(VALU_DEP_2) | instskip(NEXT) | instid1(VALU_DEP_2)
	v_sub_f32_e32 v43, v43, v47
	v_sub_f32_e32 v23, v23, v41
	s_delay_alu instid0(VALU_DEP_2) | instskip(NEXT) | instid1(VALU_DEP_1)
	v_sub_f32_e32 v43, v43, v46
	v_add_f32_e32 v20, v20, v43
	s_delay_alu instid0(VALU_DEP_1) | instskip(NEXT) | instid1(VALU_DEP_1)
	v_add_f32_e32 v20, v23, v20
	v_add_f32_e32 v23, v47, v20
	s_delay_alu instid0(VALU_DEP_1) | instskip(NEXT) | instid1(VALU_DEP_1)
	v_mul_f32_e32 v41, v21, v23
	v_dual_sub_f32 v46, v47, v23 :: v_dual_mul_f32 v43, v42, v41
	s_delay_alu instid0(VALU_DEP_1) | instskip(NEXT) | instid1(VALU_DEP_2)
	v_add_f32_e32 v20, v20, v46
	v_fma_f32 v42, v41, v42, -v43
	s_delay_alu instid0(VALU_DEP_1) | instskip(NEXT) | instid1(VALU_DEP_1)
	v_fmac_f32_e32 v42, v41, v25
	v_add_f32_e32 v25, v43, v42
	s_delay_alu instid0(VALU_DEP_1) | instskip(SKIP_1) | instid1(VALU_DEP_2)
	v_sub_f32_e32 v45, v23, v25
	v_sub_f32_e32 v43, v25, v43
	;; [unrolled: 1-line block ×3, first 2 shown]
	s_delay_alu instid0(VALU_DEP_1) | instskip(NEXT) | instid1(VALU_DEP_1)
	v_sub_f32_e32 v23, v23, v25
	v_dual_sub_f32 v25, v43, v42 :: v_dual_add_f32 v20, v20, v23
	s_delay_alu instid0(VALU_DEP_1) | instskip(NEXT) | instid1(VALU_DEP_1)
	v_dual_add_f32 v23, v44, v41 :: v_dual_add_f32 v20, v25, v20
	v_sub_f32_e32 v25, v23, v44
	s_delay_alu instid0(VALU_DEP_2) | instskip(NEXT) | instid1(VALU_DEP_2)
	v_add_f32_e32 v20, v45, v20
	v_sub_f32_e32 v25, v41, v25
	s_delay_alu instid0(VALU_DEP_2) | instskip(NEXT) | instid1(VALU_DEP_1)
	v_mul_f32_e32 v20, v21, v20
	v_add_f32_e32 v20, v25, v20
	s_delay_alu instid0(VALU_DEP_1) | instskip(NEXT) | instid1(VALU_DEP_1)
	v_add_f32_e32 v21, v23, v20
	v_mul_f32_e32 v25, v21, v21
	s_wait_alu 0xfffe
	s_delay_alu instid0(VALU_DEP_1) | instskip(SKIP_1) | instid1(VALU_DEP_2)
	v_fmaak_f32 v41, s3, v25, 0x3ecc95a3
	v_mul_f32_e32 v42, v21, v25
	v_fmaak_f32 v25, v25, v41, 0x3f2aaada
	v_ldexp_f32 v41, v21, 1
	v_sub_f32_e32 v21, v21, v23
	s_delay_alu instid0(VALU_DEP_3) | instskip(NEXT) | instid1(VALU_DEP_2)
	v_dual_mul_f32 v25, v42, v25 :: v_dual_mul_f32 v42, 0x3f317218, v19
	v_sub_f32_e32 v20, v20, v21
	s_delay_alu instid0(VALU_DEP_2) | instskip(NEXT) | instid1(VALU_DEP_2)
	v_add_f32_e32 v23, v41, v25
	v_ldexp_f32 v20, v20, 1
	s_delay_alu instid0(VALU_DEP_2) | instskip(SKIP_1) | instid1(VALU_DEP_2)
	v_sub_f32_e32 v21, v23, v41
	v_fma_f32 v41, 0x3f317218, v19, -v42
	v_sub_f32_e32 v21, v25, v21
	s_delay_alu instid0(VALU_DEP_1) | instskip(NEXT) | instid1(VALU_DEP_1)
	v_dual_fmamk_f32 v19, v19, 0xb102e308, v41 :: v_dual_add_f32 v20, v20, v21
	v_add_f32_e32 v21, v42, v19
	s_delay_alu instid0(VALU_DEP_1) | instskip(NEXT) | instid1(VALU_DEP_1)
	v_dual_add_f32 v25, v23, v20 :: v_dual_sub_f32 v42, v21, v42
	v_add_f32_e32 v41, v21, v25
	v_sub_f32_e32 v23, v25, v23
	s_delay_alu instid0(VALU_DEP_3) | instskip(NEXT) | instid1(VALU_DEP_2)
	v_sub_f32_e32 v19, v19, v42
	v_dual_sub_f32 v43, v41, v21 :: v_dual_sub_f32 v20, v20, v23
	s_delay_alu instid0(VALU_DEP_1) | instskip(SKIP_1) | instid1(VALU_DEP_3)
	v_sub_f32_e32 v44, v41, v43
	v_sub_f32_e32 v23, v25, v43
	v_add_f32_e32 v25, v19, v20
	s_delay_alu instid0(VALU_DEP_3) | instskip(NEXT) | instid1(VALU_DEP_1)
	v_sub_f32_e32 v21, v21, v44
	v_add_f32_e32 v21, v23, v21
	s_delay_alu instid0(VALU_DEP_3) | instskip(NEXT) | instid1(VALU_DEP_2)
	v_sub_f32_e32 v23, v25, v19
	v_add_f32_e32 v21, v25, v21
	s_delay_alu instid0(VALU_DEP_2) | instskip(SKIP_1) | instid1(VALU_DEP_3)
	v_sub_f32_e32 v25, v25, v23
	v_sub_f32_e32 v20, v20, v23
	v_add_f32_e32 v42, v41, v21
	s_delay_alu instid0(VALU_DEP_3) | instskip(NEXT) | instid1(VALU_DEP_2)
	v_sub_f32_e32 v19, v19, v25
	v_sub_f32_e32 v23, v42, v41
	s_delay_alu instid0(VALU_DEP_2) | instskip(NEXT) | instid1(VALU_DEP_2)
	v_add_f32_e32 v19, v20, v19
	v_sub_f32_e32 v20, v21, v23
	s_delay_alu instid0(VALU_DEP_1) | instskip(NEXT) | instid1(VALU_DEP_1)
	v_add_f32_e32 v19, v19, v20
	v_add_f32_e32 v19, v42, v19
	s_wait_alu 0xfffd
	s_delay_alu instid0(VALU_DEP_1) | instskip(SKIP_2) | instid1(VALU_DEP_2)
	v_cndmask_b32_e32 v19, 0x7f800000, v19, vcc_lo
	v_cmp_gt_f32_e64 vcc_lo, 0x33800000, |v4|
	s_wait_alu 0xfffd
	v_cndmask_b32_e32 v4, v19, v4, vcc_lo
	s_delay_alu instid0(VALU_DEP_1)
	v_add_f32_e32 v4, v2, v4
.LBB443_181:
	s_wait_alu 0xfffe
	s_or_b32 exec_lo, exec_lo, s2
	s_delay_alu instid0(VALU_DEP_1) | instskip(SKIP_1) | instid1(VALU_DEP_2)
	v_bfe_u32 v2, v4, 16, 1
	v_cmp_o_f32_e32 vcc_lo, v4, v4
	v_add3_u32 v2, v4, v2, 0x7fff
	s_delay_alu instid0(VALU_DEP_1) | instskip(SKIP_1) | instid1(VALU_DEP_1)
	v_lshrrev_b32_e32 v2, 16, v2
	s_wait_alu 0xfffd
	v_cndmask_b32_e32 v19, 0x7fc0, v2, vcc_lo
	s_delay_alu instid0(VALU_DEP_1) | instskip(NEXT) | instid1(VALU_DEP_1)
	v_lshlrev_b32_e32 v4, 16, v19
	v_max_num_f32_e32 v2, v4, v4
	v_cmp_u_f32_e32 vcc_lo, v4, v4
	s_delay_alu instid0(VALU_DEP_2) | instskip(SKIP_2) | instid1(VALU_DEP_2)
	v_min_num_f32_e32 v20, v2, v27
	v_max_num_f32_e32 v2, v2, v27
	s_wait_alu 0xfffd
	v_cndmask_b32_e32 v20, v20, v4, vcc_lo
	s_delay_alu instid0(VALU_DEP_2) | instskip(NEXT) | instid1(VALU_DEP_2)
	v_cndmask_b32_e32 v2, v2, v4, vcc_lo
	v_cndmask_b32_e64 v20, v20, v22, s5
	s_delay_alu instid0(VALU_DEP_2) | instskip(NEXT) | instid1(VALU_DEP_2)
	v_cndmask_b32_e64 v2, v2, v22, s5
	v_cmp_class_f32_e64 s2, v20, 0x1f8
	s_delay_alu instid0(VALU_DEP_2)
	v_cmp_neq_f32_e32 vcc_lo, v20, v2
	s_or_b32 s3, vcc_lo, s2
	s_wait_alu 0xfffe
	s_and_saveexec_b32 s2, s3
	s_cbranch_execz .LBB443_183
; %bb.182:
	v_sub_f32_e32 v4, v20, v2
	s_mov_b32 s3, 0x3e9b6dac
	s_delay_alu instid0(VALU_DEP_1) | instskip(SKIP_1) | instid1(VALU_DEP_2)
	v_mul_f32_e32 v20, 0x3fb8aa3b, v4
	v_cmp_ngt_f32_e32 vcc_lo, 0xc2ce8ed0, v4
	v_fma_f32 v21, 0x3fb8aa3b, v4, -v20
	v_rndne_f32_e32 v22, v20
	s_delay_alu instid0(VALU_DEP_2) | instskip(NEXT) | instid1(VALU_DEP_2)
	v_fmamk_f32 v21, v4, 0x32a5705f, v21
	v_sub_f32_e32 v20, v20, v22
	s_delay_alu instid0(VALU_DEP_1) | instskip(SKIP_1) | instid1(VALU_DEP_2)
	v_add_f32_e32 v20, v20, v21
	v_cvt_i32_f32_e32 v21, v22
	v_exp_f32_e32 v20, v20
	s_delay_alu instid0(TRANS32_DEP_1) | instskip(SKIP_1) | instid1(VALU_DEP_1)
	v_ldexp_f32 v20, v20, v21
	s_wait_alu 0xfffd
	v_cndmask_b32_e32 v20, 0, v20, vcc_lo
	v_cmp_nlt_f32_e32 vcc_lo, 0x42b17218, v4
	s_wait_alu 0xfffd
	s_delay_alu instid0(VALU_DEP_2) | instskip(NEXT) | instid1(VALU_DEP_1)
	v_cndmask_b32_e32 v4, 0x7f800000, v20, vcc_lo
	v_add_f32_e32 v22, 1.0, v4
	s_delay_alu instid0(VALU_DEP_1) | instskip(NEXT) | instid1(VALU_DEP_1)
	v_cvt_f64_f32_e32 v[20:21], v22
	v_frexp_exp_i32_f64_e32 v20, v[20:21]
	v_frexp_mant_f32_e32 v21, v22
	s_delay_alu instid0(VALU_DEP_1) | instskip(SKIP_1) | instid1(VALU_DEP_1)
	v_cmp_gt_f32_e32 vcc_lo, 0x3f2aaaab, v21
	v_add_f32_e32 v21, -1.0, v22
	v_sub_f32_e32 v25, v21, v22
	s_delay_alu instid0(VALU_DEP_1) | instskip(SKIP_2) | instid1(VALU_DEP_1)
	v_add_f32_e32 v25, 1.0, v25
	s_wait_alu 0xfffd
	v_subrev_co_ci_u32_e64 v20, null, 0, v20, vcc_lo
	v_sub_nc_u32_e32 v23, 0, v20
	v_cvt_f32_i32_e32 v20, v20
	s_delay_alu instid0(VALU_DEP_2) | instskip(NEXT) | instid1(VALU_DEP_1)
	v_ldexp_f32 v22, v22, v23
	v_add_f32_e32 v27, 1.0, v22
	v_sub_f32_e32 v21, v4, v21
	v_cmp_neq_f32_e32 vcc_lo, 0x7f800000, v4
	s_delay_alu instid0(VALU_DEP_2) | instskip(NEXT) | instid1(VALU_DEP_1)
	v_add_f32_e32 v21, v21, v25
	v_ldexp_f32 v21, v21, v23
	v_add_f32_e32 v23, -1.0, v22
	s_delay_alu instid0(VALU_DEP_1) | instskip(SKIP_1) | instid1(VALU_DEP_1)
	v_add_f32_e32 v41, 1.0, v23
	v_add_f32_e32 v25, -1.0, v27
	v_sub_f32_e32 v25, v22, v25
	s_delay_alu instid0(VALU_DEP_3) | instskip(NEXT) | instid1(VALU_DEP_2)
	v_sub_f32_e32 v22, v22, v41
	v_add_f32_e32 v25, v21, v25
	s_delay_alu instid0(VALU_DEP_2) | instskip(NEXT) | instid1(VALU_DEP_2)
	v_add_f32_e32 v21, v21, v22
	v_add_f32_e32 v41, v27, v25
	s_delay_alu instid0(VALU_DEP_2) | instskip(NEXT) | instid1(VALU_DEP_2)
	v_add_f32_e32 v42, v23, v21
	v_rcp_f32_e32 v22, v41
	v_sub_f32_e32 v27, v27, v41
	s_delay_alu instid0(VALU_DEP_1) | instskip(NEXT) | instid1(TRANS32_DEP_1)
	v_add_f32_e32 v25, v25, v27
	v_mul_f32_e32 v43, v42, v22
	s_delay_alu instid0(VALU_DEP_1) | instskip(NEXT) | instid1(VALU_DEP_1)
	v_dual_mul_f32 v44, v41, v43 :: v_dual_sub_f32 v23, v23, v42
	v_fma_f32 v27, v43, v41, -v44
	s_delay_alu instid0(VALU_DEP_1) | instskip(NEXT) | instid1(VALU_DEP_1)
	v_fmac_f32_e32 v27, v43, v25
	v_add_f32_e32 v45, v44, v27
	s_delay_alu instid0(VALU_DEP_1) | instskip(NEXT) | instid1(VALU_DEP_1)
	v_dual_sub_f32 v46, v42, v45 :: v_dual_add_f32 v21, v21, v23
	v_dual_sub_f32 v23, v45, v44 :: v_dual_sub_f32 v42, v42, v46
	s_delay_alu instid0(VALU_DEP_1) | instskip(NEXT) | instid1(VALU_DEP_1)
	v_dual_sub_f32 v23, v23, v27 :: v_dual_sub_f32 v42, v42, v45
	v_add_f32_e32 v21, v21, v42
	s_delay_alu instid0(VALU_DEP_1) | instskip(NEXT) | instid1(VALU_DEP_1)
	v_add_f32_e32 v21, v23, v21
	v_add_f32_e32 v23, v46, v21
	s_delay_alu instid0(VALU_DEP_1) | instskip(SKIP_1) | instid1(VALU_DEP_2)
	v_mul_f32_e32 v27, v22, v23
	v_sub_f32_e32 v45, v46, v23
	v_mul_f32_e32 v42, v41, v27
	s_delay_alu instid0(VALU_DEP_2) | instskip(NEXT) | instid1(VALU_DEP_2)
	v_add_f32_e32 v21, v21, v45
	v_fma_f32 v41, v27, v41, -v42
	s_delay_alu instid0(VALU_DEP_1) | instskip(NEXT) | instid1(VALU_DEP_1)
	v_fmac_f32_e32 v41, v27, v25
	v_add_f32_e32 v25, v42, v41
	s_delay_alu instid0(VALU_DEP_1) | instskip(NEXT) | instid1(VALU_DEP_1)
	v_sub_f32_e32 v44, v23, v25
	v_dual_sub_f32 v42, v25, v42 :: v_dual_sub_f32 v23, v23, v44
	s_delay_alu instid0(VALU_DEP_1) | instskip(NEXT) | instid1(VALU_DEP_2)
	v_sub_f32_e32 v23, v23, v25
	v_sub_f32_e32 v25, v42, v41
	s_delay_alu instid0(VALU_DEP_2) | instskip(SKIP_1) | instid1(VALU_DEP_2)
	v_add_f32_e32 v21, v21, v23
	v_add_f32_e32 v23, v43, v27
	;; [unrolled: 1-line block ×3, first 2 shown]
	s_delay_alu instid0(VALU_DEP_2) | instskip(NEXT) | instid1(VALU_DEP_2)
	v_sub_f32_e32 v25, v23, v43
	v_add_f32_e32 v21, v44, v21
	s_delay_alu instid0(VALU_DEP_2) | instskip(NEXT) | instid1(VALU_DEP_2)
	v_sub_f32_e32 v25, v27, v25
	v_mul_f32_e32 v21, v22, v21
	s_delay_alu instid0(VALU_DEP_1) | instskip(NEXT) | instid1(VALU_DEP_1)
	v_add_f32_e32 v21, v25, v21
	v_add_f32_e32 v22, v23, v21
	s_delay_alu instid0(VALU_DEP_1) | instskip(SKIP_1) | instid1(VALU_DEP_1)
	v_mul_f32_e32 v25, v22, v22
	s_wait_alu 0xfffe
	v_fmaak_f32 v27, s3, v25, 0x3ecc95a3
	v_mul_f32_e32 v41, v22, v25
	s_delay_alu instid0(VALU_DEP_2) | instskip(SKIP_1) | instid1(VALU_DEP_2)
	v_fmaak_f32 v25, v25, v27, 0x3f2aaada
	v_ldexp_f32 v27, v22, 1
	v_dual_sub_f32 v22, v22, v23 :: v_dual_mul_f32 v25, v41, v25
	v_mul_f32_e32 v41, 0x3f317218, v20
	s_delay_alu instid0(VALU_DEP_2) | instskip(NEXT) | instid1(VALU_DEP_3)
	v_sub_f32_e32 v21, v21, v22
	v_add_f32_e32 v23, v27, v25
	s_delay_alu instid0(VALU_DEP_2) | instskip(NEXT) | instid1(VALU_DEP_2)
	v_ldexp_f32 v21, v21, 1
	v_sub_f32_e32 v22, v23, v27
	v_fma_f32 v27, 0x3f317218, v20, -v41
	s_delay_alu instid0(VALU_DEP_2) | instskip(NEXT) | instid1(VALU_DEP_1)
	v_sub_f32_e32 v22, v25, v22
	v_dual_fmamk_f32 v20, v20, 0xb102e308, v27 :: v_dual_add_f32 v21, v21, v22
	s_delay_alu instid0(VALU_DEP_1) | instskip(NEXT) | instid1(VALU_DEP_1)
	v_dual_add_f32 v22, v41, v20 :: v_dual_add_f32 v25, v23, v21
	v_sub_f32_e32 v41, v22, v41
	s_delay_alu instid0(VALU_DEP_2) | instskip(NEXT) | instid1(VALU_DEP_2)
	v_add_f32_e32 v27, v22, v25
	v_dual_sub_f32 v23, v25, v23 :: v_dual_sub_f32 v20, v20, v41
	s_delay_alu instid0(VALU_DEP_1) | instskip(NEXT) | instid1(VALU_DEP_1)
	v_dual_sub_f32 v42, v27, v22 :: v_dual_sub_f32 v21, v21, v23
	v_sub_f32_e32 v43, v27, v42
	v_sub_f32_e32 v23, v25, v42
	s_delay_alu instid0(VALU_DEP_2) | instskip(NEXT) | instid1(VALU_DEP_1)
	v_dual_add_f32 v25, v20, v21 :: v_dual_sub_f32 v22, v22, v43
	v_dual_add_f32 v22, v23, v22 :: v_dual_sub_f32 v23, v25, v20
	s_delay_alu instid0(VALU_DEP_1) | instskip(NEXT) | instid1(VALU_DEP_2)
	v_add_f32_e32 v22, v25, v22
	v_sub_f32_e32 v25, v25, v23
	v_sub_f32_e32 v21, v21, v23
	s_delay_alu instid0(VALU_DEP_2) | instskip(NEXT) | instid1(VALU_DEP_1)
	v_dual_add_f32 v41, v27, v22 :: v_dual_sub_f32 v20, v20, v25
	v_sub_f32_e32 v23, v41, v27
	s_delay_alu instid0(VALU_DEP_1) | instskip(NEXT) | instid1(VALU_DEP_1)
	v_dual_add_f32 v20, v21, v20 :: v_dual_sub_f32 v21, v22, v23
	v_add_f32_e32 v20, v20, v21
	s_delay_alu instid0(VALU_DEP_1) | instskip(SKIP_1) | instid1(VALU_DEP_1)
	v_add_f32_e32 v20, v41, v20
	s_wait_alu 0xfffd
	v_cndmask_b32_e32 v20, 0x7f800000, v20, vcc_lo
	v_cmp_gt_f32_e64 vcc_lo, 0x33800000, |v4|
	s_wait_alu 0xfffd
	s_delay_alu instid0(VALU_DEP_2) | instskip(NEXT) | instid1(VALU_DEP_1)
	v_cndmask_b32_e32 v4, v20, v4, vcc_lo
	v_add_f32_e32 v4, v2, v4
.LBB443_183:
	s_wait_alu 0xfffe
	s_or_b32 exec_lo, exec_lo, s2
	s_delay_alu instid0(VALU_DEP_1) | instskip(SKIP_1) | instid1(VALU_DEP_2)
	v_bfe_u32 v2, v4, 16, 1
	v_cmp_o_f32_e32 vcc_lo, v4, v4
	v_add3_u32 v2, v4, v2, 0x7fff
	s_delay_alu instid0(VALU_DEP_1) | instskip(SKIP_1) | instid1(VALU_DEP_1)
	v_lshrrev_b32_e32 v2, 16, v2
	s_wait_alu 0xfffd
	v_cndmask_b32_e32 v4, 0x7fc0, v2, vcc_lo
	s_delay_alu instid0(VALU_DEP_1) | instskip(NEXT) | instid1(VALU_DEP_1)
	v_lshlrev_b32_e32 v20, 16, v4
	v_max_num_f32_e32 v2, v20, v20
	v_cmp_u_f32_e32 vcc_lo, v20, v20
	s_delay_alu instid0(VALU_DEP_2) | instskip(SKIP_1) | instid1(VALU_DEP_1)
	v_min_num_f32_e32 v21, v2, v29
	s_wait_alu 0xfffd
	v_dual_max_num_f32 v2, v2, v29 :: v_dual_cndmask_b32 v21, v21, v20
	s_delay_alu instid0(VALU_DEP_1) | instskip(NEXT) | instid1(VALU_DEP_2)
	v_cndmask_b32_e32 v2, v2, v20, vcc_lo
	v_cndmask_b32_e64 v21, v21, v24, s6
	s_delay_alu instid0(VALU_DEP_2) | instskip(NEXT) | instid1(VALU_DEP_2)
	v_cndmask_b32_e64 v2, v2, v24, s6
	v_cmp_class_f32_e64 s2, v21, 0x1f8
	s_delay_alu instid0(VALU_DEP_2)
	v_cmp_neq_f32_e32 vcc_lo, v21, v2
	s_or_b32 s3, vcc_lo, s2
	s_wait_alu 0xfffe
	s_and_saveexec_b32 s2, s3
	s_cbranch_execz .LBB443_185
; %bb.184:
	v_sub_f32_e32 v20, v21, v2
	s_mov_b32 s3, 0x3e9b6dac
	s_delay_alu instid0(VALU_DEP_1) | instskip(SKIP_1) | instid1(VALU_DEP_2)
	v_mul_f32_e32 v21, 0x3fb8aa3b, v20
	v_cmp_ngt_f32_e32 vcc_lo, 0xc2ce8ed0, v20
	v_fma_f32 v22, 0x3fb8aa3b, v20, -v21
	v_rndne_f32_e32 v23, v21
	s_delay_alu instid0(VALU_DEP_1) | instskip(NEXT) | instid1(VALU_DEP_1)
	v_dual_fmamk_f32 v22, v20, 0x32a5705f, v22 :: v_dual_sub_f32 v21, v21, v23
	v_add_f32_e32 v21, v21, v22
	v_cvt_i32_f32_e32 v22, v23
	s_delay_alu instid0(VALU_DEP_2) | instskip(NEXT) | instid1(TRANS32_DEP_1)
	v_exp_f32_e32 v21, v21
	v_ldexp_f32 v21, v21, v22
	s_wait_alu 0xfffd
	s_delay_alu instid0(VALU_DEP_1) | instskip(SKIP_2) | instid1(VALU_DEP_2)
	v_cndmask_b32_e32 v21, 0, v21, vcc_lo
	v_cmp_nlt_f32_e32 vcc_lo, 0x42b17218, v20
	s_wait_alu 0xfffd
	v_cndmask_b32_e32 v22, 0x7f800000, v21, vcc_lo
	s_delay_alu instid0(VALU_DEP_1) | instskip(NEXT) | instid1(VALU_DEP_1)
	v_add_f32_e32 v23, 1.0, v22
	v_cvt_f64_f32_e32 v[20:21], v23
	s_delay_alu instid0(VALU_DEP_1) | instskip(SKIP_1) | instid1(VALU_DEP_1)
	v_frexp_exp_i32_f64_e32 v20, v[20:21]
	v_frexp_mant_f32_e32 v21, v23
	v_cmp_gt_f32_e32 vcc_lo, 0x3f2aaaab, v21
	v_add_f32_e32 v21, -1.0, v23
	s_wait_alu 0xfffd
	s_delay_alu instid0(VALU_DEP_4) | instskip(SKIP_1) | instid1(VALU_DEP_2)
	v_subrev_co_ci_u32_e64 v20, null, 0, v20, vcc_lo
	v_cmp_neq_f32_e32 vcc_lo, 0x7f800000, v22
	v_sub_nc_u32_e32 v24, 0, v20
	v_cvt_f32_i32_e32 v20, v20
	v_sub_f32_e32 v25, v21, v23
	v_sub_f32_e32 v21, v22, v21
	s_delay_alu instid0(VALU_DEP_4) | instskip(NEXT) | instid1(VALU_DEP_3)
	v_ldexp_f32 v23, v23, v24
	v_add_f32_e32 v25, 1.0, v25
	s_delay_alu instid0(VALU_DEP_2) | instskip(NEXT) | instid1(VALU_DEP_2)
	v_add_f32_e32 v27, 1.0, v23
	v_add_f32_e32 v21, v21, v25
	s_delay_alu instid0(VALU_DEP_2) | instskip(NEXT) | instid1(VALU_DEP_2)
	v_add_f32_e32 v25, -1.0, v27
	v_ldexp_f32 v21, v21, v24
	s_delay_alu instid0(VALU_DEP_2) | instskip(NEXT) | instid1(VALU_DEP_1)
	v_dual_add_f32 v24, -1.0, v23 :: v_dual_sub_f32 v25, v23, v25
	v_add_f32_e32 v29, 1.0, v24
	s_delay_alu instid0(VALU_DEP_2) | instskip(NEXT) | instid1(VALU_DEP_2)
	v_add_f32_e32 v25, v21, v25
	v_sub_f32_e32 v23, v23, v29
	s_delay_alu instid0(VALU_DEP_2) | instskip(NEXT) | instid1(VALU_DEP_2)
	v_add_f32_e32 v29, v27, v25
	v_add_f32_e32 v21, v21, v23
	s_delay_alu instid0(VALU_DEP_2) | instskip(SKIP_1) | instid1(VALU_DEP_2)
	v_rcp_f32_e32 v23, v29
	v_sub_f32_e32 v27, v27, v29
	v_add_f32_e32 v41, v24, v21
	s_delay_alu instid0(VALU_DEP_1) | instskip(NEXT) | instid1(TRANS32_DEP_1)
	v_dual_add_f32 v25, v25, v27 :: v_dual_sub_f32 v24, v24, v41
	v_mul_f32_e32 v42, v41, v23
	s_delay_alu instid0(VALU_DEP_2) | instskip(NEXT) | instid1(VALU_DEP_2)
	v_add_f32_e32 v21, v21, v24
	v_mul_f32_e32 v43, v29, v42
	s_delay_alu instid0(VALU_DEP_1) | instskip(NEXT) | instid1(VALU_DEP_1)
	v_fma_f32 v27, v42, v29, -v43
	v_fmac_f32_e32 v27, v42, v25
	s_delay_alu instid0(VALU_DEP_1) | instskip(NEXT) | instid1(VALU_DEP_1)
	v_add_f32_e32 v44, v43, v27
	v_dual_sub_f32 v45, v41, v44 :: v_dual_sub_f32 v24, v44, v43
	s_delay_alu instid0(VALU_DEP_1) | instskip(NEXT) | instid1(VALU_DEP_1)
	v_dual_sub_f32 v41, v41, v45 :: v_dual_sub_f32 v24, v24, v27
	v_sub_f32_e32 v41, v41, v44
	s_delay_alu instid0(VALU_DEP_1) | instskip(NEXT) | instid1(VALU_DEP_1)
	v_add_f32_e32 v21, v21, v41
	v_add_f32_e32 v21, v24, v21
	s_delay_alu instid0(VALU_DEP_1) | instskip(NEXT) | instid1(VALU_DEP_1)
	v_add_f32_e32 v24, v45, v21
	v_mul_f32_e32 v27, v23, v24
	v_sub_f32_e32 v44, v45, v24
	s_delay_alu instid0(VALU_DEP_2) | instskip(NEXT) | instid1(VALU_DEP_2)
	v_mul_f32_e32 v41, v29, v27
	v_add_f32_e32 v21, v21, v44
	s_delay_alu instid0(VALU_DEP_2) | instskip(NEXT) | instid1(VALU_DEP_1)
	v_fma_f32 v29, v27, v29, -v41
	v_fmac_f32_e32 v29, v27, v25
	s_delay_alu instid0(VALU_DEP_1) | instskip(NEXT) | instid1(VALU_DEP_1)
	v_add_f32_e32 v25, v41, v29
	v_sub_f32_e32 v43, v24, v25
	s_delay_alu instid0(VALU_DEP_1) | instskip(NEXT) | instid1(VALU_DEP_1)
	v_dual_sub_f32 v41, v25, v41 :: v_dual_sub_f32 v24, v24, v43
	v_sub_f32_e32 v24, v24, v25
	s_delay_alu instid0(VALU_DEP_2) | instskip(NEXT) | instid1(VALU_DEP_2)
	v_sub_f32_e32 v25, v41, v29
	v_dual_add_f32 v21, v21, v24 :: v_dual_add_f32 v24, v42, v27
	s_delay_alu instid0(VALU_DEP_1) | instskip(NEXT) | instid1(VALU_DEP_2)
	v_add_f32_e32 v21, v25, v21
	v_sub_f32_e32 v25, v24, v42
	s_delay_alu instid0(VALU_DEP_2) | instskip(NEXT) | instid1(VALU_DEP_2)
	v_add_f32_e32 v21, v43, v21
	v_sub_f32_e32 v25, v27, v25
	s_delay_alu instid0(VALU_DEP_2) | instskip(NEXT) | instid1(VALU_DEP_1)
	v_mul_f32_e32 v21, v23, v21
	v_add_f32_e32 v21, v25, v21
	s_delay_alu instid0(VALU_DEP_1) | instskip(NEXT) | instid1(VALU_DEP_1)
	v_add_f32_e32 v23, v24, v21
	v_mul_f32_e32 v25, v23, v23
	s_wait_alu 0xfffe
	s_delay_alu instid0(VALU_DEP_1) | instskip(SKIP_1) | instid1(VALU_DEP_2)
	v_fmaak_f32 v27, s3, v25, 0x3ecc95a3
	v_mul_f32_e32 v29, v23, v25
	v_fmaak_f32 v25, v25, v27, 0x3f2aaada
	v_ldexp_f32 v27, v23, 1
	v_sub_f32_e32 v23, v23, v24
	s_delay_alu instid0(VALU_DEP_3) | instskip(SKIP_1) | instid1(VALU_DEP_2)
	v_mul_f32_e32 v25, v29, v25
	v_mul_f32_e32 v29, 0x3f317218, v20
	v_dual_sub_f32 v21, v21, v23 :: v_dual_add_f32 v24, v27, v25
	s_delay_alu instid0(VALU_DEP_1) | instskip(NEXT) | instid1(VALU_DEP_2)
	v_ldexp_f32 v21, v21, 1
	v_sub_f32_e32 v23, v24, v27
	s_delay_alu instid0(VALU_DEP_4) | instskip(NEXT) | instid1(VALU_DEP_1)
	v_fma_f32 v27, 0x3f317218, v20, -v29
	v_dual_sub_f32 v23, v25, v23 :: v_dual_fmamk_f32 v20, v20, 0xb102e308, v27
	s_delay_alu instid0(VALU_DEP_1) | instskip(NEXT) | instid1(VALU_DEP_2)
	v_add_f32_e32 v21, v21, v23
	v_add_f32_e32 v23, v29, v20
	s_delay_alu instid0(VALU_DEP_2) | instskip(NEXT) | instid1(VALU_DEP_2)
	v_add_f32_e32 v25, v24, v21
	v_sub_f32_e32 v29, v23, v29
	s_delay_alu instid0(VALU_DEP_2) | instskip(NEXT) | instid1(VALU_DEP_1)
	v_dual_add_f32 v27, v23, v25 :: v_dual_sub_f32 v24, v25, v24
	v_dual_sub_f32 v20, v20, v29 :: v_dual_sub_f32 v41, v27, v23
	s_delay_alu instid0(VALU_DEP_1) | instskip(SKIP_1) | instid1(VALU_DEP_2)
	v_dual_sub_f32 v21, v21, v24 :: v_dual_sub_f32 v42, v27, v41
	v_sub_f32_e32 v24, v25, v41
	v_add_f32_e32 v25, v20, v21
	s_delay_alu instid0(VALU_DEP_3) | instskip(NEXT) | instid1(VALU_DEP_1)
	v_sub_f32_e32 v23, v23, v42
	v_dual_add_f32 v23, v24, v23 :: v_dual_sub_f32 v24, v25, v20
	s_delay_alu instid0(VALU_DEP_1) | instskip(NEXT) | instid1(VALU_DEP_2)
	v_add_f32_e32 v23, v25, v23
	v_sub_f32_e32 v25, v25, v24
	v_sub_f32_e32 v21, v21, v24
	s_delay_alu instid0(VALU_DEP_2) | instskip(NEXT) | instid1(VALU_DEP_1)
	v_dual_add_f32 v29, v27, v23 :: v_dual_sub_f32 v20, v20, v25
	v_sub_f32_e32 v24, v29, v27
	s_delay_alu instid0(VALU_DEP_2) | instskip(NEXT) | instid1(VALU_DEP_2)
	v_add_f32_e32 v20, v21, v20
	v_sub_f32_e32 v21, v23, v24
	s_delay_alu instid0(VALU_DEP_1) | instskip(NEXT) | instid1(VALU_DEP_1)
	v_add_f32_e32 v20, v20, v21
	v_add_f32_e32 v20, v29, v20
	s_wait_alu 0xfffd
	s_delay_alu instid0(VALU_DEP_1) | instskip(SKIP_2) | instid1(VALU_DEP_2)
	v_cndmask_b32_e32 v20, 0x7f800000, v20, vcc_lo
	v_cmp_gt_f32_e64 vcc_lo, 0x33800000, |v22|
	s_wait_alu 0xfffd
	v_cndmask_b32_e32 v20, v20, v22, vcc_lo
	s_delay_alu instid0(VALU_DEP_1)
	v_add_f32_e32 v20, v2, v20
.LBB443_185:
	s_wait_alu 0xfffe
	s_or_b32 exec_lo, exec_lo, s2
	s_delay_alu instid0(VALU_DEP_1) | instskip(SKIP_1) | instid1(VALU_DEP_2)
	v_bfe_u32 v2, v20, 16, 1
	v_cmp_o_f32_e32 vcc_lo, v20, v20
	v_add3_u32 v2, v20, v2, 0x7fff
	s_delay_alu instid0(VALU_DEP_1) | instskip(SKIP_1) | instid1(VALU_DEP_1)
	v_lshrrev_b32_e32 v2, 16, v2
	s_wait_alu 0xfffd
	v_cndmask_b32_e32 v27, 0x7fc0, v2, vcc_lo
	s_delay_alu instid0(VALU_DEP_1) | instskip(NEXT) | instid1(VALU_DEP_1)
	v_lshlrev_b32_e32 v20, 16, v27
	v_max_num_f32_e32 v2, v20, v20
	v_cmp_u_f32_e32 vcc_lo, v20, v20
	s_delay_alu instid0(VALU_DEP_2) | instskip(SKIP_1) | instid1(VALU_DEP_1)
	v_min_num_f32_e32 v21, v2, v31
	s_wait_alu 0xfffd
	v_dual_max_num_f32 v2, v2, v31 :: v_dual_cndmask_b32 v21, v21, v20
	s_delay_alu instid0(VALU_DEP_1) | instskip(NEXT) | instid1(VALU_DEP_2)
	v_cndmask_b32_e32 v2, v2, v20, vcc_lo
	v_cndmask_b32_e64 v21, v21, v26, s7
	s_delay_alu instid0(VALU_DEP_2) | instskip(NEXT) | instid1(VALU_DEP_2)
	v_cndmask_b32_e64 v2, v2, v26, s7
	v_cmp_class_f32_e64 s2, v21, 0x1f8
	s_delay_alu instid0(VALU_DEP_2)
	v_cmp_neq_f32_e32 vcc_lo, v21, v2
	s_or_b32 s3, vcc_lo, s2
	s_wait_alu 0xfffe
	s_and_saveexec_b32 s2, s3
	s_cbranch_execz .LBB443_187
; %bb.186:
	v_sub_f32_e32 v20, v21, v2
	s_mov_b32 s3, 0x3e9b6dac
	s_delay_alu instid0(VALU_DEP_1) | instskip(SKIP_1) | instid1(VALU_DEP_2)
	v_mul_f32_e32 v21, 0x3fb8aa3b, v20
	v_cmp_ngt_f32_e32 vcc_lo, 0xc2ce8ed0, v20
	v_fma_f32 v22, 0x3fb8aa3b, v20, -v21
	v_rndne_f32_e32 v23, v21
	s_delay_alu instid0(VALU_DEP_1) | instskip(NEXT) | instid1(VALU_DEP_1)
	v_dual_fmamk_f32 v22, v20, 0x32a5705f, v22 :: v_dual_sub_f32 v21, v21, v23
	v_add_f32_e32 v21, v21, v22
	v_cvt_i32_f32_e32 v22, v23
	s_delay_alu instid0(VALU_DEP_2) | instskip(NEXT) | instid1(TRANS32_DEP_1)
	v_exp_f32_e32 v21, v21
	v_ldexp_f32 v21, v21, v22
	s_wait_alu 0xfffd
	s_delay_alu instid0(VALU_DEP_1) | instskip(SKIP_2) | instid1(VALU_DEP_2)
	v_cndmask_b32_e32 v21, 0, v21, vcc_lo
	v_cmp_nlt_f32_e32 vcc_lo, 0x42b17218, v20
	s_wait_alu 0xfffd
	v_cndmask_b32_e32 v22, 0x7f800000, v21, vcc_lo
	s_delay_alu instid0(VALU_DEP_1) | instskip(NEXT) | instid1(VALU_DEP_1)
	v_add_f32_e32 v23, 1.0, v22
	v_cvt_f64_f32_e32 v[20:21], v23
	s_delay_alu instid0(VALU_DEP_1) | instskip(SKIP_1) | instid1(VALU_DEP_1)
	v_frexp_exp_i32_f64_e32 v20, v[20:21]
	v_frexp_mant_f32_e32 v21, v23
	v_cmp_gt_f32_e32 vcc_lo, 0x3f2aaaab, v21
	v_add_f32_e32 v21, -1.0, v23
	s_delay_alu instid0(VALU_DEP_1) | instskip(SKIP_1) | instid1(VALU_DEP_2)
	v_sub_f32_e32 v25, v21, v23
	v_sub_f32_e32 v21, v22, v21
	v_add_f32_e32 v25, 1.0, v25
	s_delay_alu instid0(VALU_DEP_1) | instskip(SKIP_3) | instid1(VALU_DEP_2)
	v_add_f32_e32 v21, v21, v25
	s_wait_alu 0xfffd
	v_subrev_co_ci_u32_e64 v20, null, 0, v20, vcc_lo
	v_cmp_neq_f32_e32 vcc_lo, 0x7f800000, v22
	v_sub_nc_u32_e32 v24, 0, v20
	v_cvt_f32_i32_e32 v20, v20
	s_delay_alu instid0(VALU_DEP_2) | instskip(SKIP_1) | instid1(VALU_DEP_2)
	v_ldexp_f32 v23, v23, v24
	v_ldexp_f32 v21, v21, v24
	v_add_f32_e32 v26, 1.0, v23
	s_delay_alu instid0(VALU_DEP_1) | instskip(NEXT) | instid1(VALU_DEP_1)
	v_dual_add_f32 v24, -1.0, v23 :: v_dual_add_f32 v25, -1.0, v26
	v_add_f32_e32 v29, 1.0, v24
	s_delay_alu instid0(VALU_DEP_2) | instskip(NEXT) | instid1(VALU_DEP_2)
	v_sub_f32_e32 v25, v23, v25
	v_sub_f32_e32 v23, v23, v29
	s_delay_alu instid0(VALU_DEP_2) | instskip(NEXT) | instid1(VALU_DEP_2)
	v_add_f32_e32 v25, v21, v25
	v_add_f32_e32 v21, v21, v23
	s_delay_alu instid0(VALU_DEP_2) | instskip(NEXT) | instid1(VALU_DEP_2)
	v_add_f32_e32 v29, v26, v25
	v_add_f32_e32 v31, v24, v21
	s_delay_alu instid0(VALU_DEP_2) | instskip(SKIP_1) | instid1(VALU_DEP_1)
	v_rcp_f32_e32 v23, v29
	v_sub_f32_e32 v26, v26, v29
	v_dual_sub_f32 v24, v24, v31 :: v_dual_add_f32 v25, v25, v26
	s_delay_alu instid0(VALU_DEP_1) | instskip(NEXT) | instid1(TRANS32_DEP_1)
	v_add_f32_e32 v21, v21, v24
	v_mul_f32_e32 v41, v31, v23
	s_delay_alu instid0(VALU_DEP_1) | instskip(NEXT) | instid1(VALU_DEP_1)
	v_mul_f32_e32 v42, v29, v41
	v_fma_f32 v26, v41, v29, -v42
	s_delay_alu instid0(VALU_DEP_1) | instskip(NEXT) | instid1(VALU_DEP_1)
	v_fmac_f32_e32 v26, v41, v25
	v_add_f32_e32 v43, v42, v26
	s_delay_alu instid0(VALU_DEP_1) | instskip(SKIP_1) | instid1(VALU_DEP_1)
	v_sub_f32_e32 v44, v31, v43
	v_sub_f32_e32 v24, v43, v42
	v_dual_sub_f32 v31, v31, v44 :: v_dual_sub_f32 v24, v24, v26
	s_delay_alu instid0(VALU_DEP_1) | instskip(NEXT) | instid1(VALU_DEP_1)
	v_sub_f32_e32 v31, v31, v43
	v_add_f32_e32 v21, v21, v31
	s_delay_alu instid0(VALU_DEP_1) | instskip(NEXT) | instid1(VALU_DEP_1)
	v_add_f32_e32 v21, v24, v21
	v_add_f32_e32 v24, v44, v21
	s_delay_alu instid0(VALU_DEP_1) | instskip(SKIP_1) | instid1(VALU_DEP_2)
	v_mul_f32_e32 v26, v23, v24
	v_sub_f32_e32 v43, v44, v24
	v_mul_f32_e32 v31, v29, v26
	s_delay_alu instid0(VALU_DEP_2) | instskip(NEXT) | instid1(VALU_DEP_2)
	v_add_f32_e32 v21, v21, v43
	v_fma_f32 v29, v26, v29, -v31
	s_delay_alu instid0(VALU_DEP_1) | instskip(NEXT) | instid1(VALU_DEP_1)
	v_fmac_f32_e32 v29, v26, v25
	v_add_f32_e32 v25, v31, v29
	s_delay_alu instid0(VALU_DEP_1) | instskip(NEXT) | instid1(VALU_DEP_1)
	v_dual_sub_f32 v42, v24, v25 :: v_dual_sub_f32 v31, v25, v31
	v_sub_f32_e32 v24, v24, v42
	s_delay_alu instid0(VALU_DEP_1) | instskip(NEXT) | instid1(VALU_DEP_3)
	v_sub_f32_e32 v24, v24, v25
	v_sub_f32_e32 v25, v31, v29
	s_delay_alu instid0(VALU_DEP_2) | instskip(SKIP_1) | instid1(VALU_DEP_2)
	v_add_f32_e32 v21, v21, v24
	v_add_f32_e32 v24, v41, v26
	v_add_f32_e32 v21, v25, v21
	s_delay_alu instid0(VALU_DEP_2) | instskip(NEXT) | instid1(VALU_DEP_2)
	v_sub_f32_e32 v25, v24, v41
	v_add_f32_e32 v21, v42, v21
	s_delay_alu instid0(VALU_DEP_2) | instskip(NEXT) | instid1(VALU_DEP_2)
	v_sub_f32_e32 v25, v26, v25
	v_mul_f32_e32 v21, v23, v21
	s_delay_alu instid0(VALU_DEP_1) | instskip(NEXT) | instid1(VALU_DEP_1)
	v_add_f32_e32 v21, v25, v21
	v_add_f32_e32 v23, v24, v21
	s_delay_alu instid0(VALU_DEP_1) | instskip(SKIP_1) | instid1(VALU_DEP_1)
	v_mul_f32_e32 v25, v23, v23
	s_wait_alu 0xfffe
	v_fmaak_f32 v26, s3, v25, 0x3ecc95a3
	v_mul_f32_e32 v29, v23, v25
	s_delay_alu instid0(VALU_DEP_2) | instskip(SKIP_2) | instid1(VALU_DEP_3)
	v_fmaak_f32 v25, v25, v26, 0x3f2aaada
	v_ldexp_f32 v26, v23, 1
	v_sub_f32_e32 v23, v23, v24
	v_mul_f32_e32 v25, v29, v25
	v_mul_f32_e32 v29, 0x3f317218, v20
	s_delay_alu instid0(VALU_DEP_2) | instskip(NEXT) | instid1(VALU_DEP_1)
	v_dual_sub_f32 v21, v21, v23 :: v_dual_add_f32 v24, v26, v25
	v_ldexp_f32 v21, v21, 1
	s_delay_alu instid0(VALU_DEP_2) | instskip(NEXT) | instid1(VALU_DEP_4)
	v_sub_f32_e32 v23, v24, v26
	v_fma_f32 v26, 0x3f317218, v20, -v29
	s_delay_alu instid0(VALU_DEP_1) | instskip(NEXT) | instid1(VALU_DEP_1)
	v_dual_sub_f32 v23, v25, v23 :: v_dual_fmamk_f32 v20, v20, 0xb102e308, v26
	v_add_f32_e32 v21, v21, v23
	s_delay_alu instid0(VALU_DEP_2) | instskip(NEXT) | instid1(VALU_DEP_2)
	v_add_f32_e32 v23, v29, v20
	v_add_f32_e32 v25, v24, v21
	s_delay_alu instid0(VALU_DEP_2) | instskip(NEXT) | instid1(VALU_DEP_2)
	v_sub_f32_e32 v29, v23, v29
	v_add_f32_e32 v26, v23, v25
	v_sub_f32_e32 v24, v25, v24
	s_delay_alu instid0(VALU_DEP_2) | instskip(NEXT) | instid1(VALU_DEP_2)
	v_dual_sub_f32 v20, v20, v29 :: v_dual_sub_f32 v31, v26, v23
	v_sub_f32_e32 v21, v21, v24
	s_delay_alu instid0(VALU_DEP_2) | instskip(NEXT) | instid1(VALU_DEP_2)
	v_sub_f32_e32 v41, v26, v31
	v_dual_sub_f32 v24, v25, v31 :: v_dual_add_f32 v25, v20, v21
	s_delay_alu instid0(VALU_DEP_2) | instskip(NEXT) | instid1(VALU_DEP_1)
	v_sub_f32_e32 v23, v23, v41
	v_dual_add_f32 v23, v24, v23 :: v_dual_sub_f32 v24, v25, v20
	s_delay_alu instid0(VALU_DEP_1) | instskip(NEXT) | instid1(VALU_DEP_2)
	v_add_f32_e32 v23, v25, v23
	v_sub_f32_e32 v25, v25, v24
	v_sub_f32_e32 v21, v21, v24
	s_delay_alu instid0(VALU_DEP_2) | instskip(NEXT) | instid1(VALU_DEP_1)
	v_dual_add_f32 v29, v26, v23 :: v_dual_sub_f32 v20, v20, v25
	v_sub_f32_e32 v24, v29, v26
	s_delay_alu instid0(VALU_DEP_2) | instskip(NEXT) | instid1(VALU_DEP_2)
	v_add_f32_e32 v20, v21, v20
	v_sub_f32_e32 v21, v23, v24
	s_delay_alu instid0(VALU_DEP_1) | instskip(NEXT) | instid1(VALU_DEP_1)
	v_add_f32_e32 v20, v20, v21
	v_add_f32_e32 v20, v29, v20
	s_wait_alu 0xfffd
	s_delay_alu instid0(VALU_DEP_1) | instskip(SKIP_2) | instid1(VALU_DEP_2)
	v_cndmask_b32_e32 v20, 0x7f800000, v20, vcc_lo
	v_cmp_gt_f32_e64 vcc_lo, 0x33800000, |v22|
	s_wait_alu 0xfffd
	v_cndmask_b32_e32 v20, v20, v22, vcc_lo
	s_delay_alu instid0(VALU_DEP_1)
	v_add_f32_e32 v20, v2, v20
.LBB443_187:
	s_wait_alu 0xfffe
	s_or_b32 exec_lo, exec_lo, s2
	s_delay_alu instid0(VALU_DEP_1) | instskip(SKIP_1) | instid1(VALU_DEP_2)
	v_bfe_u32 v2, v20, 16, 1
	v_cmp_o_f32_e32 vcc_lo, v20, v20
	v_add3_u32 v2, v20, v2, 0x7fff
	s_delay_alu instid0(VALU_DEP_1) | instskip(SKIP_1) | instid1(VALU_DEP_1)
	v_lshrrev_b32_e32 v2, 16, v2
	s_wait_alu 0xfffd
	v_cndmask_b32_e32 v2, 0x7fc0, v2, vcc_lo
	s_delay_alu instid0(VALU_DEP_1) | instskip(NEXT) | instid1(VALU_DEP_1)
	v_lshlrev_b32_e32 v21, 16, v2
	v_max_num_f32_e32 v20, v21, v21
	s_delay_alu instid0(VALU_DEP_1) | instskip(SKIP_3) | instid1(VALU_DEP_3)
	v_min_num_f32_e32 v22, v20, v33
	v_max_num_f32_e32 v20, v20, v33
	v_cmp_u_f32_e32 vcc_lo, v21, v21
	s_wait_alu 0xfffd
	v_cndmask_b32_e32 v22, v22, v21, vcc_lo
	s_delay_alu instid0(VALU_DEP_3) | instskip(NEXT) | instid1(VALU_DEP_2)
	v_cndmask_b32_e32 v20, v20, v21, vcc_lo
	v_cndmask_b32_e64 v22, v22, v28, s8
	s_delay_alu instid0(VALU_DEP_2) | instskip(NEXT) | instid1(VALU_DEP_2)
	v_cndmask_b32_e64 v20, v20, v28, s8
	v_cmp_class_f32_e64 s2, v22, 0x1f8
	s_delay_alu instid0(VALU_DEP_2)
	v_cmp_neq_f32_e32 vcc_lo, v22, v20
	s_or_b32 s3, vcc_lo, s2
	s_wait_alu 0xfffe
	s_and_saveexec_b32 s2, s3
	s_cbranch_execz .LBB443_189
; %bb.188:
	v_sub_f32_e32 v21, v22, v20
	s_mov_b32 s3, 0x3e9b6dac
	s_delay_alu instid0(VALU_DEP_1) | instskip(SKIP_1) | instid1(VALU_DEP_2)
	v_mul_f32_e32 v22, 0x3fb8aa3b, v21
	v_cmp_ngt_f32_e32 vcc_lo, 0xc2ce8ed0, v21
	v_fma_f32 v23, 0x3fb8aa3b, v21, -v22
	v_rndne_f32_e32 v24, v22
	s_delay_alu instid0(VALU_DEP_1) | instskip(NEXT) | instid1(VALU_DEP_1)
	v_dual_fmamk_f32 v23, v21, 0x32a5705f, v23 :: v_dual_sub_f32 v22, v22, v24
	v_add_f32_e32 v22, v22, v23
	v_cvt_i32_f32_e32 v23, v24
	s_delay_alu instid0(VALU_DEP_2) | instskip(NEXT) | instid1(TRANS32_DEP_1)
	v_exp_f32_e32 v22, v22
	v_ldexp_f32 v22, v22, v23
	s_wait_alu 0xfffd
	s_delay_alu instid0(VALU_DEP_1) | instskip(SKIP_2) | instid1(VALU_DEP_2)
	v_cndmask_b32_e32 v22, 0, v22, vcc_lo
	v_cmp_nlt_f32_e32 vcc_lo, 0x42b17218, v21
	s_wait_alu 0xfffd
	v_cndmask_b32_e32 v23, 0x7f800000, v22, vcc_lo
	s_delay_alu instid0(VALU_DEP_1) | instskip(NEXT) | instid1(VALU_DEP_1)
	v_add_f32_e32 v24, 1.0, v23
	v_cvt_f64_f32_e32 v[21:22], v24
	s_delay_alu instid0(VALU_DEP_1) | instskip(SKIP_1) | instid1(VALU_DEP_1)
	v_frexp_exp_i32_f64_e32 v21, v[21:22]
	v_frexp_mant_f32_e32 v22, v24
	v_cmp_gt_f32_e32 vcc_lo, 0x3f2aaaab, v22
	v_add_f32_e32 v22, -1.0, v24
	s_delay_alu instid0(VALU_DEP_1) | instskip(SKIP_1) | instid1(VALU_DEP_2)
	v_sub_f32_e32 v26, v22, v24
	v_sub_f32_e32 v22, v23, v22
	v_add_f32_e32 v26, 1.0, v26
	s_delay_alu instid0(VALU_DEP_1) | instskip(SKIP_3) | instid1(VALU_DEP_2)
	v_add_f32_e32 v22, v22, v26
	s_wait_alu 0xfffd
	v_subrev_co_ci_u32_e64 v21, null, 0, v21, vcc_lo
	v_cmp_neq_f32_e32 vcc_lo, 0x7f800000, v23
	v_sub_nc_u32_e32 v25, 0, v21
	v_cvt_f32_i32_e32 v21, v21
	s_delay_alu instid0(VALU_DEP_2) | instskip(SKIP_1) | instid1(VALU_DEP_2)
	v_ldexp_f32 v24, v24, v25
	v_ldexp_f32 v22, v22, v25
	v_add_f32_e32 v28, 1.0, v24
	v_add_f32_e32 v25, -1.0, v24
	s_delay_alu instid0(VALU_DEP_1) | instskip(NEXT) | instid1(VALU_DEP_1)
	v_dual_add_f32 v26, -1.0, v28 :: v_dual_add_f32 v29, 1.0, v25
	v_sub_f32_e32 v26, v24, v26
	s_delay_alu instid0(VALU_DEP_2) | instskip(NEXT) | instid1(VALU_DEP_2)
	v_sub_f32_e32 v24, v24, v29
	v_add_f32_e32 v26, v22, v26
	s_delay_alu instid0(VALU_DEP_1) | instskip(NEXT) | instid1(VALU_DEP_1)
	v_add_f32_e32 v29, v28, v26
	v_sub_f32_e32 v28, v28, v29
	s_delay_alu instid0(VALU_DEP_1) | instskip(SKIP_2) | instid1(VALU_DEP_1)
	v_add_f32_e32 v26, v26, v28
	v_add_f32_e32 v22, v22, v24
	v_rcp_f32_e32 v24, v29
	v_add_f32_e32 v31, v25, v22
	s_delay_alu instid0(VALU_DEP_1)
	v_sub_f32_e32 v25, v25, v31
	s_delay_alu instid0(TRANS32_DEP_1) | instid1(VALU_DEP_1)
	v_dual_mul_f32 v33, v31, v24 :: v_dual_add_f32 v22, v22, v25
	s_delay_alu instid0(VALU_DEP_1) | instskip(NEXT) | instid1(VALU_DEP_1)
	v_mul_f32_e32 v41, v29, v33
	v_fma_f32 v28, v33, v29, -v41
	s_delay_alu instid0(VALU_DEP_1) | instskip(NEXT) | instid1(VALU_DEP_1)
	v_fmac_f32_e32 v28, v33, v26
	v_add_f32_e32 v42, v41, v28
	s_delay_alu instid0(VALU_DEP_1) | instskip(SKIP_1) | instid1(VALU_DEP_2)
	v_sub_f32_e32 v43, v31, v42
	v_sub_f32_e32 v25, v42, v41
	;; [unrolled: 1-line block ×3, first 2 shown]
	s_delay_alu instid0(VALU_DEP_2) | instskip(NEXT) | instid1(VALU_DEP_2)
	v_sub_f32_e32 v25, v25, v28
	v_sub_f32_e32 v31, v31, v42
	s_delay_alu instid0(VALU_DEP_1) | instskip(NEXT) | instid1(VALU_DEP_1)
	v_add_f32_e32 v22, v22, v31
	v_add_f32_e32 v22, v25, v22
	s_delay_alu instid0(VALU_DEP_1) | instskip(NEXT) | instid1(VALU_DEP_1)
	v_add_f32_e32 v25, v43, v22
	v_mul_f32_e32 v28, v24, v25
	s_delay_alu instid0(VALU_DEP_1) | instskip(NEXT) | instid1(VALU_DEP_1)
	v_dual_sub_f32 v42, v43, v25 :: v_dual_mul_f32 v31, v29, v28
	v_add_f32_e32 v22, v22, v42
	s_delay_alu instid0(VALU_DEP_2) | instskip(NEXT) | instid1(VALU_DEP_1)
	v_fma_f32 v29, v28, v29, -v31
	v_fmac_f32_e32 v29, v28, v26
	s_delay_alu instid0(VALU_DEP_1) | instskip(NEXT) | instid1(VALU_DEP_1)
	v_add_f32_e32 v26, v31, v29
	v_sub_f32_e32 v41, v25, v26
	s_delay_alu instid0(VALU_DEP_1) | instskip(NEXT) | instid1(VALU_DEP_1)
	v_sub_f32_e32 v25, v25, v41
	v_sub_f32_e32 v25, v25, v26
	s_delay_alu instid0(VALU_DEP_1) | instskip(SKIP_1) | instid1(VALU_DEP_1)
	v_dual_add_f32 v22, v22, v25 :: v_dual_add_f32 v25, v33, v28
	v_sub_f32_e32 v31, v26, v31
	v_sub_f32_e32 v26, v31, v29
	s_delay_alu instid0(VALU_DEP_1) | instskip(NEXT) | instid1(VALU_DEP_4)
	v_add_f32_e32 v22, v26, v22
	v_sub_f32_e32 v26, v25, v33
	s_delay_alu instid0(VALU_DEP_2) | instskip(NEXT) | instid1(VALU_DEP_2)
	v_add_f32_e32 v22, v41, v22
	v_sub_f32_e32 v26, v28, v26
	s_delay_alu instid0(VALU_DEP_2) | instskip(NEXT) | instid1(VALU_DEP_1)
	v_mul_f32_e32 v22, v24, v22
	v_add_f32_e32 v22, v26, v22
	s_delay_alu instid0(VALU_DEP_1) | instskip(NEXT) | instid1(VALU_DEP_1)
	v_add_f32_e32 v24, v25, v22
	v_mul_f32_e32 v26, v24, v24
	s_wait_alu 0xfffe
	s_delay_alu instid0(VALU_DEP_1) | instskip(NEXT) | instid1(VALU_DEP_1)
	v_fmaak_f32 v28, s3, v26, 0x3ecc95a3
	v_dual_mul_f32 v29, v24, v26 :: v_dual_fmaak_f32 v26, v26, v28, 0x3f2aaada
	v_ldexp_f32 v28, v24, 1
	v_sub_f32_e32 v24, v24, v25
	s_delay_alu instid0(VALU_DEP_3) | instskip(NEXT) | instid1(VALU_DEP_1)
	v_dual_mul_f32 v26, v29, v26 :: v_dual_mul_f32 v29, 0x3f317218, v21
	v_dual_sub_f32 v22, v22, v24 :: v_dual_add_f32 v25, v28, v26
	s_delay_alu instid0(VALU_DEP_1) | instskip(NEXT) | instid1(VALU_DEP_2)
	v_ldexp_f32 v22, v22, 1
	v_sub_f32_e32 v24, v25, v28
	s_delay_alu instid0(VALU_DEP_4) | instskip(NEXT) | instid1(VALU_DEP_1)
	v_fma_f32 v28, 0x3f317218, v21, -v29
	v_dual_sub_f32 v24, v26, v24 :: v_dual_fmamk_f32 v21, v21, 0xb102e308, v28
	s_delay_alu instid0(VALU_DEP_1) | instskip(NEXT) | instid1(VALU_DEP_2)
	v_add_f32_e32 v22, v22, v24
	v_add_f32_e32 v24, v29, v21
	s_delay_alu instid0(VALU_DEP_1) | instskip(NEXT) | instid1(VALU_DEP_1)
	v_dual_add_f32 v26, v25, v22 :: v_dual_sub_f32 v29, v24, v29
	v_dual_add_f32 v28, v24, v26 :: v_dual_sub_f32 v25, v26, v25
	s_delay_alu instid0(VALU_DEP_2) | instskip(NEXT) | instid1(VALU_DEP_2)
	v_sub_f32_e32 v21, v21, v29
	v_dual_sub_f32 v31, v28, v24 :: v_dual_sub_f32 v22, v22, v25
	s_delay_alu instid0(VALU_DEP_1) | instskip(NEXT) | instid1(VALU_DEP_2)
	v_sub_f32_e32 v33, v28, v31
	v_dual_sub_f32 v25, v26, v31 :: v_dual_add_f32 v26, v21, v22
	s_delay_alu instid0(VALU_DEP_2) | instskip(NEXT) | instid1(VALU_DEP_1)
	v_sub_f32_e32 v24, v24, v33
	v_dual_add_f32 v24, v25, v24 :: v_dual_sub_f32 v25, v26, v21
	s_delay_alu instid0(VALU_DEP_1) | instskip(NEXT) | instid1(VALU_DEP_2)
	v_add_f32_e32 v24, v26, v24
	v_sub_f32_e32 v26, v26, v25
	s_delay_alu instid0(VALU_DEP_2) | instskip(NEXT) | instid1(VALU_DEP_2)
	v_dual_sub_f32 v22, v22, v25 :: v_dual_add_f32 v29, v28, v24
	v_sub_f32_e32 v21, v21, v26
	s_delay_alu instid0(VALU_DEP_2) | instskip(NEXT) | instid1(VALU_DEP_2)
	v_sub_f32_e32 v25, v29, v28
	v_add_f32_e32 v21, v22, v21
	s_delay_alu instid0(VALU_DEP_2) | instskip(NEXT) | instid1(VALU_DEP_1)
	v_sub_f32_e32 v22, v24, v25
	v_add_f32_e32 v21, v21, v22
	s_delay_alu instid0(VALU_DEP_1) | instskip(SKIP_1) | instid1(VALU_DEP_1)
	v_add_f32_e32 v21, v29, v21
	s_wait_alu 0xfffd
	v_cndmask_b32_e32 v21, 0x7f800000, v21, vcc_lo
	v_cmp_gt_f32_e64 vcc_lo, 0x33800000, |v23|
	s_wait_alu 0xfffd
	s_delay_alu instid0(VALU_DEP_2) | instskip(NEXT) | instid1(VALU_DEP_1)
	v_cndmask_b32_e32 v21, v21, v23, vcc_lo
	v_add_f32_e32 v21, v20, v21
.LBB443_189:
	s_wait_alu 0xfffe
	s_or_b32 exec_lo, exec_lo, s2
	s_delay_alu instid0(VALU_DEP_1) | instskip(SKIP_1) | instid1(VALU_DEP_2)
	v_bfe_u32 v20, v21, 16, 1
	v_cmp_o_f32_e32 vcc_lo, v21, v21
	v_add3_u32 v20, v21, v20, 0x7fff
	s_delay_alu instid0(VALU_DEP_1) | instskip(SKIP_1) | instid1(VALU_DEP_1)
	v_lshrrev_b32_e32 v20, 16, v20
	s_wait_alu 0xfffd
	v_cndmask_b32_e32 v20, 0x7fc0, v20, vcc_lo
	s_delay_alu instid0(VALU_DEP_1) | instskip(NEXT) | instid1(VALU_DEP_1)
	v_lshlrev_b32_e32 v22, 16, v20
	v_max_num_f32_e32 v21, v22, v22
	s_delay_alu instid0(VALU_DEP_1) | instskip(SKIP_3) | instid1(VALU_DEP_3)
	v_min_num_f32_e32 v23, v21, v35
	v_max_num_f32_e32 v21, v21, v35
	v_cmp_u_f32_e32 vcc_lo, v22, v22
	s_wait_alu 0xfffd
	v_cndmask_b32_e32 v23, v23, v22, vcc_lo
	s_delay_alu instid0(VALU_DEP_3) | instskip(NEXT) | instid1(VALU_DEP_2)
	v_cndmask_b32_e32 v21, v21, v22, vcc_lo
	v_cndmask_b32_e64 v23, v23, v30, s9
	s_delay_alu instid0(VALU_DEP_2) | instskip(NEXT) | instid1(VALU_DEP_2)
	v_cndmask_b32_e64 v21, v21, v30, s9
	v_cmp_class_f32_e64 s2, v23, 0x1f8
	s_delay_alu instid0(VALU_DEP_2)
	v_cmp_neq_f32_e32 vcc_lo, v23, v21
	s_or_b32 s3, vcc_lo, s2
	s_wait_alu 0xfffe
	s_and_saveexec_b32 s2, s3
	s_cbranch_execz .LBB443_191
; %bb.190:
	v_sub_f32_e32 v22, v23, v21
	s_mov_b32 s3, 0x3e9b6dac
	s_delay_alu instid0(VALU_DEP_1) | instskip(SKIP_1) | instid1(VALU_DEP_2)
	v_mul_f32_e32 v23, 0x3fb8aa3b, v22
	v_cmp_ngt_f32_e32 vcc_lo, 0xc2ce8ed0, v22
	v_fma_f32 v24, 0x3fb8aa3b, v22, -v23
	v_rndne_f32_e32 v25, v23
	s_delay_alu instid0(VALU_DEP_1) | instskip(NEXT) | instid1(VALU_DEP_1)
	v_dual_fmamk_f32 v24, v22, 0x32a5705f, v24 :: v_dual_sub_f32 v23, v23, v25
	v_add_f32_e32 v23, v23, v24
	v_cvt_i32_f32_e32 v24, v25
	s_delay_alu instid0(VALU_DEP_2) | instskip(NEXT) | instid1(TRANS32_DEP_1)
	v_exp_f32_e32 v23, v23
	v_ldexp_f32 v23, v23, v24
	s_wait_alu 0xfffd
	s_delay_alu instid0(VALU_DEP_1) | instskip(SKIP_2) | instid1(VALU_DEP_2)
	v_cndmask_b32_e32 v23, 0, v23, vcc_lo
	v_cmp_nlt_f32_e32 vcc_lo, 0x42b17218, v22
	s_wait_alu 0xfffd
	v_cndmask_b32_e32 v24, 0x7f800000, v23, vcc_lo
	s_delay_alu instid0(VALU_DEP_1) | instskip(NEXT) | instid1(VALU_DEP_1)
	v_add_f32_e32 v25, 1.0, v24
	v_cvt_f64_f32_e32 v[22:23], v25
	s_delay_alu instid0(VALU_DEP_1) | instskip(SKIP_1) | instid1(VALU_DEP_1)
	v_frexp_exp_i32_f64_e32 v22, v[22:23]
	v_frexp_mant_f32_e32 v23, v25
	v_cmp_gt_f32_e32 vcc_lo, 0x3f2aaaab, v23
	v_add_f32_e32 v23, -1.0, v25
	s_delay_alu instid0(VALU_DEP_1) | instskip(NEXT) | instid1(VALU_DEP_1)
	v_dual_sub_f32 v28, v23, v25 :: v_dual_sub_f32 v23, v24, v23
	v_add_f32_e32 v28, 1.0, v28
	s_wait_alu 0xfffd
	v_subrev_co_ci_u32_e64 v22, null, 0, v22, vcc_lo
	v_cmp_neq_f32_e32 vcc_lo, 0x7f800000, v24
	s_delay_alu instid0(VALU_DEP_2) | instskip(SKIP_1) | instid1(VALU_DEP_2)
	v_sub_nc_u32_e32 v26, 0, v22
	v_cvt_f32_i32_e32 v22, v22
	v_ldexp_f32 v25, v25, v26
	v_add_f32_e32 v23, v23, v28
	s_delay_alu instid0(VALU_DEP_2) | instskip(NEXT) | instid1(VALU_DEP_2)
	v_add_f32_e32 v29, 1.0, v25
	v_ldexp_f32 v23, v23, v26
	v_add_f32_e32 v26, -1.0, v25
	s_delay_alu instid0(VALU_DEP_3) | instskip(NEXT) | instid1(VALU_DEP_2)
	v_add_f32_e32 v28, -1.0, v29
	v_add_f32_e32 v30, 1.0, v26
	s_delay_alu instid0(VALU_DEP_2) | instskip(NEXT) | instid1(VALU_DEP_1)
	v_sub_f32_e32 v28, v25, v28
	v_dual_sub_f32 v25, v25, v30 :: v_dual_add_f32 v28, v23, v28
	s_delay_alu instid0(VALU_DEP_1) | instskip(NEXT) | instid1(VALU_DEP_1)
	v_dual_add_f32 v23, v23, v25 :: v_dual_add_f32 v30, v29, v28
	v_rcp_f32_e32 v25, v30
	v_sub_f32_e32 v29, v29, v30
	s_delay_alu instid0(VALU_DEP_1)
	v_dual_add_f32 v31, v26, v23 :: v_dual_add_f32 v28, v28, v29
	s_delay_alu instid0(TRANS32_DEP_1) | instid1(VALU_DEP_1)
	v_dual_sub_f32 v26, v26, v31 :: v_dual_mul_f32 v33, v31, v25
	s_delay_alu instid0(VALU_DEP_1) | instskip(NEXT) | instid1(VALU_DEP_1)
	v_mul_f32_e32 v35, v30, v33
	v_fma_f32 v29, v33, v30, -v35
	s_delay_alu instid0(VALU_DEP_1) | instskip(NEXT) | instid1(VALU_DEP_4)
	v_fmac_f32_e32 v29, v33, v28
	v_add_f32_e32 v23, v23, v26
	s_delay_alu instid0(VALU_DEP_2) | instskip(NEXT) | instid1(VALU_DEP_1)
	v_add_f32_e32 v41, v35, v29
	v_sub_f32_e32 v42, v31, v41
	s_delay_alu instid0(VALU_DEP_1) | instskip(NEXT) | instid1(VALU_DEP_1)
	v_dual_sub_f32 v26, v41, v35 :: v_dual_sub_f32 v31, v31, v42
	v_sub_f32_e32 v26, v26, v29
	s_delay_alu instid0(VALU_DEP_2) | instskip(NEXT) | instid1(VALU_DEP_1)
	v_sub_f32_e32 v31, v31, v41
	v_add_f32_e32 v23, v23, v31
	s_delay_alu instid0(VALU_DEP_1) | instskip(NEXT) | instid1(VALU_DEP_1)
	v_add_f32_e32 v23, v26, v23
	v_add_f32_e32 v26, v42, v23
	s_delay_alu instid0(VALU_DEP_1) | instskip(SKIP_1) | instid1(VALU_DEP_2)
	v_mul_f32_e32 v29, v25, v26
	v_sub_f32_e32 v41, v42, v26
	v_mul_f32_e32 v31, v30, v29
	s_delay_alu instid0(VALU_DEP_1) | instskip(NEXT) | instid1(VALU_DEP_1)
	v_fma_f32 v30, v29, v30, -v31
	v_fmac_f32_e32 v30, v29, v28
	s_delay_alu instid0(VALU_DEP_1) | instskip(SKIP_1) | instid1(VALU_DEP_2)
	v_add_f32_e32 v28, v31, v30
	v_add_f32_e32 v23, v23, v41
	v_sub_f32_e32 v31, v28, v31
	v_sub_f32_e32 v35, v26, v28
	s_delay_alu instid0(VALU_DEP_1) | instskip(NEXT) | instid1(VALU_DEP_1)
	v_sub_f32_e32 v26, v26, v35
	v_sub_f32_e32 v26, v26, v28
	s_delay_alu instid0(VALU_DEP_4) | instskip(NEXT) | instid1(VALU_DEP_2)
	v_sub_f32_e32 v28, v31, v30
	v_dual_add_f32 v23, v23, v26 :: v_dual_add_f32 v26, v33, v29
	s_delay_alu instid0(VALU_DEP_1) | instskip(NEXT) | instid1(VALU_DEP_1)
	v_dual_add_f32 v23, v28, v23 :: v_dual_sub_f32 v28, v26, v33
	v_dual_add_f32 v23, v35, v23 :: v_dual_sub_f32 v28, v29, v28
	s_delay_alu instid0(VALU_DEP_1) | instskip(NEXT) | instid1(VALU_DEP_1)
	v_mul_f32_e32 v23, v25, v23
	v_add_f32_e32 v23, v28, v23
	s_delay_alu instid0(VALU_DEP_1) | instskip(NEXT) | instid1(VALU_DEP_1)
	v_add_f32_e32 v25, v26, v23
	v_mul_f32_e32 v28, v25, v25
	s_wait_alu 0xfffe
	s_delay_alu instid0(VALU_DEP_1) | instskip(SKIP_1) | instid1(VALU_DEP_2)
	v_fmaak_f32 v29, s3, v28, 0x3ecc95a3
	v_mul_f32_e32 v30, v25, v28
	v_fmaak_f32 v28, v28, v29, 0x3f2aaada
	v_ldexp_f32 v29, v25, 1
	s_delay_alu instid0(VALU_DEP_2) | instskip(NEXT) | instid1(VALU_DEP_1)
	v_dual_sub_f32 v25, v25, v26 :: v_dual_mul_f32 v28, v30, v28
	v_dual_mul_f32 v30, 0x3f317218, v22 :: v_dual_sub_f32 v23, v23, v25
	s_delay_alu instid0(VALU_DEP_2) | instskip(NEXT) | instid1(VALU_DEP_2)
	v_add_f32_e32 v26, v29, v28
	v_ldexp_f32 v23, v23, 1
	s_delay_alu instid0(VALU_DEP_2) | instskip(NEXT) | instid1(VALU_DEP_4)
	v_sub_f32_e32 v25, v26, v29
	v_fma_f32 v29, 0x3f317218, v22, -v30
	s_delay_alu instid0(VALU_DEP_1) | instskip(NEXT) | instid1(VALU_DEP_1)
	v_dual_sub_f32 v25, v28, v25 :: v_dual_fmamk_f32 v22, v22, 0xb102e308, v29
	v_add_f32_e32 v23, v23, v25
	s_delay_alu instid0(VALU_DEP_2) | instskip(NEXT) | instid1(VALU_DEP_2)
	v_add_f32_e32 v25, v30, v22
	v_add_f32_e32 v28, v26, v23
	s_delay_alu instid0(VALU_DEP_2) | instskip(NEXT) | instid1(VALU_DEP_2)
	v_sub_f32_e32 v30, v25, v30
	v_dual_add_f32 v29, v25, v28 :: v_dual_sub_f32 v26, v28, v26
	s_delay_alu instid0(VALU_DEP_1) | instskip(NEXT) | instid1(VALU_DEP_2)
	v_dual_sub_f32 v22, v22, v30 :: v_dual_sub_f32 v31, v29, v25
	v_sub_f32_e32 v23, v23, v26
	s_delay_alu instid0(VALU_DEP_2) | instskip(SKIP_1) | instid1(VALU_DEP_2)
	v_sub_f32_e32 v33, v29, v31
	v_sub_f32_e32 v26, v28, v31
	v_dual_add_f32 v28, v22, v23 :: v_dual_sub_f32 v25, v25, v33
	s_delay_alu instid0(VALU_DEP_1) | instskip(NEXT) | instid1(VALU_DEP_1)
	v_dual_add_f32 v25, v26, v25 :: v_dual_sub_f32 v26, v28, v22
	v_add_f32_e32 v25, v28, v25
	s_delay_alu instid0(VALU_DEP_2) | instskip(NEXT) | instid1(VALU_DEP_1)
	v_sub_f32_e32 v28, v28, v26
	v_dual_sub_f32 v23, v23, v26 :: v_dual_sub_f32 v22, v22, v28
	s_delay_alu instid0(VALU_DEP_1) | instskip(NEXT) | instid1(VALU_DEP_4)
	v_add_f32_e32 v22, v23, v22
	v_add_f32_e32 v30, v29, v25
	s_delay_alu instid0(VALU_DEP_1) | instskip(NEXT) | instid1(VALU_DEP_1)
	v_sub_f32_e32 v26, v30, v29
	v_sub_f32_e32 v23, v25, v26
	s_delay_alu instid0(VALU_DEP_1) | instskip(NEXT) | instid1(VALU_DEP_1)
	v_add_f32_e32 v22, v22, v23
	v_add_f32_e32 v22, v30, v22
	s_wait_alu 0xfffd
	s_delay_alu instid0(VALU_DEP_1) | instskip(SKIP_2) | instid1(VALU_DEP_2)
	v_cndmask_b32_e32 v22, 0x7f800000, v22, vcc_lo
	v_cmp_gt_f32_e64 vcc_lo, 0x33800000, |v24|
	s_wait_alu 0xfffd
	v_cndmask_b32_e32 v22, v22, v24, vcc_lo
	s_delay_alu instid0(VALU_DEP_1)
	v_add_f32_e32 v22, v21, v22
.LBB443_191:
	s_wait_alu 0xfffe
	s_or_b32 exec_lo, exec_lo, s2
	s_delay_alu instid0(VALU_DEP_1) | instskip(SKIP_1) | instid1(VALU_DEP_2)
	v_bfe_u32 v21, v22, 16, 1
	v_cmp_o_f32_e32 vcc_lo, v22, v22
	v_add3_u32 v21, v22, v21, 0x7fff
	s_delay_alu instid0(VALU_DEP_1) | instskip(SKIP_1) | instid1(VALU_DEP_1)
	v_lshrrev_b32_e32 v21, 16, v21
	s_wait_alu 0xfffd
	v_cndmask_b32_e32 v21, 0x7fc0, v21, vcc_lo
	s_delay_alu instid0(VALU_DEP_1) | instskip(NEXT) | instid1(VALU_DEP_1)
	v_lshlrev_b32_e32 v23, 16, v21
	v_max_num_f32_e32 v22, v23, v23
	v_cmp_u_f32_e32 vcc_lo, v23, v23
	s_delay_alu instid0(VALU_DEP_2) | instskip(SKIP_2) | instid1(VALU_DEP_2)
	v_min_num_f32_e32 v24, v22, v37
	v_max_num_f32_e32 v22, v22, v37
	s_wait_alu 0xfffd
	v_cndmask_b32_e32 v24, v24, v23, vcc_lo
	s_delay_alu instid0(VALU_DEP_2) | instskip(NEXT) | instid1(VALU_DEP_2)
	v_cndmask_b32_e32 v22, v22, v23, vcc_lo
	v_cndmask_b32_e64 v24, v24, v32, s10
	s_delay_alu instid0(VALU_DEP_2) | instskip(NEXT) | instid1(VALU_DEP_2)
	v_cndmask_b32_e64 v22, v22, v32, s10
	v_cmp_class_f32_e64 s2, v24, 0x1f8
	s_delay_alu instid0(VALU_DEP_2)
	v_cmp_neq_f32_e32 vcc_lo, v24, v22
	s_or_b32 s3, vcc_lo, s2
	s_wait_alu 0xfffe
	s_and_saveexec_b32 s2, s3
	s_cbranch_execz .LBB443_193
; %bb.192:
	v_sub_f32_e32 v23, v24, v22
	s_mov_b32 s3, 0x3e9b6dac
	s_delay_alu instid0(VALU_DEP_1) | instskip(SKIP_1) | instid1(VALU_DEP_2)
	v_mul_f32_e32 v24, 0x3fb8aa3b, v23
	v_cmp_ngt_f32_e32 vcc_lo, 0xc2ce8ed0, v23
	v_fma_f32 v25, 0x3fb8aa3b, v23, -v24
	v_rndne_f32_e32 v26, v24
	s_delay_alu instid0(VALU_DEP_1) | instskip(NEXT) | instid1(VALU_DEP_1)
	v_dual_fmamk_f32 v25, v23, 0x32a5705f, v25 :: v_dual_sub_f32 v24, v24, v26
	v_add_f32_e32 v24, v24, v25
	v_cvt_i32_f32_e32 v25, v26
	s_delay_alu instid0(VALU_DEP_2) | instskip(NEXT) | instid1(TRANS32_DEP_1)
	v_exp_f32_e32 v24, v24
	v_ldexp_f32 v24, v24, v25
	s_wait_alu 0xfffd
	s_delay_alu instid0(VALU_DEP_1) | instskip(SKIP_2) | instid1(VALU_DEP_2)
	v_cndmask_b32_e32 v24, 0, v24, vcc_lo
	v_cmp_nlt_f32_e32 vcc_lo, 0x42b17218, v23
	s_wait_alu 0xfffd
	v_cndmask_b32_e32 v25, 0x7f800000, v24, vcc_lo
	s_delay_alu instid0(VALU_DEP_1) | instskip(NEXT) | instid1(VALU_DEP_1)
	v_add_f32_e32 v26, 1.0, v25
	v_cvt_f64_f32_e32 v[23:24], v26
	s_delay_alu instid0(VALU_DEP_1) | instskip(SKIP_1) | instid1(VALU_DEP_1)
	v_frexp_exp_i32_f64_e32 v23, v[23:24]
	v_frexp_mant_f32_e32 v24, v26
	v_cmp_gt_f32_e32 vcc_lo, 0x3f2aaaab, v24
	v_add_f32_e32 v24, -1.0, v26
	s_delay_alu instid0(VALU_DEP_1) | instskip(NEXT) | instid1(VALU_DEP_1)
	v_dual_sub_f32 v29, v24, v26 :: v_dual_sub_f32 v24, v25, v24
	v_add_f32_e32 v29, 1.0, v29
	s_delay_alu instid0(VALU_DEP_1) | instskip(SKIP_3) | instid1(VALU_DEP_2)
	v_add_f32_e32 v24, v24, v29
	s_wait_alu 0xfffd
	v_subrev_co_ci_u32_e64 v23, null, 0, v23, vcc_lo
	v_cmp_neq_f32_e32 vcc_lo, 0x7f800000, v25
	v_sub_nc_u32_e32 v28, 0, v23
	v_cvt_f32_i32_e32 v23, v23
	s_delay_alu instid0(VALU_DEP_2) | instskip(SKIP_1) | instid1(VALU_DEP_2)
	v_ldexp_f32 v26, v26, v28
	v_ldexp_f32 v24, v24, v28
	v_add_f32_e32 v30, 1.0, v26
	s_delay_alu instid0(VALU_DEP_1) | instskip(NEXT) | instid1(VALU_DEP_1)
	v_add_f32_e32 v29, -1.0, v30
	v_dual_sub_f32 v29, v26, v29 :: v_dual_add_f32 v28, -1.0, v26
	s_delay_alu instid0(VALU_DEP_1) | instskip(NEXT) | instid1(VALU_DEP_2)
	v_add_f32_e32 v29, v24, v29
	v_add_f32_e32 v31, 1.0, v28
	s_delay_alu instid0(VALU_DEP_1) | instskip(NEXT) | instid1(VALU_DEP_1)
	v_sub_f32_e32 v26, v26, v31
	v_dual_add_f32 v31, v30, v29 :: v_dual_add_f32 v24, v24, v26
	s_delay_alu instid0(VALU_DEP_1) | instskip(SKIP_1) | instid1(VALU_DEP_1)
	v_rcp_f32_e32 v26, v31
	v_sub_f32_e32 v30, v30, v31
	v_dual_add_f32 v32, v28, v24 :: v_dual_add_f32 v29, v29, v30
	s_delay_alu instid0(TRANS32_DEP_1) | instid1(VALU_DEP_1)
	v_mul_f32_e32 v33, v32, v26
	s_delay_alu instid0(VALU_DEP_1) | instskip(NEXT) | instid1(VALU_DEP_1)
	v_mul_f32_e32 v35, v31, v33
	v_fma_f32 v30, v33, v31, -v35
	s_delay_alu instid0(VALU_DEP_1) | instskip(NEXT) | instid1(VALU_DEP_1)
	v_fmac_f32_e32 v30, v33, v29
	v_dual_add_f32 v37, v35, v30 :: v_dual_sub_f32 v28, v28, v32
	s_delay_alu instid0(VALU_DEP_1) | instskip(NEXT) | instid1(VALU_DEP_2)
	v_sub_f32_e32 v41, v32, v37
	v_add_f32_e32 v24, v24, v28
	v_sub_f32_e32 v28, v37, v35
	s_delay_alu instid0(VALU_DEP_3) | instskip(NEXT) | instid1(VALU_DEP_2)
	v_sub_f32_e32 v32, v32, v41
	v_sub_f32_e32 v28, v28, v30
	s_delay_alu instid0(VALU_DEP_2) | instskip(NEXT) | instid1(VALU_DEP_1)
	v_sub_f32_e32 v32, v32, v37
	v_add_f32_e32 v24, v24, v32
	s_delay_alu instid0(VALU_DEP_1) | instskip(NEXT) | instid1(VALU_DEP_1)
	v_add_f32_e32 v24, v28, v24
	v_add_f32_e32 v28, v41, v24
	s_delay_alu instid0(VALU_DEP_1) | instskip(NEXT) | instid1(VALU_DEP_1)
	v_mul_f32_e32 v30, v26, v28
	v_dual_sub_f32 v37, v41, v28 :: v_dual_mul_f32 v32, v31, v30
	s_delay_alu instid0(VALU_DEP_1) | instskip(NEXT) | instid1(VALU_DEP_2)
	v_add_f32_e32 v24, v24, v37
	v_fma_f32 v31, v30, v31, -v32
	s_delay_alu instid0(VALU_DEP_1) | instskip(NEXT) | instid1(VALU_DEP_1)
	v_fmac_f32_e32 v31, v30, v29
	v_add_f32_e32 v29, v32, v31
	s_delay_alu instid0(VALU_DEP_1) | instskip(NEXT) | instid1(VALU_DEP_1)
	v_dual_sub_f32 v35, v28, v29 :: v_dual_sub_f32 v32, v29, v32
	v_sub_f32_e32 v28, v28, v35
	s_delay_alu instid0(VALU_DEP_1) | instskip(NEXT) | instid1(VALU_DEP_3)
	v_sub_f32_e32 v28, v28, v29
	v_sub_f32_e32 v29, v32, v31
	s_delay_alu instid0(VALU_DEP_2) | instskip(SKIP_1) | instid1(VALU_DEP_1)
	v_add_f32_e32 v24, v24, v28
	v_add_f32_e32 v28, v33, v30
	v_dual_add_f32 v24, v29, v24 :: v_dual_sub_f32 v29, v28, v33
	s_delay_alu instid0(VALU_DEP_1) | instskip(NEXT) | instid1(VALU_DEP_1)
	v_dual_add_f32 v24, v35, v24 :: v_dual_sub_f32 v29, v30, v29
	v_mul_f32_e32 v24, v26, v24
	s_delay_alu instid0(VALU_DEP_1) | instskip(NEXT) | instid1(VALU_DEP_1)
	v_add_f32_e32 v24, v29, v24
	v_add_f32_e32 v26, v28, v24
	s_delay_alu instid0(VALU_DEP_1) | instskip(SKIP_1) | instid1(VALU_DEP_1)
	v_mul_f32_e32 v29, v26, v26
	s_wait_alu 0xfffe
	v_fmaak_f32 v30, s3, v29, 0x3ecc95a3
	v_mul_f32_e32 v31, v26, v29
	s_delay_alu instid0(VALU_DEP_2) | instskip(SKIP_1) | instid1(VALU_DEP_2)
	v_fmaak_f32 v29, v29, v30, 0x3f2aaada
	v_ldexp_f32 v30, v26, 1
	v_dual_sub_f32 v26, v26, v28 :: v_dual_mul_f32 v29, v31, v29
	s_delay_alu instid0(VALU_DEP_1) | instskip(NEXT) | instid1(VALU_DEP_2)
	v_dual_mul_f32 v31, 0x3f317218, v23 :: v_dual_sub_f32 v24, v24, v26
	v_add_f32_e32 v28, v30, v29
	s_delay_alu instid0(VALU_DEP_2) | instskip(NEXT) | instid1(VALU_DEP_2)
	v_ldexp_f32 v24, v24, 1
	v_sub_f32_e32 v26, v28, v30
	s_delay_alu instid0(VALU_DEP_4) | instskip(NEXT) | instid1(VALU_DEP_1)
	v_fma_f32 v30, 0x3f317218, v23, -v31
	v_dual_sub_f32 v26, v29, v26 :: v_dual_fmamk_f32 v23, v23, 0xb102e308, v30
	s_delay_alu instid0(VALU_DEP_1) | instskip(NEXT) | instid1(VALU_DEP_1)
	v_add_f32_e32 v24, v24, v26
	v_dual_add_f32 v26, v31, v23 :: v_dual_add_f32 v29, v28, v24
	s_delay_alu instid0(VALU_DEP_1) | instskip(NEXT) | instid1(VALU_DEP_2)
	v_sub_f32_e32 v31, v26, v31
	v_add_f32_e32 v30, v26, v29
	s_delay_alu instid0(VALU_DEP_2) | instskip(NEXT) | instid1(VALU_DEP_2)
	v_dual_sub_f32 v28, v29, v28 :: v_dual_sub_f32 v23, v23, v31
	v_sub_f32_e32 v32, v30, v26
	s_delay_alu instid0(VALU_DEP_2) | instskip(NEXT) | instid1(VALU_DEP_2)
	v_sub_f32_e32 v24, v24, v28
	v_sub_f32_e32 v33, v30, v32
	;; [unrolled: 1-line block ×3, first 2 shown]
	s_delay_alu instid0(VALU_DEP_2) | instskip(NEXT) | instid1(VALU_DEP_1)
	v_dual_add_f32 v29, v23, v24 :: v_dual_sub_f32 v26, v26, v33
	v_add_f32_e32 v26, v28, v26
	s_delay_alu instid0(VALU_DEP_2) | instskip(NEXT) | instid1(VALU_DEP_2)
	v_sub_f32_e32 v28, v29, v23
	v_add_f32_e32 v26, v29, v26
	s_delay_alu instid0(VALU_DEP_2) | instskip(NEXT) | instid1(VALU_DEP_2)
	v_sub_f32_e32 v29, v29, v28
	v_dual_sub_f32 v24, v24, v28 :: v_dual_add_f32 v31, v30, v26
	s_delay_alu instid0(VALU_DEP_2) | instskip(NEXT) | instid1(VALU_DEP_1)
	v_sub_f32_e32 v23, v23, v29
	v_dual_sub_f32 v28, v31, v30 :: v_dual_add_f32 v23, v24, v23
	s_delay_alu instid0(VALU_DEP_1) | instskip(NEXT) | instid1(VALU_DEP_1)
	v_sub_f32_e32 v24, v26, v28
	v_add_f32_e32 v23, v23, v24
	s_delay_alu instid0(VALU_DEP_1) | instskip(SKIP_1) | instid1(VALU_DEP_1)
	v_add_f32_e32 v23, v31, v23
	s_wait_alu 0xfffd
	v_cndmask_b32_e32 v23, 0x7f800000, v23, vcc_lo
	v_cmp_gt_f32_e64 vcc_lo, 0x33800000, |v25|
	s_wait_alu 0xfffd
	s_delay_alu instid0(VALU_DEP_2) | instskip(NEXT) | instid1(VALU_DEP_1)
	v_cndmask_b32_e32 v23, v23, v25, vcc_lo
	v_add_f32_e32 v23, v22, v23
.LBB443_193:
	s_wait_alu 0xfffe
	s_or_b32 exec_lo, exec_lo, s2
	s_delay_alu instid0(VALU_DEP_1) | instskip(SKIP_1) | instid1(VALU_DEP_2)
	v_bfe_u32 v22, v23, 16, 1
	v_cmp_o_f32_e32 vcc_lo, v23, v23
	v_add3_u32 v22, v23, v22, 0x7fff
	s_delay_alu instid0(VALU_DEP_1) | instskip(SKIP_1) | instid1(VALU_DEP_1)
	v_lshrrev_b32_e32 v22, 16, v22
	s_wait_alu 0xfffd
	v_cndmask_b32_e32 v22, 0x7fc0, v22, vcc_lo
	s_delay_alu instid0(VALU_DEP_1) | instskip(NEXT) | instid1(VALU_DEP_1)
	v_lshlrev_b32_e32 v24, 16, v22
	v_max_num_f32_e32 v23, v24, v24
	v_cmp_u_f32_e32 vcc_lo, v24, v24
	s_delay_alu instid0(VALU_DEP_2) | instskip(SKIP_2) | instid1(VALU_DEP_2)
	v_min_num_f32_e32 v25, v23, v38
	v_max_num_f32_e32 v23, v23, v38
	s_wait_alu 0xfffd
	v_cndmask_b32_e32 v25, v25, v24, vcc_lo
	s_delay_alu instid0(VALU_DEP_2) | instskip(NEXT) | instid1(VALU_DEP_2)
	v_cndmask_b32_e32 v23, v23, v24, vcc_lo
	v_cndmask_b32_e64 v25, v25, v34, s11
	s_delay_alu instid0(VALU_DEP_2) | instskip(NEXT) | instid1(VALU_DEP_2)
	v_cndmask_b32_e64 v23, v23, v34, s11
	v_cmp_class_f32_e64 s2, v25, 0x1f8
	s_delay_alu instid0(VALU_DEP_2)
	v_cmp_neq_f32_e32 vcc_lo, v25, v23
	s_or_b32 s3, vcc_lo, s2
	s_wait_alu 0xfffe
	s_and_saveexec_b32 s2, s3
	s_cbranch_execz .LBB443_195
; %bb.194:
	v_sub_f32_e32 v24, v25, v23
	s_mov_b32 s3, 0x3e9b6dac
	s_delay_alu instid0(VALU_DEP_1) | instskip(SKIP_1) | instid1(VALU_DEP_2)
	v_mul_f32_e32 v25, 0x3fb8aa3b, v24
	v_cmp_ngt_f32_e32 vcc_lo, 0xc2ce8ed0, v24
	v_fma_f32 v26, 0x3fb8aa3b, v24, -v25
	v_rndne_f32_e32 v28, v25
	s_delay_alu instid0(VALU_DEP_1) | instskip(NEXT) | instid1(VALU_DEP_1)
	v_dual_fmamk_f32 v26, v24, 0x32a5705f, v26 :: v_dual_sub_f32 v25, v25, v28
	v_add_f32_e32 v25, v25, v26
	v_cvt_i32_f32_e32 v26, v28
	s_delay_alu instid0(VALU_DEP_2) | instskip(NEXT) | instid1(TRANS32_DEP_1)
	v_exp_f32_e32 v25, v25
	v_ldexp_f32 v25, v25, v26
	s_wait_alu 0xfffd
	s_delay_alu instid0(VALU_DEP_1) | instskip(SKIP_2) | instid1(VALU_DEP_2)
	v_cndmask_b32_e32 v25, 0, v25, vcc_lo
	v_cmp_nlt_f32_e32 vcc_lo, 0x42b17218, v24
	s_wait_alu 0xfffd
	v_cndmask_b32_e32 v26, 0x7f800000, v25, vcc_lo
	s_delay_alu instid0(VALU_DEP_1) | instskip(NEXT) | instid1(VALU_DEP_1)
	v_add_f32_e32 v28, 1.0, v26
	v_cvt_f64_f32_e32 v[24:25], v28
	s_delay_alu instid0(VALU_DEP_1) | instskip(SKIP_1) | instid1(VALU_DEP_1)
	v_frexp_exp_i32_f64_e32 v24, v[24:25]
	v_frexp_mant_f32_e32 v25, v28
	v_cmp_gt_f32_e32 vcc_lo, 0x3f2aaaab, v25
	v_add_f32_e32 v25, -1.0, v28
	s_delay_alu instid0(VALU_DEP_1) | instskip(SKIP_3) | instid1(VALU_DEP_2)
	v_dual_sub_f32 v30, v25, v28 :: v_dual_sub_f32 v25, v26, v25
	s_wait_alu 0xfffd
	v_subrev_co_ci_u32_e64 v24, null, 0, v24, vcc_lo
	v_cmp_neq_f32_e32 vcc_lo, 0x7f800000, v26
	v_sub_nc_u32_e32 v29, 0, v24
	v_cvt_f32_i32_e32 v24, v24
	s_delay_alu instid0(VALU_DEP_2) | instskip(NEXT) | instid1(VALU_DEP_1)
	v_ldexp_f32 v28, v28, v29
	v_dual_add_f32 v30, 1.0, v30 :: v_dual_add_f32 v31, 1.0, v28
	s_delay_alu instid0(VALU_DEP_1) | instskip(NEXT) | instid1(VALU_DEP_1)
	v_dual_add_f32 v25, v25, v30 :: v_dual_add_f32 v30, -1.0, v31
	v_ldexp_f32 v25, v25, v29
	s_delay_alu instid0(VALU_DEP_2) | instskip(NEXT) | instid1(VALU_DEP_1)
	v_dual_add_f32 v29, -1.0, v28 :: v_dual_sub_f32 v30, v28, v30
	v_add_f32_e32 v32, 1.0, v29
	s_delay_alu instid0(VALU_DEP_2) | instskip(NEXT) | instid1(VALU_DEP_2)
	v_add_f32_e32 v30, v25, v30
	v_sub_f32_e32 v28, v28, v32
	s_delay_alu instid0(VALU_DEP_1) | instskip(NEXT) | instid1(VALU_DEP_1)
	v_dual_add_f32 v32, v31, v30 :: v_dual_add_f32 v25, v25, v28
	v_rcp_f32_e32 v28, v32
	v_sub_f32_e32 v31, v31, v32
	s_delay_alu instid0(VALU_DEP_1) | instskip(NEXT) | instid1(VALU_DEP_1)
	v_dual_add_f32 v33, v29, v25 :: v_dual_add_f32 v30, v30, v31
	v_sub_f32_e32 v29, v29, v33
	s_delay_alu instid0(TRANS32_DEP_1) | instskip(NEXT) | instid1(VALU_DEP_2)
	v_mul_f32_e32 v34, v33, v28
	v_add_f32_e32 v25, v25, v29
	s_delay_alu instid0(VALU_DEP_2) | instskip(NEXT) | instid1(VALU_DEP_1)
	v_mul_f32_e32 v35, v32, v34
	v_fma_f32 v31, v34, v32, -v35
	s_delay_alu instid0(VALU_DEP_1) | instskip(NEXT) | instid1(VALU_DEP_1)
	v_fmac_f32_e32 v31, v34, v30
	v_add_f32_e32 v37, v35, v31
	s_delay_alu instid0(VALU_DEP_1) | instskip(SKIP_1) | instid1(VALU_DEP_2)
	v_sub_f32_e32 v38, v33, v37
	v_sub_f32_e32 v29, v37, v35
	;; [unrolled: 1-line block ×3, first 2 shown]
	s_delay_alu instid0(VALU_DEP_2) | instskip(NEXT) | instid1(VALU_DEP_2)
	v_sub_f32_e32 v29, v29, v31
	v_sub_f32_e32 v33, v33, v37
	s_delay_alu instid0(VALU_DEP_1) | instskip(NEXT) | instid1(VALU_DEP_1)
	v_add_f32_e32 v25, v25, v33
	v_add_f32_e32 v25, v29, v25
	s_delay_alu instid0(VALU_DEP_1) | instskip(NEXT) | instid1(VALU_DEP_1)
	v_add_f32_e32 v29, v38, v25
	v_mul_f32_e32 v31, v28, v29
	s_delay_alu instid0(VALU_DEP_1) | instskip(NEXT) | instid1(VALU_DEP_1)
	v_mul_f32_e32 v33, v32, v31
	v_fma_f32 v32, v31, v32, -v33
	s_delay_alu instid0(VALU_DEP_1) | instskip(NEXT) | instid1(VALU_DEP_1)
	v_fmac_f32_e32 v32, v31, v30
	v_dual_add_f32 v30, v33, v32 :: v_dual_sub_f32 v37, v38, v29
	s_delay_alu instid0(VALU_DEP_1) | instskip(NEXT) | instid1(VALU_DEP_2)
	v_sub_f32_e32 v35, v29, v30
	v_add_f32_e32 v25, v25, v37
	v_sub_f32_e32 v33, v30, v33
	s_delay_alu instid0(VALU_DEP_3) | instskip(NEXT) | instid1(VALU_DEP_1)
	v_sub_f32_e32 v29, v29, v35
	v_sub_f32_e32 v29, v29, v30
	s_delay_alu instid0(VALU_DEP_3) | instskip(NEXT) | instid1(VALU_DEP_2)
	v_sub_f32_e32 v30, v33, v32
	v_add_f32_e32 v25, v25, v29
	v_add_f32_e32 v29, v34, v31
	s_delay_alu instid0(VALU_DEP_1) | instskip(NEXT) | instid1(VALU_DEP_1)
	v_dual_add_f32 v25, v30, v25 :: v_dual_sub_f32 v30, v29, v34
	v_add_f32_e32 v25, v35, v25
	s_delay_alu instid0(VALU_DEP_1) | instskip(NEXT) | instid1(VALU_DEP_1)
	v_dual_sub_f32 v30, v31, v30 :: v_dual_mul_f32 v25, v28, v25
	v_add_f32_e32 v25, v30, v25
	s_delay_alu instid0(VALU_DEP_1) | instskip(NEXT) | instid1(VALU_DEP_1)
	v_add_f32_e32 v28, v29, v25
	v_mul_f32_e32 v30, v28, v28
	s_wait_alu 0xfffe
	s_delay_alu instid0(VALU_DEP_1) | instskip(SKIP_1) | instid1(VALU_DEP_2)
	v_fmaak_f32 v31, s3, v30, 0x3ecc95a3
	v_mul_f32_e32 v32, v28, v30
	v_fmaak_f32 v30, v30, v31, 0x3f2aaada
	v_ldexp_f32 v31, v28, 1
	v_sub_f32_e32 v28, v28, v29
	s_delay_alu instid0(VALU_DEP_3) | instskip(SKIP_1) | instid1(VALU_DEP_3)
	v_mul_f32_e32 v30, v32, v30
	v_mul_f32_e32 v32, 0x3f317218, v24
	v_sub_f32_e32 v25, v25, v28
	s_delay_alu instid0(VALU_DEP_3) | instskip(NEXT) | instid1(VALU_DEP_2)
	v_add_f32_e32 v29, v31, v30
	v_ldexp_f32 v25, v25, 1
	s_delay_alu instid0(VALU_DEP_2) | instskip(SKIP_1) | instid1(VALU_DEP_2)
	v_sub_f32_e32 v28, v29, v31
	v_fma_f32 v31, 0x3f317218, v24, -v32
	v_sub_f32_e32 v28, v30, v28
	s_delay_alu instid0(VALU_DEP_1) | instskip(NEXT) | instid1(VALU_DEP_1)
	v_dual_fmamk_f32 v24, v24, 0xb102e308, v31 :: v_dual_add_f32 v25, v25, v28
	v_add_f32_e32 v28, v32, v24
	s_delay_alu instid0(VALU_DEP_2) | instskip(NEXT) | instid1(VALU_DEP_2)
	v_add_f32_e32 v30, v29, v25
	v_sub_f32_e32 v32, v28, v32
	s_delay_alu instid0(VALU_DEP_2) | instskip(NEXT) | instid1(VALU_DEP_2)
	v_add_f32_e32 v31, v28, v30
	v_sub_f32_e32 v24, v24, v32
	s_delay_alu instid0(VALU_DEP_2) | instskip(SKIP_1) | instid1(VALU_DEP_2)
	v_sub_f32_e32 v33, v31, v28
	v_sub_f32_e32 v29, v30, v29
	;; [unrolled: 1-line block ×3, first 2 shown]
	s_delay_alu instid0(VALU_DEP_2) | instskip(NEXT) | instid1(VALU_DEP_2)
	v_sub_f32_e32 v25, v25, v29
	v_dual_sub_f32 v29, v30, v33 :: v_dual_sub_f32 v28, v28, v34
	s_delay_alu instid0(VALU_DEP_2) | instskip(NEXT) | instid1(VALU_DEP_2)
	v_add_f32_e32 v30, v24, v25
	v_add_f32_e32 v28, v29, v28
	s_delay_alu instid0(VALU_DEP_2) | instskip(NEXT) | instid1(VALU_DEP_2)
	v_sub_f32_e32 v29, v30, v24
	v_add_f32_e32 v28, v30, v28
	s_delay_alu instid0(VALU_DEP_2) | instskip(NEXT) | instid1(VALU_DEP_1)
	v_sub_f32_e32 v30, v30, v29
	v_dual_sub_f32 v25, v25, v29 :: v_dual_sub_f32 v24, v24, v30
	s_delay_alu instid0(VALU_DEP_1) | instskip(NEXT) | instid1(VALU_DEP_4)
	v_add_f32_e32 v24, v25, v24
	v_add_f32_e32 v32, v31, v28
	s_delay_alu instid0(VALU_DEP_1) | instskip(NEXT) | instid1(VALU_DEP_1)
	v_sub_f32_e32 v29, v32, v31
	v_sub_f32_e32 v25, v28, v29
	s_delay_alu instid0(VALU_DEP_1) | instskip(NEXT) | instid1(VALU_DEP_1)
	v_add_f32_e32 v24, v24, v25
	v_add_f32_e32 v24, v32, v24
	s_wait_alu 0xfffd
	s_delay_alu instid0(VALU_DEP_1) | instskip(SKIP_2) | instid1(VALU_DEP_2)
	v_cndmask_b32_e32 v24, 0x7f800000, v24, vcc_lo
	v_cmp_gt_f32_e64 vcc_lo, 0x33800000, |v26|
	s_wait_alu 0xfffd
	v_cndmask_b32_e32 v24, v24, v26, vcc_lo
	s_delay_alu instid0(VALU_DEP_1)
	v_add_f32_e32 v24, v23, v24
.LBB443_195:
	s_wait_alu 0xfffe
	s_or_b32 exec_lo, exec_lo, s2
	s_delay_alu instid0(VALU_DEP_1) | instskip(SKIP_1) | instid1(VALU_DEP_2)
	v_bfe_u32 v23, v24, 16, 1
	v_cmp_o_f32_e32 vcc_lo, v24, v24
	v_add3_u32 v23, v24, v23, 0x7fff
	s_delay_alu instid0(VALU_DEP_1) | instskip(SKIP_1) | instid1(VALU_DEP_1)
	v_lshrrev_b32_e32 v23, 16, v23
	s_wait_alu 0xfffd
	v_cndmask_b32_e32 v23, 0x7fc0, v23, vcc_lo
	s_delay_alu instid0(VALU_DEP_1) | instskip(NEXT) | instid1(VALU_DEP_1)
	v_lshlrev_b32_e32 v25, 16, v23
	v_max_num_f32_e32 v24, v25, v25
	v_cmp_u_f32_e32 vcc_lo, v25, v25
	s_delay_alu instid0(VALU_DEP_2) | instskip(SKIP_2) | instid1(VALU_DEP_2)
	v_min_num_f32_e32 v26, v24, v39
	v_max_num_f32_e32 v24, v24, v39
	s_wait_alu 0xfffd
	v_cndmask_b32_e32 v26, v26, v25, vcc_lo
	s_delay_alu instid0(VALU_DEP_2) | instskip(NEXT) | instid1(VALU_DEP_2)
	v_cndmask_b32_e32 v24, v24, v25, vcc_lo
	v_cndmask_b32_e64 v26, v26, v36, s12
	s_delay_alu instid0(VALU_DEP_2) | instskip(NEXT) | instid1(VALU_DEP_2)
	v_cndmask_b32_e64 v24, v24, v36, s12
	v_cmp_class_f32_e64 s2, v26, 0x1f8
	s_delay_alu instid0(VALU_DEP_2)
	v_cmp_neq_f32_e32 vcc_lo, v26, v24
	s_or_b32 s3, vcc_lo, s2
	s_wait_alu 0xfffe
	s_and_saveexec_b32 s2, s3
	s_cbranch_execz .LBB443_197
; %bb.196:
	v_sub_f32_e32 v25, v26, v24
	s_mov_b32 s3, 0x3e9b6dac
	s_delay_alu instid0(VALU_DEP_1) | instskip(SKIP_1) | instid1(VALU_DEP_2)
	v_mul_f32_e32 v26, 0x3fb8aa3b, v25
	v_cmp_ngt_f32_e32 vcc_lo, 0xc2ce8ed0, v25
	v_fma_f32 v28, 0x3fb8aa3b, v25, -v26
	v_rndne_f32_e32 v29, v26
	s_delay_alu instid0(VALU_DEP_2) | instskip(NEXT) | instid1(VALU_DEP_2)
	v_fmamk_f32 v28, v25, 0x32a5705f, v28
	v_sub_f32_e32 v26, v26, v29
	s_delay_alu instid0(VALU_DEP_1) | instskip(SKIP_1) | instid1(VALU_DEP_2)
	v_add_f32_e32 v26, v26, v28
	v_cvt_i32_f32_e32 v28, v29
	v_exp_f32_e32 v26, v26
	s_delay_alu instid0(TRANS32_DEP_1) | instskip(SKIP_1) | instid1(VALU_DEP_1)
	v_ldexp_f32 v26, v26, v28
	s_wait_alu 0xfffd
	v_cndmask_b32_e32 v26, 0, v26, vcc_lo
	v_cmp_nlt_f32_e32 vcc_lo, 0x42b17218, v25
	s_wait_alu 0xfffd
	s_delay_alu instid0(VALU_DEP_2) | instskip(NEXT) | instid1(VALU_DEP_1)
	v_cndmask_b32_e32 v28, 0x7f800000, v26, vcc_lo
	v_add_f32_e32 v29, 1.0, v28
	s_delay_alu instid0(VALU_DEP_1) | instskip(NEXT) | instid1(VALU_DEP_1)
	v_cvt_f64_f32_e32 v[25:26], v29
	v_frexp_exp_i32_f64_e32 v25, v[25:26]
	v_frexp_mant_f32_e32 v26, v29
	s_delay_alu instid0(VALU_DEP_1) | instskip(SKIP_1) | instid1(VALU_DEP_1)
	v_cmp_gt_f32_e32 vcc_lo, 0x3f2aaaab, v26
	v_add_f32_e32 v26, -1.0, v29
	v_sub_f32_e32 v31, v26, v29
	s_delay_alu instid0(VALU_DEP_1) | instskip(SKIP_2) | instid1(VALU_DEP_1)
	v_add_f32_e32 v31, 1.0, v31
	s_wait_alu 0xfffd
	v_subrev_co_ci_u32_e64 v25, null, 0, v25, vcc_lo
	v_sub_nc_u32_e32 v30, 0, v25
	v_cvt_f32_i32_e32 v25, v25
	s_delay_alu instid0(VALU_DEP_2) | instskip(SKIP_1) | instid1(VALU_DEP_1)
	v_ldexp_f32 v29, v29, v30
	v_sub_f32_e32 v26, v28, v26
	v_add_f32_e32 v26, v26, v31
	s_delay_alu instid0(VALU_DEP_1) | instskip(NEXT) | instid1(VALU_DEP_4)
	v_ldexp_f32 v26, v26, v30
	v_add_f32_e32 v32, 1.0, v29
	s_delay_alu instid0(VALU_DEP_1) | instskip(SKIP_1) | instid1(VALU_DEP_2)
	v_add_f32_e32 v31, -1.0, v32
	v_cmp_neq_f32_e32 vcc_lo, 0x7f800000, v28
	v_sub_f32_e32 v31, v29, v31
	s_delay_alu instid0(VALU_DEP_1) | instskip(NEXT) | instid1(VALU_DEP_1)
	v_dual_add_f32 v31, v26, v31 :: v_dual_add_f32 v30, -1.0, v29
	v_add_f32_e32 v33, 1.0, v30
	s_delay_alu instid0(VALU_DEP_1) | instskip(NEXT) | instid1(VALU_DEP_1)
	v_sub_f32_e32 v29, v29, v33
	v_dual_add_f32 v33, v32, v31 :: v_dual_add_f32 v26, v26, v29
	s_delay_alu instid0(VALU_DEP_1) | instskip(SKIP_1) | instid1(VALU_DEP_1)
	v_rcp_f32_e32 v29, v33
	v_sub_f32_e32 v32, v32, v33
	v_dual_add_f32 v31, v31, v32 :: v_dual_add_f32 v34, v30, v26
	s_delay_alu instid0(TRANS32_DEP_1) | instid1(VALU_DEP_1)
	v_mul_f32_e32 v35, v34, v29
	v_sub_f32_e32 v30, v30, v34
	s_delay_alu instid0(VALU_DEP_2) | instskip(NEXT) | instid1(VALU_DEP_1)
	v_mul_f32_e32 v36, v33, v35
	v_fma_f32 v32, v35, v33, -v36
	s_delay_alu instid0(VALU_DEP_1) | instskip(NEXT) | instid1(VALU_DEP_1)
	v_fmac_f32_e32 v32, v35, v31
	v_dual_add_f32 v37, v36, v32 :: v_dual_add_f32 v26, v26, v30
	s_delay_alu instid0(VALU_DEP_1) | instskip(SKIP_1) | instid1(VALU_DEP_2)
	v_sub_f32_e32 v38, v34, v37
	v_sub_f32_e32 v30, v37, v36
	;; [unrolled: 1-line block ×3, first 2 shown]
	s_delay_alu instid0(VALU_DEP_2) | instskip(NEXT) | instid1(VALU_DEP_2)
	v_sub_f32_e32 v30, v30, v32
	v_sub_f32_e32 v34, v34, v37
	s_delay_alu instid0(VALU_DEP_1) | instskip(NEXT) | instid1(VALU_DEP_1)
	v_add_f32_e32 v26, v26, v34
	v_add_f32_e32 v26, v30, v26
	s_delay_alu instid0(VALU_DEP_1) | instskip(NEXT) | instid1(VALU_DEP_1)
	v_add_f32_e32 v30, v38, v26
	v_mul_f32_e32 v32, v29, v30
	s_delay_alu instid0(VALU_DEP_1) | instskip(NEXT) | instid1(VALU_DEP_1)
	v_dual_sub_f32 v37, v38, v30 :: v_dual_mul_f32 v34, v33, v32
	v_add_f32_e32 v26, v26, v37
	s_delay_alu instid0(VALU_DEP_2) | instskip(NEXT) | instid1(VALU_DEP_1)
	v_fma_f32 v33, v32, v33, -v34
	v_fmac_f32_e32 v33, v32, v31
	s_delay_alu instid0(VALU_DEP_1) | instskip(NEXT) | instid1(VALU_DEP_1)
	v_add_f32_e32 v31, v34, v33
	v_sub_f32_e32 v36, v30, v31
	v_sub_f32_e32 v34, v31, v34
	s_delay_alu instid0(VALU_DEP_2) | instskip(NEXT) | instid1(VALU_DEP_1)
	v_sub_f32_e32 v30, v30, v36
	v_sub_f32_e32 v30, v30, v31
	s_delay_alu instid0(VALU_DEP_3) | instskip(NEXT) | instid1(VALU_DEP_2)
	v_sub_f32_e32 v31, v34, v33
	v_add_f32_e32 v26, v26, v30
	v_add_f32_e32 v30, v35, v32
	s_delay_alu instid0(VALU_DEP_1) | instskip(NEXT) | instid1(VALU_DEP_1)
	v_dual_add_f32 v26, v31, v26 :: v_dual_sub_f32 v31, v30, v35
	v_add_f32_e32 v26, v36, v26
	s_delay_alu instid0(VALU_DEP_1) | instskip(NEXT) | instid1(VALU_DEP_1)
	v_dual_sub_f32 v31, v32, v31 :: v_dual_mul_f32 v26, v29, v26
	v_add_f32_e32 v26, v31, v26
	s_delay_alu instid0(VALU_DEP_1) | instskip(NEXT) | instid1(VALU_DEP_1)
	v_add_f32_e32 v29, v30, v26
	v_mul_f32_e32 v31, v29, v29
	s_wait_alu 0xfffe
	s_delay_alu instid0(VALU_DEP_1) | instskip(SKIP_1) | instid1(VALU_DEP_2)
	v_fmaak_f32 v32, s3, v31, 0x3ecc95a3
	v_mul_f32_e32 v33, v29, v31
	v_fmaak_f32 v31, v31, v32, 0x3f2aaada
	v_ldexp_f32 v32, v29, 1
	v_sub_f32_e32 v29, v29, v30
	s_delay_alu instid0(VALU_DEP_3) | instskip(SKIP_1) | instid1(VALU_DEP_3)
	v_mul_f32_e32 v31, v33, v31
	v_mul_f32_e32 v33, 0x3f317218, v25
	v_sub_f32_e32 v26, v26, v29
	s_delay_alu instid0(VALU_DEP_3) | instskip(NEXT) | instid1(VALU_DEP_2)
	v_add_f32_e32 v30, v32, v31
	v_ldexp_f32 v26, v26, 1
	s_delay_alu instid0(VALU_DEP_2) | instskip(SKIP_1) | instid1(VALU_DEP_2)
	v_sub_f32_e32 v29, v30, v32
	v_fma_f32 v32, 0x3f317218, v25, -v33
	v_sub_f32_e32 v29, v31, v29
	s_delay_alu instid0(VALU_DEP_1) | instskip(NEXT) | instid1(VALU_DEP_1)
	v_dual_fmamk_f32 v25, v25, 0xb102e308, v32 :: v_dual_add_f32 v26, v26, v29
	v_add_f32_e32 v29, v33, v25
	s_delay_alu instid0(VALU_DEP_2) | instskip(NEXT) | instid1(VALU_DEP_2)
	v_add_f32_e32 v31, v30, v26
	v_sub_f32_e32 v33, v29, v33
	s_delay_alu instid0(VALU_DEP_2) | instskip(NEXT) | instid1(VALU_DEP_2)
	v_add_f32_e32 v32, v29, v31
	v_dual_sub_f32 v30, v31, v30 :: v_dual_sub_f32 v25, v25, v33
	s_delay_alu instid0(VALU_DEP_2) | instskip(NEXT) | instid1(VALU_DEP_2)
	v_sub_f32_e32 v34, v32, v29
	v_sub_f32_e32 v26, v26, v30
	s_delay_alu instid0(VALU_DEP_2) | instskip(SKIP_1) | instid1(VALU_DEP_3)
	v_sub_f32_e32 v35, v32, v34
	v_sub_f32_e32 v30, v31, v34
	v_add_f32_e32 v31, v25, v26
	s_delay_alu instid0(VALU_DEP_3) | instskip(NEXT) | instid1(VALU_DEP_1)
	v_sub_f32_e32 v29, v29, v35
	v_add_f32_e32 v29, v30, v29
	s_delay_alu instid0(VALU_DEP_3) | instskip(NEXT) | instid1(VALU_DEP_2)
	v_sub_f32_e32 v30, v31, v25
	v_add_f32_e32 v29, v31, v29
	s_delay_alu instid0(VALU_DEP_2) | instskip(NEXT) | instid1(VALU_DEP_2)
	v_sub_f32_e32 v31, v31, v30
	v_dual_sub_f32 v26, v26, v30 :: v_dual_add_f32 v33, v32, v29
	s_delay_alu instid0(VALU_DEP_2) | instskip(NEXT) | instid1(VALU_DEP_1)
	v_sub_f32_e32 v25, v25, v31
	v_dual_sub_f32 v30, v33, v32 :: v_dual_add_f32 v25, v26, v25
	s_delay_alu instid0(VALU_DEP_1) | instskip(NEXT) | instid1(VALU_DEP_1)
	v_sub_f32_e32 v26, v29, v30
	v_add_f32_e32 v25, v25, v26
	s_delay_alu instid0(VALU_DEP_1) | instskip(SKIP_1) | instid1(VALU_DEP_1)
	v_add_f32_e32 v25, v33, v25
	s_wait_alu 0xfffd
	v_cndmask_b32_e32 v25, 0x7f800000, v25, vcc_lo
	v_cmp_gt_f32_e64 vcc_lo, 0x33800000, |v28|
	s_wait_alu 0xfffd
	s_delay_alu instid0(VALU_DEP_2) | instskip(NEXT) | instid1(VALU_DEP_1)
	v_cndmask_b32_e32 v25, v25, v28, vcc_lo
	v_add_f32_e32 v25, v24, v25
.LBB443_197:
	s_wait_alu 0xfffe
	s_or_b32 exec_lo, exec_lo, s2
	s_delay_alu instid0(VALU_DEP_1) | instskip(SKIP_1) | instid1(VALU_DEP_2)
	v_bfe_u32 v24, v25, 16, 1
	v_cmp_o_f32_e32 vcc_lo, v25, v25
	v_add3_u32 v24, v25, v24, 0x7fff
	s_delay_alu instid0(VALU_DEP_1) | instskip(SKIP_1) | instid1(VALU_DEP_1)
	v_lshrrev_b32_e32 v24, 16, v24
	s_wait_alu 0xfffd
	v_cndmask_b32_e32 v24, 0x7fc0, v24, vcc_lo
	s_load_b256 s[24:31], s[0:1], 0x38
	s_branch .LBB443_305
.LBB443_198:
	v_cmp_eq_u32_e64 s12, 0, v0
	s_wait_kmcnt 0x0
	s_cmp_lg_u64 s[28:29], 0
	v_mov_b32_e32 v3, v1
	s_cselect_b32 s0, -1, 0
	v_cmp_ne_u32_e32 vcc_lo, 0, v0
	s_and_b32 s0, s12, s0
	s_delay_alu instid0(SALU_CYCLE_1)
	s_and_saveexec_b32 s1, s0
	s_cbranch_execz .LBB443_202
; %bb.199:
	v_dual_mov_b32 v2, 0 :: v_dual_lshlrev_b32 v1, 16, v1
	global_load_u16 v2, v2, s[24:25]
	s_wait_loadcnt 0x0
	v_dual_max_num_f32 v3, v1, v1 :: v_dual_lshlrev_b32 v2, 16, v2
	s_delay_alu instid0(VALU_DEP_1) | instskip(SKIP_1) | instid1(VALU_DEP_2)
	v_max_num_f32_e32 v4, v2, v2
	v_cmp_u_f32_e64 s0, v2, v2
	v_min_num_f32_e32 v5, v4, v3
	v_max_num_f32_e32 v3, v4, v3
	s_delay_alu instid0(VALU_DEP_2) | instskip(NEXT) | instid1(VALU_DEP_2)
	v_cndmask_b32_e64 v4, v5, v2, s0
	v_cndmask_b32_e64 v5, v3, v2, s0
	v_cmp_u_f32_e64 s0, v1, v1
	s_wait_alu 0xf1ff
	s_delay_alu instid0(VALU_DEP_1) | instskip(NEXT) | instid1(VALU_DEP_3)
	v_cndmask_b32_e64 v3, v4, v1, s0
	v_cndmask_b32_e64 v1, v5, v1, s0
	s_delay_alu instid0(VALU_DEP_2) | instskip(NEXT) | instid1(VALU_DEP_2)
	v_cmp_class_f32_e64 s2, v3, 0x1f8
	v_cmp_neq_f32_e64 s0, v3, v1
	s_or_b32 s0, s0, s2
	s_wait_alu 0xfffe
	s_and_saveexec_b32 s2, s0
	s_cbranch_execz .LBB443_201
; %bb.200:
	v_sub_f32_e32 v2, v3, v1
	s_delay_alu instid0(VALU_DEP_1) | instskip(SKIP_1) | instid1(VALU_DEP_2)
	v_mul_f32_e32 v3, 0x3fb8aa3b, v2
	v_cmp_ngt_f32_e64 s0, 0xc2ce8ed0, v2
	v_fma_f32 v4, 0x3fb8aa3b, v2, -v3
	v_rndne_f32_e32 v5, v3
	s_delay_alu instid0(VALU_DEP_1) | instskip(NEXT) | instid1(VALU_DEP_1)
	v_dual_fmamk_f32 v4, v2, 0x32a5705f, v4 :: v_dual_sub_f32 v3, v3, v5
	v_add_f32_e32 v3, v3, v4
	v_cvt_i32_f32_e32 v4, v5
	s_delay_alu instid0(VALU_DEP_2) | instskip(NEXT) | instid1(TRANS32_DEP_1)
	v_exp_f32_e32 v3, v3
	v_ldexp_f32 v3, v3, v4
	s_wait_alu 0xf1ff
	s_delay_alu instid0(VALU_DEP_1) | instskip(SKIP_2) | instid1(VALU_DEP_1)
	v_cndmask_b32_e64 v3, 0, v3, s0
	v_cmp_nlt_f32_e64 s0, 0x42b17218, v2
	s_wait_alu 0xf1ff
	v_cndmask_b32_e64 v4, 0x7f800000, v3, s0
	s_delay_alu instid0(VALU_DEP_1) | instskip(NEXT) | instid1(VALU_DEP_1)
	v_add_f32_e32 v5, 1.0, v4
	v_cvt_f64_f32_e32 v[2:3], v5
	s_delay_alu instid0(VALU_DEP_1) | instskip(SKIP_1) | instid1(VALU_DEP_1)
	v_frexp_exp_i32_f64_e32 v2, v[2:3]
	v_frexp_mant_f32_e32 v3, v5
	v_cmp_gt_f32_e64 s0, 0x3f2aaaab, v3
	v_add_f32_e32 v3, -1.0, v5
	s_delay_alu instid0(VALU_DEP_1) | instskip(NEXT) | instid1(VALU_DEP_1)
	v_dual_sub_f32 v20, v3, v5 :: v_dual_sub_f32 v3, v4, v3
	v_add_f32_e32 v20, 1.0, v20
	s_delay_alu instid0(VALU_DEP_1)
	v_add_f32_e32 v3, v3, v20
	s_wait_alu 0xf1ff
	v_subrev_co_ci_u32_e64 v2, null, 0, v2, s0
	s_mov_b32 s0, 0x3e9b6dac
	v_sub_nc_u32_e32 v19, 0, v2
	v_cvt_f32_i32_e32 v2, v2
	s_delay_alu instid0(VALU_DEP_2) | instskip(SKIP_1) | instid1(VALU_DEP_2)
	v_ldexp_f32 v5, v5, v19
	v_ldexp_f32 v3, v3, v19
	v_add_f32_e32 v19, -1.0, v5
	s_delay_alu instid0(VALU_DEP_1) | instskip(NEXT) | instid1(VALU_DEP_1)
	v_dual_add_f32 v21, 1.0, v5 :: v_dual_add_f32 v22, 1.0, v19
	v_add_f32_e32 v20, -1.0, v21
	s_delay_alu instid0(VALU_DEP_1) | instskip(NEXT) | instid1(VALU_DEP_1)
	v_sub_f32_e32 v20, v5, v20
	v_dual_sub_f32 v5, v5, v22 :: v_dual_add_f32 v20, v3, v20
	s_delay_alu instid0(VALU_DEP_1) | instskip(NEXT) | instid1(VALU_DEP_1)
	v_dual_add_f32 v3, v3, v5 :: v_dual_add_f32 v22, v21, v20
	v_add_f32_e32 v23, v19, v3
	s_delay_alu instid0(VALU_DEP_2) | instskip(SKIP_1) | instid1(VALU_DEP_1)
	v_rcp_f32_e32 v5, v22
	v_sub_f32_e32 v21, v21, v22
	v_add_f32_e32 v20, v20, v21
	s_delay_alu instid0(TRANS32_DEP_1) | instskip(NEXT) | instid1(VALU_DEP_1)
	v_mul_f32_e32 v24, v23, v5
	v_mul_f32_e32 v25, v22, v24
	s_delay_alu instid0(VALU_DEP_1) | instskip(NEXT) | instid1(VALU_DEP_1)
	v_fma_f32 v21, v24, v22, -v25
	v_fmac_f32_e32 v21, v24, v20
	s_delay_alu instid0(VALU_DEP_1) | instskip(NEXT) | instid1(VALU_DEP_1)
	v_dual_add_f32 v26, v25, v21 :: v_dual_sub_f32 v19, v19, v23
	v_sub_f32_e32 v27, v23, v26
	s_delay_alu instid0(VALU_DEP_2) | instskip(SKIP_1) | instid1(VALU_DEP_3)
	v_add_f32_e32 v3, v3, v19
	v_sub_f32_e32 v19, v26, v25
	v_sub_f32_e32 v23, v23, v27
	s_delay_alu instid0(VALU_DEP_2) | instskip(NEXT) | instid1(VALU_DEP_2)
	v_sub_f32_e32 v19, v19, v21
	v_sub_f32_e32 v23, v23, v26
	s_delay_alu instid0(VALU_DEP_1) | instskip(NEXT) | instid1(VALU_DEP_1)
	v_add_f32_e32 v3, v3, v23
	v_add_f32_e32 v3, v19, v3
	s_delay_alu instid0(VALU_DEP_1) | instskip(NEXT) | instid1(VALU_DEP_1)
	v_add_f32_e32 v19, v27, v3
	v_mul_f32_e32 v21, v5, v19
	s_delay_alu instid0(VALU_DEP_1) | instskip(NEXT) | instid1(VALU_DEP_1)
	v_mul_f32_e32 v23, v22, v21
	v_fma_f32 v22, v21, v22, -v23
	s_delay_alu instid0(VALU_DEP_1) | instskip(SKIP_1) | instid1(VALU_DEP_2)
	v_fmac_f32_e32 v22, v21, v20
	v_sub_f32_e32 v26, v27, v19
	v_add_f32_e32 v20, v23, v22
	s_delay_alu instid0(VALU_DEP_2) | instskip(NEXT) | instid1(VALU_DEP_2)
	v_add_f32_e32 v3, v3, v26
	v_sub_f32_e32 v25, v19, v20
	v_sub_f32_e32 v23, v20, v23
	s_delay_alu instid0(VALU_DEP_2) | instskip(NEXT) | instid1(VALU_DEP_1)
	v_sub_f32_e32 v19, v19, v25
	v_sub_f32_e32 v19, v19, v20
	s_delay_alu instid0(VALU_DEP_3) | instskip(NEXT) | instid1(VALU_DEP_2)
	v_sub_f32_e32 v20, v23, v22
	v_add_f32_e32 v3, v3, v19
	v_add_f32_e32 v19, v24, v21
	s_delay_alu instid0(VALU_DEP_1) | instskip(NEXT) | instid1(VALU_DEP_1)
	v_dual_add_f32 v3, v20, v3 :: v_dual_sub_f32 v20, v19, v24
	v_add_f32_e32 v3, v25, v3
	s_delay_alu instid0(VALU_DEP_2) | instskip(NEXT) | instid1(VALU_DEP_2)
	v_sub_f32_e32 v20, v21, v20
	v_mul_f32_e32 v3, v5, v3
	s_delay_alu instid0(VALU_DEP_1) | instskip(NEXT) | instid1(VALU_DEP_1)
	v_add_f32_e32 v3, v20, v3
	v_add_f32_e32 v5, v19, v3
	s_delay_alu instid0(VALU_DEP_1) | instskip(SKIP_1) | instid1(VALU_DEP_1)
	v_mul_f32_e32 v20, v5, v5
	s_wait_alu 0xfffe
	v_fmaak_f32 v21, s0, v20, 0x3ecc95a3
	v_mul_f32_e32 v22, v5, v20
	v_cmp_neq_f32_e64 s0, 0x7f800000, v4
	s_delay_alu instid0(VALU_DEP_3) | instskip(SKIP_1) | instid1(VALU_DEP_2)
	v_fmaak_f32 v20, v20, v21, 0x3f2aaada
	v_ldexp_f32 v21, v5, 1
	v_dual_sub_f32 v5, v5, v19 :: v_dual_mul_f32 v20, v22, v20
	s_delay_alu instid0(VALU_DEP_1) | instskip(NEXT) | instid1(VALU_DEP_2)
	v_dual_mul_f32 v22, 0x3f317218, v2 :: v_dual_sub_f32 v3, v3, v5
	v_add_f32_e32 v19, v21, v20
	s_delay_alu instid0(VALU_DEP_2) | instskip(NEXT) | instid1(VALU_DEP_2)
	v_ldexp_f32 v3, v3, 1
	v_sub_f32_e32 v5, v19, v21
	s_delay_alu instid0(VALU_DEP_4) | instskip(NEXT) | instid1(VALU_DEP_1)
	v_fma_f32 v21, 0x3f317218, v2, -v22
	v_dual_sub_f32 v5, v20, v5 :: v_dual_fmamk_f32 v2, v2, 0xb102e308, v21
	s_delay_alu instid0(VALU_DEP_1) | instskip(NEXT) | instid1(VALU_DEP_1)
	v_add_f32_e32 v3, v3, v5
	v_dual_add_f32 v5, v22, v2 :: v_dual_add_f32 v20, v19, v3
	s_delay_alu instid0(VALU_DEP_1) | instskip(NEXT) | instid1(VALU_DEP_2)
	v_sub_f32_e32 v22, v5, v22
	v_add_f32_e32 v21, v5, v20
	s_delay_alu instid0(VALU_DEP_2) | instskip(NEXT) | instid1(VALU_DEP_2)
	v_dual_sub_f32 v19, v20, v19 :: v_dual_sub_f32 v2, v2, v22
	v_sub_f32_e32 v23, v21, v5
	s_delay_alu instid0(VALU_DEP_2) | instskip(NEXT) | instid1(VALU_DEP_2)
	v_sub_f32_e32 v3, v3, v19
	v_sub_f32_e32 v24, v21, v23
	;; [unrolled: 1-line block ×3, first 2 shown]
	s_delay_alu instid0(VALU_DEP_2) | instskip(NEXT) | instid1(VALU_DEP_1)
	v_dual_add_f32 v20, v2, v3 :: v_dual_sub_f32 v5, v5, v24
	v_add_f32_e32 v5, v19, v5
	s_delay_alu instid0(VALU_DEP_2) | instskip(NEXT) | instid1(VALU_DEP_2)
	v_sub_f32_e32 v19, v20, v2
	v_add_f32_e32 v5, v20, v5
	s_delay_alu instid0(VALU_DEP_2) | instskip(NEXT) | instid1(VALU_DEP_2)
	v_sub_f32_e32 v20, v20, v19
	v_dual_sub_f32 v3, v3, v19 :: v_dual_add_f32 v22, v21, v5
	s_delay_alu instid0(VALU_DEP_2) | instskip(NEXT) | instid1(VALU_DEP_1)
	v_sub_f32_e32 v2, v2, v20
	v_dual_sub_f32 v19, v22, v21 :: v_dual_add_f32 v2, v3, v2
	s_delay_alu instid0(VALU_DEP_1) | instskip(NEXT) | instid1(VALU_DEP_1)
	v_sub_f32_e32 v3, v5, v19
	v_add_f32_e32 v2, v2, v3
	s_delay_alu instid0(VALU_DEP_1) | instskip(SKIP_1) | instid1(VALU_DEP_1)
	v_add_f32_e32 v2, v22, v2
	s_wait_alu 0xf1ff
	v_cndmask_b32_e64 v2, 0x7f800000, v2, s0
	v_cmp_gt_f32_e64 s0, 0x33800000, |v4|
	s_wait_alu 0xf1ff
	s_delay_alu instid0(VALU_DEP_1) | instskip(NEXT) | instid1(VALU_DEP_1)
	v_cndmask_b32_e64 v2, v2, v4, s0
	v_add_f32_e32 v2, v1, v2
.LBB443_201:
	s_or_b32 exec_lo, exec_lo, s2
	s_delay_alu instid0(VALU_DEP_1) | instskip(SKIP_1) | instid1(VALU_DEP_2)
	v_bfe_u32 v1, v2, 16, 1
	v_cmp_o_f32_e64 s0, v2, v2
	v_add3_u32 v1, v2, v1, 0x7fff
	s_delay_alu instid0(VALU_DEP_1) | instskip(SKIP_1) | instid1(VALU_DEP_1)
	v_lshrrev_b32_e32 v1, 16, v1
	s_wait_alu 0xf1ff
	v_cndmask_b32_e64 v3, 0x7fc0, v1, s0
.LBB443_202:
	s_or_b32 exec_lo, exec_lo, s1
	s_delay_alu instid0(VALU_DEP_1) | instskip(SKIP_1) | instid1(VALU_DEP_2)
	v_dual_max_num_f32 v19, v6, v6 :: v_dual_lshlrev_b32 v26, 16, v3
	v_cmp_u_f32_e64 s0, v6, v6
	v_max_num_f32_e32 v29, v26, v26
	v_cmp_u_f32_e64 s11, v26, v26
	s_delay_alu instid0(VALU_DEP_2) | instskip(SKIP_1) | instid1(VALU_DEP_2)
	v_min_num_f32_e32 v27, v29, v19
	v_max_num_f32_e32 v28, v29, v19
	v_cndmask_b32_e64 v1, v27, v26, s11
	s_delay_alu instid0(VALU_DEP_2) | instskip(SKIP_1) | instid1(VALU_DEP_2)
	v_cndmask_b32_e64 v2, v28, v26, s11
	s_wait_alu 0xf1ff
	v_cndmask_b32_e64 v4, v1, v6, s0
	s_delay_alu instid0(VALU_DEP_2) | instskip(SKIP_1) | instid1(VALU_DEP_3)
	v_cndmask_b32_e64 v1, v2, v6, s0
	v_mov_b32_e32 v2, v26
	v_cmp_class_f32_e64 s2, v4, 0x1f8
	s_delay_alu instid0(VALU_DEP_3)
	v_cmp_neq_f32_e64 s1, v4, v1
	s_or_b32 s1, s1, s2
	s_wait_alu 0xfffe
	s_and_saveexec_b32 s2, s1
	s_cbranch_execz .LBB443_204
; %bb.203:
	v_sub_f32_e32 v2, v4, v1
	s_delay_alu instid0(VALU_DEP_1) | instskip(SKIP_1) | instid1(VALU_DEP_2)
	v_mul_f32_e32 v4, 0x3fb8aa3b, v2
	v_cmp_ngt_f32_e64 s1, 0xc2ce8ed0, v2
	v_fma_f32 v5, 0x3fb8aa3b, v2, -v4
	v_rndne_f32_e32 v20, v4
	s_delay_alu instid0(VALU_DEP_1) | instskip(NEXT) | instid1(VALU_DEP_1)
	v_dual_fmamk_f32 v5, v2, 0x32a5705f, v5 :: v_dual_sub_f32 v4, v4, v20
	v_add_f32_e32 v4, v4, v5
	v_cvt_i32_f32_e32 v5, v20
	s_delay_alu instid0(VALU_DEP_2) | instskip(NEXT) | instid1(TRANS32_DEP_1)
	v_exp_f32_e32 v4, v4
	v_ldexp_f32 v4, v4, v5
	s_wait_alu 0xf1ff
	s_delay_alu instid0(VALU_DEP_1) | instskip(SKIP_2) | instid1(VALU_DEP_1)
	v_cndmask_b32_e64 v4, 0, v4, s1
	v_cmp_nlt_f32_e64 s1, 0x42b17218, v2
	s_wait_alu 0xf1ff
	v_cndmask_b32_e64 v2, 0x7f800000, v4, s1
	s_delay_alu instid0(VALU_DEP_1) | instskip(NEXT) | instid1(VALU_DEP_1)
	v_add_f32_e32 v20, 1.0, v2
	v_cvt_f64_f32_e32 v[4:5], v20
	s_delay_alu instid0(VALU_DEP_1) | instskip(SKIP_1) | instid1(VALU_DEP_1)
	v_frexp_exp_i32_f64_e32 v4, v[4:5]
	v_frexp_mant_f32_e32 v5, v20
	v_cmp_gt_f32_e64 s1, 0x3f2aaaab, v5
	v_add_f32_e32 v5, -1.0, v20
	s_delay_alu instid0(VALU_DEP_1) | instskip(SKIP_1) | instid1(VALU_DEP_3)
	v_dual_sub_f32 v22, v5, v20 :: v_dual_sub_f32 v5, v2, v5
	s_wait_alu 0xf1ff
	v_subrev_co_ci_u32_e64 v4, null, 0, v4, s1
	s_mov_b32 s1, 0x3e9b6dac
	v_sub_nc_u32_e32 v21, 0, v4
	v_cvt_f32_i32_e32 v4, v4
	s_delay_alu instid0(VALU_DEP_2) | instskip(NEXT) | instid1(VALU_DEP_1)
	v_ldexp_f32 v20, v20, v21
	v_dual_add_f32 v22, 1.0, v22 :: v_dual_add_f32 v23, 1.0, v20
	s_delay_alu instid0(VALU_DEP_1) | instskip(NEXT) | instid1(VALU_DEP_1)
	v_dual_add_f32 v5, v5, v22 :: v_dual_add_f32 v22, -1.0, v23
	v_ldexp_f32 v5, v5, v21
	s_delay_alu instid0(VALU_DEP_2) | instskip(NEXT) | instid1(VALU_DEP_1)
	v_dual_add_f32 v21, -1.0, v20 :: v_dual_sub_f32 v22, v20, v22
	v_add_f32_e32 v24, 1.0, v21
	s_delay_alu instid0(VALU_DEP_2) | instskip(NEXT) | instid1(VALU_DEP_2)
	v_add_f32_e32 v22, v5, v22
	v_sub_f32_e32 v20, v20, v24
	s_delay_alu instid0(VALU_DEP_1) | instskip(NEXT) | instid1(VALU_DEP_1)
	v_add_f32_e32 v5, v5, v20
	v_dual_add_f32 v25, v21, v5 :: v_dual_add_f32 v24, v23, v22
	s_delay_alu instid0(VALU_DEP_1) | instskip(NEXT) | instid1(VALU_DEP_2)
	v_sub_f32_e32 v21, v21, v25
	v_rcp_f32_e32 v20, v24
	v_sub_f32_e32 v23, v23, v24
	s_delay_alu instid0(VALU_DEP_1) | instskip(NEXT) | instid1(TRANS32_DEP_1)
	v_dual_add_f32 v5, v5, v21 :: v_dual_add_f32 v22, v22, v23
	v_mul_f32_e32 v30, v25, v20
	s_delay_alu instid0(VALU_DEP_1) | instskip(NEXT) | instid1(VALU_DEP_1)
	v_mul_f32_e32 v31, v24, v30
	v_fma_f32 v23, v30, v24, -v31
	s_delay_alu instid0(VALU_DEP_1) | instskip(NEXT) | instid1(VALU_DEP_1)
	v_fmac_f32_e32 v23, v30, v22
	v_add_f32_e32 v32, v31, v23
	s_delay_alu instid0(VALU_DEP_1) | instskip(SKIP_1) | instid1(VALU_DEP_2)
	v_sub_f32_e32 v33, v25, v32
	v_sub_f32_e32 v21, v32, v31
	;; [unrolled: 1-line block ×3, first 2 shown]
	s_delay_alu instid0(VALU_DEP_2) | instskip(NEXT) | instid1(VALU_DEP_2)
	v_sub_f32_e32 v21, v21, v23
	v_sub_f32_e32 v25, v25, v32
	s_delay_alu instid0(VALU_DEP_1) | instskip(NEXT) | instid1(VALU_DEP_1)
	v_add_f32_e32 v5, v5, v25
	v_add_f32_e32 v5, v21, v5
	s_delay_alu instid0(VALU_DEP_1) | instskip(NEXT) | instid1(VALU_DEP_1)
	v_add_f32_e32 v21, v33, v5
	v_mul_f32_e32 v23, v20, v21
	s_delay_alu instid0(VALU_DEP_1) | instskip(NEXT) | instid1(VALU_DEP_1)
	v_dual_sub_f32 v32, v33, v21 :: v_dual_mul_f32 v25, v24, v23
	v_add_f32_e32 v5, v5, v32
	s_delay_alu instid0(VALU_DEP_2) | instskip(NEXT) | instid1(VALU_DEP_1)
	v_fma_f32 v24, v23, v24, -v25
	v_fmac_f32_e32 v24, v23, v22
	s_delay_alu instid0(VALU_DEP_1) | instskip(NEXT) | instid1(VALU_DEP_1)
	v_add_f32_e32 v22, v25, v24
	v_sub_f32_e32 v31, v21, v22
	s_delay_alu instid0(VALU_DEP_1) | instskip(NEXT) | instid1(VALU_DEP_1)
	v_sub_f32_e32 v21, v21, v31
	v_sub_f32_e32 v21, v21, v22
	s_delay_alu instid0(VALU_DEP_1) | instskip(SKIP_2) | instid1(VALU_DEP_1)
	v_add_f32_e32 v5, v5, v21
	v_add_f32_e32 v21, v30, v23
	v_sub_f32_e32 v25, v22, v25
	v_sub_f32_e32 v22, v25, v24
	s_delay_alu instid0(VALU_DEP_1) | instskip(NEXT) | instid1(VALU_DEP_1)
	v_dual_add_f32 v5, v22, v5 :: v_dual_sub_f32 v22, v21, v30
	v_add_f32_e32 v5, v31, v5
	s_delay_alu instid0(VALU_DEP_1) | instskip(NEXT) | instid1(VALU_DEP_1)
	v_dual_sub_f32 v22, v23, v22 :: v_dual_mul_f32 v5, v20, v5
	v_add_f32_e32 v5, v22, v5
	s_delay_alu instid0(VALU_DEP_1) | instskip(NEXT) | instid1(VALU_DEP_1)
	v_add_f32_e32 v20, v21, v5
	v_mul_f32_e32 v22, v20, v20
	s_wait_alu 0xfffe
	s_delay_alu instid0(VALU_DEP_1) | instskip(SKIP_2) | instid1(VALU_DEP_3)
	v_fmaak_f32 v23, s1, v22, 0x3ecc95a3
	v_mul_f32_e32 v24, v20, v22
	v_cmp_neq_f32_e64 s1, 0x7f800000, v2
	v_fmaak_f32 v22, v22, v23, 0x3f2aaada
	v_ldexp_f32 v23, v20, 1
	v_sub_f32_e32 v20, v20, v21
	s_delay_alu instid0(VALU_DEP_3) | instskip(SKIP_1) | instid1(VALU_DEP_3)
	v_mul_f32_e32 v22, v24, v22
	v_mul_f32_e32 v24, 0x3f317218, v4
	v_sub_f32_e32 v5, v5, v20
	s_delay_alu instid0(VALU_DEP_3) | instskip(NEXT) | instid1(VALU_DEP_2)
	v_add_f32_e32 v21, v23, v22
	v_ldexp_f32 v5, v5, 1
	s_delay_alu instid0(VALU_DEP_2) | instskip(SKIP_1) | instid1(VALU_DEP_2)
	v_sub_f32_e32 v20, v21, v23
	v_fma_f32 v23, 0x3f317218, v4, -v24
	v_sub_f32_e32 v20, v22, v20
	s_delay_alu instid0(VALU_DEP_1) | instskip(NEXT) | instid1(VALU_DEP_1)
	v_dual_fmamk_f32 v4, v4, 0xb102e308, v23 :: v_dual_add_f32 v5, v5, v20
	v_add_f32_e32 v20, v24, v4
	s_delay_alu instid0(VALU_DEP_1) | instskip(NEXT) | instid1(VALU_DEP_1)
	v_sub_f32_e32 v24, v20, v24
	v_sub_f32_e32 v4, v4, v24
	s_delay_alu instid0(VALU_DEP_4) | instskip(NEXT) | instid1(VALU_DEP_1)
	v_add_f32_e32 v22, v21, v5
	v_add_f32_e32 v23, v20, v22
	s_delay_alu instid0(VALU_DEP_1) | instskip(SKIP_1) | instid1(VALU_DEP_2)
	v_sub_f32_e32 v25, v23, v20
	v_sub_f32_e32 v21, v22, v21
	;; [unrolled: 1-line block ×3, first 2 shown]
	s_delay_alu instid0(VALU_DEP_1) | instskip(SKIP_1) | instid1(VALU_DEP_2)
	v_dual_sub_f32 v20, v20, v30 :: v_dual_sub_f32 v5, v5, v21
	v_sub_f32_e32 v21, v22, v25
	v_add_f32_e32 v22, v4, v5
	s_delay_alu instid0(VALU_DEP_2) | instskip(NEXT) | instid1(VALU_DEP_2)
	v_add_f32_e32 v20, v21, v20
	v_sub_f32_e32 v21, v22, v4
	s_delay_alu instid0(VALU_DEP_2) | instskip(NEXT) | instid1(VALU_DEP_1)
	v_add_f32_e32 v20, v22, v20
	v_add_f32_e32 v24, v23, v20
	s_delay_alu instid0(VALU_DEP_3) | instskip(NEXT) | instid1(VALU_DEP_1)
	v_sub_f32_e32 v22, v22, v21
	v_dual_sub_f32 v4, v4, v22 :: v_dual_sub_f32 v5, v5, v21
	s_delay_alu instid0(VALU_DEP_1) | instskip(NEXT) | instid1(VALU_DEP_1)
	v_dual_sub_f32 v21, v24, v23 :: v_dual_add_f32 v4, v5, v4
	v_sub_f32_e32 v5, v20, v21
	s_delay_alu instid0(VALU_DEP_1) | instskip(NEXT) | instid1(VALU_DEP_1)
	v_add_f32_e32 v4, v4, v5
	v_add_f32_e32 v4, v24, v4
	s_wait_alu 0xf1ff
	s_delay_alu instid0(VALU_DEP_1) | instskip(SKIP_2) | instid1(VALU_DEP_1)
	v_cndmask_b32_e64 v4, 0x7f800000, v4, s1
	v_cmp_gt_f32_e64 s1, 0x33800000, |v2|
	s_wait_alu 0xf1ff
	v_cndmask_b32_e64 v2, v4, v2, s1
	s_delay_alu instid0(VALU_DEP_1)
	v_add_f32_e32 v2, v1, v2
.LBB443_204:
	s_or_b32 exec_lo, exec_lo, s2
	s_delay_alu instid0(VALU_DEP_1) | instskip(SKIP_1) | instid1(VALU_DEP_2)
	v_bfe_u32 v1, v2, 16, 1
	v_cmp_o_f32_e64 s1, v2, v2
	v_add3_u32 v1, v2, v1, 0x7fff
	s_delay_alu instid0(VALU_DEP_1) | instskip(SKIP_1) | instid1(VALU_DEP_1)
	v_and_b32_e32 v4, 0xffff0000, v1
	s_wait_alu 0xf1ff
	v_cndmask_b32_e64 v4, 0x7fc00000, v4, s1
	s_delay_alu instid0(VALU_DEP_1) | instskip(NEXT) | instid1(VALU_DEP_1)
	v_dual_max_num_f32 v2, v4, v4 :: v_dual_lshlrev_b32 v1, 16, v18
	v_max_num_f32_e32 v5, v1, v1
	v_cmp_u_f32_e64 s1, v4, v4
	s_delay_alu instid0(VALU_DEP_2) | instskip(SKIP_2) | instid1(VALU_DEP_2)
	v_min_num_f32_e32 v18, v2, v5
	v_max_num_f32_e32 v2, v2, v5
	s_wait_alu 0xf1ff
	v_cndmask_b32_e64 v18, v18, v4, s1
	s_delay_alu instid0(VALU_DEP_2) | instskip(SKIP_2) | instid1(VALU_DEP_1)
	v_cndmask_b32_e64 v2, v2, v4, s1
	v_cmp_u_f32_e64 s1, v1, v1
	s_wait_alu 0xf1ff
	v_cndmask_b32_e64 v18, v18, v1, s1
	s_delay_alu instid0(VALU_DEP_3) | instskip(NEXT) | instid1(VALU_DEP_2)
	v_cndmask_b32_e64 v2, v2, v1, s1
	v_cmp_class_f32_e64 s3, v18, 0x1f8
	s_delay_alu instid0(VALU_DEP_2) | instskip(SKIP_1) | instid1(SALU_CYCLE_1)
	v_cmp_neq_f32_e64 s2, v18, v2
	s_or_b32 s2, s2, s3
	s_and_saveexec_b32 s3, s2
	s_cbranch_execz .LBB443_206
; %bb.205:
	v_sub_f32_e32 v4, v18, v2
	s_delay_alu instid0(VALU_DEP_1) | instskip(SKIP_1) | instid1(VALU_DEP_2)
	v_mul_f32_e32 v18, 0x3fb8aa3b, v4
	v_cmp_ngt_f32_e64 s2, 0xc2ce8ed0, v4
	v_fma_f32 v20, 0x3fb8aa3b, v4, -v18
	v_rndne_f32_e32 v21, v18
	s_delay_alu instid0(VALU_DEP_2) | instskip(NEXT) | instid1(VALU_DEP_2)
	v_fmamk_f32 v20, v4, 0x32a5705f, v20
	v_sub_f32_e32 v18, v18, v21
	s_delay_alu instid0(VALU_DEP_1) | instskip(SKIP_1) | instid1(VALU_DEP_2)
	v_add_f32_e32 v18, v18, v20
	v_cvt_i32_f32_e32 v20, v21
	v_exp_f32_e32 v18, v18
	s_delay_alu instid0(TRANS32_DEP_1) | instskip(NEXT) | instid1(VALU_DEP_1)
	v_ldexp_f32 v18, v18, v20
	v_cndmask_b32_e64 v18, 0, v18, s2
	v_cmp_nlt_f32_e64 s2, 0x42b17218, v4
	s_wait_alu 0xf1ff
	s_delay_alu instid0(VALU_DEP_1) | instskip(NEXT) | instid1(VALU_DEP_1)
	v_cndmask_b32_e64 v4, 0x7f800000, v18, s2
	v_add_f32_e32 v18, 1.0, v4
	s_delay_alu instid0(VALU_DEP_1) | instskip(NEXT) | instid1(VALU_DEP_1)
	v_cvt_f64_f32_e32 v[20:21], v18
	v_frexp_exp_i32_f64_e32 v20, v[20:21]
	v_frexp_mant_f32_e32 v21, v18
	s_delay_alu instid0(VALU_DEP_1) | instskip(SKIP_1) | instid1(VALU_DEP_1)
	v_cmp_gt_f32_e64 s2, 0x3f2aaaab, v21
	v_add_f32_e32 v21, -1.0, v18
	v_sub_f32_e32 v23, v21, v18
	v_sub_f32_e32 v21, v4, v21
	s_delay_alu instid0(VALU_DEP_2) | instskip(NEXT) | instid1(VALU_DEP_1)
	v_add_f32_e32 v23, 1.0, v23
	v_add_f32_e32 v21, v21, v23
	s_wait_alu 0xf1ff
	v_subrev_co_ci_u32_e64 v20, null, 0, v20, s2
	s_mov_b32 s2, 0x3e9b6dac
	v_sub_nc_u32_e32 v22, 0, v20
	v_cvt_f32_i32_e32 v20, v20
	s_delay_alu instid0(VALU_DEP_2) | instskip(SKIP_1) | instid1(VALU_DEP_2)
	v_ldexp_f32 v18, v18, v22
	v_ldexp_f32 v21, v21, v22
	v_add_f32_e32 v24, 1.0, v18
	s_delay_alu instid0(VALU_DEP_1) | instskip(NEXT) | instid1(VALU_DEP_1)
	v_dual_add_f32 v22, -1.0, v18 :: v_dual_add_f32 v23, -1.0, v24
	v_add_f32_e32 v25, 1.0, v22
	s_delay_alu instid0(VALU_DEP_2) | instskip(NEXT) | instid1(VALU_DEP_1)
	v_sub_f32_e32 v23, v18, v23
	v_dual_sub_f32 v18, v18, v25 :: v_dual_add_f32 v23, v21, v23
	s_delay_alu instid0(VALU_DEP_1) | instskip(NEXT) | instid1(VALU_DEP_1)
	v_dual_add_f32 v18, v21, v18 :: v_dual_add_f32 v25, v24, v23
	v_rcp_f32_e32 v21, v25
	v_sub_f32_e32 v24, v24, v25
	s_delay_alu instid0(VALU_DEP_1) | instskip(NEXT) | instid1(VALU_DEP_1)
	v_dual_add_f32 v30, v22, v18 :: v_dual_add_f32 v23, v23, v24
	v_sub_f32_e32 v22, v22, v30
	s_delay_alu instid0(TRANS32_DEP_1) | instskip(NEXT) | instid1(VALU_DEP_2)
	v_mul_f32_e32 v31, v30, v21
	v_add_f32_e32 v18, v18, v22
	s_delay_alu instid0(VALU_DEP_2) | instskip(NEXT) | instid1(VALU_DEP_1)
	v_mul_f32_e32 v32, v25, v31
	v_fma_f32 v24, v31, v25, -v32
	s_delay_alu instid0(VALU_DEP_1) | instskip(NEXT) | instid1(VALU_DEP_1)
	v_fmac_f32_e32 v24, v31, v23
	v_add_f32_e32 v33, v32, v24
	s_delay_alu instid0(VALU_DEP_1) | instskip(SKIP_1) | instid1(VALU_DEP_2)
	v_sub_f32_e32 v34, v30, v33
	v_sub_f32_e32 v22, v33, v32
	;; [unrolled: 1-line block ×3, first 2 shown]
	s_delay_alu instid0(VALU_DEP_2) | instskip(NEXT) | instid1(VALU_DEP_2)
	v_sub_f32_e32 v22, v22, v24
	v_sub_f32_e32 v30, v30, v33
	s_delay_alu instid0(VALU_DEP_1) | instskip(NEXT) | instid1(VALU_DEP_1)
	v_add_f32_e32 v18, v18, v30
	v_add_f32_e32 v18, v22, v18
	s_delay_alu instid0(VALU_DEP_1) | instskip(NEXT) | instid1(VALU_DEP_1)
	v_add_f32_e32 v22, v34, v18
	v_mul_f32_e32 v24, v21, v22
	s_delay_alu instid0(VALU_DEP_1) | instskip(NEXT) | instid1(VALU_DEP_1)
	v_mul_f32_e32 v30, v25, v24
	v_fma_f32 v25, v24, v25, -v30
	s_delay_alu instid0(VALU_DEP_1) | instskip(SKIP_1) | instid1(VALU_DEP_2)
	v_fmac_f32_e32 v25, v24, v23
	v_sub_f32_e32 v33, v34, v22
	v_add_f32_e32 v23, v30, v25
	s_delay_alu instid0(VALU_DEP_2) | instskip(NEXT) | instid1(VALU_DEP_2)
	v_add_f32_e32 v18, v18, v33
	v_sub_f32_e32 v32, v22, v23
	v_sub_f32_e32 v30, v23, v30
	s_delay_alu instid0(VALU_DEP_2) | instskip(NEXT) | instid1(VALU_DEP_1)
	v_sub_f32_e32 v22, v22, v32
	v_sub_f32_e32 v22, v22, v23
	s_delay_alu instid0(VALU_DEP_3) | instskip(NEXT) | instid1(VALU_DEP_2)
	v_sub_f32_e32 v23, v30, v25
	v_add_f32_e32 v18, v18, v22
	v_add_f32_e32 v22, v31, v24
	s_delay_alu instid0(VALU_DEP_1) | instskip(NEXT) | instid1(VALU_DEP_1)
	v_dual_add_f32 v18, v23, v18 :: v_dual_sub_f32 v23, v22, v31
	v_add_f32_e32 v18, v32, v18
	s_delay_alu instid0(VALU_DEP_1) | instskip(NEXT) | instid1(VALU_DEP_1)
	v_dual_sub_f32 v23, v24, v23 :: v_dual_mul_f32 v18, v21, v18
	v_add_f32_e32 v18, v23, v18
	s_delay_alu instid0(VALU_DEP_1) | instskip(NEXT) | instid1(VALU_DEP_1)
	v_add_f32_e32 v21, v22, v18
	v_mul_f32_e32 v23, v21, v21
	s_wait_alu 0xfffe
	s_delay_alu instid0(VALU_DEP_1) | instskip(SKIP_2) | instid1(VALU_DEP_3)
	v_fmaak_f32 v24, s2, v23, 0x3ecc95a3
	v_mul_f32_e32 v25, v21, v23
	v_cmp_neq_f32_e64 s2, 0x7f800000, v4
	v_fmaak_f32 v23, v23, v24, 0x3f2aaada
	v_ldexp_f32 v24, v21, 1
	v_sub_f32_e32 v21, v21, v22
	s_delay_alu instid0(VALU_DEP_3) | instskip(NEXT) | instid1(VALU_DEP_2)
	v_mul_f32_e32 v23, v25, v23
	v_dual_mul_f32 v25, 0x3f317218, v20 :: v_dual_sub_f32 v18, v18, v21
	s_delay_alu instid0(VALU_DEP_2) | instskip(NEXT) | instid1(VALU_DEP_2)
	v_add_f32_e32 v22, v24, v23
	v_ldexp_f32 v18, v18, 1
	s_delay_alu instid0(VALU_DEP_2) | instskip(NEXT) | instid1(VALU_DEP_4)
	v_sub_f32_e32 v21, v22, v24
	v_fma_f32 v24, 0x3f317218, v20, -v25
	s_delay_alu instid0(VALU_DEP_1) | instskip(NEXT) | instid1(VALU_DEP_1)
	v_dual_sub_f32 v21, v23, v21 :: v_dual_fmamk_f32 v20, v20, 0xb102e308, v24
	v_dual_add_f32 v18, v18, v21 :: v_dual_add_f32 v21, v25, v20
	s_delay_alu instid0(VALU_DEP_1) | instskip(NEXT) | instid1(VALU_DEP_2)
	v_add_f32_e32 v23, v22, v18
	v_sub_f32_e32 v25, v21, v25
	s_delay_alu instid0(VALU_DEP_2) | instskip(SKIP_1) | instid1(VALU_DEP_3)
	v_add_f32_e32 v24, v21, v23
	v_sub_f32_e32 v22, v23, v22
	v_sub_f32_e32 v20, v20, v25
	s_delay_alu instid0(VALU_DEP_3) | instskip(NEXT) | instid1(VALU_DEP_3)
	v_sub_f32_e32 v30, v24, v21
	v_sub_f32_e32 v18, v18, v22
	s_delay_alu instid0(VALU_DEP_2) | instskip(SKIP_1) | instid1(VALU_DEP_3)
	v_sub_f32_e32 v31, v24, v30
	v_sub_f32_e32 v22, v23, v30
	v_add_f32_e32 v23, v20, v18
	s_delay_alu instid0(VALU_DEP_3) | instskip(NEXT) | instid1(VALU_DEP_1)
	v_sub_f32_e32 v21, v21, v31
	v_dual_add_f32 v21, v22, v21 :: v_dual_sub_f32 v22, v23, v20
	s_delay_alu instid0(VALU_DEP_1) | instskip(NEXT) | instid1(VALU_DEP_2)
	v_add_f32_e32 v21, v23, v21
	v_sub_f32_e32 v23, v23, v22
	s_delay_alu instid0(VALU_DEP_2) | instskip(NEXT) | instid1(VALU_DEP_2)
	v_dual_sub_f32 v18, v18, v22 :: v_dual_add_f32 v25, v24, v21
	v_sub_f32_e32 v20, v20, v23
	s_delay_alu instid0(VALU_DEP_2) | instskip(NEXT) | instid1(VALU_DEP_2)
	v_sub_f32_e32 v22, v25, v24
	v_add_f32_e32 v18, v18, v20
	s_delay_alu instid0(VALU_DEP_2) | instskip(NEXT) | instid1(VALU_DEP_1)
	v_sub_f32_e32 v20, v21, v22
	v_add_f32_e32 v18, v18, v20
	s_delay_alu instid0(VALU_DEP_1) | instskip(SKIP_1) | instid1(VALU_DEP_1)
	v_add_f32_e32 v18, v25, v18
	s_wait_alu 0xf1ff
	v_cndmask_b32_e64 v18, 0x7f800000, v18, s2
	v_cmp_gt_f32_e64 s2, 0x33800000, |v4|
	s_wait_alu 0xf1ff
	s_delay_alu instid0(VALU_DEP_1) | instskip(NEXT) | instid1(VALU_DEP_1)
	v_cndmask_b32_e64 v4, v18, v4, s2
	v_add_f32_e32 v4, v2, v4
.LBB443_206:
	s_or_b32 exec_lo, exec_lo, s3
	s_delay_alu instid0(VALU_DEP_1) | instskip(SKIP_1) | instid1(VALU_DEP_2)
	v_bfe_u32 v2, v4, 16, 1
	v_cmp_o_f32_e64 s2, v4, v4
	v_add3_u32 v2, v4, v2, 0x7fff
	s_delay_alu instid0(VALU_DEP_1) | instskip(SKIP_2) | instid1(VALU_DEP_2)
	v_and_b32_e32 v18, 0xffff0000, v2
	v_lshlrev_b32_e32 v2, 16, v17
	s_wait_alu 0xf1ff
	v_cndmask_b32_e64 v18, 0x7fc00000, v18, s2
	s_delay_alu instid0(VALU_DEP_2) | instskip(NEXT) | instid1(VALU_DEP_2)
	v_max_num_f32_e32 v17, v2, v2
	v_max_num_f32_e32 v4, v18, v18
	v_cmp_u_f32_e64 s2, v18, v18
	s_delay_alu instid0(VALU_DEP_2) | instskip(SKIP_2) | instid1(VALU_DEP_2)
	v_min_num_f32_e32 v20, v4, v17
	v_max_num_f32_e32 v4, v4, v17
	s_wait_alu 0xf1ff
	v_cndmask_b32_e64 v20, v20, v18, s2
	s_delay_alu instid0(VALU_DEP_2) | instskip(SKIP_2) | instid1(VALU_DEP_1)
	v_cndmask_b32_e64 v4, v4, v18, s2
	v_cmp_u_f32_e64 s2, v2, v2
	s_wait_alu 0xf1ff
	v_cndmask_b32_e64 v20, v20, v2, s2
	s_delay_alu instid0(VALU_DEP_3) | instskip(NEXT) | instid1(VALU_DEP_2)
	v_cndmask_b32_e64 v4, v4, v2, s2
	v_cmp_class_f32_e64 s4, v20, 0x1f8
	s_delay_alu instid0(VALU_DEP_2)
	v_cmp_neq_f32_e64 s3, v20, v4
	s_or_b32 s3, s3, s4
	s_wait_alu 0xfffe
	s_and_saveexec_b32 s4, s3
	s_cbranch_execz .LBB443_208
; %bb.207:
	v_sub_f32_e32 v18, v20, v4
	s_delay_alu instid0(VALU_DEP_1) | instskip(SKIP_1) | instid1(VALU_DEP_2)
	v_mul_f32_e32 v20, 0x3fb8aa3b, v18
	v_cmp_ngt_f32_e64 s3, 0xc2ce8ed0, v18
	v_fma_f32 v21, 0x3fb8aa3b, v18, -v20
	v_rndne_f32_e32 v22, v20
	s_delay_alu instid0(VALU_DEP_1) | instskip(NEXT) | instid1(VALU_DEP_1)
	v_dual_fmamk_f32 v21, v18, 0x32a5705f, v21 :: v_dual_sub_f32 v20, v20, v22
	v_add_f32_e32 v20, v20, v21
	v_cvt_i32_f32_e32 v21, v22
	s_delay_alu instid0(VALU_DEP_2) | instskip(NEXT) | instid1(TRANS32_DEP_1)
	v_exp_f32_e32 v20, v20
	v_ldexp_f32 v20, v20, v21
	s_wait_alu 0xf1ff
	s_delay_alu instid0(VALU_DEP_1) | instskip(SKIP_2) | instid1(VALU_DEP_1)
	v_cndmask_b32_e64 v20, 0, v20, s3
	v_cmp_nlt_f32_e64 s3, 0x42b17218, v18
	s_wait_alu 0xf1ff
	v_cndmask_b32_e64 v18, 0x7f800000, v20, s3
	s_delay_alu instid0(VALU_DEP_1) | instskip(NEXT) | instid1(VALU_DEP_1)
	v_add_f32_e32 v22, 1.0, v18
	v_cvt_f64_f32_e32 v[20:21], v22
	s_delay_alu instid0(VALU_DEP_1) | instskip(SKIP_1) | instid1(VALU_DEP_1)
	v_frexp_exp_i32_f64_e32 v20, v[20:21]
	v_frexp_mant_f32_e32 v21, v22
	v_cmp_gt_f32_e64 s3, 0x3f2aaaab, v21
	v_add_f32_e32 v21, -1.0, v22
	s_delay_alu instid0(VALU_DEP_1) | instskip(NEXT) | instid1(VALU_DEP_1)
	v_dual_sub_f32 v24, v21, v22 :: v_dual_sub_f32 v21, v18, v21
	v_add_f32_e32 v24, 1.0, v24
	s_delay_alu instid0(VALU_DEP_1)
	v_add_f32_e32 v21, v21, v24
	s_wait_alu 0xf1ff
	v_subrev_co_ci_u32_e64 v20, null, 0, v20, s3
	s_mov_b32 s3, 0x3e9b6dac
	v_sub_nc_u32_e32 v23, 0, v20
	v_cvt_f32_i32_e32 v20, v20
	s_delay_alu instid0(VALU_DEP_2) | instskip(SKIP_1) | instid1(VALU_DEP_2)
	v_ldexp_f32 v22, v22, v23
	v_ldexp_f32 v21, v21, v23
	v_add_f32_e32 v25, 1.0, v22
	s_delay_alu instid0(VALU_DEP_1) | instskip(NEXT) | instid1(VALU_DEP_1)
	v_dual_add_f32 v23, -1.0, v22 :: v_dual_add_f32 v24, -1.0, v25
	v_add_f32_e32 v30, 1.0, v23
	s_delay_alu instid0(VALU_DEP_2) | instskip(NEXT) | instid1(VALU_DEP_2)
	v_sub_f32_e32 v24, v22, v24
	v_sub_f32_e32 v22, v22, v30
	s_delay_alu instid0(VALU_DEP_2) | instskip(NEXT) | instid1(VALU_DEP_2)
	v_add_f32_e32 v24, v21, v24
	v_add_f32_e32 v21, v21, v22
	s_delay_alu instid0(VALU_DEP_1) | instskip(NEXT) | instid1(VALU_DEP_1)
	v_dual_add_f32 v31, v23, v21 :: v_dual_add_f32 v30, v25, v24
	v_sub_f32_e32 v23, v23, v31
	s_delay_alu instid0(VALU_DEP_2) | instskip(SKIP_1) | instid1(VALU_DEP_1)
	v_rcp_f32_e32 v22, v30
	v_sub_f32_e32 v25, v25, v30
	v_dual_add_f32 v21, v21, v23 :: v_dual_add_f32 v24, v24, v25
	s_delay_alu instid0(TRANS32_DEP_1) | instskip(NEXT) | instid1(VALU_DEP_1)
	v_mul_f32_e32 v32, v31, v22
	v_mul_f32_e32 v33, v30, v32
	s_delay_alu instid0(VALU_DEP_1) | instskip(NEXT) | instid1(VALU_DEP_1)
	v_fma_f32 v25, v32, v30, -v33
	v_fmac_f32_e32 v25, v32, v24
	s_delay_alu instid0(VALU_DEP_1) | instskip(NEXT) | instid1(VALU_DEP_1)
	v_add_f32_e32 v34, v33, v25
	v_sub_f32_e32 v35, v31, v34
	v_sub_f32_e32 v23, v34, v33
	s_delay_alu instid0(VALU_DEP_2) | instskip(NEXT) | instid1(VALU_DEP_2)
	v_sub_f32_e32 v31, v31, v35
	v_sub_f32_e32 v23, v23, v25
	s_delay_alu instid0(VALU_DEP_2) | instskip(NEXT) | instid1(VALU_DEP_1)
	v_sub_f32_e32 v31, v31, v34
	v_add_f32_e32 v21, v21, v31
	s_delay_alu instid0(VALU_DEP_1) | instskip(NEXT) | instid1(VALU_DEP_1)
	v_add_f32_e32 v21, v23, v21
	v_add_f32_e32 v23, v35, v21
	s_delay_alu instid0(VALU_DEP_1) | instskip(NEXT) | instid1(VALU_DEP_1)
	v_mul_f32_e32 v25, v22, v23
	v_dual_sub_f32 v34, v35, v23 :: v_dual_mul_f32 v31, v30, v25
	s_delay_alu instid0(VALU_DEP_1) | instskip(NEXT) | instid1(VALU_DEP_2)
	v_add_f32_e32 v21, v21, v34
	v_fma_f32 v30, v25, v30, -v31
	s_delay_alu instid0(VALU_DEP_1) | instskip(NEXT) | instid1(VALU_DEP_1)
	v_fmac_f32_e32 v30, v25, v24
	v_add_f32_e32 v24, v31, v30
	s_delay_alu instid0(VALU_DEP_1) | instskip(NEXT) | instid1(VALU_DEP_1)
	v_sub_f32_e32 v33, v23, v24
	v_sub_f32_e32 v23, v23, v33
	s_delay_alu instid0(VALU_DEP_1) | instskip(NEXT) | instid1(VALU_DEP_1)
	v_sub_f32_e32 v23, v23, v24
	v_add_f32_e32 v21, v21, v23
	v_add_f32_e32 v23, v32, v25
	v_sub_f32_e32 v31, v24, v31
	s_delay_alu instid0(VALU_DEP_1) | instskip(NEXT) | instid1(VALU_DEP_1)
	v_sub_f32_e32 v24, v31, v30
	v_dual_add_f32 v21, v24, v21 :: v_dual_sub_f32 v24, v23, v32
	s_delay_alu instid0(VALU_DEP_1) | instskip(NEXT) | instid1(VALU_DEP_1)
	v_add_f32_e32 v21, v33, v21
	v_dual_sub_f32 v24, v25, v24 :: v_dual_mul_f32 v21, v22, v21
	s_delay_alu instid0(VALU_DEP_1) | instskip(NEXT) | instid1(VALU_DEP_1)
	v_add_f32_e32 v21, v24, v21
	v_add_f32_e32 v22, v23, v21
	s_delay_alu instid0(VALU_DEP_1) | instskip(SKIP_1) | instid1(VALU_DEP_1)
	v_mul_f32_e32 v24, v22, v22
	s_wait_alu 0xfffe
	v_fmaak_f32 v25, s3, v24, 0x3ecc95a3
	v_mul_f32_e32 v30, v22, v24
	v_cmp_neq_f32_e64 s3, 0x7f800000, v18
	s_delay_alu instid0(VALU_DEP_3) | instskip(SKIP_2) | instid1(VALU_DEP_3)
	v_fmaak_f32 v24, v24, v25, 0x3f2aaada
	v_ldexp_f32 v25, v22, 1
	v_sub_f32_e32 v22, v22, v23
	v_mul_f32_e32 v24, v30, v24
	s_delay_alu instid0(VALU_DEP_2) | instskip(NEXT) | instid1(VALU_DEP_2)
	v_dual_mul_f32 v30, 0x3f317218, v20 :: v_dual_sub_f32 v21, v21, v22
	v_add_f32_e32 v23, v25, v24
	s_delay_alu instid0(VALU_DEP_2) | instskip(NEXT) | instid1(VALU_DEP_2)
	v_ldexp_f32 v21, v21, 1
	v_sub_f32_e32 v22, v23, v25
	s_delay_alu instid0(VALU_DEP_4) | instskip(NEXT) | instid1(VALU_DEP_2)
	v_fma_f32 v25, 0x3f317218, v20, -v30
	v_sub_f32_e32 v22, v24, v22
	s_delay_alu instid0(VALU_DEP_1) | instskip(NEXT) | instid1(VALU_DEP_1)
	v_dual_fmamk_f32 v20, v20, 0xb102e308, v25 :: v_dual_add_f32 v21, v21, v22
	v_add_f32_e32 v22, v30, v20
	s_delay_alu instid0(VALU_DEP_1) | instskip(NEXT) | instid1(VALU_DEP_1)
	v_sub_f32_e32 v30, v22, v30
	v_sub_f32_e32 v20, v20, v30
	s_delay_alu instid0(VALU_DEP_4) | instskip(NEXT) | instid1(VALU_DEP_1)
	v_add_f32_e32 v24, v23, v21
	v_sub_f32_e32 v23, v24, v23
	s_delay_alu instid0(VALU_DEP_1) | instskip(SKIP_1) | instid1(VALU_DEP_1)
	v_sub_f32_e32 v21, v21, v23
	v_add_f32_e32 v25, v22, v24
	v_sub_f32_e32 v31, v25, v22
	s_delay_alu instid0(VALU_DEP_1) | instskip(NEXT) | instid1(VALU_DEP_4)
	v_sub_f32_e32 v23, v24, v31
	v_add_f32_e32 v24, v20, v21
	v_sub_f32_e32 v32, v25, v31
	s_delay_alu instid0(VALU_DEP_1) | instskip(NEXT) | instid1(VALU_DEP_1)
	v_sub_f32_e32 v22, v22, v32
	v_dual_add_f32 v22, v23, v22 :: v_dual_sub_f32 v23, v24, v20
	s_delay_alu instid0(VALU_DEP_1) | instskip(SKIP_1) | instid1(VALU_DEP_2)
	v_dual_add_f32 v22, v24, v22 :: v_dual_sub_f32 v21, v21, v23
	v_sub_f32_e32 v24, v24, v23
	v_add_f32_e32 v30, v25, v22
	s_delay_alu instid0(VALU_DEP_1) | instskip(NEXT) | instid1(VALU_DEP_1)
	v_dual_sub_f32 v20, v20, v24 :: v_dual_sub_f32 v23, v30, v25
	v_dual_add_f32 v20, v21, v20 :: v_dual_sub_f32 v21, v22, v23
	s_delay_alu instid0(VALU_DEP_1) | instskip(NEXT) | instid1(VALU_DEP_1)
	v_add_f32_e32 v20, v20, v21
	v_add_f32_e32 v20, v30, v20
	s_wait_alu 0xf1ff
	s_delay_alu instid0(VALU_DEP_1) | instskip(SKIP_2) | instid1(VALU_DEP_1)
	v_cndmask_b32_e64 v20, 0x7f800000, v20, s3
	v_cmp_gt_f32_e64 s3, 0x33800000, |v18|
	s_wait_alu 0xf1ff
	v_cndmask_b32_e64 v18, v20, v18, s3
	s_delay_alu instid0(VALU_DEP_1)
	v_add_f32_e32 v18, v4, v18
.LBB443_208:
	s_or_b32 exec_lo, exec_lo, s4
	s_delay_alu instid0(VALU_DEP_1) | instskip(SKIP_1) | instid1(VALU_DEP_2)
	v_bfe_u32 v4, v18, 16, 1
	v_cmp_o_f32_e64 s3, v18, v18
	v_add3_u32 v4, v18, v4, 0x7fff
	s_delay_alu instid0(VALU_DEP_1) | instskip(SKIP_2) | instid1(VALU_DEP_2)
	v_and_b32_e32 v20, 0xffff0000, v4
	v_lshlrev_b32_e32 v4, 16, v16
	s_wait_alu 0xf1ff
	v_cndmask_b32_e64 v20, 0x7fc00000, v20, s3
	s_delay_alu instid0(VALU_DEP_2) | instskip(NEXT) | instid1(VALU_DEP_2)
	v_max_num_f32_e32 v16, v4, v4
	v_max_num_f32_e32 v18, v20, v20
	v_cmp_u_f32_e64 s3, v20, v20
	s_delay_alu instid0(VALU_DEP_2) | instskip(SKIP_2) | instid1(VALU_DEP_2)
	v_min_num_f32_e32 v21, v18, v16
	v_max_num_f32_e32 v18, v18, v16
	s_wait_alu 0xf1ff
	v_cndmask_b32_e64 v21, v21, v20, s3
	s_delay_alu instid0(VALU_DEP_2) | instskip(SKIP_2) | instid1(VALU_DEP_1)
	v_cndmask_b32_e64 v18, v18, v20, s3
	v_cmp_u_f32_e64 s3, v4, v4
	s_wait_alu 0xf1ff
	v_cndmask_b32_e64 v21, v21, v4, s3
	s_delay_alu instid0(VALU_DEP_3) | instskip(NEXT) | instid1(VALU_DEP_2)
	v_cndmask_b32_e64 v18, v18, v4, s3
	v_cmp_class_f32_e64 s5, v21, 0x1f8
	s_delay_alu instid0(VALU_DEP_2) | instskip(SKIP_1) | instid1(SALU_CYCLE_1)
	v_cmp_neq_f32_e64 s4, v21, v18
	s_or_b32 s4, s4, s5
	s_and_saveexec_b32 s5, s4
	s_cbranch_execz .LBB443_210
; %bb.209:
	v_sub_f32_e32 v20, v21, v18
	s_delay_alu instid0(VALU_DEP_1) | instskip(SKIP_1) | instid1(VALU_DEP_2)
	v_mul_f32_e32 v21, 0x3fb8aa3b, v20
	v_cmp_ngt_f32_e64 s4, 0xc2ce8ed0, v20
	v_fma_f32 v22, 0x3fb8aa3b, v20, -v21
	v_rndne_f32_e32 v23, v21
	s_delay_alu instid0(VALU_DEP_1) | instskip(NEXT) | instid1(VALU_DEP_1)
	v_dual_fmamk_f32 v22, v20, 0x32a5705f, v22 :: v_dual_sub_f32 v21, v21, v23
	v_add_f32_e32 v21, v21, v22
	v_cvt_i32_f32_e32 v22, v23
	s_delay_alu instid0(VALU_DEP_2) | instskip(NEXT) | instid1(TRANS32_DEP_1)
	v_exp_f32_e32 v21, v21
	v_ldexp_f32 v21, v21, v22
	s_delay_alu instid0(VALU_DEP_1) | instskip(SKIP_2) | instid1(VALU_DEP_1)
	v_cndmask_b32_e64 v21, 0, v21, s4
	v_cmp_nlt_f32_e64 s4, 0x42b17218, v20
	s_wait_alu 0xf1ff
	v_cndmask_b32_e64 v22, 0x7f800000, v21, s4
	s_delay_alu instid0(VALU_DEP_1) | instskip(NEXT) | instid1(VALU_DEP_1)
	v_add_f32_e32 v23, 1.0, v22
	v_cvt_f64_f32_e32 v[20:21], v23
	s_delay_alu instid0(VALU_DEP_1) | instskip(SKIP_1) | instid1(VALU_DEP_1)
	v_frexp_exp_i32_f64_e32 v20, v[20:21]
	v_frexp_mant_f32_e32 v21, v23
	v_cmp_gt_f32_e64 s4, 0x3f2aaaab, v21
	v_add_f32_e32 v21, -1.0, v23
	s_delay_alu instid0(VALU_DEP_1)
	v_sub_f32_e32 v25, v21, v23
	v_sub_f32_e32 v21, v22, v21
	s_wait_alu 0xf1ff
	v_subrev_co_ci_u32_e64 v20, null, 0, v20, s4
	s_mov_b32 s4, 0x3e9b6dac
	v_sub_nc_u32_e32 v24, 0, v20
	v_cvt_f32_i32_e32 v20, v20
	s_delay_alu instid0(VALU_DEP_2) | instskip(NEXT) | instid1(VALU_DEP_1)
	v_ldexp_f32 v23, v23, v24
	v_dual_add_f32 v30, 1.0, v23 :: v_dual_add_f32 v25, 1.0, v25
	s_delay_alu instid0(VALU_DEP_1) | instskip(NEXT) | instid1(VALU_DEP_2)
	v_add_f32_e32 v21, v21, v25
	v_add_f32_e32 v25, -1.0, v30
	s_delay_alu instid0(VALU_DEP_2) | instskip(NEXT) | instid1(VALU_DEP_2)
	v_ldexp_f32 v21, v21, v24
	v_dual_add_f32 v24, -1.0, v23 :: v_dual_sub_f32 v25, v23, v25
	s_delay_alu instid0(VALU_DEP_1) | instskip(NEXT) | instid1(VALU_DEP_2)
	v_add_f32_e32 v31, 1.0, v24
	v_add_f32_e32 v25, v21, v25
	s_delay_alu instid0(VALU_DEP_2) | instskip(NEXT) | instid1(VALU_DEP_2)
	v_sub_f32_e32 v23, v23, v31
	v_add_f32_e32 v31, v30, v25
	s_delay_alu instid0(VALU_DEP_2) | instskip(NEXT) | instid1(VALU_DEP_2)
	v_add_f32_e32 v21, v21, v23
	v_rcp_f32_e32 v23, v31
	v_sub_f32_e32 v30, v30, v31
	s_delay_alu instid0(VALU_DEP_1) | instskip(NEXT) | instid1(VALU_DEP_1)
	v_dual_add_f32 v32, v24, v21 :: v_dual_add_f32 v25, v25, v30
	v_sub_f32_e32 v24, v24, v32
	s_delay_alu instid0(TRANS32_DEP_1) | instskip(NEXT) | instid1(VALU_DEP_1)
	v_mul_f32_e32 v33, v32, v23
	v_dual_add_f32 v21, v21, v24 :: v_dual_mul_f32 v34, v31, v33
	s_delay_alu instid0(VALU_DEP_1) | instskip(NEXT) | instid1(VALU_DEP_1)
	v_fma_f32 v30, v33, v31, -v34
	v_fmac_f32_e32 v30, v33, v25
	s_delay_alu instid0(VALU_DEP_1) | instskip(NEXT) | instid1(VALU_DEP_1)
	v_add_f32_e32 v35, v34, v30
	v_sub_f32_e32 v36, v32, v35
	v_sub_f32_e32 v24, v35, v34
	s_delay_alu instid0(VALU_DEP_2) | instskip(NEXT) | instid1(VALU_DEP_2)
	v_sub_f32_e32 v32, v32, v36
	v_sub_f32_e32 v24, v24, v30
	s_delay_alu instid0(VALU_DEP_2) | instskip(NEXT) | instid1(VALU_DEP_1)
	v_sub_f32_e32 v32, v32, v35
	v_add_f32_e32 v21, v21, v32
	s_delay_alu instid0(VALU_DEP_1) | instskip(NEXT) | instid1(VALU_DEP_1)
	v_add_f32_e32 v21, v24, v21
	v_add_f32_e32 v24, v36, v21
	s_delay_alu instid0(VALU_DEP_1) | instskip(NEXT) | instid1(VALU_DEP_1)
	v_mul_f32_e32 v30, v23, v24
	v_dual_sub_f32 v35, v36, v24 :: v_dual_mul_f32 v32, v31, v30
	s_delay_alu instid0(VALU_DEP_1) | instskip(NEXT) | instid1(VALU_DEP_2)
	v_add_f32_e32 v21, v21, v35
	v_fma_f32 v31, v30, v31, -v32
	s_delay_alu instid0(VALU_DEP_1) | instskip(NEXT) | instid1(VALU_DEP_1)
	v_fmac_f32_e32 v31, v30, v25
	v_add_f32_e32 v25, v32, v31
	s_delay_alu instid0(VALU_DEP_1) | instskip(SKIP_1) | instid1(VALU_DEP_2)
	v_sub_f32_e32 v34, v24, v25
	v_sub_f32_e32 v32, v25, v32
	;; [unrolled: 1-line block ×3, first 2 shown]
	s_delay_alu instid0(VALU_DEP_1) | instskip(NEXT) | instid1(VALU_DEP_3)
	v_sub_f32_e32 v24, v24, v25
	v_sub_f32_e32 v25, v32, v31
	s_delay_alu instid0(VALU_DEP_2) | instskip(SKIP_1) | instid1(VALU_DEP_2)
	v_add_f32_e32 v21, v21, v24
	v_add_f32_e32 v24, v33, v30
	v_add_f32_e32 v21, v25, v21
	s_delay_alu instid0(VALU_DEP_2) | instskip(NEXT) | instid1(VALU_DEP_2)
	v_sub_f32_e32 v25, v24, v33
	v_add_f32_e32 v21, v34, v21
	s_delay_alu instid0(VALU_DEP_2) | instskip(NEXT) | instid1(VALU_DEP_2)
	v_sub_f32_e32 v25, v30, v25
	v_mul_f32_e32 v21, v23, v21
	s_delay_alu instid0(VALU_DEP_1) | instskip(NEXT) | instid1(VALU_DEP_1)
	v_add_f32_e32 v21, v25, v21
	v_add_f32_e32 v23, v24, v21
	s_delay_alu instid0(VALU_DEP_1) | instskip(SKIP_1) | instid1(VALU_DEP_1)
	v_mul_f32_e32 v25, v23, v23
	s_wait_alu 0xfffe
	v_fmaak_f32 v30, s4, v25, 0x3ecc95a3
	v_mul_f32_e32 v31, v23, v25
	v_cmp_neq_f32_e64 s4, 0x7f800000, v22
	s_delay_alu instid0(VALU_DEP_3) | instskip(SKIP_2) | instid1(VALU_DEP_3)
	v_fmaak_f32 v25, v25, v30, 0x3f2aaada
	v_ldexp_f32 v30, v23, 1
	v_sub_f32_e32 v23, v23, v24
	v_mul_f32_e32 v25, v31, v25
	v_mul_f32_e32 v31, 0x3f317218, v20
	s_delay_alu instid0(VALU_DEP_2) | instskip(NEXT) | instid1(VALU_DEP_1)
	v_dual_sub_f32 v21, v21, v23 :: v_dual_add_f32 v24, v30, v25
	v_ldexp_f32 v21, v21, 1
	s_delay_alu instid0(VALU_DEP_2) | instskip(NEXT) | instid1(VALU_DEP_4)
	v_sub_f32_e32 v23, v24, v30
	v_fma_f32 v30, 0x3f317218, v20, -v31
	s_delay_alu instid0(VALU_DEP_1) | instskip(NEXT) | instid1(VALU_DEP_1)
	v_dual_sub_f32 v23, v25, v23 :: v_dual_fmamk_f32 v20, v20, 0xb102e308, v30
	v_add_f32_e32 v21, v21, v23
	s_delay_alu instid0(VALU_DEP_2) | instskip(NEXT) | instid1(VALU_DEP_2)
	v_add_f32_e32 v23, v31, v20
	v_add_f32_e32 v25, v24, v21
	s_delay_alu instid0(VALU_DEP_2) | instskip(NEXT) | instid1(VALU_DEP_2)
	v_sub_f32_e32 v31, v23, v31
	v_add_f32_e32 v30, v23, v25
	v_sub_f32_e32 v24, v25, v24
	s_delay_alu instid0(VALU_DEP_3) | instskip(NEXT) | instid1(VALU_DEP_2)
	v_sub_f32_e32 v20, v20, v31
	v_dual_sub_f32 v32, v30, v23 :: v_dual_sub_f32 v21, v21, v24
	s_delay_alu instid0(VALU_DEP_1) | instskip(NEXT) | instid1(VALU_DEP_2)
	v_sub_f32_e32 v33, v30, v32
	v_dual_sub_f32 v24, v25, v32 :: v_dual_add_f32 v25, v20, v21
	s_delay_alu instid0(VALU_DEP_2) | instskip(NEXT) | instid1(VALU_DEP_1)
	v_sub_f32_e32 v23, v23, v33
	v_dual_add_f32 v23, v24, v23 :: v_dual_sub_f32 v24, v25, v20
	s_delay_alu instid0(VALU_DEP_1) | instskip(NEXT) | instid1(VALU_DEP_2)
	v_add_f32_e32 v23, v25, v23
	v_sub_f32_e32 v25, v25, v24
	v_sub_f32_e32 v21, v21, v24
	s_delay_alu instid0(VALU_DEP_2) | instskip(NEXT) | instid1(VALU_DEP_1)
	v_dual_add_f32 v31, v30, v23 :: v_dual_sub_f32 v20, v20, v25
	v_sub_f32_e32 v24, v31, v30
	s_delay_alu instid0(VALU_DEP_2) | instskip(NEXT) | instid1(VALU_DEP_2)
	v_add_f32_e32 v20, v21, v20
	v_sub_f32_e32 v21, v23, v24
	s_delay_alu instid0(VALU_DEP_1) | instskip(NEXT) | instid1(VALU_DEP_1)
	v_add_f32_e32 v20, v20, v21
	v_add_f32_e32 v20, v31, v20
	s_wait_alu 0xf1ff
	s_delay_alu instid0(VALU_DEP_1) | instskip(SKIP_2) | instid1(VALU_DEP_1)
	v_cndmask_b32_e64 v20, 0x7f800000, v20, s4
	v_cmp_gt_f32_e64 s4, 0x33800000, |v22|
	s_wait_alu 0xf1ff
	v_cndmask_b32_e64 v20, v20, v22, s4
	s_delay_alu instid0(VALU_DEP_1)
	v_add_f32_e32 v20, v18, v20
.LBB443_210:
	s_or_b32 exec_lo, exec_lo, s5
	s_delay_alu instid0(VALU_DEP_1) | instskip(SKIP_1) | instid1(VALU_DEP_2)
	v_bfe_u32 v18, v20, 16, 1
	v_cmp_o_f32_e64 s4, v20, v20
	v_add3_u32 v18, v20, v18, 0x7fff
	s_delay_alu instid0(VALU_DEP_1) | instskip(SKIP_1) | instid1(VALU_DEP_1)
	v_and_b32_e32 v18, 0xffff0000, v18
	s_wait_alu 0xf1ff
	v_cndmask_b32_e64 v21, 0x7fc00000, v18, s4
	s_delay_alu instid0(VALU_DEP_1) | instskip(NEXT) | instid1(VALU_DEP_1)
	v_dual_max_num_f32 v20, v21, v21 :: v_dual_lshlrev_b32 v15, 16, v15
	v_max_num_f32_e32 v18, v15, v15
	v_cmp_u_f32_e64 s4, v21, v21
	s_delay_alu instid0(VALU_DEP_2) | instskip(SKIP_2) | instid1(VALU_DEP_2)
	v_min_num_f32_e32 v22, v20, v18
	v_max_num_f32_e32 v20, v20, v18
	s_wait_alu 0xf1ff
	v_cndmask_b32_e64 v22, v22, v21, s4
	s_delay_alu instid0(VALU_DEP_2) | instskip(SKIP_2) | instid1(VALU_DEP_1)
	v_cndmask_b32_e64 v20, v20, v21, s4
	v_cmp_u_f32_e64 s4, v15, v15
	s_wait_alu 0xf1ff
	v_cndmask_b32_e64 v22, v22, v15, s4
	s_delay_alu instid0(VALU_DEP_3) | instskip(NEXT) | instid1(VALU_DEP_2)
	v_cndmask_b32_e64 v20, v20, v15, s4
	v_cmp_class_f32_e64 s6, v22, 0x1f8
	s_delay_alu instid0(VALU_DEP_2)
	v_cmp_neq_f32_e64 s5, v22, v20
	s_or_b32 s5, s5, s6
	s_wait_alu 0xfffe
	s_and_saveexec_b32 s6, s5
	s_cbranch_execz .LBB443_212
; %bb.211:
	v_sub_f32_e32 v21, v22, v20
	s_delay_alu instid0(VALU_DEP_1) | instskip(SKIP_1) | instid1(VALU_DEP_2)
	v_mul_f32_e32 v22, 0x3fb8aa3b, v21
	v_cmp_ngt_f32_e64 s5, 0xc2ce8ed0, v21
	v_fma_f32 v23, 0x3fb8aa3b, v21, -v22
	v_rndne_f32_e32 v24, v22
	s_delay_alu instid0(VALU_DEP_1) | instskip(NEXT) | instid1(VALU_DEP_1)
	v_dual_fmamk_f32 v23, v21, 0x32a5705f, v23 :: v_dual_sub_f32 v22, v22, v24
	v_add_f32_e32 v22, v22, v23
	v_cvt_i32_f32_e32 v23, v24
	s_delay_alu instid0(VALU_DEP_2) | instskip(NEXT) | instid1(TRANS32_DEP_1)
	v_exp_f32_e32 v22, v22
	v_ldexp_f32 v22, v22, v23
	s_wait_alu 0xf1ff
	s_delay_alu instid0(VALU_DEP_1) | instskip(SKIP_2) | instid1(VALU_DEP_1)
	v_cndmask_b32_e64 v22, 0, v22, s5
	v_cmp_nlt_f32_e64 s5, 0x42b17218, v21
	s_wait_alu 0xf1ff
	v_cndmask_b32_e64 v23, 0x7f800000, v22, s5
	s_delay_alu instid0(VALU_DEP_1) | instskip(NEXT) | instid1(VALU_DEP_1)
	v_add_f32_e32 v24, 1.0, v23
	v_cvt_f64_f32_e32 v[21:22], v24
	s_delay_alu instid0(VALU_DEP_1) | instskip(SKIP_1) | instid1(VALU_DEP_1)
	v_frexp_exp_i32_f64_e32 v21, v[21:22]
	v_frexp_mant_f32_e32 v22, v24
	v_cmp_gt_f32_e64 s5, 0x3f2aaaab, v22
	v_add_f32_e32 v22, -1.0, v24
	s_delay_alu instid0(VALU_DEP_1)
	v_sub_f32_e32 v30, v22, v24
	v_sub_f32_e32 v22, v23, v22
	s_wait_alu 0xf1ff
	v_subrev_co_ci_u32_e64 v21, null, 0, v21, s5
	s_mov_b32 s5, 0x3e9b6dac
	v_sub_nc_u32_e32 v25, 0, v21
	v_cvt_f32_i32_e32 v21, v21
	s_delay_alu instid0(VALU_DEP_2) | instskip(NEXT) | instid1(VALU_DEP_1)
	v_ldexp_f32 v24, v24, v25
	v_dual_add_f32 v31, 1.0, v24 :: v_dual_add_f32 v30, 1.0, v30
	s_delay_alu instid0(VALU_DEP_1) | instskip(NEXT) | instid1(VALU_DEP_2)
	v_add_f32_e32 v22, v22, v30
	v_add_f32_e32 v30, -1.0, v31
	s_delay_alu instid0(VALU_DEP_2) | instskip(NEXT) | instid1(VALU_DEP_2)
	v_ldexp_f32 v22, v22, v25
	v_dual_add_f32 v25, -1.0, v24 :: v_dual_sub_f32 v30, v24, v30
	s_delay_alu instid0(VALU_DEP_1) | instskip(NEXT) | instid1(VALU_DEP_2)
	v_add_f32_e32 v32, 1.0, v25
	v_add_f32_e32 v30, v22, v30
	s_delay_alu instid0(VALU_DEP_2) | instskip(NEXT) | instid1(VALU_DEP_2)
	v_sub_f32_e32 v24, v24, v32
	v_add_f32_e32 v32, v31, v30
	s_delay_alu instid0(VALU_DEP_2) | instskip(NEXT) | instid1(VALU_DEP_2)
	v_add_f32_e32 v22, v22, v24
	v_rcp_f32_e32 v24, v32
	v_sub_f32_e32 v31, v31, v32
	s_delay_alu instid0(VALU_DEP_1) | instskip(NEXT) | instid1(VALU_DEP_1)
	v_dual_add_f32 v33, v25, v22 :: v_dual_add_f32 v30, v30, v31
	v_sub_f32_e32 v25, v25, v33
	s_delay_alu instid0(TRANS32_DEP_1) | instskip(NEXT) | instid1(VALU_DEP_1)
	v_mul_f32_e32 v34, v33, v24
	v_dual_add_f32 v22, v22, v25 :: v_dual_mul_f32 v35, v32, v34
	s_delay_alu instid0(VALU_DEP_1) | instskip(NEXT) | instid1(VALU_DEP_1)
	v_fma_f32 v31, v34, v32, -v35
	v_fmac_f32_e32 v31, v34, v30
	s_delay_alu instid0(VALU_DEP_1) | instskip(NEXT) | instid1(VALU_DEP_1)
	v_add_f32_e32 v36, v35, v31
	v_sub_f32_e32 v37, v33, v36
	v_sub_f32_e32 v25, v36, v35
	s_delay_alu instid0(VALU_DEP_2) | instskip(NEXT) | instid1(VALU_DEP_2)
	v_sub_f32_e32 v33, v33, v37
	v_sub_f32_e32 v25, v25, v31
	s_delay_alu instid0(VALU_DEP_2) | instskip(NEXT) | instid1(VALU_DEP_1)
	v_sub_f32_e32 v33, v33, v36
	v_add_f32_e32 v22, v22, v33
	s_delay_alu instid0(VALU_DEP_1) | instskip(NEXT) | instid1(VALU_DEP_1)
	v_add_f32_e32 v22, v25, v22
	v_add_f32_e32 v25, v37, v22
	s_delay_alu instid0(VALU_DEP_1) | instskip(NEXT) | instid1(VALU_DEP_1)
	v_mul_f32_e32 v31, v24, v25
	v_dual_sub_f32 v36, v37, v25 :: v_dual_mul_f32 v33, v32, v31
	s_delay_alu instid0(VALU_DEP_1) | instskip(NEXT) | instid1(VALU_DEP_2)
	v_add_f32_e32 v22, v22, v36
	v_fma_f32 v32, v31, v32, -v33
	s_delay_alu instid0(VALU_DEP_1) | instskip(NEXT) | instid1(VALU_DEP_1)
	v_fmac_f32_e32 v32, v31, v30
	v_add_f32_e32 v30, v33, v32
	s_delay_alu instid0(VALU_DEP_1) | instskip(SKIP_1) | instid1(VALU_DEP_2)
	v_sub_f32_e32 v35, v25, v30
	v_sub_f32_e32 v33, v30, v33
	;; [unrolled: 1-line block ×3, first 2 shown]
	s_delay_alu instid0(VALU_DEP_1) | instskip(NEXT) | instid1(VALU_DEP_3)
	v_sub_f32_e32 v25, v25, v30
	v_sub_f32_e32 v30, v33, v32
	s_delay_alu instid0(VALU_DEP_2) | instskip(SKIP_1) | instid1(VALU_DEP_2)
	v_add_f32_e32 v22, v22, v25
	v_add_f32_e32 v25, v34, v31
	;; [unrolled: 1-line block ×3, first 2 shown]
	s_delay_alu instid0(VALU_DEP_2) | instskip(NEXT) | instid1(VALU_DEP_2)
	v_sub_f32_e32 v30, v25, v34
	v_add_f32_e32 v22, v35, v22
	s_delay_alu instid0(VALU_DEP_2) | instskip(NEXT) | instid1(VALU_DEP_2)
	v_sub_f32_e32 v30, v31, v30
	v_mul_f32_e32 v22, v24, v22
	s_delay_alu instid0(VALU_DEP_1) | instskip(NEXT) | instid1(VALU_DEP_1)
	v_add_f32_e32 v22, v30, v22
	v_add_f32_e32 v24, v25, v22
	s_delay_alu instid0(VALU_DEP_1) | instskip(SKIP_1) | instid1(VALU_DEP_1)
	v_mul_f32_e32 v30, v24, v24
	s_wait_alu 0xfffe
	v_fmaak_f32 v31, s5, v30, 0x3ecc95a3
	v_mul_f32_e32 v32, v24, v30
	v_cmp_neq_f32_e64 s5, 0x7f800000, v23
	s_delay_alu instid0(VALU_DEP_3) | instskip(SKIP_2) | instid1(VALU_DEP_3)
	v_fmaak_f32 v30, v30, v31, 0x3f2aaada
	v_ldexp_f32 v31, v24, 1
	v_sub_f32_e32 v24, v24, v25
	v_mul_f32_e32 v30, v32, v30
	v_mul_f32_e32 v32, 0x3f317218, v21
	s_delay_alu instid0(VALU_DEP_2) | instskip(NEXT) | instid1(VALU_DEP_1)
	v_dual_sub_f32 v22, v22, v24 :: v_dual_add_f32 v25, v31, v30
	v_ldexp_f32 v22, v22, 1
	s_delay_alu instid0(VALU_DEP_2) | instskip(NEXT) | instid1(VALU_DEP_4)
	v_sub_f32_e32 v24, v25, v31
	v_fma_f32 v31, 0x3f317218, v21, -v32
	s_delay_alu instid0(VALU_DEP_1) | instskip(NEXT) | instid1(VALU_DEP_1)
	v_dual_sub_f32 v24, v30, v24 :: v_dual_fmamk_f32 v21, v21, 0xb102e308, v31
	v_add_f32_e32 v22, v22, v24
	s_delay_alu instid0(VALU_DEP_2) | instskip(NEXT) | instid1(VALU_DEP_2)
	v_add_f32_e32 v24, v32, v21
	v_add_f32_e32 v30, v25, v22
	s_delay_alu instid0(VALU_DEP_2) | instskip(NEXT) | instid1(VALU_DEP_2)
	v_sub_f32_e32 v32, v24, v32
	v_add_f32_e32 v31, v24, v30
	v_sub_f32_e32 v25, v30, v25
	s_delay_alu instid0(VALU_DEP_3) | instskip(NEXT) | instid1(VALU_DEP_2)
	v_sub_f32_e32 v21, v21, v32
	v_dual_sub_f32 v33, v31, v24 :: v_dual_sub_f32 v22, v22, v25
	s_delay_alu instid0(VALU_DEP_1) | instskip(NEXT) | instid1(VALU_DEP_2)
	v_sub_f32_e32 v34, v31, v33
	v_dual_sub_f32 v25, v30, v33 :: v_dual_add_f32 v30, v21, v22
	s_delay_alu instid0(VALU_DEP_2) | instskip(NEXT) | instid1(VALU_DEP_1)
	v_sub_f32_e32 v24, v24, v34
	v_dual_add_f32 v24, v25, v24 :: v_dual_sub_f32 v25, v30, v21
	s_delay_alu instid0(VALU_DEP_1) | instskip(NEXT) | instid1(VALU_DEP_2)
	v_add_f32_e32 v24, v30, v24
	v_sub_f32_e32 v30, v30, v25
	v_sub_f32_e32 v22, v22, v25
	s_delay_alu instid0(VALU_DEP_2) | instskip(NEXT) | instid1(VALU_DEP_1)
	v_dual_add_f32 v32, v31, v24 :: v_dual_sub_f32 v21, v21, v30
	v_sub_f32_e32 v25, v32, v31
	s_delay_alu instid0(VALU_DEP_2) | instskip(NEXT) | instid1(VALU_DEP_2)
	v_add_f32_e32 v21, v22, v21
	v_sub_f32_e32 v22, v24, v25
	s_delay_alu instid0(VALU_DEP_1) | instskip(NEXT) | instid1(VALU_DEP_1)
	v_add_f32_e32 v21, v21, v22
	v_add_f32_e32 v21, v32, v21
	s_wait_alu 0xf1ff
	s_delay_alu instid0(VALU_DEP_1) | instskip(SKIP_2) | instid1(VALU_DEP_1)
	v_cndmask_b32_e64 v21, 0x7f800000, v21, s5
	v_cmp_gt_f32_e64 s5, 0x33800000, |v23|
	s_wait_alu 0xf1ff
	v_cndmask_b32_e64 v21, v21, v23, s5
	s_delay_alu instid0(VALU_DEP_1)
	v_add_f32_e32 v21, v20, v21
.LBB443_212:
	s_or_b32 exec_lo, exec_lo, s6
	s_delay_alu instid0(VALU_DEP_1) | instskip(SKIP_1) | instid1(VALU_DEP_2)
	v_bfe_u32 v20, v21, 16, 1
	v_cmp_o_f32_e64 s5, v21, v21
	v_add3_u32 v20, v21, v20, 0x7fff
	s_delay_alu instid0(VALU_DEP_1) | instskip(SKIP_1) | instid1(VALU_DEP_1)
	v_and_b32_e32 v20, 0xffff0000, v20
	s_wait_alu 0xf1ff
	v_cndmask_b32_e64 v22, 0x7fc00000, v20, s5
	s_delay_alu instid0(VALU_DEP_1) | instskip(SKIP_2) | instid1(VALU_DEP_2)
	v_max_num_f32_e32 v21, v22, v22
	v_lshlrev_b32_e32 v14, 16, v14
	v_cmp_u_f32_e64 s5, v22, v22
	v_max_num_f32_e32 v20, v14, v14
	s_delay_alu instid0(VALU_DEP_1) | instskip(SKIP_2) | instid1(VALU_DEP_2)
	v_min_num_f32_e32 v23, v21, v20
	v_max_num_f32_e32 v21, v21, v20
	s_wait_alu 0xf1ff
	v_cndmask_b32_e64 v23, v23, v22, s5
	s_delay_alu instid0(VALU_DEP_2) | instskip(SKIP_2) | instid1(VALU_DEP_1)
	v_cndmask_b32_e64 v21, v21, v22, s5
	v_cmp_u_f32_e64 s5, v14, v14
	s_wait_alu 0xf1ff
	v_cndmask_b32_e64 v23, v23, v14, s5
	s_delay_alu instid0(VALU_DEP_3) | instskip(NEXT) | instid1(VALU_DEP_2)
	v_cndmask_b32_e64 v21, v21, v14, s5
	v_cmp_class_f32_e64 s7, v23, 0x1f8
	s_delay_alu instid0(VALU_DEP_2) | instskip(SKIP_1) | instid1(SALU_CYCLE_1)
	v_cmp_neq_f32_e64 s6, v23, v21
	s_or_b32 s6, s6, s7
	s_and_saveexec_b32 s7, s6
	s_cbranch_execz .LBB443_214
; %bb.213:
	v_sub_f32_e32 v22, v23, v21
	s_delay_alu instid0(VALU_DEP_1) | instskip(SKIP_1) | instid1(VALU_DEP_2)
	v_mul_f32_e32 v23, 0x3fb8aa3b, v22
	v_cmp_ngt_f32_e64 s6, 0xc2ce8ed0, v22
	v_fma_f32 v24, 0x3fb8aa3b, v22, -v23
	v_rndne_f32_e32 v25, v23
	s_delay_alu instid0(VALU_DEP_1) | instskip(NEXT) | instid1(VALU_DEP_1)
	v_dual_fmamk_f32 v24, v22, 0x32a5705f, v24 :: v_dual_sub_f32 v23, v23, v25
	v_add_f32_e32 v23, v23, v24
	v_cvt_i32_f32_e32 v24, v25
	s_delay_alu instid0(VALU_DEP_2) | instskip(NEXT) | instid1(TRANS32_DEP_1)
	v_exp_f32_e32 v23, v23
	v_ldexp_f32 v23, v23, v24
	s_delay_alu instid0(VALU_DEP_1) | instskip(SKIP_2) | instid1(VALU_DEP_1)
	v_cndmask_b32_e64 v23, 0, v23, s6
	v_cmp_nlt_f32_e64 s6, 0x42b17218, v22
	s_wait_alu 0xf1ff
	v_cndmask_b32_e64 v24, 0x7f800000, v23, s6
	s_delay_alu instid0(VALU_DEP_1) | instskip(NEXT) | instid1(VALU_DEP_1)
	v_add_f32_e32 v25, 1.0, v24
	v_cvt_f64_f32_e32 v[22:23], v25
	s_delay_alu instid0(VALU_DEP_1) | instskip(SKIP_1) | instid1(VALU_DEP_1)
	v_frexp_exp_i32_f64_e32 v22, v[22:23]
	v_frexp_mant_f32_e32 v23, v25
	v_cmp_gt_f32_e64 s6, 0x3f2aaaab, v23
	v_add_f32_e32 v23, -1.0, v25
	s_delay_alu instid0(VALU_DEP_1)
	v_sub_f32_e32 v31, v23, v25
	v_sub_f32_e32 v23, v24, v23
	s_wait_alu 0xf1ff
	v_subrev_co_ci_u32_e64 v22, null, 0, v22, s6
	s_mov_b32 s6, 0x3e9b6dac
	v_sub_nc_u32_e32 v30, 0, v22
	v_cvt_f32_i32_e32 v22, v22
	s_delay_alu instid0(VALU_DEP_2) | instskip(NEXT) | instid1(VALU_DEP_1)
	v_ldexp_f32 v25, v25, v30
	v_dual_add_f32 v32, 1.0, v25 :: v_dual_add_f32 v31, 1.0, v31
	s_delay_alu instid0(VALU_DEP_1) | instskip(NEXT) | instid1(VALU_DEP_2)
	v_add_f32_e32 v23, v23, v31
	v_add_f32_e32 v31, -1.0, v32
	s_delay_alu instid0(VALU_DEP_2) | instskip(NEXT) | instid1(VALU_DEP_2)
	v_ldexp_f32 v23, v23, v30
	v_dual_add_f32 v30, -1.0, v25 :: v_dual_sub_f32 v31, v25, v31
	s_delay_alu instid0(VALU_DEP_1) | instskip(NEXT) | instid1(VALU_DEP_2)
	v_add_f32_e32 v33, 1.0, v30
	v_add_f32_e32 v31, v23, v31
	s_delay_alu instid0(VALU_DEP_2) | instskip(NEXT) | instid1(VALU_DEP_2)
	v_sub_f32_e32 v25, v25, v33
	v_add_f32_e32 v33, v32, v31
	s_delay_alu instid0(VALU_DEP_2) | instskip(NEXT) | instid1(VALU_DEP_2)
	v_add_f32_e32 v23, v23, v25
	v_rcp_f32_e32 v25, v33
	v_sub_f32_e32 v32, v32, v33
	s_delay_alu instid0(VALU_DEP_1) | instskip(NEXT) | instid1(VALU_DEP_1)
	v_dual_add_f32 v34, v30, v23 :: v_dual_add_f32 v31, v31, v32
	v_sub_f32_e32 v30, v30, v34
	s_delay_alu instid0(TRANS32_DEP_1) | instskip(NEXT) | instid1(VALU_DEP_1)
	v_mul_f32_e32 v35, v34, v25
	v_dual_add_f32 v23, v23, v30 :: v_dual_mul_f32 v36, v33, v35
	s_delay_alu instid0(VALU_DEP_1) | instskip(NEXT) | instid1(VALU_DEP_1)
	v_fma_f32 v32, v35, v33, -v36
	v_fmac_f32_e32 v32, v35, v31
	s_delay_alu instid0(VALU_DEP_1) | instskip(NEXT) | instid1(VALU_DEP_1)
	v_add_f32_e32 v37, v36, v32
	v_sub_f32_e32 v38, v34, v37
	v_sub_f32_e32 v30, v37, v36
	s_delay_alu instid0(VALU_DEP_2) | instskip(NEXT) | instid1(VALU_DEP_2)
	v_sub_f32_e32 v34, v34, v38
	v_sub_f32_e32 v30, v30, v32
	s_delay_alu instid0(VALU_DEP_2) | instskip(NEXT) | instid1(VALU_DEP_1)
	v_sub_f32_e32 v34, v34, v37
	v_add_f32_e32 v23, v23, v34
	s_delay_alu instid0(VALU_DEP_1) | instskip(NEXT) | instid1(VALU_DEP_1)
	v_add_f32_e32 v23, v30, v23
	v_add_f32_e32 v30, v38, v23
	s_delay_alu instid0(VALU_DEP_1) | instskip(NEXT) | instid1(VALU_DEP_1)
	v_mul_f32_e32 v32, v25, v30
	v_dual_sub_f32 v37, v38, v30 :: v_dual_mul_f32 v34, v33, v32
	s_delay_alu instid0(VALU_DEP_1) | instskip(NEXT) | instid1(VALU_DEP_2)
	v_add_f32_e32 v23, v23, v37
	v_fma_f32 v33, v32, v33, -v34
	s_delay_alu instid0(VALU_DEP_1) | instskip(NEXT) | instid1(VALU_DEP_1)
	v_fmac_f32_e32 v33, v32, v31
	v_add_f32_e32 v31, v34, v33
	s_delay_alu instid0(VALU_DEP_1) | instskip(SKIP_1) | instid1(VALU_DEP_2)
	v_sub_f32_e32 v36, v30, v31
	v_sub_f32_e32 v34, v31, v34
	;; [unrolled: 1-line block ×3, first 2 shown]
	s_delay_alu instid0(VALU_DEP_1) | instskip(NEXT) | instid1(VALU_DEP_3)
	v_sub_f32_e32 v30, v30, v31
	v_sub_f32_e32 v31, v34, v33
	s_delay_alu instid0(VALU_DEP_2) | instskip(SKIP_1) | instid1(VALU_DEP_2)
	v_add_f32_e32 v23, v23, v30
	v_add_f32_e32 v30, v35, v32
	;; [unrolled: 1-line block ×3, first 2 shown]
	s_delay_alu instid0(VALU_DEP_2) | instskip(NEXT) | instid1(VALU_DEP_2)
	v_sub_f32_e32 v31, v30, v35
	v_add_f32_e32 v23, v36, v23
	s_delay_alu instid0(VALU_DEP_2) | instskip(NEXT) | instid1(VALU_DEP_2)
	v_sub_f32_e32 v31, v32, v31
	v_mul_f32_e32 v23, v25, v23
	s_delay_alu instid0(VALU_DEP_1) | instskip(NEXT) | instid1(VALU_DEP_1)
	v_add_f32_e32 v23, v31, v23
	v_add_f32_e32 v25, v30, v23
	s_delay_alu instid0(VALU_DEP_1) | instskip(SKIP_1) | instid1(VALU_DEP_1)
	v_mul_f32_e32 v31, v25, v25
	s_wait_alu 0xfffe
	v_fmaak_f32 v32, s6, v31, 0x3ecc95a3
	v_mul_f32_e32 v33, v25, v31
	v_cmp_neq_f32_e64 s6, 0x7f800000, v24
	s_delay_alu instid0(VALU_DEP_3) | instskip(SKIP_2) | instid1(VALU_DEP_3)
	v_fmaak_f32 v31, v31, v32, 0x3f2aaada
	v_ldexp_f32 v32, v25, 1
	v_sub_f32_e32 v25, v25, v30
	v_mul_f32_e32 v31, v33, v31
	v_mul_f32_e32 v33, 0x3f317218, v22
	s_delay_alu instid0(VALU_DEP_2) | instskip(NEXT) | instid1(VALU_DEP_1)
	v_dual_sub_f32 v23, v23, v25 :: v_dual_add_f32 v30, v32, v31
	v_ldexp_f32 v23, v23, 1
	s_delay_alu instid0(VALU_DEP_2) | instskip(NEXT) | instid1(VALU_DEP_4)
	v_sub_f32_e32 v25, v30, v32
	v_fma_f32 v32, 0x3f317218, v22, -v33
	s_delay_alu instid0(VALU_DEP_1) | instskip(NEXT) | instid1(VALU_DEP_1)
	v_dual_sub_f32 v25, v31, v25 :: v_dual_fmamk_f32 v22, v22, 0xb102e308, v32
	v_add_f32_e32 v23, v23, v25
	s_delay_alu instid0(VALU_DEP_2) | instskip(NEXT) | instid1(VALU_DEP_2)
	v_add_f32_e32 v25, v33, v22
	v_add_f32_e32 v31, v30, v23
	s_delay_alu instid0(VALU_DEP_2) | instskip(NEXT) | instid1(VALU_DEP_2)
	v_sub_f32_e32 v33, v25, v33
	v_add_f32_e32 v32, v25, v31
	v_sub_f32_e32 v30, v31, v30
	s_delay_alu instid0(VALU_DEP_3) | instskip(NEXT) | instid1(VALU_DEP_2)
	v_sub_f32_e32 v22, v22, v33
	v_dual_sub_f32 v34, v32, v25 :: v_dual_sub_f32 v23, v23, v30
	s_delay_alu instid0(VALU_DEP_1) | instskip(NEXT) | instid1(VALU_DEP_2)
	v_sub_f32_e32 v35, v32, v34
	v_dual_sub_f32 v30, v31, v34 :: v_dual_add_f32 v31, v22, v23
	s_delay_alu instid0(VALU_DEP_2) | instskip(NEXT) | instid1(VALU_DEP_1)
	v_sub_f32_e32 v25, v25, v35
	v_dual_add_f32 v25, v30, v25 :: v_dual_sub_f32 v30, v31, v22
	s_delay_alu instid0(VALU_DEP_1) | instskip(NEXT) | instid1(VALU_DEP_2)
	v_add_f32_e32 v25, v31, v25
	v_sub_f32_e32 v31, v31, v30
	v_sub_f32_e32 v23, v23, v30
	s_delay_alu instid0(VALU_DEP_2) | instskip(NEXT) | instid1(VALU_DEP_1)
	v_dual_add_f32 v33, v32, v25 :: v_dual_sub_f32 v22, v22, v31
	v_sub_f32_e32 v30, v33, v32
	s_delay_alu instid0(VALU_DEP_2) | instskip(NEXT) | instid1(VALU_DEP_2)
	v_add_f32_e32 v22, v23, v22
	v_sub_f32_e32 v23, v25, v30
	s_delay_alu instid0(VALU_DEP_1) | instskip(NEXT) | instid1(VALU_DEP_1)
	v_add_f32_e32 v22, v22, v23
	v_add_f32_e32 v22, v33, v22
	s_wait_alu 0xf1ff
	s_delay_alu instid0(VALU_DEP_1) | instskip(SKIP_2) | instid1(VALU_DEP_1)
	v_cndmask_b32_e64 v22, 0x7f800000, v22, s6
	v_cmp_gt_f32_e64 s6, 0x33800000, |v24|
	s_wait_alu 0xf1ff
	v_cndmask_b32_e64 v22, v22, v24, s6
	s_delay_alu instid0(VALU_DEP_1)
	v_add_f32_e32 v22, v21, v22
.LBB443_214:
	s_or_b32 exec_lo, exec_lo, s7
	s_delay_alu instid0(VALU_DEP_1) | instskip(SKIP_2) | instid1(VALU_DEP_3)
	v_bfe_u32 v21, v22, 16, 1
	v_cmp_o_f32_e64 s6, v22, v22
	v_lshlrev_b32_e32 v13, 16, v13
	v_add3_u32 v21, v22, v21, 0x7fff
	s_delay_alu instid0(VALU_DEP_1) | instskip(SKIP_1) | instid1(VALU_DEP_1)
	v_and_b32_e32 v21, 0xffff0000, v21
	s_wait_alu 0xf1ff
	v_cndmask_b32_e64 v23, 0x7fc00000, v21, s6
	s_delay_alu instid0(VALU_DEP_1) | instskip(SKIP_1) | instid1(VALU_DEP_2)
	v_dual_max_num_f32 v21, v13, v13 :: v_dual_max_num_f32 v22, v23, v23
	v_cmp_u_f32_e64 s6, v23, v23
	v_min_num_f32_e32 v24, v22, v21
	v_max_num_f32_e32 v22, v22, v21
	s_wait_alu 0xf1ff
	s_delay_alu instid0(VALU_DEP_2) | instskip(NEXT) | instid1(VALU_DEP_2)
	v_cndmask_b32_e64 v24, v24, v23, s6
	v_cndmask_b32_e64 v22, v22, v23, s6
	v_cmp_u_f32_e64 s6, v13, v13
	s_wait_alu 0xf1ff
	s_delay_alu instid0(VALU_DEP_1) | instskip(NEXT) | instid1(VALU_DEP_3)
	v_cndmask_b32_e64 v24, v24, v13, s6
	v_cndmask_b32_e64 v22, v22, v13, s6
	s_delay_alu instid0(VALU_DEP_2) | instskip(NEXT) | instid1(VALU_DEP_2)
	v_cmp_class_f32_e64 s8, v24, 0x1f8
	v_cmp_neq_f32_e64 s7, v24, v22
	s_or_b32 s7, s7, s8
	s_wait_alu 0xfffe
	s_and_saveexec_b32 s8, s7
	s_cbranch_execz .LBB443_216
; %bb.215:
	v_sub_f32_e32 v23, v24, v22
	s_delay_alu instid0(VALU_DEP_1) | instskip(SKIP_1) | instid1(VALU_DEP_2)
	v_mul_f32_e32 v24, 0x3fb8aa3b, v23
	v_cmp_ngt_f32_e64 s7, 0xc2ce8ed0, v23
	v_fma_f32 v25, 0x3fb8aa3b, v23, -v24
	v_rndne_f32_e32 v30, v24
	s_delay_alu instid0(VALU_DEP_1) | instskip(NEXT) | instid1(VALU_DEP_1)
	v_dual_fmamk_f32 v25, v23, 0x32a5705f, v25 :: v_dual_sub_f32 v24, v24, v30
	v_add_f32_e32 v24, v24, v25
	v_cvt_i32_f32_e32 v25, v30
	s_delay_alu instid0(VALU_DEP_2) | instskip(NEXT) | instid1(TRANS32_DEP_1)
	v_exp_f32_e32 v24, v24
	v_ldexp_f32 v24, v24, v25
	s_wait_alu 0xf1ff
	s_delay_alu instid0(VALU_DEP_1) | instskip(SKIP_2) | instid1(VALU_DEP_1)
	v_cndmask_b32_e64 v24, 0, v24, s7
	v_cmp_nlt_f32_e64 s7, 0x42b17218, v23
	s_wait_alu 0xf1ff
	v_cndmask_b32_e64 v25, 0x7f800000, v24, s7
	s_delay_alu instid0(VALU_DEP_1) | instskip(NEXT) | instid1(VALU_DEP_1)
	v_add_f32_e32 v30, 1.0, v25
	v_cvt_f64_f32_e32 v[23:24], v30
	s_delay_alu instid0(VALU_DEP_1) | instskip(SKIP_1) | instid1(VALU_DEP_1)
	v_frexp_exp_i32_f64_e32 v23, v[23:24]
	v_frexp_mant_f32_e32 v24, v30
	v_cmp_gt_f32_e64 s7, 0x3f2aaaab, v24
	v_add_f32_e32 v24, -1.0, v30
	s_delay_alu instid0(VALU_DEP_1)
	v_sub_f32_e32 v32, v24, v30
	v_sub_f32_e32 v24, v25, v24
	s_wait_alu 0xf1ff
	v_subrev_co_ci_u32_e64 v23, null, 0, v23, s7
	s_mov_b32 s7, 0x3e9b6dac
	v_sub_nc_u32_e32 v31, 0, v23
	v_cvt_f32_i32_e32 v23, v23
	s_delay_alu instid0(VALU_DEP_2) | instskip(NEXT) | instid1(VALU_DEP_1)
	v_ldexp_f32 v30, v30, v31
	v_dual_add_f32 v33, 1.0, v30 :: v_dual_add_f32 v32, 1.0, v32
	s_delay_alu instid0(VALU_DEP_1) | instskip(NEXT) | instid1(VALU_DEP_2)
	v_add_f32_e32 v24, v24, v32
	v_add_f32_e32 v32, -1.0, v33
	s_delay_alu instid0(VALU_DEP_2) | instskip(NEXT) | instid1(VALU_DEP_2)
	v_ldexp_f32 v24, v24, v31
	v_dual_add_f32 v31, -1.0, v30 :: v_dual_sub_f32 v32, v30, v32
	s_delay_alu instid0(VALU_DEP_1) | instskip(NEXT) | instid1(VALU_DEP_2)
	v_add_f32_e32 v34, 1.0, v31
	v_add_f32_e32 v32, v24, v32
	s_delay_alu instid0(VALU_DEP_2) | instskip(NEXT) | instid1(VALU_DEP_2)
	v_sub_f32_e32 v30, v30, v34
	v_add_f32_e32 v34, v33, v32
	s_delay_alu instid0(VALU_DEP_2) | instskip(NEXT) | instid1(VALU_DEP_2)
	v_add_f32_e32 v24, v24, v30
	v_rcp_f32_e32 v30, v34
	v_sub_f32_e32 v33, v33, v34
	s_delay_alu instid0(VALU_DEP_1) | instskip(NEXT) | instid1(VALU_DEP_1)
	v_dual_add_f32 v35, v31, v24 :: v_dual_add_f32 v32, v32, v33
	v_sub_f32_e32 v31, v31, v35
	s_delay_alu instid0(TRANS32_DEP_1) | instskip(NEXT) | instid1(VALU_DEP_1)
	v_mul_f32_e32 v36, v35, v30
	v_dual_add_f32 v24, v24, v31 :: v_dual_mul_f32 v37, v34, v36
	s_delay_alu instid0(VALU_DEP_1) | instskip(NEXT) | instid1(VALU_DEP_1)
	v_fma_f32 v33, v36, v34, -v37
	v_fmac_f32_e32 v33, v36, v32
	s_delay_alu instid0(VALU_DEP_1) | instskip(NEXT) | instid1(VALU_DEP_1)
	v_add_f32_e32 v38, v37, v33
	v_sub_f32_e32 v39, v35, v38
	v_sub_f32_e32 v31, v38, v37
	s_delay_alu instid0(VALU_DEP_2) | instskip(NEXT) | instid1(VALU_DEP_2)
	v_sub_f32_e32 v35, v35, v39
	v_sub_f32_e32 v31, v31, v33
	s_delay_alu instid0(VALU_DEP_2) | instskip(NEXT) | instid1(VALU_DEP_1)
	v_sub_f32_e32 v35, v35, v38
	v_add_f32_e32 v24, v24, v35
	s_delay_alu instid0(VALU_DEP_1) | instskip(NEXT) | instid1(VALU_DEP_1)
	v_add_f32_e32 v24, v31, v24
	v_add_f32_e32 v31, v39, v24
	s_delay_alu instid0(VALU_DEP_1) | instskip(NEXT) | instid1(VALU_DEP_1)
	v_mul_f32_e32 v33, v30, v31
	v_dual_sub_f32 v38, v39, v31 :: v_dual_mul_f32 v35, v34, v33
	s_delay_alu instid0(VALU_DEP_1) | instskip(NEXT) | instid1(VALU_DEP_2)
	v_add_f32_e32 v24, v24, v38
	v_fma_f32 v34, v33, v34, -v35
	s_delay_alu instid0(VALU_DEP_1) | instskip(NEXT) | instid1(VALU_DEP_1)
	v_fmac_f32_e32 v34, v33, v32
	v_add_f32_e32 v32, v35, v34
	s_delay_alu instid0(VALU_DEP_1) | instskip(SKIP_1) | instid1(VALU_DEP_2)
	v_sub_f32_e32 v37, v31, v32
	v_sub_f32_e32 v35, v32, v35
	;; [unrolled: 1-line block ×3, first 2 shown]
	s_delay_alu instid0(VALU_DEP_1) | instskip(NEXT) | instid1(VALU_DEP_3)
	v_sub_f32_e32 v31, v31, v32
	v_sub_f32_e32 v32, v35, v34
	s_delay_alu instid0(VALU_DEP_2) | instskip(SKIP_1) | instid1(VALU_DEP_2)
	v_add_f32_e32 v24, v24, v31
	v_add_f32_e32 v31, v36, v33
	;; [unrolled: 1-line block ×3, first 2 shown]
	s_delay_alu instid0(VALU_DEP_2) | instskip(NEXT) | instid1(VALU_DEP_2)
	v_sub_f32_e32 v32, v31, v36
	v_add_f32_e32 v24, v37, v24
	s_delay_alu instid0(VALU_DEP_2) | instskip(NEXT) | instid1(VALU_DEP_2)
	v_sub_f32_e32 v32, v33, v32
	v_mul_f32_e32 v24, v30, v24
	s_delay_alu instid0(VALU_DEP_1) | instskip(NEXT) | instid1(VALU_DEP_1)
	v_add_f32_e32 v24, v32, v24
	v_add_f32_e32 v30, v31, v24
	s_delay_alu instid0(VALU_DEP_1) | instskip(SKIP_1) | instid1(VALU_DEP_1)
	v_mul_f32_e32 v32, v30, v30
	s_wait_alu 0xfffe
	v_fmaak_f32 v33, s7, v32, 0x3ecc95a3
	v_mul_f32_e32 v34, v30, v32
	v_cmp_neq_f32_e64 s7, 0x7f800000, v25
	s_delay_alu instid0(VALU_DEP_3) | instskip(SKIP_2) | instid1(VALU_DEP_3)
	v_fmaak_f32 v32, v32, v33, 0x3f2aaada
	v_ldexp_f32 v33, v30, 1
	v_sub_f32_e32 v30, v30, v31
	v_mul_f32_e32 v32, v34, v32
	v_mul_f32_e32 v34, 0x3f317218, v23
	s_delay_alu instid0(VALU_DEP_2) | instskip(NEXT) | instid1(VALU_DEP_1)
	v_dual_sub_f32 v24, v24, v30 :: v_dual_add_f32 v31, v33, v32
	v_ldexp_f32 v24, v24, 1
	s_delay_alu instid0(VALU_DEP_2) | instskip(NEXT) | instid1(VALU_DEP_4)
	v_sub_f32_e32 v30, v31, v33
	v_fma_f32 v33, 0x3f317218, v23, -v34
	s_delay_alu instid0(VALU_DEP_1) | instskip(NEXT) | instid1(VALU_DEP_1)
	v_dual_sub_f32 v30, v32, v30 :: v_dual_fmamk_f32 v23, v23, 0xb102e308, v33
	v_add_f32_e32 v24, v24, v30
	s_delay_alu instid0(VALU_DEP_2) | instskip(NEXT) | instid1(VALU_DEP_2)
	v_add_f32_e32 v30, v34, v23
	v_add_f32_e32 v32, v31, v24
	s_delay_alu instid0(VALU_DEP_2) | instskip(NEXT) | instid1(VALU_DEP_2)
	v_sub_f32_e32 v34, v30, v34
	v_add_f32_e32 v33, v30, v32
	v_sub_f32_e32 v31, v32, v31
	s_delay_alu instid0(VALU_DEP_3) | instskip(NEXT) | instid1(VALU_DEP_2)
	v_sub_f32_e32 v23, v23, v34
	v_dual_sub_f32 v35, v33, v30 :: v_dual_sub_f32 v24, v24, v31
	s_delay_alu instid0(VALU_DEP_1) | instskip(NEXT) | instid1(VALU_DEP_2)
	v_sub_f32_e32 v36, v33, v35
	v_dual_sub_f32 v31, v32, v35 :: v_dual_add_f32 v32, v23, v24
	s_delay_alu instid0(VALU_DEP_2) | instskip(NEXT) | instid1(VALU_DEP_1)
	v_sub_f32_e32 v30, v30, v36
	v_dual_add_f32 v30, v31, v30 :: v_dual_sub_f32 v31, v32, v23
	s_delay_alu instid0(VALU_DEP_1) | instskip(NEXT) | instid1(VALU_DEP_2)
	v_add_f32_e32 v30, v32, v30
	v_sub_f32_e32 v32, v32, v31
	v_sub_f32_e32 v24, v24, v31
	s_delay_alu instid0(VALU_DEP_2) | instskip(NEXT) | instid1(VALU_DEP_1)
	v_dual_add_f32 v34, v33, v30 :: v_dual_sub_f32 v23, v23, v32
	v_sub_f32_e32 v31, v34, v33
	s_delay_alu instid0(VALU_DEP_2) | instskip(NEXT) | instid1(VALU_DEP_2)
	v_add_f32_e32 v23, v24, v23
	v_sub_f32_e32 v24, v30, v31
	s_delay_alu instid0(VALU_DEP_1) | instskip(NEXT) | instid1(VALU_DEP_1)
	v_add_f32_e32 v23, v23, v24
	v_add_f32_e32 v23, v34, v23
	s_wait_alu 0xf1ff
	s_delay_alu instid0(VALU_DEP_1) | instskip(SKIP_2) | instid1(VALU_DEP_1)
	v_cndmask_b32_e64 v23, 0x7f800000, v23, s7
	v_cmp_gt_f32_e64 s7, 0x33800000, |v25|
	s_wait_alu 0xf1ff
	v_cndmask_b32_e64 v23, v23, v25, s7
	s_delay_alu instid0(VALU_DEP_1)
	v_add_f32_e32 v23, v22, v23
.LBB443_216:
	s_or_b32 exec_lo, exec_lo, s8
	s_delay_alu instid0(VALU_DEP_1) | instskip(SKIP_1) | instid1(VALU_DEP_2)
	v_bfe_u32 v22, v23, 16, 1
	v_cmp_o_f32_e64 s7, v23, v23
	v_add3_u32 v22, v23, v22, 0x7fff
	s_delay_alu instid0(VALU_DEP_1) | instskip(SKIP_1) | instid1(VALU_DEP_1)
	v_and_b32_e32 v22, 0xffff0000, v22
	s_wait_alu 0xf1ff
	v_cndmask_b32_e64 v24, 0x7fc00000, v22, s7
	s_delay_alu instid0(VALU_DEP_1) | instskip(SKIP_2) | instid1(VALU_DEP_2)
	v_max_num_f32_e32 v23, v24, v24
	v_lshlrev_b32_e32 v12, 16, v12
	v_cmp_u_f32_e64 s7, v24, v24
	v_max_num_f32_e32 v22, v12, v12
	s_delay_alu instid0(VALU_DEP_1) | instskip(SKIP_2) | instid1(VALU_DEP_2)
	v_min_num_f32_e32 v25, v23, v22
	v_max_num_f32_e32 v23, v23, v22
	s_wait_alu 0xf1ff
	v_cndmask_b32_e64 v25, v25, v24, s7
	s_delay_alu instid0(VALU_DEP_2) | instskip(SKIP_2) | instid1(VALU_DEP_1)
	v_cndmask_b32_e64 v23, v23, v24, s7
	v_cmp_u_f32_e64 s7, v12, v12
	s_wait_alu 0xf1ff
	v_cndmask_b32_e64 v25, v25, v12, s7
	s_delay_alu instid0(VALU_DEP_3) | instskip(NEXT) | instid1(VALU_DEP_2)
	v_cndmask_b32_e64 v23, v23, v12, s7
	v_cmp_class_f32_e64 s9, v25, 0x1f8
	s_delay_alu instid0(VALU_DEP_2) | instskip(SKIP_1) | instid1(SALU_CYCLE_1)
	v_cmp_neq_f32_e64 s8, v25, v23
	s_or_b32 s8, s8, s9
	s_and_saveexec_b32 s9, s8
	s_cbranch_execz .LBB443_218
; %bb.217:
	v_sub_f32_e32 v24, v25, v23
	s_delay_alu instid0(VALU_DEP_1) | instskip(SKIP_1) | instid1(VALU_DEP_2)
	v_mul_f32_e32 v25, 0x3fb8aa3b, v24
	v_cmp_ngt_f32_e64 s8, 0xc2ce8ed0, v24
	v_fma_f32 v30, 0x3fb8aa3b, v24, -v25
	v_rndne_f32_e32 v31, v25
	s_delay_alu instid0(VALU_DEP_1) | instskip(NEXT) | instid1(VALU_DEP_1)
	v_dual_fmamk_f32 v30, v24, 0x32a5705f, v30 :: v_dual_sub_f32 v25, v25, v31
	v_add_f32_e32 v25, v25, v30
	v_cvt_i32_f32_e32 v30, v31
	s_delay_alu instid0(VALU_DEP_2) | instskip(NEXT) | instid1(TRANS32_DEP_1)
	v_exp_f32_e32 v25, v25
	v_ldexp_f32 v25, v25, v30
	s_delay_alu instid0(VALU_DEP_1) | instskip(SKIP_2) | instid1(VALU_DEP_1)
	v_cndmask_b32_e64 v25, 0, v25, s8
	v_cmp_nlt_f32_e64 s8, 0x42b17218, v24
	s_wait_alu 0xf1ff
	v_cndmask_b32_e64 v30, 0x7f800000, v25, s8
	s_delay_alu instid0(VALU_DEP_1) | instskip(NEXT) | instid1(VALU_DEP_1)
	v_add_f32_e32 v31, 1.0, v30
	v_cvt_f64_f32_e32 v[24:25], v31
	s_delay_alu instid0(VALU_DEP_1) | instskip(SKIP_1) | instid1(VALU_DEP_1)
	v_frexp_exp_i32_f64_e32 v24, v[24:25]
	v_frexp_mant_f32_e32 v25, v31
	v_cmp_gt_f32_e64 s8, 0x3f2aaaab, v25
	v_add_f32_e32 v25, -1.0, v31
	s_delay_alu instid0(VALU_DEP_1)
	v_sub_f32_e32 v33, v25, v31
	v_sub_f32_e32 v25, v30, v25
	s_wait_alu 0xf1ff
	v_subrev_co_ci_u32_e64 v24, null, 0, v24, s8
	s_mov_b32 s8, 0x3e9b6dac
	v_sub_nc_u32_e32 v32, 0, v24
	v_cvt_f32_i32_e32 v24, v24
	s_delay_alu instid0(VALU_DEP_2) | instskip(NEXT) | instid1(VALU_DEP_1)
	v_ldexp_f32 v31, v31, v32
	v_dual_add_f32 v34, 1.0, v31 :: v_dual_add_f32 v33, 1.0, v33
	s_delay_alu instid0(VALU_DEP_1) | instskip(NEXT) | instid1(VALU_DEP_2)
	v_add_f32_e32 v25, v25, v33
	v_add_f32_e32 v33, -1.0, v34
	s_delay_alu instid0(VALU_DEP_2) | instskip(NEXT) | instid1(VALU_DEP_2)
	v_ldexp_f32 v25, v25, v32
	v_dual_add_f32 v32, -1.0, v31 :: v_dual_sub_f32 v33, v31, v33
	s_delay_alu instid0(VALU_DEP_1) | instskip(NEXT) | instid1(VALU_DEP_2)
	v_add_f32_e32 v35, 1.0, v32
	v_add_f32_e32 v33, v25, v33
	s_delay_alu instid0(VALU_DEP_2) | instskip(NEXT) | instid1(VALU_DEP_2)
	v_sub_f32_e32 v31, v31, v35
	v_add_f32_e32 v35, v34, v33
	s_delay_alu instid0(VALU_DEP_2) | instskip(NEXT) | instid1(VALU_DEP_2)
	v_add_f32_e32 v25, v25, v31
	v_rcp_f32_e32 v31, v35
	v_sub_f32_e32 v34, v34, v35
	s_delay_alu instid0(VALU_DEP_1) | instskip(NEXT) | instid1(VALU_DEP_1)
	v_dual_add_f32 v36, v32, v25 :: v_dual_add_f32 v33, v33, v34
	v_sub_f32_e32 v32, v32, v36
	s_delay_alu instid0(TRANS32_DEP_1) | instskip(NEXT) | instid1(VALU_DEP_1)
	v_mul_f32_e32 v37, v36, v31
	v_dual_add_f32 v25, v25, v32 :: v_dual_mul_f32 v38, v35, v37
	s_delay_alu instid0(VALU_DEP_1) | instskip(NEXT) | instid1(VALU_DEP_1)
	v_fma_f32 v34, v37, v35, -v38
	v_fmac_f32_e32 v34, v37, v33
	s_delay_alu instid0(VALU_DEP_1) | instskip(NEXT) | instid1(VALU_DEP_1)
	v_add_f32_e32 v39, v38, v34
	v_sub_f32_e32 v40, v36, v39
	v_sub_f32_e32 v32, v39, v38
	s_delay_alu instid0(VALU_DEP_2) | instskip(NEXT) | instid1(VALU_DEP_2)
	v_sub_f32_e32 v36, v36, v40
	v_sub_f32_e32 v32, v32, v34
	s_delay_alu instid0(VALU_DEP_2) | instskip(NEXT) | instid1(VALU_DEP_1)
	v_sub_f32_e32 v36, v36, v39
	v_add_f32_e32 v25, v25, v36
	s_delay_alu instid0(VALU_DEP_1) | instskip(NEXT) | instid1(VALU_DEP_1)
	v_add_f32_e32 v25, v32, v25
	v_add_f32_e32 v32, v40, v25
	s_delay_alu instid0(VALU_DEP_1) | instskip(NEXT) | instid1(VALU_DEP_1)
	v_mul_f32_e32 v34, v31, v32
	v_dual_sub_f32 v39, v40, v32 :: v_dual_mul_f32 v36, v35, v34
	s_delay_alu instid0(VALU_DEP_1) | instskip(NEXT) | instid1(VALU_DEP_2)
	v_add_f32_e32 v25, v25, v39
	v_fma_f32 v35, v34, v35, -v36
	s_delay_alu instid0(VALU_DEP_1) | instskip(NEXT) | instid1(VALU_DEP_1)
	v_fmac_f32_e32 v35, v34, v33
	v_add_f32_e32 v33, v36, v35
	s_delay_alu instid0(VALU_DEP_1) | instskip(SKIP_1) | instid1(VALU_DEP_2)
	v_sub_f32_e32 v38, v32, v33
	v_sub_f32_e32 v36, v33, v36
	;; [unrolled: 1-line block ×3, first 2 shown]
	s_delay_alu instid0(VALU_DEP_1) | instskip(NEXT) | instid1(VALU_DEP_3)
	v_sub_f32_e32 v32, v32, v33
	v_sub_f32_e32 v33, v36, v35
	s_delay_alu instid0(VALU_DEP_2) | instskip(SKIP_1) | instid1(VALU_DEP_2)
	v_add_f32_e32 v25, v25, v32
	v_add_f32_e32 v32, v37, v34
	;; [unrolled: 1-line block ×3, first 2 shown]
	s_delay_alu instid0(VALU_DEP_2) | instskip(NEXT) | instid1(VALU_DEP_2)
	v_sub_f32_e32 v33, v32, v37
	v_add_f32_e32 v25, v38, v25
	s_delay_alu instid0(VALU_DEP_2) | instskip(NEXT) | instid1(VALU_DEP_2)
	v_sub_f32_e32 v33, v34, v33
	v_mul_f32_e32 v25, v31, v25
	s_delay_alu instid0(VALU_DEP_1) | instskip(NEXT) | instid1(VALU_DEP_1)
	v_add_f32_e32 v25, v33, v25
	v_add_f32_e32 v31, v32, v25
	s_delay_alu instid0(VALU_DEP_1) | instskip(SKIP_1) | instid1(VALU_DEP_1)
	v_mul_f32_e32 v33, v31, v31
	s_wait_alu 0xfffe
	v_fmaak_f32 v34, s8, v33, 0x3ecc95a3
	v_mul_f32_e32 v35, v31, v33
	v_cmp_neq_f32_e64 s8, 0x7f800000, v30
	s_delay_alu instid0(VALU_DEP_3) | instskip(SKIP_2) | instid1(VALU_DEP_3)
	v_fmaak_f32 v33, v33, v34, 0x3f2aaada
	v_ldexp_f32 v34, v31, 1
	v_sub_f32_e32 v31, v31, v32
	v_mul_f32_e32 v33, v35, v33
	v_mul_f32_e32 v35, 0x3f317218, v24
	s_delay_alu instid0(VALU_DEP_2) | instskip(NEXT) | instid1(VALU_DEP_1)
	v_dual_sub_f32 v25, v25, v31 :: v_dual_add_f32 v32, v34, v33
	v_ldexp_f32 v25, v25, 1
	s_delay_alu instid0(VALU_DEP_2) | instskip(NEXT) | instid1(VALU_DEP_4)
	v_sub_f32_e32 v31, v32, v34
	v_fma_f32 v34, 0x3f317218, v24, -v35
	s_delay_alu instid0(VALU_DEP_1) | instskip(NEXT) | instid1(VALU_DEP_1)
	v_dual_sub_f32 v31, v33, v31 :: v_dual_fmamk_f32 v24, v24, 0xb102e308, v34
	v_add_f32_e32 v25, v25, v31
	s_delay_alu instid0(VALU_DEP_2) | instskip(NEXT) | instid1(VALU_DEP_2)
	v_add_f32_e32 v31, v35, v24
	v_add_f32_e32 v33, v32, v25
	s_delay_alu instid0(VALU_DEP_2) | instskip(NEXT) | instid1(VALU_DEP_2)
	v_sub_f32_e32 v35, v31, v35
	v_add_f32_e32 v34, v31, v33
	v_sub_f32_e32 v32, v33, v32
	s_delay_alu instid0(VALU_DEP_3) | instskip(NEXT) | instid1(VALU_DEP_2)
	v_sub_f32_e32 v24, v24, v35
	v_dual_sub_f32 v36, v34, v31 :: v_dual_sub_f32 v25, v25, v32
	s_delay_alu instid0(VALU_DEP_1) | instskip(NEXT) | instid1(VALU_DEP_2)
	v_sub_f32_e32 v37, v34, v36
	v_dual_sub_f32 v32, v33, v36 :: v_dual_add_f32 v33, v24, v25
	s_delay_alu instid0(VALU_DEP_2) | instskip(NEXT) | instid1(VALU_DEP_1)
	v_sub_f32_e32 v31, v31, v37
	v_dual_add_f32 v31, v32, v31 :: v_dual_sub_f32 v32, v33, v24
	s_delay_alu instid0(VALU_DEP_1) | instskip(NEXT) | instid1(VALU_DEP_2)
	v_add_f32_e32 v31, v33, v31
	v_sub_f32_e32 v33, v33, v32
	v_sub_f32_e32 v25, v25, v32
	s_delay_alu instid0(VALU_DEP_2) | instskip(NEXT) | instid1(VALU_DEP_1)
	v_dual_add_f32 v35, v34, v31 :: v_dual_sub_f32 v24, v24, v33
	v_sub_f32_e32 v32, v35, v34
	s_delay_alu instid0(VALU_DEP_2) | instskip(NEXT) | instid1(VALU_DEP_2)
	v_add_f32_e32 v24, v25, v24
	v_sub_f32_e32 v25, v31, v32
	s_delay_alu instid0(VALU_DEP_1) | instskip(NEXT) | instid1(VALU_DEP_1)
	v_add_f32_e32 v24, v24, v25
	v_add_f32_e32 v24, v35, v24
	s_wait_alu 0xf1ff
	s_delay_alu instid0(VALU_DEP_1) | instskip(SKIP_2) | instid1(VALU_DEP_1)
	v_cndmask_b32_e64 v24, 0x7f800000, v24, s8
	v_cmp_gt_f32_e64 s8, 0x33800000, |v30|
	s_wait_alu 0xf1ff
	v_cndmask_b32_e64 v24, v24, v30, s8
	s_delay_alu instid0(VALU_DEP_1)
	v_add_f32_e32 v24, v23, v24
.LBB443_218:
	s_or_b32 exec_lo, exec_lo, s9
	s_delay_alu instid0(VALU_DEP_1) | instskip(SKIP_2) | instid1(VALU_DEP_3)
	v_bfe_u32 v23, v24, 16, 1
	v_cmp_o_f32_e64 s8, v24, v24
	v_lshlrev_b32_e32 v11, 16, v11
	v_add3_u32 v23, v24, v23, 0x7fff
	s_delay_alu instid0(VALU_DEP_1) | instskip(SKIP_1) | instid1(VALU_DEP_1)
	v_and_b32_e32 v23, 0xffff0000, v23
	s_wait_alu 0xf1ff
	v_cndmask_b32_e64 v25, 0x7fc00000, v23, s8
	s_delay_alu instid0(VALU_DEP_1) | instskip(SKIP_1) | instid1(VALU_DEP_2)
	v_dual_max_num_f32 v23, v11, v11 :: v_dual_max_num_f32 v24, v25, v25
	v_cmp_u_f32_e64 s8, v25, v25
	v_min_num_f32_e32 v30, v24, v23
	v_max_num_f32_e32 v24, v24, v23
	s_wait_alu 0xf1ff
	s_delay_alu instid0(VALU_DEP_2) | instskip(NEXT) | instid1(VALU_DEP_2)
	v_cndmask_b32_e64 v30, v30, v25, s8
	v_cndmask_b32_e64 v24, v24, v25, s8
	v_cmp_u_f32_e64 s8, v11, v11
	s_wait_alu 0xf1ff
	s_delay_alu instid0(VALU_DEP_1) | instskip(NEXT) | instid1(VALU_DEP_3)
	v_cndmask_b32_e64 v30, v30, v11, s8
	v_cndmask_b32_e64 v24, v24, v11, s8
	s_delay_alu instid0(VALU_DEP_2) | instskip(NEXT) | instid1(VALU_DEP_2)
	v_cmp_class_f32_e64 s10, v30, 0x1f8
	v_cmp_neq_f32_e64 s9, v30, v24
	s_or_b32 s9, s9, s10
	s_wait_alu 0xfffe
	s_and_saveexec_b32 s10, s9
	s_cbranch_execz .LBB443_220
; %bb.219:
	v_sub_f32_e32 v25, v30, v24
	s_delay_alu instid0(VALU_DEP_1) | instskip(SKIP_1) | instid1(VALU_DEP_2)
	v_mul_f32_e32 v30, 0x3fb8aa3b, v25
	v_cmp_ngt_f32_e64 s9, 0xc2ce8ed0, v25
	v_fma_f32 v31, 0x3fb8aa3b, v25, -v30
	v_rndne_f32_e32 v32, v30
	s_delay_alu instid0(VALU_DEP_1) | instskip(NEXT) | instid1(VALU_DEP_1)
	v_dual_fmamk_f32 v31, v25, 0x32a5705f, v31 :: v_dual_sub_f32 v30, v30, v32
	v_add_f32_e32 v30, v30, v31
	v_cvt_i32_f32_e32 v31, v32
	s_delay_alu instid0(VALU_DEP_2) | instskip(NEXT) | instid1(TRANS32_DEP_1)
	v_exp_f32_e32 v30, v30
	v_ldexp_f32 v30, v30, v31
	s_wait_alu 0xf1ff
	s_delay_alu instid0(VALU_DEP_1) | instskip(SKIP_2) | instid1(VALU_DEP_1)
	v_cndmask_b32_e64 v30, 0, v30, s9
	v_cmp_nlt_f32_e64 s9, 0x42b17218, v25
	s_wait_alu 0xf1ff
	v_cndmask_b32_e64 v25, 0x7f800000, v30, s9
	s_delay_alu instid0(VALU_DEP_1) | instskip(NEXT) | instid1(VALU_DEP_1)
	v_add_f32_e32 v32, 1.0, v25
	v_cvt_f64_f32_e32 v[30:31], v32
	s_delay_alu instid0(VALU_DEP_1) | instskip(SKIP_1) | instid1(VALU_DEP_1)
	v_frexp_exp_i32_f64_e32 v30, v[30:31]
	v_frexp_mant_f32_e32 v31, v32
	v_cmp_gt_f32_e64 s9, 0x3f2aaaab, v31
	v_add_f32_e32 v31, -1.0, v32
	s_delay_alu instid0(VALU_DEP_1) | instskip(NEXT) | instid1(VALU_DEP_1)
	v_dual_sub_f32 v34, v31, v32 :: v_dual_sub_f32 v31, v25, v31
	v_add_f32_e32 v34, 1.0, v34
	s_wait_alu 0xf1ff
	v_subrev_co_ci_u32_e64 v30, null, 0, v30, s9
	s_mov_b32 s9, 0x3e9b6dac
	v_sub_nc_u32_e32 v33, 0, v30
	v_cvt_f32_i32_e32 v30, v30
	s_delay_alu instid0(VALU_DEP_2) | instskip(NEXT) | instid1(VALU_DEP_1)
	v_ldexp_f32 v32, v32, v33
	v_add_f32_e32 v35, 1.0, v32
	s_delay_alu instid0(VALU_DEP_1) | instskip(NEXT) | instid1(VALU_DEP_1)
	v_dual_add_f32 v31, v31, v34 :: v_dual_add_f32 v34, -1.0, v35
	v_ldexp_f32 v31, v31, v33
	s_delay_alu instid0(VALU_DEP_2) | instskip(NEXT) | instid1(VALU_DEP_1)
	v_dual_add_f32 v33, -1.0, v32 :: v_dual_sub_f32 v34, v32, v34
	v_add_f32_e32 v36, 1.0, v33
	s_delay_alu instid0(VALU_DEP_2) | instskip(NEXT) | instid1(VALU_DEP_2)
	v_add_f32_e32 v34, v31, v34
	v_sub_f32_e32 v32, v32, v36
	s_delay_alu instid0(VALU_DEP_1) | instskip(NEXT) | instid1(VALU_DEP_1)
	v_add_f32_e32 v31, v31, v32
	v_dual_add_f32 v37, v33, v31 :: v_dual_add_f32 v36, v35, v34
	s_delay_alu instid0(VALU_DEP_1) | instskip(NEXT) | instid1(VALU_DEP_2)
	v_sub_f32_e32 v33, v33, v37
	v_rcp_f32_e32 v32, v36
	v_sub_f32_e32 v35, v35, v36
	s_delay_alu instid0(VALU_DEP_1) | instskip(NEXT) | instid1(TRANS32_DEP_1)
	v_dual_add_f32 v31, v31, v33 :: v_dual_add_f32 v34, v34, v35
	v_mul_f32_e32 v38, v37, v32
	s_delay_alu instid0(VALU_DEP_1) | instskip(NEXT) | instid1(VALU_DEP_1)
	v_mul_f32_e32 v39, v36, v38
	v_fma_f32 v35, v38, v36, -v39
	s_delay_alu instid0(VALU_DEP_1) | instskip(NEXT) | instid1(VALU_DEP_1)
	v_fmac_f32_e32 v35, v38, v34
	v_add_f32_e32 v40, v39, v35
	s_delay_alu instid0(VALU_DEP_1) | instskip(NEXT) | instid1(VALU_DEP_1)
	v_sub_f32_e32 v41, v37, v40
	v_sub_f32_e32 v37, v37, v41
	;; [unrolled: 1-line block ×3, first 2 shown]
	s_delay_alu instid0(VALU_DEP_2) | instskip(NEXT) | instid1(VALU_DEP_2)
	v_sub_f32_e32 v37, v37, v40
	v_sub_f32_e32 v33, v33, v35
	s_delay_alu instid0(VALU_DEP_2) | instskip(NEXT) | instid1(VALU_DEP_1)
	v_add_f32_e32 v31, v31, v37
	v_add_f32_e32 v31, v33, v31
	s_delay_alu instid0(VALU_DEP_1) | instskip(NEXT) | instid1(VALU_DEP_1)
	v_add_f32_e32 v33, v41, v31
	v_mul_f32_e32 v35, v32, v33
	s_delay_alu instid0(VALU_DEP_1) | instskip(NEXT) | instid1(VALU_DEP_1)
	v_dual_sub_f32 v40, v41, v33 :: v_dual_mul_f32 v37, v36, v35
	v_add_f32_e32 v31, v31, v40
	s_delay_alu instid0(VALU_DEP_2) | instskip(NEXT) | instid1(VALU_DEP_1)
	v_fma_f32 v36, v35, v36, -v37
	v_fmac_f32_e32 v36, v35, v34
	s_delay_alu instid0(VALU_DEP_1) | instskip(NEXT) | instid1(VALU_DEP_1)
	v_add_f32_e32 v34, v37, v36
	v_sub_f32_e32 v39, v33, v34
	v_sub_f32_e32 v37, v34, v37
	s_delay_alu instid0(VALU_DEP_2) | instskip(NEXT) | instid1(VALU_DEP_1)
	v_sub_f32_e32 v33, v33, v39
	v_sub_f32_e32 v33, v33, v34
	s_delay_alu instid0(VALU_DEP_1) | instskip(SKIP_1) | instid1(VALU_DEP_1)
	v_dual_sub_f32 v34, v37, v36 :: v_dual_add_f32 v31, v31, v33
	v_add_f32_e32 v33, v38, v35
	v_dual_add_f32 v31, v34, v31 :: v_dual_sub_f32 v34, v33, v38
	s_delay_alu instid0(VALU_DEP_1) | instskip(NEXT) | instid1(VALU_DEP_1)
	v_add_f32_e32 v31, v39, v31
	v_dual_sub_f32 v34, v35, v34 :: v_dual_mul_f32 v31, v32, v31
	s_delay_alu instid0(VALU_DEP_1) | instskip(NEXT) | instid1(VALU_DEP_1)
	v_add_f32_e32 v31, v34, v31
	v_add_f32_e32 v32, v33, v31
	s_delay_alu instid0(VALU_DEP_1) | instskip(SKIP_1) | instid1(VALU_DEP_1)
	v_mul_f32_e32 v34, v32, v32
	s_wait_alu 0xfffe
	v_fmaak_f32 v35, s9, v34, 0x3ecc95a3
	v_mul_f32_e32 v36, v32, v34
	v_cmp_neq_f32_e64 s9, 0x7f800000, v25
	s_delay_alu instid0(VALU_DEP_3) | instskip(SKIP_2) | instid1(VALU_DEP_3)
	v_fmaak_f32 v34, v34, v35, 0x3f2aaada
	v_ldexp_f32 v35, v32, 1
	v_sub_f32_e32 v32, v32, v33
	v_mul_f32_e32 v34, v36, v34
	s_delay_alu instid0(VALU_DEP_2) | instskip(NEXT) | instid1(VALU_DEP_2)
	v_dual_mul_f32 v36, 0x3f317218, v30 :: v_dual_sub_f32 v31, v31, v32
	v_add_f32_e32 v33, v35, v34
	s_delay_alu instid0(VALU_DEP_2) | instskip(NEXT) | instid1(VALU_DEP_2)
	v_ldexp_f32 v31, v31, 1
	v_sub_f32_e32 v32, v33, v35
	s_delay_alu instid0(VALU_DEP_4) | instskip(NEXT) | instid1(VALU_DEP_2)
	v_fma_f32 v35, 0x3f317218, v30, -v36
	v_sub_f32_e32 v32, v34, v32
	s_delay_alu instid0(VALU_DEP_1) | instskip(NEXT) | instid1(VALU_DEP_1)
	v_dual_fmamk_f32 v30, v30, 0xb102e308, v35 :: v_dual_add_f32 v31, v31, v32
	v_add_f32_e32 v32, v36, v30
	s_delay_alu instid0(VALU_DEP_1) | instskip(NEXT) | instid1(VALU_DEP_1)
	v_sub_f32_e32 v36, v32, v36
	v_sub_f32_e32 v30, v30, v36
	s_delay_alu instid0(VALU_DEP_4) | instskip(NEXT) | instid1(VALU_DEP_1)
	v_add_f32_e32 v34, v33, v31
	v_sub_f32_e32 v33, v34, v33
	s_delay_alu instid0(VALU_DEP_1) | instskip(SKIP_1) | instid1(VALU_DEP_1)
	v_sub_f32_e32 v31, v31, v33
	v_add_f32_e32 v35, v32, v34
	v_sub_f32_e32 v37, v35, v32
	s_delay_alu instid0(VALU_DEP_1) | instskip(NEXT) | instid1(VALU_DEP_4)
	v_sub_f32_e32 v33, v34, v37
	v_add_f32_e32 v34, v30, v31
	v_sub_f32_e32 v38, v35, v37
	s_delay_alu instid0(VALU_DEP_1) | instskip(NEXT) | instid1(VALU_DEP_1)
	v_sub_f32_e32 v32, v32, v38
	v_dual_add_f32 v32, v33, v32 :: v_dual_sub_f32 v33, v34, v30
	s_delay_alu instid0(VALU_DEP_1) | instskip(SKIP_1) | instid1(VALU_DEP_2)
	v_dual_add_f32 v32, v34, v32 :: v_dual_sub_f32 v31, v31, v33
	v_sub_f32_e32 v34, v34, v33
	v_add_f32_e32 v36, v35, v32
	s_delay_alu instid0(VALU_DEP_1) | instskip(NEXT) | instid1(VALU_DEP_1)
	v_dual_sub_f32 v30, v30, v34 :: v_dual_sub_f32 v33, v36, v35
	v_dual_add_f32 v30, v31, v30 :: v_dual_sub_f32 v31, v32, v33
	s_delay_alu instid0(VALU_DEP_1) | instskip(NEXT) | instid1(VALU_DEP_1)
	v_add_f32_e32 v30, v30, v31
	v_add_f32_e32 v30, v36, v30
	s_wait_alu 0xf1ff
	s_delay_alu instid0(VALU_DEP_1) | instskip(SKIP_2) | instid1(VALU_DEP_1)
	v_cndmask_b32_e64 v30, 0x7f800000, v30, s9
	v_cmp_gt_f32_e64 s9, 0x33800000, |v25|
	s_wait_alu 0xf1ff
	v_cndmask_b32_e64 v25, v30, v25, s9
	s_delay_alu instid0(VALU_DEP_1)
	v_add_f32_e32 v25, v24, v25
.LBB443_220:
	s_wait_alu 0xfffe
	s_or_b32 exec_lo, exec_lo, s10
	s_delay_alu instid0(VALU_DEP_1) | instskip(SKIP_1) | instid1(VALU_DEP_2)
	v_bfe_u32 v24, v25, 16, 1
	v_cmp_o_f32_e64 s9, v25, v25
	v_add3_u32 v24, v25, v24, 0x7fff
	s_delay_alu instid0(VALU_DEP_1) | instskip(SKIP_1) | instid1(VALU_DEP_1)
	v_and_b32_e32 v24, 0xffff0000, v24
	s_wait_alu 0xf1ff
	v_cndmask_b32_e64 v30, 0x7fc00000, v24, s9
	s_delay_alu instid0(VALU_DEP_1) | instskip(SKIP_2) | instid1(VALU_DEP_2)
	v_max_num_f32_e32 v25, v30, v30
	v_lshlrev_b32_e32 v10, 16, v10
	v_cmp_u_f32_e64 s9, v30, v30
	v_max_num_f32_e32 v24, v10, v10
	s_delay_alu instid0(VALU_DEP_1) | instskip(SKIP_2) | instid1(VALU_DEP_2)
	v_min_num_f32_e32 v31, v25, v24
	v_max_num_f32_e32 v25, v25, v24
	s_wait_alu 0xf1ff
	v_cndmask_b32_e64 v31, v31, v30, s9
	s_delay_alu instid0(VALU_DEP_2) | instskip(SKIP_2) | instid1(VALU_DEP_1)
	v_cndmask_b32_e64 v25, v25, v30, s9
	v_cmp_u_f32_e64 s9, v10, v10
	s_wait_alu 0xf1ff
	v_cndmask_b32_e64 v31, v31, v10, s9
	s_delay_alu instid0(VALU_DEP_3) | instskip(NEXT) | instid1(VALU_DEP_2)
	v_cndmask_b32_e64 v25, v25, v10, s9
	v_cmp_class_f32_e64 s13, v31, 0x1f8
	s_delay_alu instid0(VALU_DEP_2)
	v_cmp_neq_f32_e64 s10, v31, v25
	s_or_b32 s10, s10, s13
	s_wait_alu 0xfffe
	s_and_saveexec_b32 s13, s10
	s_cbranch_execz .LBB443_222
; %bb.221:
	v_sub_f32_e32 v30, v31, v25
	s_delay_alu instid0(VALU_DEP_1) | instskip(SKIP_1) | instid1(VALU_DEP_2)
	v_mul_f32_e32 v31, 0x3fb8aa3b, v30
	v_cmp_ngt_f32_e64 s10, 0xc2ce8ed0, v30
	v_fma_f32 v32, 0x3fb8aa3b, v30, -v31
	v_rndne_f32_e32 v33, v31
	s_delay_alu instid0(VALU_DEP_1) | instskip(NEXT) | instid1(VALU_DEP_1)
	v_dual_fmamk_f32 v32, v30, 0x32a5705f, v32 :: v_dual_sub_f32 v31, v31, v33
	v_add_f32_e32 v31, v31, v32
	v_cvt_i32_f32_e32 v32, v33
	s_delay_alu instid0(VALU_DEP_2) | instskip(NEXT) | instid1(TRANS32_DEP_1)
	v_exp_f32_e32 v31, v31
	v_ldexp_f32 v31, v31, v32
	s_wait_alu 0xf1ff
	s_delay_alu instid0(VALU_DEP_1) | instskip(SKIP_2) | instid1(VALU_DEP_1)
	v_cndmask_b32_e64 v31, 0, v31, s10
	v_cmp_nlt_f32_e64 s10, 0x42b17218, v30
	s_wait_alu 0xf1ff
	v_cndmask_b32_e64 v32, 0x7f800000, v31, s10
	s_delay_alu instid0(VALU_DEP_1) | instskip(NEXT) | instid1(VALU_DEP_1)
	v_add_f32_e32 v33, 1.0, v32
	v_cvt_f64_f32_e32 v[30:31], v33
	s_delay_alu instid0(VALU_DEP_1) | instskip(SKIP_1) | instid1(VALU_DEP_1)
	v_frexp_exp_i32_f64_e32 v30, v[30:31]
	v_frexp_mant_f32_e32 v31, v33
	v_cmp_gt_f32_e64 s10, 0x3f2aaaab, v31
	v_add_f32_e32 v31, -1.0, v33
	s_delay_alu instid0(VALU_DEP_1)
	v_sub_f32_e32 v35, v31, v33
	v_sub_f32_e32 v31, v32, v31
	s_wait_alu 0xf1ff
	v_subrev_co_ci_u32_e64 v30, null, 0, v30, s10
	s_mov_b32 s10, 0x3e9b6dac
	v_sub_nc_u32_e32 v34, 0, v30
	v_cvt_f32_i32_e32 v30, v30
	s_delay_alu instid0(VALU_DEP_2) | instskip(NEXT) | instid1(VALU_DEP_1)
	v_ldexp_f32 v33, v33, v34
	v_dual_add_f32 v36, 1.0, v33 :: v_dual_add_f32 v35, 1.0, v35
	s_delay_alu instid0(VALU_DEP_1) | instskip(NEXT) | instid1(VALU_DEP_2)
	v_add_f32_e32 v31, v31, v35
	v_add_f32_e32 v35, -1.0, v36
	s_delay_alu instid0(VALU_DEP_2) | instskip(NEXT) | instid1(VALU_DEP_2)
	v_ldexp_f32 v31, v31, v34
	v_dual_add_f32 v34, -1.0, v33 :: v_dual_sub_f32 v35, v33, v35
	s_delay_alu instid0(VALU_DEP_1) | instskip(NEXT) | instid1(VALU_DEP_2)
	v_add_f32_e32 v37, 1.0, v34
	v_add_f32_e32 v35, v31, v35
	s_delay_alu instid0(VALU_DEP_2) | instskip(NEXT) | instid1(VALU_DEP_2)
	v_sub_f32_e32 v33, v33, v37
	v_add_f32_e32 v37, v36, v35
	s_delay_alu instid0(VALU_DEP_2) | instskip(NEXT) | instid1(VALU_DEP_2)
	v_add_f32_e32 v31, v31, v33
	v_rcp_f32_e32 v33, v37
	v_sub_f32_e32 v36, v36, v37
	s_delay_alu instid0(VALU_DEP_1) | instskip(NEXT) | instid1(VALU_DEP_1)
	v_dual_add_f32 v38, v34, v31 :: v_dual_add_f32 v35, v35, v36
	v_sub_f32_e32 v34, v34, v38
	s_delay_alu instid0(TRANS32_DEP_1) | instskip(NEXT) | instid1(VALU_DEP_1)
	v_mul_f32_e32 v39, v38, v33
	v_dual_add_f32 v31, v31, v34 :: v_dual_mul_f32 v40, v37, v39
	s_delay_alu instid0(VALU_DEP_1) | instskip(NEXT) | instid1(VALU_DEP_1)
	v_fma_f32 v36, v39, v37, -v40
	v_fmac_f32_e32 v36, v39, v35
	s_delay_alu instid0(VALU_DEP_1) | instskip(NEXT) | instid1(VALU_DEP_1)
	v_add_f32_e32 v41, v40, v36
	v_sub_f32_e32 v42, v38, v41
	v_sub_f32_e32 v34, v41, v40
	s_delay_alu instid0(VALU_DEP_2) | instskip(NEXT) | instid1(VALU_DEP_2)
	v_sub_f32_e32 v38, v38, v42
	v_sub_f32_e32 v34, v34, v36
	s_delay_alu instid0(VALU_DEP_2) | instskip(NEXT) | instid1(VALU_DEP_1)
	v_sub_f32_e32 v38, v38, v41
	v_add_f32_e32 v31, v31, v38
	s_delay_alu instid0(VALU_DEP_1) | instskip(NEXT) | instid1(VALU_DEP_1)
	v_add_f32_e32 v31, v34, v31
	v_add_f32_e32 v34, v42, v31
	s_delay_alu instid0(VALU_DEP_1) | instskip(NEXT) | instid1(VALU_DEP_1)
	v_mul_f32_e32 v36, v33, v34
	v_dual_sub_f32 v41, v42, v34 :: v_dual_mul_f32 v38, v37, v36
	s_delay_alu instid0(VALU_DEP_1) | instskip(NEXT) | instid1(VALU_DEP_2)
	v_add_f32_e32 v31, v31, v41
	v_fma_f32 v37, v36, v37, -v38
	s_delay_alu instid0(VALU_DEP_1) | instskip(NEXT) | instid1(VALU_DEP_1)
	v_fmac_f32_e32 v37, v36, v35
	v_add_f32_e32 v35, v38, v37
	s_delay_alu instid0(VALU_DEP_1) | instskip(SKIP_1) | instid1(VALU_DEP_2)
	v_sub_f32_e32 v40, v34, v35
	v_sub_f32_e32 v38, v35, v38
	;; [unrolled: 1-line block ×3, first 2 shown]
	s_delay_alu instid0(VALU_DEP_1) | instskip(NEXT) | instid1(VALU_DEP_3)
	v_sub_f32_e32 v34, v34, v35
	v_sub_f32_e32 v35, v38, v37
	s_delay_alu instid0(VALU_DEP_2) | instskip(SKIP_1) | instid1(VALU_DEP_2)
	v_add_f32_e32 v31, v31, v34
	v_add_f32_e32 v34, v39, v36
	;; [unrolled: 1-line block ×3, first 2 shown]
	s_delay_alu instid0(VALU_DEP_2) | instskip(NEXT) | instid1(VALU_DEP_2)
	v_sub_f32_e32 v35, v34, v39
	v_add_f32_e32 v31, v40, v31
	s_delay_alu instid0(VALU_DEP_2) | instskip(NEXT) | instid1(VALU_DEP_2)
	v_sub_f32_e32 v35, v36, v35
	v_mul_f32_e32 v31, v33, v31
	s_delay_alu instid0(VALU_DEP_1) | instskip(NEXT) | instid1(VALU_DEP_1)
	v_add_f32_e32 v31, v35, v31
	v_add_f32_e32 v33, v34, v31
	s_delay_alu instid0(VALU_DEP_1) | instskip(SKIP_1) | instid1(VALU_DEP_1)
	v_mul_f32_e32 v35, v33, v33
	s_wait_alu 0xfffe
	v_fmaak_f32 v36, s10, v35, 0x3ecc95a3
	v_mul_f32_e32 v37, v33, v35
	v_cmp_neq_f32_e64 s10, 0x7f800000, v32
	s_delay_alu instid0(VALU_DEP_3) | instskip(SKIP_2) | instid1(VALU_DEP_3)
	v_fmaak_f32 v35, v35, v36, 0x3f2aaada
	v_ldexp_f32 v36, v33, 1
	v_sub_f32_e32 v33, v33, v34
	v_mul_f32_e32 v35, v37, v35
	v_mul_f32_e32 v37, 0x3f317218, v30
	s_delay_alu instid0(VALU_DEP_2) | instskip(NEXT) | instid1(VALU_DEP_1)
	v_dual_sub_f32 v31, v31, v33 :: v_dual_add_f32 v34, v36, v35
	v_ldexp_f32 v31, v31, 1
	s_delay_alu instid0(VALU_DEP_2) | instskip(NEXT) | instid1(VALU_DEP_4)
	v_sub_f32_e32 v33, v34, v36
	v_fma_f32 v36, 0x3f317218, v30, -v37
	s_delay_alu instid0(VALU_DEP_1) | instskip(NEXT) | instid1(VALU_DEP_1)
	v_dual_sub_f32 v33, v35, v33 :: v_dual_fmamk_f32 v30, v30, 0xb102e308, v36
	v_add_f32_e32 v31, v31, v33
	s_delay_alu instid0(VALU_DEP_2) | instskip(NEXT) | instid1(VALU_DEP_2)
	v_add_f32_e32 v33, v37, v30
	v_add_f32_e32 v35, v34, v31
	s_delay_alu instid0(VALU_DEP_2) | instskip(NEXT) | instid1(VALU_DEP_2)
	v_sub_f32_e32 v37, v33, v37
	v_add_f32_e32 v36, v33, v35
	v_sub_f32_e32 v34, v35, v34
	s_delay_alu instid0(VALU_DEP_3) | instskip(NEXT) | instid1(VALU_DEP_2)
	v_sub_f32_e32 v30, v30, v37
	v_dual_sub_f32 v38, v36, v33 :: v_dual_sub_f32 v31, v31, v34
	s_delay_alu instid0(VALU_DEP_1) | instskip(NEXT) | instid1(VALU_DEP_2)
	v_sub_f32_e32 v39, v36, v38
	v_dual_sub_f32 v34, v35, v38 :: v_dual_add_f32 v35, v30, v31
	s_delay_alu instid0(VALU_DEP_2) | instskip(NEXT) | instid1(VALU_DEP_1)
	v_sub_f32_e32 v33, v33, v39
	v_dual_add_f32 v33, v34, v33 :: v_dual_sub_f32 v34, v35, v30
	s_delay_alu instid0(VALU_DEP_1) | instskip(NEXT) | instid1(VALU_DEP_2)
	v_add_f32_e32 v33, v35, v33
	v_sub_f32_e32 v35, v35, v34
	v_sub_f32_e32 v31, v31, v34
	s_delay_alu instid0(VALU_DEP_2) | instskip(NEXT) | instid1(VALU_DEP_1)
	v_dual_add_f32 v37, v36, v33 :: v_dual_sub_f32 v30, v30, v35
	v_sub_f32_e32 v34, v37, v36
	s_delay_alu instid0(VALU_DEP_2) | instskip(NEXT) | instid1(VALU_DEP_2)
	v_add_f32_e32 v30, v31, v30
	v_sub_f32_e32 v31, v33, v34
	s_delay_alu instid0(VALU_DEP_1) | instskip(NEXT) | instid1(VALU_DEP_1)
	v_add_f32_e32 v30, v30, v31
	v_add_f32_e32 v30, v37, v30
	s_wait_alu 0xf1ff
	s_delay_alu instid0(VALU_DEP_1) | instskip(SKIP_2) | instid1(VALU_DEP_1)
	v_cndmask_b32_e64 v30, 0x7f800000, v30, s10
	v_cmp_gt_f32_e64 s10, 0x33800000, |v32|
	s_wait_alu 0xf1ff
	v_cndmask_b32_e64 v30, v30, v32, s10
	s_delay_alu instid0(VALU_DEP_1)
	v_add_f32_e32 v30, v25, v30
.LBB443_222:
	s_or_b32 exec_lo, exec_lo, s13
	s_delay_alu instid0(VALU_DEP_1) | instskip(SKIP_2) | instid1(VALU_DEP_3)
	v_bfe_u32 v25, v30, 16, 1
	v_cmp_o_f32_e64 s10, v30, v30
	v_lshlrev_b32_e32 v9, 16, v9
	v_add3_u32 v25, v30, v25, 0x7fff
	s_delay_alu instid0(VALU_DEP_1) | instskip(SKIP_1) | instid1(VALU_DEP_1)
	v_and_b32_e32 v25, 0xffff0000, v25
	s_wait_alu 0xf1ff
	v_cndmask_b32_e64 v31, 0x7fc00000, v25, s10
	s_delay_alu instid0(VALU_DEP_1) | instskip(SKIP_1) | instid1(VALU_DEP_2)
	v_dual_max_num_f32 v25, v9, v9 :: v_dual_max_num_f32 v30, v31, v31
	v_cmp_u_f32_e64 s10, v31, v31
	v_min_num_f32_e32 v32, v30, v25
	v_max_num_f32_e32 v30, v30, v25
	s_wait_alu 0xf1ff
	s_delay_alu instid0(VALU_DEP_2) | instskip(NEXT) | instid1(VALU_DEP_2)
	v_cndmask_b32_e64 v32, v32, v31, s10
	v_cndmask_b32_e64 v30, v30, v31, s10
	v_cmp_u_f32_e64 s10, v9, v9
	s_wait_alu 0xf1ff
	s_delay_alu instid0(VALU_DEP_1) | instskip(NEXT) | instid1(VALU_DEP_3)
	v_cndmask_b32_e64 v32, v32, v9, s10
	v_cndmask_b32_e64 v30, v30, v9, s10
	s_delay_alu instid0(VALU_DEP_2) | instskip(NEXT) | instid1(VALU_DEP_2)
	v_cmp_class_f32_e64 s14, v32, 0x1f8
	v_cmp_neq_f32_e64 s13, v32, v30
	s_or_b32 s13, s13, s14
	s_delay_alu instid0(SALU_CYCLE_1)
	s_and_saveexec_b32 s14, s13
	s_cbranch_execz .LBB443_224
; %bb.223:
	v_sub_f32_e32 v31, v32, v30
	s_delay_alu instid0(VALU_DEP_1) | instskip(SKIP_1) | instid1(VALU_DEP_2)
	v_mul_f32_e32 v32, 0x3fb8aa3b, v31
	v_cmp_ngt_f32_e64 s13, 0xc2ce8ed0, v31
	v_fma_f32 v33, 0x3fb8aa3b, v31, -v32
	v_rndne_f32_e32 v34, v32
	s_delay_alu instid0(VALU_DEP_1) | instskip(NEXT) | instid1(VALU_DEP_1)
	v_dual_fmamk_f32 v33, v31, 0x32a5705f, v33 :: v_dual_sub_f32 v32, v32, v34
	v_add_f32_e32 v32, v32, v33
	v_cvt_i32_f32_e32 v33, v34
	s_delay_alu instid0(VALU_DEP_2) | instskip(NEXT) | instid1(TRANS32_DEP_1)
	v_exp_f32_e32 v32, v32
	v_ldexp_f32 v32, v32, v33
	s_delay_alu instid0(VALU_DEP_1) | instskip(SKIP_2) | instid1(VALU_DEP_1)
	v_cndmask_b32_e64 v32, 0, v32, s13
	v_cmp_nlt_f32_e64 s13, 0x42b17218, v31
	s_wait_alu 0xf1ff
	v_cndmask_b32_e64 v33, 0x7f800000, v32, s13
	s_delay_alu instid0(VALU_DEP_1) | instskip(NEXT) | instid1(VALU_DEP_1)
	v_add_f32_e32 v34, 1.0, v33
	v_cvt_f64_f32_e32 v[31:32], v34
	s_delay_alu instid0(VALU_DEP_1) | instskip(SKIP_1) | instid1(VALU_DEP_1)
	v_frexp_exp_i32_f64_e32 v31, v[31:32]
	v_frexp_mant_f32_e32 v32, v34
	v_cmp_gt_f32_e64 s13, 0x3f2aaaab, v32
	v_add_f32_e32 v32, -1.0, v34
	s_delay_alu instid0(VALU_DEP_1)
	v_sub_f32_e32 v36, v32, v34
	v_sub_f32_e32 v32, v33, v32
	s_wait_alu 0xf1ff
	v_subrev_co_ci_u32_e64 v31, null, 0, v31, s13
	s_mov_b32 s13, 0x3e9b6dac
	v_sub_nc_u32_e32 v35, 0, v31
	v_cvt_f32_i32_e32 v31, v31
	s_delay_alu instid0(VALU_DEP_2) | instskip(NEXT) | instid1(VALU_DEP_1)
	v_ldexp_f32 v34, v34, v35
	v_dual_add_f32 v37, 1.0, v34 :: v_dual_add_f32 v36, 1.0, v36
	s_delay_alu instid0(VALU_DEP_1) | instskip(NEXT) | instid1(VALU_DEP_2)
	v_add_f32_e32 v32, v32, v36
	v_add_f32_e32 v36, -1.0, v37
	s_delay_alu instid0(VALU_DEP_2) | instskip(NEXT) | instid1(VALU_DEP_2)
	v_ldexp_f32 v32, v32, v35
	v_dual_add_f32 v35, -1.0, v34 :: v_dual_sub_f32 v36, v34, v36
	s_delay_alu instid0(VALU_DEP_1) | instskip(NEXT) | instid1(VALU_DEP_2)
	v_add_f32_e32 v38, 1.0, v35
	v_add_f32_e32 v36, v32, v36
	s_delay_alu instid0(VALU_DEP_2) | instskip(NEXT) | instid1(VALU_DEP_2)
	v_sub_f32_e32 v34, v34, v38
	v_add_f32_e32 v38, v37, v36
	s_delay_alu instid0(VALU_DEP_2) | instskip(NEXT) | instid1(VALU_DEP_2)
	v_add_f32_e32 v32, v32, v34
	v_rcp_f32_e32 v34, v38
	v_sub_f32_e32 v37, v37, v38
	s_delay_alu instid0(VALU_DEP_1) | instskip(NEXT) | instid1(VALU_DEP_1)
	v_dual_add_f32 v39, v35, v32 :: v_dual_add_f32 v36, v36, v37
	v_sub_f32_e32 v35, v35, v39
	s_delay_alu instid0(TRANS32_DEP_1) | instskip(NEXT) | instid1(VALU_DEP_1)
	v_mul_f32_e32 v40, v39, v34
	v_dual_add_f32 v32, v32, v35 :: v_dual_mul_f32 v41, v38, v40
	s_delay_alu instid0(VALU_DEP_1) | instskip(NEXT) | instid1(VALU_DEP_1)
	v_fma_f32 v37, v40, v38, -v41
	v_fmac_f32_e32 v37, v40, v36
	s_delay_alu instid0(VALU_DEP_1) | instskip(NEXT) | instid1(VALU_DEP_1)
	v_add_f32_e32 v42, v41, v37
	v_sub_f32_e32 v43, v39, v42
	v_sub_f32_e32 v35, v42, v41
	s_delay_alu instid0(VALU_DEP_2) | instskip(NEXT) | instid1(VALU_DEP_2)
	v_sub_f32_e32 v39, v39, v43
	v_sub_f32_e32 v35, v35, v37
	s_delay_alu instid0(VALU_DEP_2) | instskip(NEXT) | instid1(VALU_DEP_1)
	v_sub_f32_e32 v39, v39, v42
	v_add_f32_e32 v32, v32, v39
	s_delay_alu instid0(VALU_DEP_1) | instskip(NEXT) | instid1(VALU_DEP_1)
	v_add_f32_e32 v32, v35, v32
	v_add_f32_e32 v35, v43, v32
	s_delay_alu instid0(VALU_DEP_1) | instskip(NEXT) | instid1(VALU_DEP_1)
	v_mul_f32_e32 v37, v34, v35
	v_dual_sub_f32 v42, v43, v35 :: v_dual_mul_f32 v39, v38, v37
	s_delay_alu instid0(VALU_DEP_1) | instskip(NEXT) | instid1(VALU_DEP_2)
	v_add_f32_e32 v32, v32, v42
	v_fma_f32 v38, v37, v38, -v39
	s_delay_alu instid0(VALU_DEP_1) | instskip(NEXT) | instid1(VALU_DEP_1)
	v_fmac_f32_e32 v38, v37, v36
	v_add_f32_e32 v36, v39, v38
	s_delay_alu instid0(VALU_DEP_1) | instskip(SKIP_1) | instid1(VALU_DEP_2)
	v_sub_f32_e32 v41, v35, v36
	v_sub_f32_e32 v39, v36, v39
	;; [unrolled: 1-line block ×3, first 2 shown]
	s_delay_alu instid0(VALU_DEP_1) | instskip(NEXT) | instid1(VALU_DEP_3)
	v_sub_f32_e32 v35, v35, v36
	v_sub_f32_e32 v36, v39, v38
	s_delay_alu instid0(VALU_DEP_2) | instskip(SKIP_1) | instid1(VALU_DEP_2)
	v_add_f32_e32 v32, v32, v35
	v_add_f32_e32 v35, v40, v37
	;; [unrolled: 1-line block ×3, first 2 shown]
	s_delay_alu instid0(VALU_DEP_2) | instskip(NEXT) | instid1(VALU_DEP_2)
	v_sub_f32_e32 v36, v35, v40
	v_add_f32_e32 v32, v41, v32
	s_delay_alu instid0(VALU_DEP_2) | instskip(NEXT) | instid1(VALU_DEP_2)
	v_sub_f32_e32 v36, v37, v36
	v_mul_f32_e32 v32, v34, v32
	s_delay_alu instid0(VALU_DEP_1) | instskip(NEXT) | instid1(VALU_DEP_1)
	v_add_f32_e32 v32, v36, v32
	v_add_f32_e32 v34, v35, v32
	s_delay_alu instid0(VALU_DEP_1) | instskip(SKIP_1) | instid1(VALU_DEP_1)
	v_mul_f32_e32 v36, v34, v34
	s_wait_alu 0xfffe
	v_fmaak_f32 v37, s13, v36, 0x3ecc95a3
	v_mul_f32_e32 v38, v34, v36
	v_cmp_neq_f32_e64 s13, 0x7f800000, v33
	s_delay_alu instid0(VALU_DEP_3) | instskip(SKIP_2) | instid1(VALU_DEP_3)
	v_fmaak_f32 v36, v36, v37, 0x3f2aaada
	v_ldexp_f32 v37, v34, 1
	v_sub_f32_e32 v34, v34, v35
	v_mul_f32_e32 v36, v38, v36
	v_mul_f32_e32 v38, 0x3f317218, v31
	s_delay_alu instid0(VALU_DEP_2) | instskip(NEXT) | instid1(VALU_DEP_1)
	v_dual_sub_f32 v32, v32, v34 :: v_dual_add_f32 v35, v37, v36
	v_ldexp_f32 v32, v32, 1
	s_delay_alu instid0(VALU_DEP_2) | instskip(NEXT) | instid1(VALU_DEP_4)
	v_sub_f32_e32 v34, v35, v37
	v_fma_f32 v37, 0x3f317218, v31, -v38
	s_delay_alu instid0(VALU_DEP_1) | instskip(NEXT) | instid1(VALU_DEP_1)
	v_dual_sub_f32 v34, v36, v34 :: v_dual_fmamk_f32 v31, v31, 0xb102e308, v37
	v_add_f32_e32 v32, v32, v34
	s_delay_alu instid0(VALU_DEP_2) | instskip(NEXT) | instid1(VALU_DEP_2)
	v_add_f32_e32 v34, v38, v31
	v_add_f32_e32 v36, v35, v32
	s_delay_alu instid0(VALU_DEP_2) | instskip(NEXT) | instid1(VALU_DEP_2)
	v_sub_f32_e32 v38, v34, v38
	v_add_f32_e32 v37, v34, v36
	v_sub_f32_e32 v35, v36, v35
	s_delay_alu instid0(VALU_DEP_3) | instskip(NEXT) | instid1(VALU_DEP_2)
	v_sub_f32_e32 v31, v31, v38
	v_dual_sub_f32 v39, v37, v34 :: v_dual_sub_f32 v32, v32, v35
	s_delay_alu instid0(VALU_DEP_1) | instskip(NEXT) | instid1(VALU_DEP_2)
	v_sub_f32_e32 v40, v37, v39
	v_dual_sub_f32 v35, v36, v39 :: v_dual_add_f32 v36, v31, v32
	s_delay_alu instid0(VALU_DEP_2) | instskip(NEXT) | instid1(VALU_DEP_1)
	v_sub_f32_e32 v34, v34, v40
	v_dual_add_f32 v34, v35, v34 :: v_dual_sub_f32 v35, v36, v31
	s_delay_alu instid0(VALU_DEP_1) | instskip(NEXT) | instid1(VALU_DEP_2)
	v_add_f32_e32 v34, v36, v34
	v_sub_f32_e32 v36, v36, v35
	v_sub_f32_e32 v32, v32, v35
	s_delay_alu instid0(VALU_DEP_2) | instskip(NEXT) | instid1(VALU_DEP_1)
	v_dual_add_f32 v38, v37, v34 :: v_dual_sub_f32 v31, v31, v36
	v_sub_f32_e32 v35, v38, v37
	s_delay_alu instid0(VALU_DEP_2) | instskip(NEXT) | instid1(VALU_DEP_2)
	v_add_f32_e32 v31, v32, v31
	v_sub_f32_e32 v32, v34, v35
	s_delay_alu instid0(VALU_DEP_1) | instskip(NEXT) | instid1(VALU_DEP_1)
	v_add_f32_e32 v31, v31, v32
	v_add_f32_e32 v31, v38, v31
	s_wait_alu 0xf1ff
	s_delay_alu instid0(VALU_DEP_1) | instskip(SKIP_2) | instid1(VALU_DEP_1)
	v_cndmask_b32_e64 v31, 0x7f800000, v31, s13
	v_cmp_gt_f32_e64 s13, 0x33800000, |v33|
	s_wait_alu 0xf1ff
	v_cndmask_b32_e64 v31, v31, v33, s13
	s_delay_alu instid0(VALU_DEP_1)
	v_add_f32_e32 v31, v30, v31
.LBB443_224:
	s_or_b32 exec_lo, exec_lo, s14
	s_delay_alu instid0(VALU_DEP_1)
	v_bfe_u32 v30, v31, 16, 1
	v_lshrrev_b32_e32 v32, 4, v0
	v_cmp_o_f32_e64 s13, v31, v31
	s_mov_b32 s15, exec_lo
	v_add3_u32 v30, v31, v30, 0x7fff
	v_and_b32_e32 v32, 14, v32
	s_delay_alu instid0(VALU_DEP_2) | instskip(NEXT) | instid1(VALU_DEP_2)
	v_lshrrev_b32_e32 v30, 16, v30
	v_lshl_add_u32 v32, v0, 1, v32
	s_wait_alu 0xf1ff
	s_delay_alu instid0(VALU_DEP_2)
	v_cndmask_b32_e64 v31, 0x7fc0, v30, s13
	ds_store_b16 v32, v31
	s_wait_loadcnt_dscnt 0x0
	s_barrier_signal -1
	s_barrier_wait -1
	global_inv scope:SCOPE_SE
	v_cmpx_gt_u32_e32 32, v0
	s_cbranch_execz .LBB443_276
; %bb.225:
	v_lshrrev_b32_e32 v30, 1, v0
	v_lshlrev_b32_e32 v32, 4, v0
	s_delay_alu instid0(VALU_DEP_2) | instskip(NEXT) | instid1(VALU_DEP_1)
	v_and_b32_e32 v30, 0x7e, v30
	v_add_nc_u32_e32 v30, v30, v32
	ds_load_u16 v32, v30 offset:2
	ds_load_u16 v33, v30
	s_wait_dscnt 0x1
	v_lshlrev_b32_e32 v34, 16, v32
	s_wait_dscnt 0x0
	s_delay_alu instid0(VALU_DEP_1) | instskip(NEXT) | instid1(VALU_DEP_1)
	v_dual_max_num_f32 v35, v34, v34 :: v_dual_lshlrev_b32 v32, 16, v33
	v_max_num_f32_e32 v33, v32, v32
	v_cmp_u_f32_e64 s13, v32, v32
	v_cmp_u_f32_e64 s14, v34, v34
	s_delay_alu instid0(VALU_DEP_3) | instskip(SKIP_2) | instid1(VALU_DEP_2)
	v_min_num_f32_e32 v36, v33, v35
	v_max_num_f32_e32 v35, v33, v35
	s_wait_alu 0xf1ff
	v_cndmask_b32_e64 v36, v36, v32, s13
	s_delay_alu instid0(VALU_DEP_2) | instskip(NEXT) | instid1(VALU_DEP_2)
	v_cndmask_b32_e64 v35, v35, v32, s13
	v_cndmask_b32_e64 v36, v36, v34, s14
	s_delay_alu instid0(VALU_DEP_2) | instskip(SKIP_1) | instid1(VALU_DEP_3)
	v_cndmask_b32_e64 v34, v35, v34, s14
	v_mov_b32_e32 v35, v32
	v_cmp_class_f32_e64 s16, v36, 0x1f8
	s_delay_alu instid0(VALU_DEP_3)
	v_cmp_neq_f32_e64 s14, v36, v34
	s_or_b32 s14, s14, s16
	s_wait_alu 0xfffe
	s_and_saveexec_b32 s16, s14
	s_cbranch_execz .LBB443_227
; %bb.226:
	v_sub_f32_e32 v35, v36, v34
	s_delay_alu instid0(VALU_DEP_1) | instskip(SKIP_1) | instid1(VALU_DEP_2)
	v_mul_f32_e32 v36, 0x3fb8aa3b, v35
	v_cmp_ngt_f32_e64 s14, 0xc2ce8ed0, v35
	v_fma_f32 v37, 0x3fb8aa3b, v35, -v36
	v_rndne_f32_e32 v38, v36
	s_delay_alu instid0(VALU_DEP_1) | instskip(NEXT) | instid1(VALU_DEP_1)
	v_dual_fmamk_f32 v37, v35, 0x32a5705f, v37 :: v_dual_sub_f32 v36, v36, v38
	v_add_f32_e32 v36, v36, v37
	v_cvt_i32_f32_e32 v37, v38
	s_delay_alu instid0(VALU_DEP_2) | instskip(NEXT) | instid1(TRANS32_DEP_1)
	v_exp_f32_e32 v36, v36
	v_ldexp_f32 v36, v36, v37
	s_wait_alu 0xf1ff
	s_delay_alu instid0(VALU_DEP_1) | instskip(SKIP_2) | instid1(VALU_DEP_1)
	v_cndmask_b32_e64 v36, 0, v36, s14
	v_cmp_nlt_f32_e64 s14, 0x42b17218, v35
	s_wait_alu 0xf1ff
	v_cndmask_b32_e64 v37, 0x7f800000, v36, s14
	s_delay_alu instid0(VALU_DEP_1) | instskip(NEXT) | instid1(VALU_DEP_1)
	v_add_f32_e32 v38, 1.0, v37
	v_cvt_f64_f32_e32 v[35:36], v38
	s_delay_alu instid0(VALU_DEP_1) | instskip(SKIP_1) | instid1(VALU_DEP_1)
	v_frexp_exp_i32_f64_e32 v35, v[35:36]
	v_frexp_mant_f32_e32 v36, v38
	v_cmp_gt_f32_e64 s14, 0x3f2aaaab, v36
	v_add_f32_e32 v36, -1.0, v38
	s_delay_alu instid0(VALU_DEP_1)
	v_sub_f32_e32 v40, v36, v38
	v_sub_f32_e32 v36, v37, v36
	s_wait_alu 0xf1ff
	v_subrev_co_ci_u32_e64 v35, null, 0, v35, s14
	s_mov_b32 s14, 0x3e9b6dac
	v_sub_nc_u32_e32 v39, 0, v35
	v_cvt_f32_i32_e32 v35, v35
	s_delay_alu instid0(VALU_DEP_2) | instskip(NEXT) | instid1(VALU_DEP_1)
	v_ldexp_f32 v38, v38, v39
	v_dual_add_f32 v41, 1.0, v38 :: v_dual_add_f32 v40, 1.0, v40
	s_delay_alu instid0(VALU_DEP_1) | instskip(NEXT) | instid1(VALU_DEP_2)
	v_add_f32_e32 v36, v36, v40
	v_add_f32_e32 v40, -1.0, v41
	s_delay_alu instid0(VALU_DEP_2) | instskip(NEXT) | instid1(VALU_DEP_2)
	v_ldexp_f32 v36, v36, v39
	v_dual_add_f32 v39, -1.0, v38 :: v_dual_sub_f32 v40, v38, v40
	s_delay_alu instid0(VALU_DEP_1) | instskip(NEXT) | instid1(VALU_DEP_2)
	v_add_f32_e32 v42, 1.0, v39
	v_add_f32_e32 v40, v36, v40
	s_delay_alu instid0(VALU_DEP_2) | instskip(NEXT) | instid1(VALU_DEP_2)
	v_sub_f32_e32 v38, v38, v42
	v_add_f32_e32 v42, v41, v40
	s_delay_alu instid0(VALU_DEP_2) | instskip(NEXT) | instid1(VALU_DEP_2)
	v_add_f32_e32 v36, v36, v38
	v_rcp_f32_e32 v38, v42
	v_sub_f32_e32 v41, v41, v42
	s_delay_alu instid0(VALU_DEP_1) | instskip(NEXT) | instid1(VALU_DEP_1)
	v_dual_add_f32 v43, v39, v36 :: v_dual_add_f32 v40, v40, v41
	v_sub_f32_e32 v39, v39, v43
	s_delay_alu instid0(TRANS32_DEP_1) | instskip(NEXT) | instid1(VALU_DEP_1)
	v_mul_f32_e32 v44, v43, v38
	v_dual_add_f32 v36, v36, v39 :: v_dual_mul_f32 v45, v42, v44
	s_delay_alu instid0(VALU_DEP_1) | instskip(NEXT) | instid1(VALU_DEP_1)
	v_fma_f32 v41, v44, v42, -v45
	v_fmac_f32_e32 v41, v44, v40
	s_delay_alu instid0(VALU_DEP_1) | instskip(NEXT) | instid1(VALU_DEP_1)
	v_add_f32_e32 v46, v45, v41
	v_sub_f32_e32 v47, v43, v46
	v_sub_f32_e32 v39, v46, v45
	s_delay_alu instid0(VALU_DEP_2) | instskip(NEXT) | instid1(VALU_DEP_2)
	v_sub_f32_e32 v43, v43, v47
	v_sub_f32_e32 v39, v39, v41
	s_delay_alu instid0(VALU_DEP_2) | instskip(NEXT) | instid1(VALU_DEP_1)
	v_sub_f32_e32 v43, v43, v46
	v_add_f32_e32 v36, v36, v43
	s_delay_alu instid0(VALU_DEP_1) | instskip(NEXT) | instid1(VALU_DEP_1)
	v_add_f32_e32 v36, v39, v36
	v_add_f32_e32 v39, v47, v36
	s_delay_alu instid0(VALU_DEP_1) | instskip(NEXT) | instid1(VALU_DEP_1)
	v_mul_f32_e32 v41, v38, v39
	v_dual_sub_f32 v46, v47, v39 :: v_dual_mul_f32 v43, v42, v41
	s_delay_alu instid0(VALU_DEP_1) | instskip(NEXT) | instid1(VALU_DEP_2)
	v_add_f32_e32 v36, v36, v46
	v_fma_f32 v42, v41, v42, -v43
	s_delay_alu instid0(VALU_DEP_1) | instskip(NEXT) | instid1(VALU_DEP_1)
	v_fmac_f32_e32 v42, v41, v40
	v_add_f32_e32 v40, v43, v42
	s_delay_alu instid0(VALU_DEP_1) | instskip(SKIP_1) | instid1(VALU_DEP_2)
	v_sub_f32_e32 v45, v39, v40
	v_sub_f32_e32 v43, v40, v43
	;; [unrolled: 1-line block ×3, first 2 shown]
	s_delay_alu instid0(VALU_DEP_1) | instskip(NEXT) | instid1(VALU_DEP_3)
	v_sub_f32_e32 v39, v39, v40
	v_sub_f32_e32 v40, v43, v42
	s_delay_alu instid0(VALU_DEP_2) | instskip(SKIP_1) | instid1(VALU_DEP_2)
	v_add_f32_e32 v36, v36, v39
	v_add_f32_e32 v39, v44, v41
	;; [unrolled: 1-line block ×3, first 2 shown]
	s_delay_alu instid0(VALU_DEP_2) | instskip(NEXT) | instid1(VALU_DEP_2)
	v_sub_f32_e32 v40, v39, v44
	v_add_f32_e32 v36, v45, v36
	s_delay_alu instid0(VALU_DEP_2) | instskip(NEXT) | instid1(VALU_DEP_2)
	v_sub_f32_e32 v40, v41, v40
	v_mul_f32_e32 v36, v38, v36
	s_delay_alu instid0(VALU_DEP_1) | instskip(NEXT) | instid1(VALU_DEP_1)
	v_add_f32_e32 v36, v40, v36
	v_add_f32_e32 v38, v39, v36
	s_delay_alu instid0(VALU_DEP_1) | instskip(SKIP_1) | instid1(VALU_DEP_1)
	v_mul_f32_e32 v40, v38, v38
	s_wait_alu 0xfffe
	v_fmaak_f32 v41, s14, v40, 0x3ecc95a3
	v_mul_f32_e32 v42, v38, v40
	v_cmp_neq_f32_e64 s14, 0x7f800000, v37
	s_delay_alu instid0(VALU_DEP_3) | instskip(SKIP_2) | instid1(VALU_DEP_3)
	v_fmaak_f32 v40, v40, v41, 0x3f2aaada
	v_ldexp_f32 v41, v38, 1
	v_sub_f32_e32 v38, v38, v39
	v_mul_f32_e32 v40, v42, v40
	v_mul_f32_e32 v42, 0x3f317218, v35
	s_delay_alu instid0(VALU_DEP_2) | instskip(NEXT) | instid1(VALU_DEP_1)
	v_dual_sub_f32 v36, v36, v38 :: v_dual_add_f32 v39, v41, v40
	v_ldexp_f32 v36, v36, 1
	s_delay_alu instid0(VALU_DEP_2) | instskip(NEXT) | instid1(VALU_DEP_4)
	v_sub_f32_e32 v38, v39, v41
	v_fma_f32 v41, 0x3f317218, v35, -v42
	s_delay_alu instid0(VALU_DEP_1) | instskip(NEXT) | instid1(VALU_DEP_1)
	v_dual_sub_f32 v38, v40, v38 :: v_dual_fmamk_f32 v35, v35, 0xb102e308, v41
	v_add_f32_e32 v36, v36, v38
	s_delay_alu instid0(VALU_DEP_2) | instskip(NEXT) | instid1(VALU_DEP_2)
	v_add_f32_e32 v38, v42, v35
	v_add_f32_e32 v40, v39, v36
	s_delay_alu instid0(VALU_DEP_2) | instskip(NEXT) | instid1(VALU_DEP_2)
	v_sub_f32_e32 v42, v38, v42
	v_add_f32_e32 v41, v38, v40
	v_sub_f32_e32 v39, v40, v39
	s_delay_alu instid0(VALU_DEP_3) | instskip(NEXT) | instid1(VALU_DEP_2)
	v_sub_f32_e32 v35, v35, v42
	v_dual_sub_f32 v43, v41, v38 :: v_dual_sub_f32 v36, v36, v39
	s_delay_alu instid0(VALU_DEP_1) | instskip(NEXT) | instid1(VALU_DEP_2)
	v_sub_f32_e32 v44, v41, v43
	v_dual_sub_f32 v39, v40, v43 :: v_dual_add_f32 v40, v35, v36
	s_delay_alu instid0(VALU_DEP_2) | instskip(NEXT) | instid1(VALU_DEP_1)
	v_sub_f32_e32 v38, v38, v44
	v_dual_add_f32 v38, v39, v38 :: v_dual_sub_f32 v39, v40, v35
	s_delay_alu instid0(VALU_DEP_1) | instskip(NEXT) | instid1(VALU_DEP_2)
	v_add_f32_e32 v38, v40, v38
	v_sub_f32_e32 v40, v40, v39
	v_sub_f32_e32 v36, v36, v39
	s_delay_alu instid0(VALU_DEP_2) | instskip(NEXT) | instid1(VALU_DEP_1)
	v_dual_add_f32 v42, v41, v38 :: v_dual_sub_f32 v35, v35, v40
	v_sub_f32_e32 v39, v42, v41
	s_delay_alu instid0(VALU_DEP_2) | instskip(NEXT) | instid1(VALU_DEP_2)
	v_add_f32_e32 v35, v36, v35
	v_sub_f32_e32 v36, v38, v39
	s_delay_alu instid0(VALU_DEP_1) | instskip(NEXT) | instid1(VALU_DEP_1)
	v_add_f32_e32 v35, v35, v36
	v_add_f32_e32 v35, v42, v35
	s_wait_alu 0xf1ff
	s_delay_alu instid0(VALU_DEP_1) | instskip(SKIP_2) | instid1(VALU_DEP_1)
	v_cndmask_b32_e64 v35, 0x7f800000, v35, s14
	v_cmp_gt_f32_e64 s14, 0x33800000, |v37|
	s_wait_alu 0xf1ff
	v_cndmask_b32_e64 v35, v35, v37, s14
	s_delay_alu instid0(VALU_DEP_1)
	v_add_f32_e32 v35, v34, v35
.LBB443_227:
	s_or_b32 exec_lo, exec_lo, s16
	ds_load_u16 v34, v30 offset:4
	v_bfe_u32 v36, v35, 16, 1
	v_cmp_o_f32_e64 s14, v35, v35
	s_delay_alu instid0(VALU_DEP_2) | instskip(SKIP_2) | instid1(VALU_DEP_1)
	v_add3_u32 v36, v35, v36, 0x7fff
	s_wait_dscnt 0x0
	v_lshlrev_b32_e32 v34, 16, v34
	v_dual_max_num_f32 v37, v34, v34 :: v_dual_and_b32 v36, 0xffff0000, v36
	s_wait_alu 0xf1ff
	s_delay_alu instid0(VALU_DEP_1) | instskip(NEXT) | instid1(VALU_DEP_1)
	v_cndmask_b32_e64 v35, 0x7fc00000, v36, s14
	v_max_num_f32_e32 v36, v35, v35
	v_cmp_u_f32_e64 s14, v35, v35
	s_delay_alu instid0(VALU_DEP_2) | instskip(SKIP_2) | instid1(VALU_DEP_2)
	v_min_num_f32_e32 v38, v36, v37
	v_max_num_f32_e32 v36, v36, v37
	s_wait_alu 0xf1ff
	v_cndmask_b32_e64 v37, v38, v35, s14
	s_delay_alu instid0(VALU_DEP_2) | instskip(SKIP_2) | instid1(VALU_DEP_1)
	v_cndmask_b32_e64 v38, v36, v35, s14
	v_cmp_u_f32_e64 s14, v34, v34
	s_wait_alu 0xf1ff
	v_cndmask_b32_e64 v36, v37, v34, s14
	s_delay_alu instid0(VALU_DEP_3) | instskip(NEXT) | instid1(VALU_DEP_2)
	v_cndmask_b32_e64 v34, v38, v34, s14
	v_cmp_class_f32_e64 s16, v36, 0x1f8
	s_delay_alu instid0(VALU_DEP_2)
	v_cmp_neq_f32_e64 s14, v36, v34
	s_or_b32 s14, s14, s16
	s_wait_alu 0xfffe
	s_and_saveexec_b32 s16, s14
	s_cbranch_execz .LBB443_229
; %bb.228:
	v_sub_f32_e32 v35, v36, v34
	s_delay_alu instid0(VALU_DEP_1) | instskip(SKIP_1) | instid1(VALU_DEP_2)
	v_mul_f32_e32 v36, 0x3fb8aa3b, v35
	v_cmp_ngt_f32_e64 s14, 0xc2ce8ed0, v35
	v_fma_f32 v37, 0x3fb8aa3b, v35, -v36
	v_rndne_f32_e32 v38, v36
	s_delay_alu instid0(VALU_DEP_1) | instskip(NEXT) | instid1(VALU_DEP_1)
	v_dual_fmamk_f32 v37, v35, 0x32a5705f, v37 :: v_dual_sub_f32 v36, v36, v38
	v_add_f32_e32 v36, v36, v37
	v_cvt_i32_f32_e32 v37, v38
	s_delay_alu instid0(VALU_DEP_2) | instskip(NEXT) | instid1(TRANS32_DEP_1)
	v_exp_f32_e32 v36, v36
	v_ldexp_f32 v36, v36, v37
	s_wait_alu 0xf1ff
	s_delay_alu instid0(VALU_DEP_1) | instskip(SKIP_2) | instid1(VALU_DEP_1)
	v_cndmask_b32_e64 v36, 0, v36, s14
	v_cmp_nlt_f32_e64 s14, 0x42b17218, v35
	s_wait_alu 0xf1ff
	v_cndmask_b32_e64 v37, 0x7f800000, v36, s14
	s_delay_alu instid0(VALU_DEP_1) | instskip(NEXT) | instid1(VALU_DEP_1)
	v_add_f32_e32 v38, 1.0, v37
	v_cvt_f64_f32_e32 v[35:36], v38
	s_delay_alu instid0(VALU_DEP_1) | instskip(SKIP_1) | instid1(VALU_DEP_1)
	v_frexp_exp_i32_f64_e32 v35, v[35:36]
	v_frexp_mant_f32_e32 v36, v38
	v_cmp_gt_f32_e64 s14, 0x3f2aaaab, v36
	v_add_f32_e32 v36, -1.0, v38
	s_delay_alu instid0(VALU_DEP_1)
	v_sub_f32_e32 v40, v36, v38
	v_sub_f32_e32 v36, v37, v36
	s_wait_alu 0xf1ff
	v_subrev_co_ci_u32_e64 v35, null, 0, v35, s14
	s_mov_b32 s14, 0x3e9b6dac
	v_sub_nc_u32_e32 v39, 0, v35
	v_cvt_f32_i32_e32 v35, v35
	s_delay_alu instid0(VALU_DEP_2) | instskip(NEXT) | instid1(VALU_DEP_1)
	v_ldexp_f32 v38, v38, v39
	v_dual_add_f32 v41, 1.0, v38 :: v_dual_add_f32 v40, 1.0, v40
	s_delay_alu instid0(VALU_DEP_1) | instskip(NEXT) | instid1(VALU_DEP_2)
	v_add_f32_e32 v36, v36, v40
	v_add_f32_e32 v40, -1.0, v41
	s_delay_alu instid0(VALU_DEP_2) | instskip(NEXT) | instid1(VALU_DEP_2)
	v_ldexp_f32 v36, v36, v39
	v_dual_add_f32 v39, -1.0, v38 :: v_dual_sub_f32 v40, v38, v40
	s_delay_alu instid0(VALU_DEP_1) | instskip(NEXT) | instid1(VALU_DEP_2)
	v_add_f32_e32 v42, 1.0, v39
	v_add_f32_e32 v40, v36, v40
	s_delay_alu instid0(VALU_DEP_2) | instskip(NEXT) | instid1(VALU_DEP_2)
	v_sub_f32_e32 v38, v38, v42
	v_add_f32_e32 v42, v41, v40
	s_delay_alu instid0(VALU_DEP_2) | instskip(NEXT) | instid1(VALU_DEP_2)
	v_add_f32_e32 v36, v36, v38
	v_rcp_f32_e32 v38, v42
	v_sub_f32_e32 v41, v41, v42
	s_delay_alu instid0(VALU_DEP_1) | instskip(NEXT) | instid1(VALU_DEP_1)
	v_dual_add_f32 v43, v39, v36 :: v_dual_add_f32 v40, v40, v41
	v_sub_f32_e32 v39, v39, v43
	s_delay_alu instid0(TRANS32_DEP_1) | instskip(NEXT) | instid1(VALU_DEP_1)
	v_mul_f32_e32 v44, v43, v38
	v_dual_add_f32 v36, v36, v39 :: v_dual_mul_f32 v45, v42, v44
	s_delay_alu instid0(VALU_DEP_1) | instskip(NEXT) | instid1(VALU_DEP_1)
	v_fma_f32 v41, v44, v42, -v45
	v_fmac_f32_e32 v41, v44, v40
	s_delay_alu instid0(VALU_DEP_1) | instskip(NEXT) | instid1(VALU_DEP_1)
	v_add_f32_e32 v46, v45, v41
	v_sub_f32_e32 v47, v43, v46
	v_sub_f32_e32 v39, v46, v45
	s_delay_alu instid0(VALU_DEP_2) | instskip(NEXT) | instid1(VALU_DEP_2)
	v_sub_f32_e32 v43, v43, v47
	v_sub_f32_e32 v39, v39, v41
	s_delay_alu instid0(VALU_DEP_2) | instskip(NEXT) | instid1(VALU_DEP_1)
	v_sub_f32_e32 v43, v43, v46
	v_add_f32_e32 v36, v36, v43
	s_delay_alu instid0(VALU_DEP_1) | instskip(NEXT) | instid1(VALU_DEP_1)
	v_add_f32_e32 v36, v39, v36
	v_add_f32_e32 v39, v47, v36
	s_delay_alu instid0(VALU_DEP_1) | instskip(NEXT) | instid1(VALU_DEP_1)
	v_mul_f32_e32 v41, v38, v39
	v_dual_sub_f32 v46, v47, v39 :: v_dual_mul_f32 v43, v42, v41
	s_delay_alu instid0(VALU_DEP_1) | instskip(NEXT) | instid1(VALU_DEP_2)
	v_add_f32_e32 v36, v36, v46
	v_fma_f32 v42, v41, v42, -v43
	s_delay_alu instid0(VALU_DEP_1) | instskip(NEXT) | instid1(VALU_DEP_1)
	v_fmac_f32_e32 v42, v41, v40
	v_add_f32_e32 v40, v43, v42
	s_delay_alu instid0(VALU_DEP_1) | instskip(SKIP_1) | instid1(VALU_DEP_2)
	v_sub_f32_e32 v45, v39, v40
	v_sub_f32_e32 v43, v40, v43
	;; [unrolled: 1-line block ×3, first 2 shown]
	s_delay_alu instid0(VALU_DEP_1) | instskip(NEXT) | instid1(VALU_DEP_3)
	v_sub_f32_e32 v39, v39, v40
	v_sub_f32_e32 v40, v43, v42
	s_delay_alu instid0(VALU_DEP_2) | instskip(SKIP_1) | instid1(VALU_DEP_2)
	v_add_f32_e32 v36, v36, v39
	v_add_f32_e32 v39, v44, v41
	;; [unrolled: 1-line block ×3, first 2 shown]
	s_delay_alu instid0(VALU_DEP_2) | instskip(NEXT) | instid1(VALU_DEP_2)
	v_sub_f32_e32 v40, v39, v44
	v_add_f32_e32 v36, v45, v36
	s_delay_alu instid0(VALU_DEP_2) | instskip(NEXT) | instid1(VALU_DEP_2)
	v_sub_f32_e32 v40, v41, v40
	v_mul_f32_e32 v36, v38, v36
	s_delay_alu instid0(VALU_DEP_1) | instskip(NEXT) | instid1(VALU_DEP_1)
	v_add_f32_e32 v36, v40, v36
	v_add_f32_e32 v38, v39, v36
	s_delay_alu instid0(VALU_DEP_1) | instskip(SKIP_1) | instid1(VALU_DEP_1)
	v_mul_f32_e32 v40, v38, v38
	s_wait_alu 0xfffe
	v_fmaak_f32 v41, s14, v40, 0x3ecc95a3
	v_mul_f32_e32 v42, v38, v40
	v_cmp_neq_f32_e64 s14, 0x7f800000, v37
	s_delay_alu instid0(VALU_DEP_3) | instskip(SKIP_2) | instid1(VALU_DEP_3)
	v_fmaak_f32 v40, v40, v41, 0x3f2aaada
	v_ldexp_f32 v41, v38, 1
	v_sub_f32_e32 v38, v38, v39
	v_mul_f32_e32 v40, v42, v40
	v_mul_f32_e32 v42, 0x3f317218, v35
	s_delay_alu instid0(VALU_DEP_2) | instskip(NEXT) | instid1(VALU_DEP_1)
	v_dual_sub_f32 v36, v36, v38 :: v_dual_add_f32 v39, v41, v40
	v_ldexp_f32 v36, v36, 1
	s_delay_alu instid0(VALU_DEP_2) | instskip(NEXT) | instid1(VALU_DEP_4)
	v_sub_f32_e32 v38, v39, v41
	v_fma_f32 v41, 0x3f317218, v35, -v42
	s_delay_alu instid0(VALU_DEP_1) | instskip(NEXT) | instid1(VALU_DEP_1)
	v_dual_sub_f32 v38, v40, v38 :: v_dual_fmamk_f32 v35, v35, 0xb102e308, v41
	v_add_f32_e32 v36, v36, v38
	s_delay_alu instid0(VALU_DEP_2) | instskip(NEXT) | instid1(VALU_DEP_2)
	v_add_f32_e32 v38, v42, v35
	v_add_f32_e32 v40, v39, v36
	s_delay_alu instid0(VALU_DEP_2) | instskip(NEXT) | instid1(VALU_DEP_2)
	v_sub_f32_e32 v42, v38, v42
	v_add_f32_e32 v41, v38, v40
	v_sub_f32_e32 v39, v40, v39
	s_delay_alu instid0(VALU_DEP_3) | instskip(NEXT) | instid1(VALU_DEP_2)
	v_sub_f32_e32 v35, v35, v42
	v_dual_sub_f32 v43, v41, v38 :: v_dual_sub_f32 v36, v36, v39
	s_delay_alu instid0(VALU_DEP_1) | instskip(NEXT) | instid1(VALU_DEP_2)
	v_sub_f32_e32 v44, v41, v43
	v_dual_sub_f32 v39, v40, v43 :: v_dual_add_f32 v40, v35, v36
	s_delay_alu instid0(VALU_DEP_2) | instskip(NEXT) | instid1(VALU_DEP_1)
	v_sub_f32_e32 v38, v38, v44
	v_dual_add_f32 v38, v39, v38 :: v_dual_sub_f32 v39, v40, v35
	s_delay_alu instid0(VALU_DEP_1) | instskip(NEXT) | instid1(VALU_DEP_2)
	v_add_f32_e32 v38, v40, v38
	v_sub_f32_e32 v40, v40, v39
	v_sub_f32_e32 v36, v36, v39
	s_delay_alu instid0(VALU_DEP_2) | instskip(NEXT) | instid1(VALU_DEP_1)
	v_dual_add_f32 v42, v41, v38 :: v_dual_sub_f32 v35, v35, v40
	v_sub_f32_e32 v39, v42, v41
	s_delay_alu instid0(VALU_DEP_2) | instskip(NEXT) | instid1(VALU_DEP_2)
	v_add_f32_e32 v35, v36, v35
	v_sub_f32_e32 v36, v38, v39
	s_delay_alu instid0(VALU_DEP_1) | instskip(NEXT) | instid1(VALU_DEP_1)
	v_add_f32_e32 v35, v35, v36
	v_add_f32_e32 v35, v42, v35
	s_wait_alu 0xf1ff
	s_delay_alu instid0(VALU_DEP_1) | instskip(SKIP_2) | instid1(VALU_DEP_1)
	v_cndmask_b32_e64 v35, 0x7f800000, v35, s14
	v_cmp_gt_f32_e64 s14, 0x33800000, |v37|
	s_wait_alu 0xf1ff
	v_cndmask_b32_e64 v35, v35, v37, s14
	s_delay_alu instid0(VALU_DEP_1)
	v_add_f32_e32 v35, v34, v35
.LBB443_229:
	s_or_b32 exec_lo, exec_lo, s16
	ds_load_u16 v34, v30 offset:6
	v_bfe_u32 v36, v35, 16, 1
	v_cmp_o_f32_e64 s14, v35, v35
	s_delay_alu instid0(VALU_DEP_2) | instskip(SKIP_2) | instid1(VALU_DEP_1)
	v_add3_u32 v36, v35, v36, 0x7fff
	s_wait_dscnt 0x0
	v_lshlrev_b32_e32 v34, 16, v34
	v_dual_max_num_f32 v37, v34, v34 :: v_dual_and_b32 v36, 0xffff0000, v36
	s_wait_alu 0xf1ff
	s_delay_alu instid0(VALU_DEP_1) | instskip(NEXT) | instid1(VALU_DEP_1)
	v_cndmask_b32_e64 v35, 0x7fc00000, v36, s14
	v_max_num_f32_e32 v36, v35, v35
	v_cmp_u_f32_e64 s14, v35, v35
	s_delay_alu instid0(VALU_DEP_2) | instskip(SKIP_2) | instid1(VALU_DEP_2)
	v_min_num_f32_e32 v38, v36, v37
	v_max_num_f32_e32 v36, v36, v37
	s_wait_alu 0xf1ff
	v_cndmask_b32_e64 v37, v38, v35, s14
	s_delay_alu instid0(VALU_DEP_2) | instskip(SKIP_2) | instid1(VALU_DEP_1)
	v_cndmask_b32_e64 v38, v36, v35, s14
	v_cmp_u_f32_e64 s14, v34, v34
	s_wait_alu 0xf1ff
	v_cndmask_b32_e64 v36, v37, v34, s14
	s_delay_alu instid0(VALU_DEP_3) | instskip(NEXT) | instid1(VALU_DEP_2)
	v_cndmask_b32_e64 v34, v38, v34, s14
	v_cmp_class_f32_e64 s16, v36, 0x1f8
	s_delay_alu instid0(VALU_DEP_2)
	v_cmp_neq_f32_e64 s14, v36, v34
	s_or_b32 s14, s14, s16
	s_wait_alu 0xfffe
	s_and_saveexec_b32 s16, s14
	s_cbranch_execz .LBB443_231
; %bb.230:
	v_sub_f32_e32 v35, v36, v34
	s_delay_alu instid0(VALU_DEP_1) | instskip(SKIP_1) | instid1(VALU_DEP_2)
	v_mul_f32_e32 v36, 0x3fb8aa3b, v35
	v_cmp_ngt_f32_e64 s14, 0xc2ce8ed0, v35
	v_fma_f32 v37, 0x3fb8aa3b, v35, -v36
	v_rndne_f32_e32 v38, v36
	s_delay_alu instid0(VALU_DEP_1) | instskip(NEXT) | instid1(VALU_DEP_1)
	v_dual_fmamk_f32 v37, v35, 0x32a5705f, v37 :: v_dual_sub_f32 v36, v36, v38
	v_add_f32_e32 v36, v36, v37
	v_cvt_i32_f32_e32 v37, v38
	s_delay_alu instid0(VALU_DEP_2) | instskip(NEXT) | instid1(TRANS32_DEP_1)
	v_exp_f32_e32 v36, v36
	v_ldexp_f32 v36, v36, v37
	s_wait_alu 0xf1ff
	s_delay_alu instid0(VALU_DEP_1) | instskip(SKIP_2) | instid1(VALU_DEP_1)
	v_cndmask_b32_e64 v36, 0, v36, s14
	v_cmp_nlt_f32_e64 s14, 0x42b17218, v35
	s_wait_alu 0xf1ff
	v_cndmask_b32_e64 v37, 0x7f800000, v36, s14
	s_delay_alu instid0(VALU_DEP_1) | instskip(NEXT) | instid1(VALU_DEP_1)
	v_add_f32_e32 v38, 1.0, v37
	v_cvt_f64_f32_e32 v[35:36], v38
	s_delay_alu instid0(VALU_DEP_1) | instskip(SKIP_1) | instid1(VALU_DEP_1)
	v_frexp_exp_i32_f64_e32 v35, v[35:36]
	v_frexp_mant_f32_e32 v36, v38
	v_cmp_gt_f32_e64 s14, 0x3f2aaaab, v36
	v_add_f32_e32 v36, -1.0, v38
	s_delay_alu instid0(VALU_DEP_1)
	v_sub_f32_e32 v40, v36, v38
	v_sub_f32_e32 v36, v37, v36
	s_wait_alu 0xf1ff
	v_subrev_co_ci_u32_e64 v35, null, 0, v35, s14
	s_mov_b32 s14, 0x3e9b6dac
	v_sub_nc_u32_e32 v39, 0, v35
	v_cvt_f32_i32_e32 v35, v35
	s_delay_alu instid0(VALU_DEP_2) | instskip(NEXT) | instid1(VALU_DEP_1)
	v_ldexp_f32 v38, v38, v39
	v_dual_add_f32 v41, 1.0, v38 :: v_dual_add_f32 v40, 1.0, v40
	s_delay_alu instid0(VALU_DEP_1) | instskip(NEXT) | instid1(VALU_DEP_2)
	v_add_f32_e32 v36, v36, v40
	v_add_f32_e32 v40, -1.0, v41
	s_delay_alu instid0(VALU_DEP_2) | instskip(NEXT) | instid1(VALU_DEP_2)
	v_ldexp_f32 v36, v36, v39
	v_dual_add_f32 v39, -1.0, v38 :: v_dual_sub_f32 v40, v38, v40
	s_delay_alu instid0(VALU_DEP_1) | instskip(NEXT) | instid1(VALU_DEP_2)
	v_add_f32_e32 v42, 1.0, v39
	v_add_f32_e32 v40, v36, v40
	s_delay_alu instid0(VALU_DEP_2) | instskip(NEXT) | instid1(VALU_DEP_2)
	v_sub_f32_e32 v38, v38, v42
	v_add_f32_e32 v42, v41, v40
	s_delay_alu instid0(VALU_DEP_2) | instskip(NEXT) | instid1(VALU_DEP_2)
	v_add_f32_e32 v36, v36, v38
	v_rcp_f32_e32 v38, v42
	v_sub_f32_e32 v41, v41, v42
	s_delay_alu instid0(VALU_DEP_1) | instskip(NEXT) | instid1(VALU_DEP_1)
	v_dual_add_f32 v43, v39, v36 :: v_dual_add_f32 v40, v40, v41
	v_sub_f32_e32 v39, v39, v43
	s_delay_alu instid0(TRANS32_DEP_1) | instskip(NEXT) | instid1(VALU_DEP_1)
	v_mul_f32_e32 v44, v43, v38
	v_dual_add_f32 v36, v36, v39 :: v_dual_mul_f32 v45, v42, v44
	s_delay_alu instid0(VALU_DEP_1) | instskip(NEXT) | instid1(VALU_DEP_1)
	v_fma_f32 v41, v44, v42, -v45
	v_fmac_f32_e32 v41, v44, v40
	s_delay_alu instid0(VALU_DEP_1) | instskip(NEXT) | instid1(VALU_DEP_1)
	v_add_f32_e32 v46, v45, v41
	v_sub_f32_e32 v47, v43, v46
	v_sub_f32_e32 v39, v46, v45
	s_delay_alu instid0(VALU_DEP_2) | instskip(NEXT) | instid1(VALU_DEP_2)
	v_sub_f32_e32 v43, v43, v47
	v_sub_f32_e32 v39, v39, v41
	s_delay_alu instid0(VALU_DEP_2) | instskip(NEXT) | instid1(VALU_DEP_1)
	v_sub_f32_e32 v43, v43, v46
	v_add_f32_e32 v36, v36, v43
	s_delay_alu instid0(VALU_DEP_1) | instskip(NEXT) | instid1(VALU_DEP_1)
	v_add_f32_e32 v36, v39, v36
	v_add_f32_e32 v39, v47, v36
	s_delay_alu instid0(VALU_DEP_1) | instskip(NEXT) | instid1(VALU_DEP_1)
	v_mul_f32_e32 v41, v38, v39
	v_dual_sub_f32 v46, v47, v39 :: v_dual_mul_f32 v43, v42, v41
	s_delay_alu instid0(VALU_DEP_1) | instskip(NEXT) | instid1(VALU_DEP_2)
	v_add_f32_e32 v36, v36, v46
	v_fma_f32 v42, v41, v42, -v43
	s_delay_alu instid0(VALU_DEP_1) | instskip(NEXT) | instid1(VALU_DEP_1)
	v_fmac_f32_e32 v42, v41, v40
	v_add_f32_e32 v40, v43, v42
	s_delay_alu instid0(VALU_DEP_1) | instskip(SKIP_1) | instid1(VALU_DEP_2)
	v_sub_f32_e32 v45, v39, v40
	v_sub_f32_e32 v43, v40, v43
	;; [unrolled: 1-line block ×3, first 2 shown]
	s_delay_alu instid0(VALU_DEP_1) | instskip(NEXT) | instid1(VALU_DEP_3)
	v_sub_f32_e32 v39, v39, v40
	v_sub_f32_e32 v40, v43, v42
	s_delay_alu instid0(VALU_DEP_2) | instskip(SKIP_1) | instid1(VALU_DEP_2)
	v_add_f32_e32 v36, v36, v39
	v_add_f32_e32 v39, v44, v41
	;; [unrolled: 1-line block ×3, first 2 shown]
	s_delay_alu instid0(VALU_DEP_2) | instskip(NEXT) | instid1(VALU_DEP_2)
	v_sub_f32_e32 v40, v39, v44
	v_add_f32_e32 v36, v45, v36
	s_delay_alu instid0(VALU_DEP_2) | instskip(NEXT) | instid1(VALU_DEP_2)
	v_sub_f32_e32 v40, v41, v40
	v_mul_f32_e32 v36, v38, v36
	s_delay_alu instid0(VALU_DEP_1) | instskip(NEXT) | instid1(VALU_DEP_1)
	v_add_f32_e32 v36, v40, v36
	v_add_f32_e32 v38, v39, v36
	s_delay_alu instid0(VALU_DEP_1) | instskip(SKIP_1) | instid1(VALU_DEP_1)
	v_mul_f32_e32 v40, v38, v38
	s_wait_alu 0xfffe
	v_fmaak_f32 v41, s14, v40, 0x3ecc95a3
	v_mul_f32_e32 v42, v38, v40
	v_cmp_neq_f32_e64 s14, 0x7f800000, v37
	s_delay_alu instid0(VALU_DEP_3) | instskip(SKIP_2) | instid1(VALU_DEP_3)
	v_fmaak_f32 v40, v40, v41, 0x3f2aaada
	v_ldexp_f32 v41, v38, 1
	v_sub_f32_e32 v38, v38, v39
	v_mul_f32_e32 v40, v42, v40
	v_mul_f32_e32 v42, 0x3f317218, v35
	s_delay_alu instid0(VALU_DEP_2) | instskip(NEXT) | instid1(VALU_DEP_1)
	v_dual_sub_f32 v36, v36, v38 :: v_dual_add_f32 v39, v41, v40
	v_ldexp_f32 v36, v36, 1
	s_delay_alu instid0(VALU_DEP_2) | instskip(NEXT) | instid1(VALU_DEP_4)
	v_sub_f32_e32 v38, v39, v41
	v_fma_f32 v41, 0x3f317218, v35, -v42
	s_delay_alu instid0(VALU_DEP_1) | instskip(NEXT) | instid1(VALU_DEP_1)
	v_dual_sub_f32 v38, v40, v38 :: v_dual_fmamk_f32 v35, v35, 0xb102e308, v41
	v_add_f32_e32 v36, v36, v38
	s_delay_alu instid0(VALU_DEP_2) | instskip(NEXT) | instid1(VALU_DEP_2)
	v_add_f32_e32 v38, v42, v35
	v_add_f32_e32 v40, v39, v36
	s_delay_alu instid0(VALU_DEP_2) | instskip(NEXT) | instid1(VALU_DEP_2)
	v_sub_f32_e32 v42, v38, v42
	v_add_f32_e32 v41, v38, v40
	v_sub_f32_e32 v39, v40, v39
	s_delay_alu instid0(VALU_DEP_3) | instskip(NEXT) | instid1(VALU_DEP_2)
	v_sub_f32_e32 v35, v35, v42
	v_dual_sub_f32 v43, v41, v38 :: v_dual_sub_f32 v36, v36, v39
	s_delay_alu instid0(VALU_DEP_1) | instskip(NEXT) | instid1(VALU_DEP_2)
	v_sub_f32_e32 v44, v41, v43
	v_dual_sub_f32 v39, v40, v43 :: v_dual_add_f32 v40, v35, v36
	s_delay_alu instid0(VALU_DEP_2) | instskip(NEXT) | instid1(VALU_DEP_1)
	v_sub_f32_e32 v38, v38, v44
	v_dual_add_f32 v38, v39, v38 :: v_dual_sub_f32 v39, v40, v35
	s_delay_alu instid0(VALU_DEP_1) | instskip(NEXT) | instid1(VALU_DEP_2)
	v_add_f32_e32 v38, v40, v38
	v_sub_f32_e32 v40, v40, v39
	v_sub_f32_e32 v36, v36, v39
	s_delay_alu instid0(VALU_DEP_2) | instskip(NEXT) | instid1(VALU_DEP_1)
	v_dual_add_f32 v42, v41, v38 :: v_dual_sub_f32 v35, v35, v40
	v_sub_f32_e32 v39, v42, v41
	s_delay_alu instid0(VALU_DEP_2) | instskip(NEXT) | instid1(VALU_DEP_2)
	v_add_f32_e32 v35, v36, v35
	v_sub_f32_e32 v36, v38, v39
	s_delay_alu instid0(VALU_DEP_1) | instskip(NEXT) | instid1(VALU_DEP_1)
	v_add_f32_e32 v35, v35, v36
	v_add_f32_e32 v35, v42, v35
	s_wait_alu 0xf1ff
	s_delay_alu instid0(VALU_DEP_1) | instskip(SKIP_2) | instid1(VALU_DEP_1)
	v_cndmask_b32_e64 v35, 0x7f800000, v35, s14
	v_cmp_gt_f32_e64 s14, 0x33800000, |v37|
	s_wait_alu 0xf1ff
	v_cndmask_b32_e64 v35, v35, v37, s14
	s_delay_alu instid0(VALU_DEP_1)
	v_add_f32_e32 v35, v34, v35
.LBB443_231:
	s_or_b32 exec_lo, exec_lo, s16
	ds_load_u16 v34, v30 offset:8
	v_bfe_u32 v36, v35, 16, 1
	v_cmp_o_f32_e64 s14, v35, v35
	s_delay_alu instid0(VALU_DEP_2) | instskip(SKIP_2) | instid1(VALU_DEP_1)
	v_add3_u32 v36, v35, v36, 0x7fff
	s_wait_dscnt 0x0
	v_lshlrev_b32_e32 v34, 16, v34
	v_dual_max_num_f32 v37, v34, v34 :: v_dual_and_b32 v36, 0xffff0000, v36
	s_wait_alu 0xf1ff
	s_delay_alu instid0(VALU_DEP_1) | instskip(NEXT) | instid1(VALU_DEP_1)
	v_cndmask_b32_e64 v35, 0x7fc00000, v36, s14
	v_max_num_f32_e32 v36, v35, v35
	v_cmp_u_f32_e64 s14, v35, v35
	s_delay_alu instid0(VALU_DEP_2) | instskip(SKIP_2) | instid1(VALU_DEP_2)
	v_min_num_f32_e32 v38, v36, v37
	v_max_num_f32_e32 v36, v36, v37
	s_wait_alu 0xf1ff
	v_cndmask_b32_e64 v37, v38, v35, s14
	s_delay_alu instid0(VALU_DEP_2) | instskip(SKIP_2) | instid1(VALU_DEP_1)
	v_cndmask_b32_e64 v38, v36, v35, s14
	v_cmp_u_f32_e64 s14, v34, v34
	s_wait_alu 0xf1ff
	v_cndmask_b32_e64 v36, v37, v34, s14
	s_delay_alu instid0(VALU_DEP_3) | instskip(NEXT) | instid1(VALU_DEP_2)
	v_cndmask_b32_e64 v34, v38, v34, s14
	v_cmp_class_f32_e64 s16, v36, 0x1f8
	s_delay_alu instid0(VALU_DEP_2)
	v_cmp_neq_f32_e64 s14, v36, v34
	s_or_b32 s14, s14, s16
	s_wait_alu 0xfffe
	s_and_saveexec_b32 s16, s14
	s_cbranch_execz .LBB443_233
; %bb.232:
	v_sub_f32_e32 v35, v36, v34
	s_delay_alu instid0(VALU_DEP_1) | instskip(SKIP_1) | instid1(VALU_DEP_2)
	v_mul_f32_e32 v36, 0x3fb8aa3b, v35
	v_cmp_ngt_f32_e64 s14, 0xc2ce8ed0, v35
	v_fma_f32 v37, 0x3fb8aa3b, v35, -v36
	v_rndne_f32_e32 v38, v36
	s_delay_alu instid0(VALU_DEP_1) | instskip(NEXT) | instid1(VALU_DEP_1)
	v_dual_fmamk_f32 v37, v35, 0x32a5705f, v37 :: v_dual_sub_f32 v36, v36, v38
	v_add_f32_e32 v36, v36, v37
	v_cvt_i32_f32_e32 v37, v38
	s_delay_alu instid0(VALU_DEP_2) | instskip(NEXT) | instid1(TRANS32_DEP_1)
	v_exp_f32_e32 v36, v36
	v_ldexp_f32 v36, v36, v37
	s_wait_alu 0xf1ff
	s_delay_alu instid0(VALU_DEP_1) | instskip(SKIP_2) | instid1(VALU_DEP_1)
	v_cndmask_b32_e64 v36, 0, v36, s14
	v_cmp_nlt_f32_e64 s14, 0x42b17218, v35
	s_wait_alu 0xf1ff
	v_cndmask_b32_e64 v37, 0x7f800000, v36, s14
	s_delay_alu instid0(VALU_DEP_1) | instskip(NEXT) | instid1(VALU_DEP_1)
	v_add_f32_e32 v38, 1.0, v37
	v_cvt_f64_f32_e32 v[35:36], v38
	s_delay_alu instid0(VALU_DEP_1) | instskip(SKIP_1) | instid1(VALU_DEP_1)
	v_frexp_exp_i32_f64_e32 v35, v[35:36]
	v_frexp_mant_f32_e32 v36, v38
	v_cmp_gt_f32_e64 s14, 0x3f2aaaab, v36
	v_add_f32_e32 v36, -1.0, v38
	s_delay_alu instid0(VALU_DEP_1)
	v_sub_f32_e32 v40, v36, v38
	v_sub_f32_e32 v36, v37, v36
	s_wait_alu 0xf1ff
	v_subrev_co_ci_u32_e64 v35, null, 0, v35, s14
	s_mov_b32 s14, 0x3e9b6dac
	v_sub_nc_u32_e32 v39, 0, v35
	v_cvt_f32_i32_e32 v35, v35
	s_delay_alu instid0(VALU_DEP_2) | instskip(NEXT) | instid1(VALU_DEP_1)
	v_ldexp_f32 v38, v38, v39
	v_dual_add_f32 v41, 1.0, v38 :: v_dual_add_f32 v40, 1.0, v40
	s_delay_alu instid0(VALU_DEP_1) | instskip(NEXT) | instid1(VALU_DEP_2)
	v_add_f32_e32 v36, v36, v40
	v_add_f32_e32 v40, -1.0, v41
	s_delay_alu instid0(VALU_DEP_2) | instskip(NEXT) | instid1(VALU_DEP_2)
	v_ldexp_f32 v36, v36, v39
	v_dual_add_f32 v39, -1.0, v38 :: v_dual_sub_f32 v40, v38, v40
	s_delay_alu instid0(VALU_DEP_1) | instskip(NEXT) | instid1(VALU_DEP_2)
	v_add_f32_e32 v42, 1.0, v39
	v_add_f32_e32 v40, v36, v40
	s_delay_alu instid0(VALU_DEP_2) | instskip(NEXT) | instid1(VALU_DEP_2)
	v_sub_f32_e32 v38, v38, v42
	v_add_f32_e32 v42, v41, v40
	s_delay_alu instid0(VALU_DEP_2) | instskip(NEXT) | instid1(VALU_DEP_2)
	v_add_f32_e32 v36, v36, v38
	v_rcp_f32_e32 v38, v42
	v_sub_f32_e32 v41, v41, v42
	s_delay_alu instid0(VALU_DEP_1) | instskip(NEXT) | instid1(VALU_DEP_1)
	v_dual_add_f32 v43, v39, v36 :: v_dual_add_f32 v40, v40, v41
	v_sub_f32_e32 v39, v39, v43
	s_delay_alu instid0(TRANS32_DEP_1) | instskip(NEXT) | instid1(VALU_DEP_1)
	v_mul_f32_e32 v44, v43, v38
	v_dual_add_f32 v36, v36, v39 :: v_dual_mul_f32 v45, v42, v44
	s_delay_alu instid0(VALU_DEP_1) | instskip(NEXT) | instid1(VALU_DEP_1)
	v_fma_f32 v41, v44, v42, -v45
	v_fmac_f32_e32 v41, v44, v40
	s_delay_alu instid0(VALU_DEP_1) | instskip(NEXT) | instid1(VALU_DEP_1)
	v_add_f32_e32 v46, v45, v41
	v_sub_f32_e32 v47, v43, v46
	v_sub_f32_e32 v39, v46, v45
	s_delay_alu instid0(VALU_DEP_2) | instskip(NEXT) | instid1(VALU_DEP_2)
	v_sub_f32_e32 v43, v43, v47
	v_sub_f32_e32 v39, v39, v41
	s_delay_alu instid0(VALU_DEP_2) | instskip(NEXT) | instid1(VALU_DEP_1)
	v_sub_f32_e32 v43, v43, v46
	v_add_f32_e32 v36, v36, v43
	s_delay_alu instid0(VALU_DEP_1) | instskip(NEXT) | instid1(VALU_DEP_1)
	v_add_f32_e32 v36, v39, v36
	v_add_f32_e32 v39, v47, v36
	s_delay_alu instid0(VALU_DEP_1) | instskip(NEXT) | instid1(VALU_DEP_1)
	v_mul_f32_e32 v41, v38, v39
	v_dual_sub_f32 v46, v47, v39 :: v_dual_mul_f32 v43, v42, v41
	s_delay_alu instid0(VALU_DEP_1) | instskip(NEXT) | instid1(VALU_DEP_2)
	v_add_f32_e32 v36, v36, v46
	v_fma_f32 v42, v41, v42, -v43
	s_delay_alu instid0(VALU_DEP_1) | instskip(NEXT) | instid1(VALU_DEP_1)
	v_fmac_f32_e32 v42, v41, v40
	v_add_f32_e32 v40, v43, v42
	s_delay_alu instid0(VALU_DEP_1) | instskip(SKIP_1) | instid1(VALU_DEP_2)
	v_sub_f32_e32 v45, v39, v40
	v_sub_f32_e32 v43, v40, v43
	;; [unrolled: 1-line block ×3, first 2 shown]
	s_delay_alu instid0(VALU_DEP_1) | instskip(NEXT) | instid1(VALU_DEP_3)
	v_sub_f32_e32 v39, v39, v40
	v_sub_f32_e32 v40, v43, v42
	s_delay_alu instid0(VALU_DEP_2) | instskip(SKIP_1) | instid1(VALU_DEP_2)
	v_add_f32_e32 v36, v36, v39
	v_add_f32_e32 v39, v44, v41
	;; [unrolled: 1-line block ×3, first 2 shown]
	s_delay_alu instid0(VALU_DEP_2) | instskip(NEXT) | instid1(VALU_DEP_2)
	v_sub_f32_e32 v40, v39, v44
	v_add_f32_e32 v36, v45, v36
	s_delay_alu instid0(VALU_DEP_2) | instskip(NEXT) | instid1(VALU_DEP_2)
	v_sub_f32_e32 v40, v41, v40
	v_mul_f32_e32 v36, v38, v36
	s_delay_alu instid0(VALU_DEP_1) | instskip(NEXT) | instid1(VALU_DEP_1)
	v_add_f32_e32 v36, v40, v36
	v_add_f32_e32 v38, v39, v36
	s_delay_alu instid0(VALU_DEP_1) | instskip(SKIP_1) | instid1(VALU_DEP_1)
	v_mul_f32_e32 v40, v38, v38
	s_wait_alu 0xfffe
	v_fmaak_f32 v41, s14, v40, 0x3ecc95a3
	v_mul_f32_e32 v42, v38, v40
	v_cmp_neq_f32_e64 s14, 0x7f800000, v37
	s_delay_alu instid0(VALU_DEP_3) | instskip(SKIP_2) | instid1(VALU_DEP_3)
	v_fmaak_f32 v40, v40, v41, 0x3f2aaada
	v_ldexp_f32 v41, v38, 1
	v_sub_f32_e32 v38, v38, v39
	v_mul_f32_e32 v40, v42, v40
	v_mul_f32_e32 v42, 0x3f317218, v35
	s_delay_alu instid0(VALU_DEP_2) | instskip(NEXT) | instid1(VALU_DEP_1)
	v_dual_sub_f32 v36, v36, v38 :: v_dual_add_f32 v39, v41, v40
	v_ldexp_f32 v36, v36, 1
	s_delay_alu instid0(VALU_DEP_2) | instskip(NEXT) | instid1(VALU_DEP_4)
	v_sub_f32_e32 v38, v39, v41
	v_fma_f32 v41, 0x3f317218, v35, -v42
	s_delay_alu instid0(VALU_DEP_1) | instskip(NEXT) | instid1(VALU_DEP_1)
	v_dual_sub_f32 v38, v40, v38 :: v_dual_fmamk_f32 v35, v35, 0xb102e308, v41
	v_add_f32_e32 v36, v36, v38
	s_delay_alu instid0(VALU_DEP_2) | instskip(NEXT) | instid1(VALU_DEP_2)
	v_add_f32_e32 v38, v42, v35
	v_add_f32_e32 v40, v39, v36
	s_delay_alu instid0(VALU_DEP_2) | instskip(NEXT) | instid1(VALU_DEP_2)
	v_sub_f32_e32 v42, v38, v42
	v_add_f32_e32 v41, v38, v40
	v_sub_f32_e32 v39, v40, v39
	s_delay_alu instid0(VALU_DEP_3) | instskip(NEXT) | instid1(VALU_DEP_2)
	v_sub_f32_e32 v35, v35, v42
	v_dual_sub_f32 v43, v41, v38 :: v_dual_sub_f32 v36, v36, v39
	s_delay_alu instid0(VALU_DEP_1) | instskip(NEXT) | instid1(VALU_DEP_2)
	v_sub_f32_e32 v44, v41, v43
	v_dual_sub_f32 v39, v40, v43 :: v_dual_add_f32 v40, v35, v36
	s_delay_alu instid0(VALU_DEP_2) | instskip(NEXT) | instid1(VALU_DEP_1)
	v_sub_f32_e32 v38, v38, v44
	v_dual_add_f32 v38, v39, v38 :: v_dual_sub_f32 v39, v40, v35
	s_delay_alu instid0(VALU_DEP_1) | instskip(NEXT) | instid1(VALU_DEP_2)
	v_add_f32_e32 v38, v40, v38
	v_sub_f32_e32 v40, v40, v39
	v_sub_f32_e32 v36, v36, v39
	s_delay_alu instid0(VALU_DEP_2) | instskip(NEXT) | instid1(VALU_DEP_1)
	v_dual_add_f32 v42, v41, v38 :: v_dual_sub_f32 v35, v35, v40
	v_sub_f32_e32 v39, v42, v41
	s_delay_alu instid0(VALU_DEP_2) | instskip(NEXT) | instid1(VALU_DEP_2)
	v_add_f32_e32 v35, v36, v35
	v_sub_f32_e32 v36, v38, v39
	s_delay_alu instid0(VALU_DEP_1) | instskip(NEXT) | instid1(VALU_DEP_1)
	v_add_f32_e32 v35, v35, v36
	v_add_f32_e32 v35, v42, v35
	s_wait_alu 0xf1ff
	s_delay_alu instid0(VALU_DEP_1) | instskip(SKIP_2) | instid1(VALU_DEP_1)
	v_cndmask_b32_e64 v35, 0x7f800000, v35, s14
	v_cmp_gt_f32_e64 s14, 0x33800000, |v37|
	s_wait_alu 0xf1ff
	v_cndmask_b32_e64 v35, v35, v37, s14
	s_delay_alu instid0(VALU_DEP_1)
	v_add_f32_e32 v35, v34, v35
.LBB443_233:
	s_or_b32 exec_lo, exec_lo, s16
	ds_load_u16 v34, v30 offset:10
	v_bfe_u32 v36, v35, 16, 1
	v_cmp_o_f32_e64 s14, v35, v35
	s_delay_alu instid0(VALU_DEP_2) | instskip(SKIP_2) | instid1(VALU_DEP_1)
	v_add3_u32 v36, v35, v36, 0x7fff
	s_wait_dscnt 0x0
	v_lshlrev_b32_e32 v34, 16, v34
	v_dual_max_num_f32 v37, v34, v34 :: v_dual_and_b32 v36, 0xffff0000, v36
	s_wait_alu 0xf1ff
	s_delay_alu instid0(VALU_DEP_1) | instskip(NEXT) | instid1(VALU_DEP_1)
	v_cndmask_b32_e64 v35, 0x7fc00000, v36, s14
	v_max_num_f32_e32 v36, v35, v35
	v_cmp_u_f32_e64 s14, v35, v35
	s_delay_alu instid0(VALU_DEP_2) | instskip(SKIP_2) | instid1(VALU_DEP_2)
	v_min_num_f32_e32 v38, v36, v37
	v_max_num_f32_e32 v36, v36, v37
	s_wait_alu 0xf1ff
	v_cndmask_b32_e64 v37, v38, v35, s14
	s_delay_alu instid0(VALU_DEP_2) | instskip(SKIP_2) | instid1(VALU_DEP_1)
	v_cndmask_b32_e64 v38, v36, v35, s14
	v_cmp_u_f32_e64 s14, v34, v34
	s_wait_alu 0xf1ff
	v_cndmask_b32_e64 v36, v37, v34, s14
	s_delay_alu instid0(VALU_DEP_3) | instskip(NEXT) | instid1(VALU_DEP_2)
	v_cndmask_b32_e64 v34, v38, v34, s14
	v_cmp_class_f32_e64 s16, v36, 0x1f8
	s_delay_alu instid0(VALU_DEP_2)
	v_cmp_neq_f32_e64 s14, v36, v34
	s_or_b32 s14, s14, s16
	s_wait_alu 0xfffe
	s_and_saveexec_b32 s16, s14
	s_cbranch_execz .LBB443_235
; %bb.234:
	v_sub_f32_e32 v35, v36, v34
	s_delay_alu instid0(VALU_DEP_1) | instskip(SKIP_1) | instid1(VALU_DEP_2)
	v_mul_f32_e32 v36, 0x3fb8aa3b, v35
	v_cmp_ngt_f32_e64 s14, 0xc2ce8ed0, v35
	v_fma_f32 v37, 0x3fb8aa3b, v35, -v36
	v_rndne_f32_e32 v38, v36
	s_delay_alu instid0(VALU_DEP_1) | instskip(NEXT) | instid1(VALU_DEP_1)
	v_dual_fmamk_f32 v37, v35, 0x32a5705f, v37 :: v_dual_sub_f32 v36, v36, v38
	v_add_f32_e32 v36, v36, v37
	v_cvt_i32_f32_e32 v37, v38
	s_delay_alu instid0(VALU_DEP_2) | instskip(NEXT) | instid1(TRANS32_DEP_1)
	v_exp_f32_e32 v36, v36
	v_ldexp_f32 v36, v36, v37
	s_wait_alu 0xf1ff
	s_delay_alu instid0(VALU_DEP_1) | instskip(SKIP_2) | instid1(VALU_DEP_1)
	v_cndmask_b32_e64 v36, 0, v36, s14
	v_cmp_nlt_f32_e64 s14, 0x42b17218, v35
	s_wait_alu 0xf1ff
	v_cndmask_b32_e64 v37, 0x7f800000, v36, s14
	s_delay_alu instid0(VALU_DEP_1) | instskip(NEXT) | instid1(VALU_DEP_1)
	v_add_f32_e32 v38, 1.0, v37
	v_cvt_f64_f32_e32 v[35:36], v38
	s_delay_alu instid0(VALU_DEP_1) | instskip(SKIP_1) | instid1(VALU_DEP_1)
	v_frexp_exp_i32_f64_e32 v35, v[35:36]
	v_frexp_mant_f32_e32 v36, v38
	v_cmp_gt_f32_e64 s14, 0x3f2aaaab, v36
	v_add_f32_e32 v36, -1.0, v38
	s_delay_alu instid0(VALU_DEP_1)
	v_sub_f32_e32 v40, v36, v38
	v_sub_f32_e32 v36, v37, v36
	s_wait_alu 0xf1ff
	v_subrev_co_ci_u32_e64 v35, null, 0, v35, s14
	s_mov_b32 s14, 0x3e9b6dac
	v_sub_nc_u32_e32 v39, 0, v35
	v_cvt_f32_i32_e32 v35, v35
	s_delay_alu instid0(VALU_DEP_2) | instskip(NEXT) | instid1(VALU_DEP_1)
	v_ldexp_f32 v38, v38, v39
	v_dual_add_f32 v41, 1.0, v38 :: v_dual_add_f32 v40, 1.0, v40
	s_delay_alu instid0(VALU_DEP_1) | instskip(NEXT) | instid1(VALU_DEP_2)
	v_add_f32_e32 v36, v36, v40
	v_add_f32_e32 v40, -1.0, v41
	s_delay_alu instid0(VALU_DEP_2) | instskip(NEXT) | instid1(VALU_DEP_2)
	v_ldexp_f32 v36, v36, v39
	v_dual_add_f32 v39, -1.0, v38 :: v_dual_sub_f32 v40, v38, v40
	s_delay_alu instid0(VALU_DEP_1) | instskip(NEXT) | instid1(VALU_DEP_2)
	v_add_f32_e32 v42, 1.0, v39
	v_add_f32_e32 v40, v36, v40
	s_delay_alu instid0(VALU_DEP_2) | instskip(NEXT) | instid1(VALU_DEP_2)
	v_sub_f32_e32 v38, v38, v42
	v_add_f32_e32 v42, v41, v40
	s_delay_alu instid0(VALU_DEP_2) | instskip(NEXT) | instid1(VALU_DEP_2)
	v_add_f32_e32 v36, v36, v38
	v_rcp_f32_e32 v38, v42
	v_sub_f32_e32 v41, v41, v42
	s_delay_alu instid0(VALU_DEP_1) | instskip(NEXT) | instid1(VALU_DEP_1)
	v_dual_add_f32 v43, v39, v36 :: v_dual_add_f32 v40, v40, v41
	v_sub_f32_e32 v39, v39, v43
	s_delay_alu instid0(TRANS32_DEP_1) | instskip(NEXT) | instid1(VALU_DEP_1)
	v_mul_f32_e32 v44, v43, v38
	v_dual_add_f32 v36, v36, v39 :: v_dual_mul_f32 v45, v42, v44
	s_delay_alu instid0(VALU_DEP_1) | instskip(NEXT) | instid1(VALU_DEP_1)
	v_fma_f32 v41, v44, v42, -v45
	v_fmac_f32_e32 v41, v44, v40
	s_delay_alu instid0(VALU_DEP_1) | instskip(NEXT) | instid1(VALU_DEP_1)
	v_add_f32_e32 v46, v45, v41
	v_sub_f32_e32 v47, v43, v46
	v_sub_f32_e32 v39, v46, v45
	s_delay_alu instid0(VALU_DEP_2) | instskip(NEXT) | instid1(VALU_DEP_2)
	v_sub_f32_e32 v43, v43, v47
	v_sub_f32_e32 v39, v39, v41
	s_delay_alu instid0(VALU_DEP_2) | instskip(NEXT) | instid1(VALU_DEP_1)
	v_sub_f32_e32 v43, v43, v46
	v_add_f32_e32 v36, v36, v43
	s_delay_alu instid0(VALU_DEP_1) | instskip(NEXT) | instid1(VALU_DEP_1)
	v_add_f32_e32 v36, v39, v36
	v_add_f32_e32 v39, v47, v36
	s_delay_alu instid0(VALU_DEP_1) | instskip(NEXT) | instid1(VALU_DEP_1)
	v_mul_f32_e32 v41, v38, v39
	v_dual_sub_f32 v46, v47, v39 :: v_dual_mul_f32 v43, v42, v41
	s_delay_alu instid0(VALU_DEP_1) | instskip(NEXT) | instid1(VALU_DEP_2)
	v_add_f32_e32 v36, v36, v46
	v_fma_f32 v42, v41, v42, -v43
	s_delay_alu instid0(VALU_DEP_1) | instskip(NEXT) | instid1(VALU_DEP_1)
	v_fmac_f32_e32 v42, v41, v40
	v_add_f32_e32 v40, v43, v42
	s_delay_alu instid0(VALU_DEP_1) | instskip(SKIP_1) | instid1(VALU_DEP_2)
	v_sub_f32_e32 v45, v39, v40
	v_sub_f32_e32 v43, v40, v43
	;; [unrolled: 1-line block ×3, first 2 shown]
	s_delay_alu instid0(VALU_DEP_1) | instskip(NEXT) | instid1(VALU_DEP_3)
	v_sub_f32_e32 v39, v39, v40
	v_sub_f32_e32 v40, v43, v42
	s_delay_alu instid0(VALU_DEP_2) | instskip(SKIP_1) | instid1(VALU_DEP_2)
	v_add_f32_e32 v36, v36, v39
	v_add_f32_e32 v39, v44, v41
	;; [unrolled: 1-line block ×3, first 2 shown]
	s_delay_alu instid0(VALU_DEP_2) | instskip(NEXT) | instid1(VALU_DEP_2)
	v_sub_f32_e32 v40, v39, v44
	v_add_f32_e32 v36, v45, v36
	s_delay_alu instid0(VALU_DEP_2) | instskip(NEXT) | instid1(VALU_DEP_2)
	v_sub_f32_e32 v40, v41, v40
	v_mul_f32_e32 v36, v38, v36
	s_delay_alu instid0(VALU_DEP_1) | instskip(NEXT) | instid1(VALU_DEP_1)
	v_add_f32_e32 v36, v40, v36
	v_add_f32_e32 v38, v39, v36
	s_delay_alu instid0(VALU_DEP_1) | instskip(SKIP_1) | instid1(VALU_DEP_1)
	v_mul_f32_e32 v40, v38, v38
	s_wait_alu 0xfffe
	v_fmaak_f32 v41, s14, v40, 0x3ecc95a3
	v_mul_f32_e32 v42, v38, v40
	v_cmp_neq_f32_e64 s14, 0x7f800000, v37
	s_delay_alu instid0(VALU_DEP_3) | instskip(SKIP_2) | instid1(VALU_DEP_3)
	v_fmaak_f32 v40, v40, v41, 0x3f2aaada
	v_ldexp_f32 v41, v38, 1
	v_sub_f32_e32 v38, v38, v39
	v_mul_f32_e32 v40, v42, v40
	v_mul_f32_e32 v42, 0x3f317218, v35
	s_delay_alu instid0(VALU_DEP_2) | instskip(NEXT) | instid1(VALU_DEP_1)
	v_dual_sub_f32 v36, v36, v38 :: v_dual_add_f32 v39, v41, v40
	v_ldexp_f32 v36, v36, 1
	s_delay_alu instid0(VALU_DEP_2) | instskip(NEXT) | instid1(VALU_DEP_4)
	v_sub_f32_e32 v38, v39, v41
	v_fma_f32 v41, 0x3f317218, v35, -v42
	s_delay_alu instid0(VALU_DEP_1) | instskip(NEXT) | instid1(VALU_DEP_1)
	v_dual_sub_f32 v38, v40, v38 :: v_dual_fmamk_f32 v35, v35, 0xb102e308, v41
	v_add_f32_e32 v36, v36, v38
	s_delay_alu instid0(VALU_DEP_2) | instskip(NEXT) | instid1(VALU_DEP_2)
	v_add_f32_e32 v38, v42, v35
	v_add_f32_e32 v40, v39, v36
	s_delay_alu instid0(VALU_DEP_2) | instskip(NEXT) | instid1(VALU_DEP_2)
	v_sub_f32_e32 v42, v38, v42
	v_add_f32_e32 v41, v38, v40
	v_sub_f32_e32 v39, v40, v39
	s_delay_alu instid0(VALU_DEP_3) | instskip(NEXT) | instid1(VALU_DEP_2)
	v_sub_f32_e32 v35, v35, v42
	v_dual_sub_f32 v43, v41, v38 :: v_dual_sub_f32 v36, v36, v39
	s_delay_alu instid0(VALU_DEP_1) | instskip(NEXT) | instid1(VALU_DEP_2)
	v_sub_f32_e32 v44, v41, v43
	v_dual_sub_f32 v39, v40, v43 :: v_dual_add_f32 v40, v35, v36
	s_delay_alu instid0(VALU_DEP_2) | instskip(NEXT) | instid1(VALU_DEP_1)
	v_sub_f32_e32 v38, v38, v44
	v_dual_add_f32 v38, v39, v38 :: v_dual_sub_f32 v39, v40, v35
	s_delay_alu instid0(VALU_DEP_1) | instskip(NEXT) | instid1(VALU_DEP_2)
	v_add_f32_e32 v38, v40, v38
	v_sub_f32_e32 v40, v40, v39
	v_sub_f32_e32 v36, v36, v39
	s_delay_alu instid0(VALU_DEP_2) | instskip(NEXT) | instid1(VALU_DEP_1)
	v_dual_add_f32 v42, v41, v38 :: v_dual_sub_f32 v35, v35, v40
	v_sub_f32_e32 v39, v42, v41
	s_delay_alu instid0(VALU_DEP_2) | instskip(NEXT) | instid1(VALU_DEP_2)
	v_add_f32_e32 v35, v36, v35
	v_sub_f32_e32 v36, v38, v39
	s_delay_alu instid0(VALU_DEP_1) | instskip(NEXT) | instid1(VALU_DEP_1)
	v_add_f32_e32 v35, v35, v36
	v_add_f32_e32 v35, v42, v35
	s_wait_alu 0xf1ff
	s_delay_alu instid0(VALU_DEP_1) | instskip(SKIP_2) | instid1(VALU_DEP_1)
	v_cndmask_b32_e64 v35, 0x7f800000, v35, s14
	v_cmp_gt_f32_e64 s14, 0x33800000, |v37|
	s_wait_alu 0xf1ff
	v_cndmask_b32_e64 v35, v35, v37, s14
	s_delay_alu instid0(VALU_DEP_1)
	v_add_f32_e32 v35, v34, v35
.LBB443_235:
	s_or_b32 exec_lo, exec_lo, s16
	ds_load_u16 v34, v30 offset:12
	v_bfe_u32 v36, v35, 16, 1
	v_cmp_o_f32_e64 s14, v35, v35
	s_delay_alu instid0(VALU_DEP_2) | instskip(SKIP_2) | instid1(VALU_DEP_1)
	v_add3_u32 v36, v35, v36, 0x7fff
	s_wait_dscnt 0x0
	v_lshlrev_b32_e32 v34, 16, v34
	v_dual_max_num_f32 v37, v34, v34 :: v_dual_and_b32 v36, 0xffff0000, v36
	s_wait_alu 0xf1ff
	s_delay_alu instid0(VALU_DEP_1) | instskip(NEXT) | instid1(VALU_DEP_1)
	v_cndmask_b32_e64 v35, 0x7fc00000, v36, s14
	v_max_num_f32_e32 v36, v35, v35
	v_cmp_u_f32_e64 s14, v35, v35
	s_delay_alu instid0(VALU_DEP_2) | instskip(SKIP_2) | instid1(VALU_DEP_2)
	v_min_num_f32_e32 v38, v36, v37
	v_max_num_f32_e32 v36, v36, v37
	s_wait_alu 0xf1ff
	v_cndmask_b32_e64 v37, v38, v35, s14
	s_delay_alu instid0(VALU_DEP_2) | instskip(SKIP_2) | instid1(VALU_DEP_1)
	v_cndmask_b32_e64 v38, v36, v35, s14
	v_cmp_u_f32_e64 s14, v34, v34
	s_wait_alu 0xf1ff
	v_cndmask_b32_e64 v36, v37, v34, s14
	s_delay_alu instid0(VALU_DEP_3) | instskip(NEXT) | instid1(VALU_DEP_2)
	v_cndmask_b32_e64 v34, v38, v34, s14
	v_cmp_class_f32_e64 s16, v36, 0x1f8
	s_delay_alu instid0(VALU_DEP_2)
	v_cmp_neq_f32_e64 s14, v36, v34
	s_or_b32 s14, s14, s16
	s_wait_alu 0xfffe
	s_and_saveexec_b32 s16, s14
	s_cbranch_execz .LBB443_237
; %bb.236:
	v_sub_f32_e32 v35, v36, v34
	s_delay_alu instid0(VALU_DEP_1) | instskip(SKIP_1) | instid1(VALU_DEP_2)
	v_mul_f32_e32 v36, 0x3fb8aa3b, v35
	v_cmp_ngt_f32_e64 s14, 0xc2ce8ed0, v35
	v_fma_f32 v37, 0x3fb8aa3b, v35, -v36
	v_rndne_f32_e32 v38, v36
	s_delay_alu instid0(VALU_DEP_1) | instskip(NEXT) | instid1(VALU_DEP_1)
	v_dual_fmamk_f32 v37, v35, 0x32a5705f, v37 :: v_dual_sub_f32 v36, v36, v38
	v_add_f32_e32 v36, v36, v37
	v_cvt_i32_f32_e32 v37, v38
	s_delay_alu instid0(VALU_DEP_2) | instskip(NEXT) | instid1(TRANS32_DEP_1)
	v_exp_f32_e32 v36, v36
	v_ldexp_f32 v36, v36, v37
	s_wait_alu 0xf1ff
	s_delay_alu instid0(VALU_DEP_1) | instskip(SKIP_2) | instid1(VALU_DEP_1)
	v_cndmask_b32_e64 v36, 0, v36, s14
	v_cmp_nlt_f32_e64 s14, 0x42b17218, v35
	s_wait_alu 0xf1ff
	v_cndmask_b32_e64 v37, 0x7f800000, v36, s14
	s_delay_alu instid0(VALU_DEP_1) | instskip(NEXT) | instid1(VALU_DEP_1)
	v_add_f32_e32 v38, 1.0, v37
	v_cvt_f64_f32_e32 v[35:36], v38
	s_delay_alu instid0(VALU_DEP_1) | instskip(SKIP_1) | instid1(VALU_DEP_1)
	v_frexp_exp_i32_f64_e32 v35, v[35:36]
	v_frexp_mant_f32_e32 v36, v38
	v_cmp_gt_f32_e64 s14, 0x3f2aaaab, v36
	v_add_f32_e32 v36, -1.0, v38
	s_delay_alu instid0(VALU_DEP_1)
	v_sub_f32_e32 v40, v36, v38
	v_sub_f32_e32 v36, v37, v36
	s_wait_alu 0xf1ff
	v_subrev_co_ci_u32_e64 v35, null, 0, v35, s14
	s_mov_b32 s14, 0x3e9b6dac
	v_sub_nc_u32_e32 v39, 0, v35
	v_cvt_f32_i32_e32 v35, v35
	s_delay_alu instid0(VALU_DEP_2) | instskip(NEXT) | instid1(VALU_DEP_1)
	v_ldexp_f32 v38, v38, v39
	v_dual_add_f32 v41, 1.0, v38 :: v_dual_add_f32 v40, 1.0, v40
	s_delay_alu instid0(VALU_DEP_1) | instskip(NEXT) | instid1(VALU_DEP_2)
	v_add_f32_e32 v36, v36, v40
	v_add_f32_e32 v40, -1.0, v41
	s_delay_alu instid0(VALU_DEP_2) | instskip(NEXT) | instid1(VALU_DEP_2)
	v_ldexp_f32 v36, v36, v39
	v_dual_add_f32 v39, -1.0, v38 :: v_dual_sub_f32 v40, v38, v40
	s_delay_alu instid0(VALU_DEP_1) | instskip(NEXT) | instid1(VALU_DEP_2)
	v_add_f32_e32 v42, 1.0, v39
	v_add_f32_e32 v40, v36, v40
	s_delay_alu instid0(VALU_DEP_2) | instskip(NEXT) | instid1(VALU_DEP_2)
	v_sub_f32_e32 v38, v38, v42
	v_add_f32_e32 v42, v41, v40
	s_delay_alu instid0(VALU_DEP_2) | instskip(NEXT) | instid1(VALU_DEP_2)
	v_add_f32_e32 v36, v36, v38
	v_rcp_f32_e32 v38, v42
	v_sub_f32_e32 v41, v41, v42
	s_delay_alu instid0(VALU_DEP_1) | instskip(NEXT) | instid1(VALU_DEP_1)
	v_dual_add_f32 v43, v39, v36 :: v_dual_add_f32 v40, v40, v41
	v_sub_f32_e32 v39, v39, v43
	s_delay_alu instid0(TRANS32_DEP_1) | instskip(NEXT) | instid1(VALU_DEP_1)
	v_mul_f32_e32 v44, v43, v38
	v_dual_add_f32 v36, v36, v39 :: v_dual_mul_f32 v45, v42, v44
	s_delay_alu instid0(VALU_DEP_1) | instskip(NEXT) | instid1(VALU_DEP_1)
	v_fma_f32 v41, v44, v42, -v45
	v_fmac_f32_e32 v41, v44, v40
	s_delay_alu instid0(VALU_DEP_1) | instskip(NEXT) | instid1(VALU_DEP_1)
	v_add_f32_e32 v46, v45, v41
	v_sub_f32_e32 v47, v43, v46
	v_sub_f32_e32 v39, v46, v45
	s_delay_alu instid0(VALU_DEP_2) | instskip(NEXT) | instid1(VALU_DEP_2)
	v_sub_f32_e32 v43, v43, v47
	v_sub_f32_e32 v39, v39, v41
	s_delay_alu instid0(VALU_DEP_2) | instskip(NEXT) | instid1(VALU_DEP_1)
	v_sub_f32_e32 v43, v43, v46
	v_add_f32_e32 v36, v36, v43
	s_delay_alu instid0(VALU_DEP_1) | instskip(NEXT) | instid1(VALU_DEP_1)
	v_add_f32_e32 v36, v39, v36
	v_add_f32_e32 v39, v47, v36
	s_delay_alu instid0(VALU_DEP_1) | instskip(NEXT) | instid1(VALU_DEP_1)
	v_mul_f32_e32 v41, v38, v39
	v_dual_sub_f32 v46, v47, v39 :: v_dual_mul_f32 v43, v42, v41
	s_delay_alu instid0(VALU_DEP_1) | instskip(NEXT) | instid1(VALU_DEP_2)
	v_add_f32_e32 v36, v36, v46
	v_fma_f32 v42, v41, v42, -v43
	s_delay_alu instid0(VALU_DEP_1) | instskip(NEXT) | instid1(VALU_DEP_1)
	v_fmac_f32_e32 v42, v41, v40
	v_add_f32_e32 v40, v43, v42
	s_delay_alu instid0(VALU_DEP_1) | instskip(SKIP_1) | instid1(VALU_DEP_2)
	v_sub_f32_e32 v45, v39, v40
	v_sub_f32_e32 v43, v40, v43
	;; [unrolled: 1-line block ×3, first 2 shown]
	s_delay_alu instid0(VALU_DEP_1) | instskip(NEXT) | instid1(VALU_DEP_3)
	v_sub_f32_e32 v39, v39, v40
	v_sub_f32_e32 v40, v43, v42
	s_delay_alu instid0(VALU_DEP_2) | instskip(SKIP_1) | instid1(VALU_DEP_2)
	v_add_f32_e32 v36, v36, v39
	v_add_f32_e32 v39, v44, v41
	;; [unrolled: 1-line block ×3, first 2 shown]
	s_delay_alu instid0(VALU_DEP_2) | instskip(NEXT) | instid1(VALU_DEP_2)
	v_sub_f32_e32 v40, v39, v44
	v_add_f32_e32 v36, v45, v36
	s_delay_alu instid0(VALU_DEP_2) | instskip(NEXT) | instid1(VALU_DEP_2)
	v_sub_f32_e32 v40, v41, v40
	v_mul_f32_e32 v36, v38, v36
	s_delay_alu instid0(VALU_DEP_1) | instskip(NEXT) | instid1(VALU_DEP_1)
	v_add_f32_e32 v36, v40, v36
	v_add_f32_e32 v38, v39, v36
	s_delay_alu instid0(VALU_DEP_1) | instskip(SKIP_1) | instid1(VALU_DEP_1)
	v_mul_f32_e32 v40, v38, v38
	s_wait_alu 0xfffe
	v_fmaak_f32 v41, s14, v40, 0x3ecc95a3
	v_mul_f32_e32 v42, v38, v40
	v_cmp_neq_f32_e64 s14, 0x7f800000, v37
	s_delay_alu instid0(VALU_DEP_3) | instskip(SKIP_2) | instid1(VALU_DEP_3)
	v_fmaak_f32 v40, v40, v41, 0x3f2aaada
	v_ldexp_f32 v41, v38, 1
	v_sub_f32_e32 v38, v38, v39
	v_mul_f32_e32 v40, v42, v40
	v_mul_f32_e32 v42, 0x3f317218, v35
	s_delay_alu instid0(VALU_DEP_2) | instskip(NEXT) | instid1(VALU_DEP_1)
	v_dual_sub_f32 v36, v36, v38 :: v_dual_add_f32 v39, v41, v40
	v_ldexp_f32 v36, v36, 1
	s_delay_alu instid0(VALU_DEP_2) | instskip(NEXT) | instid1(VALU_DEP_4)
	v_sub_f32_e32 v38, v39, v41
	v_fma_f32 v41, 0x3f317218, v35, -v42
	s_delay_alu instid0(VALU_DEP_1) | instskip(NEXT) | instid1(VALU_DEP_1)
	v_dual_sub_f32 v38, v40, v38 :: v_dual_fmamk_f32 v35, v35, 0xb102e308, v41
	v_add_f32_e32 v36, v36, v38
	s_delay_alu instid0(VALU_DEP_2) | instskip(NEXT) | instid1(VALU_DEP_2)
	v_add_f32_e32 v38, v42, v35
	v_add_f32_e32 v40, v39, v36
	s_delay_alu instid0(VALU_DEP_2) | instskip(NEXT) | instid1(VALU_DEP_2)
	v_sub_f32_e32 v42, v38, v42
	v_add_f32_e32 v41, v38, v40
	v_sub_f32_e32 v39, v40, v39
	s_delay_alu instid0(VALU_DEP_3) | instskip(NEXT) | instid1(VALU_DEP_2)
	v_sub_f32_e32 v35, v35, v42
	v_dual_sub_f32 v43, v41, v38 :: v_dual_sub_f32 v36, v36, v39
	s_delay_alu instid0(VALU_DEP_1) | instskip(NEXT) | instid1(VALU_DEP_2)
	v_sub_f32_e32 v44, v41, v43
	v_dual_sub_f32 v39, v40, v43 :: v_dual_add_f32 v40, v35, v36
	s_delay_alu instid0(VALU_DEP_2) | instskip(NEXT) | instid1(VALU_DEP_1)
	v_sub_f32_e32 v38, v38, v44
	v_dual_add_f32 v38, v39, v38 :: v_dual_sub_f32 v39, v40, v35
	s_delay_alu instid0(VALU_DEP_1) | instskip(NEXT) | instid1(VALU_DEP_2)
	v_add_f32_e32 v38, v40, v38
	v_sub_f32_e32 v40, v40, v39
	v_sub_f32_e32 v36, v36, v39
	s_delay_alu instid0(VALU_DEP_2) | instskip(NEXT) | instid1(VALU_DEP_1)
	v_dual_add_f32 v42, v41, v38 :: v_dual_sub_f32 v35, v35, v40
	v_sub_f32_e32 v39, v42, v41
	s_delay_alu instid0(VALU_DEP_2) | instskip(NEXT) | instid1(VALU_DEP_2)
	v_add_f32_e32 v35, v36, v35
	v_sub_f32_e32 v36, v38, v39
	s_delay_alu instid0(VALU_DEP_1) | instskip(NEXT) | instid1(VALU_DEP_1)
	v_add_f32_e32 v35, v35, v36
	v_add_f32_e32 v35, v42, v35
	s_wait_alu 0xf1ff
	s_delay_alu instid0(VALU_DEP_1) | instskip(SKIP_2) | instid1(VALU_DEP_1)
	v_cndmask_b32_e64 v35, 0x7f800000, v35, s14
	v_cmp_gt_f32_e64 s14, 0x33800000, |v37|
	s_wait_alu 0xf1ff
	v_cndmask_b32_e64 v35, v35, v37, s14
	s_delay_alu instid0(VALU_DEP_1)
	v_add_f32_e32 v35, v34, v35
.LBB443_237:
	s_or_b32 exec_lo, exec_lo, s16
	ds_load_u16 v34, v30 offset:14
	v_bfe_u32 v36, v35, 16, 1
	v_cmp_o_f32_e64 s14, v35, v35
	s_delay_alu instid0(VALU_DEP_2) | instskip(SKIP_2) | instid1(VALU_DEP_1)
	v_add3_u32 v36, v35, v36, 0x7fff
	s_wait_dscnt 0x0
	v_lshlrev_b32_e32 v34, 16, v34
	v_dual_max_num_f32 v37, v34, v34 :: v_dual_and_b32 v36, 0xffff0000, v36
	s_wait_alu 0xf1ff
	s_delay_alu instid0(VALU_DEP_1) | instskip(NEXT) | instid1(VALU_DEP_1)
	v_cndmask_b32_e64 v35, 0x7fc00000, v36, s14
	v_max_num_f32_e32 v36, v35, v35
	v_cmp_u_f32_e64 s14, v35, v35
	s_delay_alu instid0(VALU_DEP_2) | instskip(SKIP_2) | instid1(VALU_DEP_2)
	v_min_num_f32_e32 v38, v36, v37
	v_max_num_f32_e32 v36, v36, v37
	s_wait_alu 0xf1ff
	v_cndmask_b32_e64 v37, v38, v35, s14
	s_delay_alu instid0(VALU_DEP_2) | instskip(SKIP_2) | instid1(VALU_DEP_1)
	v_cndmask_b32_e64 v38, v36, v35, s14
	v_cmp_u_f32_e64 s14, v34, v34
	s_wait_alu 0xf1ff
	v_cndmask_b32_e64 v36, v37, v34, s14
	s_delay_alu instid0(VALU_DEP_3) | instskip(NEXT) | instid1(VALU_DEP_2)
	v_cndmask_b32_e64 v34, v38, v34, s14
	v_cmp_class_f32_e64 s16, v36, 0x1f8
	s_delay_alu instid0(VALU_DEP_2)
	v_cmp_neq_f32_e64 s14, v36, v34
	s_or_b32 s14, s14, s16
	s_wait_alu 0xfffe
	s_and_saveexec_b32 s16, s14
	s_cbranch_execz .LBB443_239
; %bb.238:
	v_sub_f32_e32 v35, v36, v34
	s_delay_alu instid0(VALU_DEP_1) | instskip(SKIP_1) | instid1(VALU_DEP_2)
	v_mul_f32_e32 v36, 0x3fb8aa3b, v35
	v_cmp_ngt_f32_e64 s14, 0xc2ce8ed0, v35
	v_fma_f32 v37, 0x3fb8aa3b, v35, -v36
	v_rndne_f32_e32 v38, v36
	s_delay_alu instid0(VALU_DEP_1) | instskip(NEXT) | instid1(VALU_DEP_1)
	v_dual_fmamk_f32 v37, v35, 0x32a5705f, v37 :: v_dual_sub_f32 v36, v36, v38
	v_add_f32_e32 v36, v36, v37
	v_cvt_i32_f32_e32 v37, v38
	s_delay_alu instid0(VALU_DEP_2) | instskip(NEXT) | instid1(TRANS32_DEP_1)
	v_exp_f32_e32 v36, v36
	v_ldexp_f32 v36, v36, v37
	s_wait_alu 0xf1ff
	s_delay_alu instid0(VALU_DEP_1) | instskip(SKIP_2) | instid1(VALU_DEP_1)
	v_cndmask_b32_e64 v36, 0, v36, s14
	v_cmp_nlt_f32_e64 s14, 0x42b17218, v35
	s_wait_alu 0xf1ff
	v_cndmask_b32_e64 v37, 0x7f800000, v36, s14
	s_delay_alu instid0(VALU_DEP_1) | instskip(NEXT) | instid1(VALU_DEP_1)
	v_add_f32_e32 v38, 1.0, v37
	v_cvt_f64_f32_e32 v[35:36], v38
	s_delay_alu instid0(VALU_DEP_1) | instskip(SKIP_1) | instid1(VALU_DEP_1)
	v_frexp_exp_i32_f64_e32 v35, v[35:36]
	v_frexp_mant_f32_e32 v36, v38
	v_cmp_gt_f32_e64 s14, 0x3f2aaaab, v36
	v_add_f32_e32 v36, -1.0, v38
	s_delay_alu instid0(VALU_DEP_1)
	v_sub_f32_e32 v40, v36, v38
	v_sub_f32_e32 v36, v37, v36
	s_wait_alu 0xf1ff
	v_subrev_co_ci_u32_e64 v35, null, 0, v35, s14
	s_mov_b32 s14, 0x3e9b6dac
	v_sub_nc_u32_e32 v39, 0, v35
	v_cvt_f32_i32_e32 v35, v35
	s_delay_alu instid0(VALU_DEP_2) | instskip(NEXT) | instid1(VALU_DEP_1)
	v_ldexp_f32 v38, v38, v39
	v_dual_add_f32 v41, 1.0, v38 :: v_dual_add_f32 v40, 1.0, v40
	s_delay_alu instid0(VALU_DEP_1) | instskip(NEXT) | instid1(VALU_DEP_2)
	v_add_f32_e32 v36, v36, v40
	v_add_f32_e32 v40, -1.0, v41
	s_delay_alu instid0(VALU_DEP_2) | instskip(NEXT) | instid1(VALU_DEP_2)
	v_ldexp_f32 v36, v36, v39
	v_dual_add_f32 v39, -1.0, v38 :: v_dual_sub_f32 v40, v38, v40
	s_delay_alu instid0(VALU_DEP_1) | instskip(NEXT) | instid1(VALU_DEP_2)
	v_add_f32_e32 v42, 1.0, v39
	v_add_f32_e32 v40, v36, v40
	s_delay_alu instid0(VALU_DEP_2) | instskip(NEXT) | instid1(VALU_DEP_2)
	v_sub_f32_e32 v38, v38, v42
	v_add_f32_e32 v42, v41, v40
	s_delay_alu instid0(VALU_DEP_2) | instskip(NEXT) | instid1(VALU_DEP_2)
	v_add_f32_e32 v36, v36, v38
	v_rcp_f32_e32 v38, v42
	v_sub_f32_e32 v41, v41, v42
	s_delay_alu instid0(VALU_DEP_1) | instskip(NEXT) | instid1(VALU_DEP_1)
	v_dual_add_f32 v43, v39, v36 :: v_dual_add_f32 v40, v40, v41
	v_sub_f32_e32 v39, v39, v43
	s_delay_alu instid0(TRANS32_DEP_1) | instskip(NEXT) | instid1(VALU_DEP_1)
	v_mul_f32_e32 v44, v43, v38
	v_dual_add_f32 v36, v36, v39 :: v_dual_mul_f32 v45, v42, v44
	s_delay_alu instid0(VALU_DEP_1) | instskip(NEXT) | instid1(VALU_DEP_1)
	v_fma_f32 v41, v44, v42, -v45
	v_fmac_f32_e32 v41, v44, v40
	s_delay_alu instid0(VALU_DEP_1) | instskip(NEXT) | instid1(VALU_DEP_1)
	v_add_f32_e32 v46, v45, v41
	v_sub_f32_e32 v47, v43, v46
	v_sub_f32_e32 v39, v46, v45
	s_delay_alu instid0(VALU_DEP_2) | instskip(NEXT) | instid1(VALU_DEP_2)
	v_sub_f32_e32 v43, v43, v47
	v_sub_f32_e32 v39, v39, v41
	s_delay_alu instid0(VALU_DEP_2) | instskip(NEXT) | instid1(VALU_DEP_1)
	v_sub_f32_e32 v43, v43, v46
	v_add_f32_e32 v36, v36, v43
	s_delay_alu instid0(VALU_DEP_1) | instskip(NEXT) | instid1(VALU_DEP_1)
	v_add_f32_e32 v36, v39, v36
	v_add_f32_e32 v39, v47, v36
	s_delay_alu instid0(VALU_DEP_1) | instskip(NEXT) | instid1(VALU_DEP_1)
	v_mul_f32_e32 v41, v38, v39
	v_dual_sub_f32 v46, v47, v39 :: v_dual_mul_f32 v43, v42, v41
	s_delay_alu instid0(VALU_DEP_1) | instskip(NEXT) | instid1(VALU_DEP_2)
	v_add_f32_e32 v36, v36, v46
	v_fma_f32 v42, v41, v42, -v43
	s_delay_alu instid0(VALU_DEP_1) | instskip(NEXT) | instid1(VALU_DEP_1)
	v_fmac_f32_e32 v42, v41, v40
	v_add_f32_e32 v40, v43, v42
	s_delay_alu instid0(VALU_DEP_1) | instskip(SKIP_1) | instid1(VALU_DEP_2)
	v_sub_f32_e32 v45, v39, v40
	v_sub_f32_e32 v43, v40, v43
	;; [unrolled: 1-line block ×3, first 2 shown]
	s_delay_alu instid0(VALU_DEP_1) | instskip(NEXT) | instid1(VALU_DEP_3)
	v_sub_f32_e32 v39, v39, v40
	v_sub_f32_e32 v40, v43, v42
	s_delay_alu instid0(VALU_DEP_2) | instskip(SKIP_1) | instid1(VALU_DEP_2)
	v_add_f32_e32 v36, v36, v39
	v_add_f32_e32 v39, v44, v41
	;; [unrolled: 1-line block ×3, first 2 shown]
	s_delay_alu instid0(VALU_DEP_2) | instskip(NEXT) | instid1(VALU_DEP_2)
	v_sub_f32_e32 v40, v39, v44
	v_add_f32_e32 v36, v45, v36
	s_delay_alu instid0(VALU_DEP_2) | instskip(NEXT) | instid1(VALU_DEP_2)
	v_sub_f32_e32 v40, v41, v40
	v_mul_f32_e32 v36, v38, v36
	s_delay_alu instid0(VALU_DEP_1) | instskip(NEXT) | instid1(VALU_DEP_1)
	v_add_f32_e32 v36, v40, v36
	v_add_f32_e32 v38, v39, v36
	s_delay_alu instid0(VALU_DEP_1) | instskip(SKIP_1) | instid1(VALU_DEP_1)
	v_mul_f32_e32 v40, v38, v38
	s_wait_alu 0xfffe
	v_fmaak_f32 v41, s14, v40, 0x3ecc95a3
	v_mul_f32_e32 v42, v38, v40
	v_cmp_neq_f32_e64 s14, 0x7f800000, v37
	s_delay_alu instid0(VALU_DEP_3) | instskip(SKIP_2) | instid1(VALU_DEP_3)
	v_fmaak_f32 v40, v40, v41, 0x3f2aaada
	v_ldexp_f32 v41, v38, 1
	v_sub_f32_e32 v38, v38, v39
	v_mul_f32_e32 v40, v42, v40
	v_mul_f32_e32 v42, 0x3f317218, v35
	s_delay_alu instid0(VALU_DEP_2) | instskip(NEXT) | instid1(VALU_DEP_1)
	v_dual_sub_f32 v36, v36, v38 :: v_dual_add_f32 v39, v41, v40
	v_ldexp_f32 v36, v36, 1
	s_delay_alu instid0(VALU_DEP_2) | instskip(NEXT) | instid1(VALU_DEP_4)
	v_sub_f32_e32 v38, v39, v41
	v_fma_f32 v41, 0x3f317218, v35, -v42
	s_delay_alu instid0(VALU_DEP_1) | instskip(NEXT) | instid1(VALU_DEP_1)
	v_dual_sub_f32 v38, v40, v38 :: v_dual_fmamk_f32 v35, v35, 0xb102e308, v41
	v_add_f32_e32 v36, v36, v38
	s_delay_alu instid0(VALU_DEP_2) | instskip(NEXT) | instid1(VALU_DEP_2)
	v_add_f32_e32 v38, v42, v35
	v_add_f32_e32 v40, v39, v36
	s_delay_alu instid0(VALU_DEP_2) | instskip(NEXT) | instid1(VALU_DEP_2)
	v_sub_f32_e32 v42, v38, v42
	v_add_f32_e32 v41, v38, v40
	v_sub_f32_e32 v39, v40, v39
	s_delay_alu instid0(VALU_DEP_3) | instskip(NEXT) | instid1(VALU_DEP_2)
	v_sub_f32_e32 v35, v35, v42
	v_dual_sub_f32 v43, v41, v38 :: v_dual_sub_f32 v36, v36, v39
	s_delay_alu instid0(VALU_DEP_1) | instskip(NEXT) | instid1(VALU_DEP_2)
	v_sub_f32_e32 v44, v41, v43
	v_dual_sub_f32 v39, v40, v43 :: v_dual_add_f32 v40, v35, v36
	s_delay_alu instid0(VALU_DEP_2) | instskip(NEXT) | instid1(VALU_DEP_1)
	v_sub_f32_e32 v38, v38, v44
	v_dual_add_f32 v38, v39, v38 :: v_dual_sub_f32 v39, v40, v35
	s_delay_alu instid0(VALU_DEP_1) | instskip(NEXT) | instid1(VALU_DEP_2)
	v_add_f32_e32 v38, v40, v38
	v_sub_f32_e32 v40, v40, v39
	v_sub_f32_e32 v36, v36, v39
	s_delay_alu instid0(VALU_DEP_2) | instskip(NEXT) | instid1(VALU_DEP_1)
	v_dual_add_f32 v42, v41, v38 :: v_dual_sub_f32 v35, v35, v40
	v_sub_f32_e32 v39, v42, v41
	s_delay_alu instid0(VALU_DEP_2) | instskip(NEXT) | instid1(VALU_DEP_2)
	v_add_f32_e32 v35, v36, v35
	v_sub_f32_e32 v36, v38, v39
	s_delay_alu instid0(VALU_DEP_1) | instskip(NEXT) | instid1(VALU_DEP_1)
	v_add_f32_e32 v35, v35, v36
	v_add_f32_e32 v35, v42, v35
	s_wait_alu 0xf1ff
	s_delay_alu instid0(VALU_DEP_1) | instskip(SKIP_2) | instid1(VALU_DEP_1)
	v_cndmask_b32_e64 v35, 0x7f800000, v35, s14
	v_cmp_gt_f32_e64 s14, 0x33800000, |v37|
	s_wait_alu 0xf1ff
	v_cndmask_b32_e64 v35, v35, v37, s14
	s_delay_alu instid0(VALU_DEP_1)
	v_add_f32_e32 v35, v34, v35
.LBB443_239:
	s_or_b32 exec_lo, exec_lo, s16
	s_delay_alu instid0(VALU_DEP_1) | instskip(SKIP_3) | instid1(VALU_DEP_1)
	v_bfe_u32 v34, v35, 16, 1
	v_cmp_o_f32_e64 s14, v35, v35
	s_mov_b32 s16, exec_lo
	v_add3_u32 v34, v35, v34, 0x7fff
	v_lshrrev_b32_e32 v34, 16, v34
	s_wait_alu 0xf1ff
	s_delay_alu instid0(VALU_DEP_1) | instskip(SKIP_1) | instid1(VALU_DEP_2)
	v_cndmask_b32_e64 v36, 0x7fc0, v34, s14
	v_mbcnt_lo_u32_b32 v34, -1, 0
	v_and_b32_e32 v37, 0xffff, v36
	s_delay_alu instid0(VALU_DEP_2) | instskip(NEXT) | instid1(VALU_DEP_2)
	v_and_b32_e32 v35, 15, v34
	v_mov_b32_dpp v38, v37 row_shr:1 row_mask:0xf bank_mask:0xf
	s_delay_alu instid0(VALU_DEP_2)
	v_cmpx_ne_u32_e32 0, v35
	s_xor_b32 s16, exec_lo, s16
	s_cbranch_execz .LBB443_243
; %bb.240:
	v_lshlrev_b32_e32 v36, 16, v37
	s_delay_alu instid0(VALU_DEP_1) | instskip(NEXT) | instid1(VALU_DEP_1)
	v_dual_max_num_f32 v38, v36, v36 :: v_dual_lshlrev_b32 v37, 16, v38
	v_max_num_f32_e32 v39, v37, v37
	v_cmp_u_f32_e64 s14, v37, v37
	s_delay_alu instid0(VALU_DEP_2) | instskip(SKIP_2) | instid1(VALU_DEP_2)
	v_min_num_f32_e32 v40, v39, v38
	v_max_num_f32_e32 v38, v39, v38
	s_wait_alu 0xf1ff
	v_cndmask_b32_e64 v39, v40, v37, s14
	s_delay_alu instid0(VALU_DEP_2) | instskip(SKIP_2) | instid1(VALU_DEP_1)
	v_cndmask_b32_e64 v40, v38, v37, s14
	v_cmp_u_f32_e64 s14, v36, v36
	s_wait_alu 0xf1ff
	v_cndmask_b32_e64 v38, v39, v36, s14
	s_delay_alu instid0(VALU_DEP_3) | instskip(NEXT) | instid1(VALU_DEP_2)
	v_cndmask_b32_e64 v36, v40, v36, s14
	v_cmp_class_f32_e64 s22, v38, 0x1f8
	s_delay_alu instid0(VALU_DEP_2)
	v_cmp_neq_f32_e64 s14, v38, v36
	s_or_b32 s14, s14, s22
	s_wait_alu 0xfffe
	s_and_saveexec_b32 s22, s14
	s_cbranch_execz .LBB443_242
; %bb.241:
	v_sub_f32_e32 v37, v38, v36
	s_delay_alu instid0(VALU_DEP_1) | instskip(SKIP_1) | instid1(VALU_DEP_2)
	v_mul_f32_e32 v38, 0x3fb8aa3b, v37
	v_cmp_ngt_f32_e64 s14, 0xc2ce8ed0, v37
	v_fma_f32 v39, 0x3fb8aa3b, v37, -v38
	v_rndne_f32_e32 v40, v38
	s_delay_alu instid0(VALU_DEP_1) | instskip(NEXT) | instid1(VALU_DEP_1)
	v_dual_fmamk_f32 v39, v37, 0x32a5705f, v39 :: v_dual_sub_f32 v38, v38, v40
	v_add_f32_e32 v38, v38, v39
	v_cvt_i32_f32_e32 v39, v40
	s_delay_alu instid0(VALU_DEP_2) | instskip(NEXT) | instid1(TRANS32_DEP_1)
	v_exp_f32_e32 v38, v38
	v_ldexp_f32 v38, v38, v39
	s_wait_alu 0xf1ff
	s_delay_alu instid0(VALU_DEP_1) | instskip(SKIP_2) | instid1(VALU_DEP_1)
	v_cndmask_b32_e64 v38, 0, v38, s14
	v_cmp_nlt_f32_e64 s14, 0x42b17218, v37
	s_wait_alu 0xf1ff
	v_cndmask_b32_e64 v39, 0x7f800000, v38, s14
	s_delay_alu instid0(VALU_DEP_1) | instskip(NEXT) | instid1(VALU_DEP_1)
	v_add_f32_e32 v40, 1.0, v39
	v_cvt_f64_f32_e32 v[37:38], v40
	s_delay_alu instid0(VALU_DEP_1) | instskip(SKIP_1) | instid1(VALU_DEP_1)
	v_frexp_exp_i32_f64_e32 v37, v[37:38]
	v_frexp_mant_f32_e32 v38, v40
	v_cmp_gt_f32_e64 s14, 0x3f2aaaab, v38
	v_add_f32_e32 v38, -1.0, v40
	s_delay_alu instid0(VALU_DEP_1)
	v_sub_f32_e32 v42, v38, v40
	v_sub_f32_e32 v38, v39, v38
	s_wait_alu 0xf1ff
	v_subrev_co_ci_u32_e64 v37, null, 0, v37, s14
	s_mov_b32 s14, 0x3e9b6dac
	v_sub_nc_u32_e32 v41, 0, v37
	v_cvt_f32_i32_e32 v37, v37
	s_delay_alu instid0(VALU_DEP_2) | instskip(NEXT) | instid1(VALU_DEP_1)
	v_ldexp_f32 v40, v40, v41
	v_dual_add_f32 v43, 1.0, v40 :: v_dual_add_f32 v42, 1.0, v42
	s_delay_alu instid0(VALU_DEP_1) | instskip(NEXT) | instid1(VALU_DEP_2)
	v_add_f32_e32 v38, v38, v42
	v_add_f32_e32 v42, -1.0, v43
	s_delay_alu instid0(VALU_DEP_2) | instskip(NEXT) | instid1(VALU_DEP_2)
	v_ldexp_f32 v38, v38, v41
	v_dual_add_f32 v41, -1.0, v40 :: v_dual_sub_f32 v42, v40, v42
	s_delay_alu instid0(VALU_DEP_1) | instskip(NEXT) | instid1(VALU_DEP_2)
	v_add_f32_e32 v44, 1.0, v41
	v_add_f32_e32 v42, v38, v42
	s_delay_alu instid0(VALU_DEP_2) | instskip(NEXT) | instid1(VALU_DEP_2)
	v_sub_f32_e32 v40, v40, v44
	v_add_f32_e32 v44, v43, v42
	s_delay_alu instid0(VALU_DEP_2) | instskip(NEXT) | instid1(VALU_DEP_2)
	v_add_f32_e32 v38, v38, v40
	v_rcp_f32_e32 v40, v44
	v_sub_f32_e32 v43, v43, v44
	s_delay_alu instid0(VALU_DEP_1) | instskip(NEXT) | instid1(VALU_DEP_1)
	v_dual_add_f32 v45, v41, v38 :: v_dual_add_f32 v42, v42, v43
	v_sub_f32_e32 v41, v41, v45
	s_delay_alu instid0(TRANS32_DEP_1) | instskip(NEXT) | instid1(VALU_DEP_1)
	v_mul_f32_e32 v46, v45, v40
	v_dual_add_f32 v38, v38, v41 :: v_dual_mul_f32 v47, v44, v46
	s_delay_alu instid0(VALU_DEP_1) | instskip(NEXT) | instid1(VALU_DEP_1)
	v_fma_f32 v43, v46, v44, -v47
	v_fmac_f32_e32 v43, v46, v42
	s_delay_alu instid0(VALU_DEP_1) | instskip(NEXT) | instid1(VALU_DEP_1)
	v_add_f32_e32 v48, v47, v43
	v_sub_f32_e32 v49, v45, v48
	v_sub_f32_e32 v41, v48, v47
	s_delay_alu instid0(VALU_DEP_2) | instskip(NEXT) | instid1(VALU_DEP_2)
	v_sub_f32_e32 v45, v45, v49
	v_sub_f32_e32 v41, v41, v43
	s_delay_alu instid0(VALU_DEP_2) | instskip(NEXT) | instid1(VALU_DEP_1)
	v_sub_f32_e32 v45, v45, v48
	v_add_f32_e32 v38, v38, v45
	s_delay_alu instid0(VALU_DEP_1) | instskip(NEXT) | instid1(VALU_DEP_1)
	v_add_f32_e32 v38, v41, v38
	v_add_f32_e32 v41, v49, v38
	s_delay_alu instid0(VALU_DEP_1) | instskip(NEXT) | instid1(VALU_DEP_1)
	v_mul_f32_e32 v43, v40, v41
	v_dual_sub_f32 v48, v49, v41 :: v_dual_mul_f32 v45, v44, v43
	s_delay_alu instid0(VALU_DEP_1) | instskip(NEXT) | instid1(VALU_DEP_2)
	v_add_f32_e32 v38, v38, v48
	v_fma_f32 v44, v43, v44, -v45
	s_delay_alu instid0(VALU_DEP_1) | instskip(NEXT) | instid1(VALU_DEP_1)
	v_fmac_f32_e32 v44, v43, v42
	v_add_f32_e32 v42, v45, v44
	s_delay_alu instid0(VALU_DEP_1) | instskip(SKIP_1) | instid1(VALU_DEP_2)
	v_sub_f32_e32 v47, v41, v42
	v_sub_f32_e32 v45, v42, v45
	;; [unrolled: 1-line block ×3, first 2 shown]
	s_delay_alu instid0(VALU_DEP_1) | instskip(NEXT) | instid1(VALU_DEP_3)
	v_sub_f32_e32 v41, v41, v42
	v_sub_f32_e32 v42, v45, v44
	s_delay_alu instid0(VALU_DEP_2) | instskip(SKIP_1) | instid1(VALU_DEP_2)
	v_add_f32_e32 v38, v38, v41
	v_add_f32_e32 v41, v46, v43
	;; [unrolled: 1-line block ×3, first 2 shown]
	s_delay_alu instid0(VALU_DEP_2) | instskip(NEXT) | instid1(VALU_DEP_2)
	v_sub_f32_e32 v42, v41, v46
	v_add_f32_e32 v38, v47, v38
	s_delay_alu instid0(VALU_DEP_2) | instskip(NEXT) | instid1(VALU_DEP_2)
	v_sub_f32_e32 v42, v43, v42
	v_mul_f32_e32 v38, v40, v38
	s_delay_alu instid0(VALU_DEP_1) | instskip(NEXT) | instid1(VALU_DEP_1)
	v_add_f32_e32 v38, v42, v38
	v_add_f32_e32 v40, v41, v38
	s_delay_alu instid0(VALU_DEP_1) | instskip(SKIP_1) | instid1(VALU_DEP_1)
	v_mul_f32_e32 v42, v40, v40
	s_wait_alu 0xfffe
	v_fmaak_f32 v43, s14, v42, 0x3ecc95a3
	v_mul_f32_e32 v44, v40, v42
	v_cmp_neq_f32_e64 s14, 0x7f800000, v39
	s_delay_alu instid0(VALU_DEP_3) | instskip(SKIP_2) | instid1(VALU_DEP_3)
	v_fmaak_f32 v42, v42, v43, 0x3f2aaada
	v_ldexp_f32 v43, v40, 1
	v_sub_f32_e32 v40, v40, v41
	v_mul_f32_e32 v42, v44, v42
	v_mul_f32_e32 v44, 0x3f317218, v37
	s_delay_alu instid0(VALU_DEP_2) | instskip(NEXT) | instid1(VALU_DEP_1)
	v_dual_sub_f32 v38, v38, v40 :: v_dual_add_f32 v41, v43, v42
	v_ldexp_f32 v38, v38, 1
	s_delay_alu instid0(VALU_DEP_2) | instskip(NEXT) | instid1(VALU_DEP_4)
	v_sub_f32_e32 v40, v41, v43
	v_fma_f32 v43, 0x3f317218, v37, -v44
	s_delay_alu instid0(VALU_DEP_1) | instskip(NEXT) | instid1(VALU_DEP_1)
	v_dual_sub_f32 v40, v42, v40 :: v_dual_fmamk_f32 v37, v37, 0xb102e308, v43
	v_add_f32_e32 v38, v38, v40
	s_delay_alu instid0(VALU_DEP_2) | instskip(NEXT) | instid1(VALU_DEP_2)
	v_add_f32_e32 v40, v44, v37
	v_add_f32_e32 v42, v41, v38
	s_delay_alu instid0(VALU_DEP_2) | instskip(NEXT) | instid1(VALU_DEP_2)
	v_sub_f32_e32 v44, v40, v44
	v_add_f32_e32 v43, v40, v42
	v_sub_f32_e32 v41, v42, v41
	s_delay_alu instid0(VALU_DEP_3) | instskip(NEXT) | instid1(VALU_DEP_2)
	v_sub_f32_e32 v37, v37, v44
	v_dual_sub_f32 v45, v43, v40 :: v_dual_sub_f32 v38, v38, v41
	s_delay_alu instid0(VALU_DEP_1) | instskip(NEXT) | instid1(VALU_DEP_2)
	v_sub_f32_e32 v46, v43, v45
	v_dual_sub_f32 v41, v42, v45 :: v_dual_add_f32 v42, v37, v38
	s_delay_alu instid0(VALU_DEP_2) | instskip(NEXT) | instid1(VALU_DEP_1)
	v_sub_f32_e32 v40, v40, v46
	v_dual_add_f32 v40, v41, v40 :: v_dual_sub_f32 v41, v42, v37
	s_delay_alu instid0(VALU_DEP_1) | instskip(NEXT) | instid1(VALU_DEP_2)
	v_add_f32_e32 v40, v42, v40
	v_sub_f32_e32 v42, v42, v41
	v_sub_f32_e32 v38, v38, v41
	s_delay_alu instid0(VALU_DEP_2) | instskip(NEXT) | instid1(VALU_DEP_1)
	v_dual_add_f32 v44, v43, v40 :: v_dual_sub_f32 v37, v37, v42
	v_sub_f32_e32 v41, v44, v43
	s_delay_alu instid0(VALU_DEP_2) | instskip(NEXT) | instid1(VALU_DEP_2)
	v_add_f32_e32 v37, v38, v37
	v_sub_f32_e32 v38, v40, v41
	s_delay_alu instid0(VALU_DEP_1) | instskip(NEXT) | instid1(VALU_DEP_1)
	v_add_f32_e32 v37, v37, v38
	v_add_f32_e32 v37, v44, v37
	s_wait_alu 0xf1ff
	s_delay_alu instid0(VALU_DEP_1) | instskip(SKIP_2) | instid1(VALU_DEP_1)
	v_cndmask_b32_e64 v37, 0x7f800000, v37, s14
	v_cmp_gt_f32_e64 s14, 0x33800000, |v39|
	s_wait_alu 0xf1ff
	v_cndmask_b32_e64 v37, v37, v39, s14
	s_delay_alu instid0(VALU_DEP_1)
	v_add_f32_e32 v37, v36, v37
.LBB443_242:
	s_or_b32 exec_lo, exec_lo, s22
	s_delay_alu instid0(VALU_DEP_1) | instskip(SKIP_1) | instid1(VALU_DEP_2)
	v_bfe_u32 v36, v37, 16, 1
	v_cmp_o_f32_e64 s14, v37, v37
	v_add3_u32 v36, v37, v36, 0x7fff
	s_delay_alu instid0(VALU_DEP_1) | instskip(SKIP_1) | instid1(VALU_DEP_1)
	v_lshrrev_b32_e32 v36, 16, v36
	s_wait_alu 0xf1ff
	v_cndmask_b32_e64 v36, 0x7fc0, v36, s14
	s_delay_alu instid0(VALU_DEP_1)
	v_and_b32_e32 v37, 0xffff, v36
.LBB443_243:
	s_or_b32 exec_lo, exec_lo, s16
	s_delay_alu instid0(VALU_DEP_1)
	v_mov_b32_dpp v38, v37 row_shr:2 row_mask:0xf bank_mask:0xf
	s_mov_b32 s16, exec_lo
	v_cmpx_lt_u32_e32 1, v35
	s_cbranch_execz .LBB443_247
; %bb.244:
	v_lshlrev_b32_e32 v36, 16, v37
	s_delay_alu instid0(VALU_DEP_1) | instskip(NEXT) | instid1(VALU_DEP_1)
	v_dual_max_num_f32 v38, v36, v36 :: v_dual_lshlrev_b32 v37, 16, v38
	v_max_num_f32_e32 v39, v37, v37
	v_cmp_u_f32_e64 s14, v37, v37
	s_delay_alu instid0(VALU_DEP_2) | instskip(SKIP_2) | instid1(VALU_DEP_2)
	v_min_num_f32_e32 v40, v39, v38
	v_max_num_f32_e32 v38, v39, v38
	s_wait_alu 0xf1ff
	v_cndmask_b32_e64 v39, v40, v37, s14
	s_delay_alu instid0(VALU_DEP_2) | instskip(SKIP_2) | instid1(VALU_DEP_1)
	v_cndmask_b32_e64 v40, v38, v37, s14
	v_cmp_u_f32_e64 s14, v36, v36
	s_wait_alu 0xf1ff
	v_cndmask_b32_e64 v38, v39, v36, s14
	s_delay_alu instid0(VALU_DEP_3) | instskip(NEXT) | instid1(VALU_DEP_2)
	v_cndmask_b32_e64 v36, v40, v36, s14
	v_cmp_class_f32_e64 s22, v38, 0x1f8
	s_delay_alu instid0(VALU_DEP_2)
	v_cmp_neq_f32_e64 s14, v38, v36
	s_or_b32 s14, s14, s22
	s_wait_alu 0xfffe
	s_and_saveexec_b32 s22, s14
	s_cbranch_execz .LBB443_246
; %bb.245:
	v_sub_f32_e32 v37, v38, v36
	s_delay_alu instid0(VALU_DEP_1) | instskip(SKIP_1) | instid1(VALU_DEP_2)
	v_mul_f32_e32 v38, 0x3fb8aa3b, v37
	v_cmp_ngt_f32_e64 s14, 0xc2ce8ed0, v37
	v_fma_f32 v39, 0x3fb8aa3b, v37, -v38
	v_rndne_f32_e32 v40, v38
	s_delay_alu instid0(VALU_DEP_1) | instskip(NEXT) | instid1(VALU_DEP_1)
	v_dual_fmamk_f32 v39, v37, 0x32a5705f, v39 :: v_dual_sub_f32 v38, v38, v40
	v_add_f32_e32 v38, v38, v39
	v_cvt_i32_f32_e32 v39, v40
	s_delay_alu instid0(VALU_DEP_2) | instskip(NEXT) | instid1(TRANS32_DEP_1)
	v_exp_f32_e32 v38, v38
	v_ldexp_f32 v38, v38, v39
	s_wait_alu 0xf1ff
	s_delay_alu instid0(VALU_DEP_1) | instskip(SKIP_2) | instid1(VALU_DEP_1)
	v_cndmask_b32_e64 v38, 0, v38, s14
	v_cmp_nlt_f32_e64 s14, 0x42b17218, v37
	s_wait_alu 0xf1ff
	v_cndmask_b32_e64 v39, 0x7f800000, v38, s14
	s_delay_alu instid0(VALU_DEP_1) | instskip(NEXT) | instid1(VALU_DEP_1)
	v_add_f32_e32 v40, 1.0, v39
	v_cvt_f64_f32_e32 v[37:38], v40
	s_delay_alu instid0(VALU_DEP_1) | instskip(SKIP_1) | instid1(VALU_DEP_1)
	v_frexp_exp_i32_f64_e32 v37, v[37:38]
	v_frexp_mant_f32_e32 v38, v40
	v_cmp_gt_f32_e64 s14, 0x3f2aaaab, v38
	v_add_f32_e32 v38, -1.0, v40
	s_delay_alu instid0(VALU_DEP_1)
	v_sub_f32_e32 v42, v38, v40
	v_sub_f32_e32 v38, v39, v38
	s_wait_alu 0xf1ff
	v_subrev_co_ci_u32_e64 v37, null, 0, v37, s14
	s_mov_b32 s14, 0x3e9b6dac
	v_sub_nc_u32_e32 v41, 0, v37
	v_cvt_f32_i32_e32 v37, v37
	s_delay_alu instid0(VALU_DEP_2) | instskip(NEXT) | instid1(VALU_DEP_1)
	v_ldexp_f32 v40, v40, v41
	v_dual_add_f32 v43, 1.0, v40 :: v_dual_add_f32 v42, 1.0, v42
	s_delay_alu instid0(VALU_DEP_1) | instskip(NEXT) | instid1(VALU_DEP_2)
	v_add_f32_e32 v38, v38, v42
	v_add_f32_e32 v42, -1.0, v43
	s_delay_alu instid0(VALU_DEP_2) | instskip(NEXT) | instid1(VALU_DEP_2)
	v_ldexp_f32 v38, v38, v41
	v_dual_add_f32 v41, -1.0, v40 :: v_dual_sub_f32 v42, v40, v42
	s_delay_alu instid0(VALU_DEP_1) | instskip(NEXT) | instid1(VALU_DEP_2)
	v_add_f32_e32 v44, 1.0, v41
	v_add_f32_e32 v42, v38, v42
	s_delay_alu instid0(VALU_DEP_2) | instskip(NEXT) | instid1(VALU_DEP_2)
	v_sub_f32_e32 v40, v40, v44
	v_add_f32_e32 v44, v43, v42
	s_delay_alu instid0(VALU_DEP_2) | instskip(NEXT) | instid1(VALU_DEP_2)
	v_add_f32_e32 v38, v38, v40
	v_rcp_f32_e32 v40, v44
	v_sub_f32_e32 v43, v43, v44
	s_delay_alu instid0(VALU_DEP_1) | instskip(NEXT) | instid1(VALU_DEP_1)
	v_dual_add_f32 v45, v41, v38 :: v_dual_add_f32 v42, v42, v43
	v_sub_f32_e32 v41, v41, v45
	s_delay_alu instid0(TRANS32_DEP_1) | instskip(NEXT) | instid1(VALU_DEP_1)
	v_mul_f32_e32 v46, v45, v40
	v_dual_add_f32 v38, v38, v41 :: v_dual_mul_f32 v47, v44, v46
	s_delay_alu instid0(VALU_DEP_1) | instskip(NEXT) | instid1(VALU_DEP_1)
	v_fma_f32 v43, v46, v44, -v47
	v_fmac_f32_e32 v43, v46, v42
	s_delay_alu instid0(VALU_DEP_1) | instskip(NEXT) | instid1(VALU_DEP_1)
	v_add_f32_e32 v48, v47, v43
	v_sub_f32_e32 v49, v45, v48
	v_sub_f32_e32 v41, v48, v47
	s_delay_alu instid0(VALU_DEP_2) | instskip(NEXT) | instid1(VALU_DEP_2)
	v_sub_f32_e32 v45, v45, v49
	v_sub_f32_e32 v41, v41, v43
	s_delay_alu instid0(VALU_DEP_2) | instskip(NEXT) | instid1(VALU_DEP_1)
	v_sub_f32_e32 v45, v45, v48
	v_add_f32_e32 v38, v38, v45
	s_delay_alu instid0(VALU_DEP_1) | instskip(NEXT) | instid1(VALU_DEP_1)
	v_add_f32_e32 v38, v41, v38
	v_add_f32_e32 v41, v49, v38
	s_delay_alu instid0(VALU_DEP_1) | instskip(NEXT) | instid1(VALU_DEP_1)
	v_mul_f32_e32 v43, v40, v41
	v_dual_sub_f32 v48, v49, v41 :: v_dual_mul_f32 v45, v44, v43
	s_delay_alu instid0(VALU_DEP_1) | instskip(NEXT) | instid1(VALU_DEP_2)
	v_add_f32_e32 v38, v38, v48
	v_fma_f32 v44, v43, v44, -v45
	s_delay_alu instid0(VALU_DEP_1) | instskip(NEXT) | instid1(VALU_DEP_1)
	v_fmac_f32_e32 v44, v43, v42
	v_add_f32_e32 v42, v45, v44
	s_delay_alu instid0(VALU_DEP_1) | instskip(SKIP_1) | instid1(VALU_DEP_2)
	v_sub_f32_e32 v47, v41, v42
	v_sub_f32_e32 v45, v42, v45
	;; [unrolled: 1-line block ×3, first 2 shown]
	s_delay_alu instid0(VALU_DEP_1) | instskip(NEXT) | instid1(VALU_DEP_3)
	v_sub_f32_e32 v41, v41, v42
	v_sub_f32_e32 v42, v45, v44
	s_delay_alu instid0(VALU_DEP_2) | instskip(SKIP_1) | instid1(VALU_DEP_2)
	v_add_f32_e32 v38, v38, v41
	v_add_f32_e32 v41, v46, v43
	;; [unrolled: 1-line block ×3, first 2 shown]
	s_delay_alu instid0(VALU_DEP_2) | instskip(NEXT) | instid1(VALU_DEP_2)
	v_sub_f32_e32 v42, v41, v46
	v_add_f32_e32 v38, v47, v38
	s_delay_alu instid0(VALU_DEP_2) | instskip(NEXT) | instid1(VALU_DEP_2)
	v_sub_f32_e32 v42, v43, v42
	v_mul_f32_e32 v38, v40, v38
	s_delay_alu instid0(VALU_DEP_1) | instskip(NEXT) | instid1(VALU_DEP_1)
	v_add_f32_e32 v38, v42, v38
	v_add_f32_e32 v40, v41, v38
	s_delay_alu instid0(VALU_DEP_1) | instskip(SKIP_1) | instid1(VALU_DEP_1)
	v_mul_f32_e32 v42, v40, v40
	s_wait_alu 0xfffe
	v_fmaak_f32 v43, s14, v42, 0x3ecc95a3
	v_mul_f32_e32 v44, v40, v42
	v_cmp_neq_f32_e64 s14, 0x7f800000, v39
	s_delay_alu instid0(VALU_DEP_3) | instskip(SKIP_2) | instid1(VALU_DEP_3)
	v_fmaak_f32 v42, v42, v43, 0x3f2aaada
	v_ldexp_f32 v43, v40, 1
	v_sub_f32_e32 v40, v40, v41
	v_mul_f32_e32 v42, v44, v42
	v_mul_f32_e32 v44, 0x3f317218, v37
	s_delay_alu instid0(VALU_DEP_2) | instskip(NEXT) | instid1(VALU_DEP_1)
	v_dual_sub_f32 v38, v38, v40 :: v_dual_add_f32 v41, v43, v42
	v_ldexp_f32 v38, v38, 1
	s_delay_alu instid0(VALU_DEP_2) | instskip(NEXT) | instid1(VALU_DEP_4)
	v_sub_f32_e32 v40, v41, v43
	v_fma_f32 v43, 0x3f317218, v37, -v44
	s_delay_alu instid0(VALU_DEP_1) | instskip(NEXT) | instid1(VALU_DEP_1)
	v_dual_sub_f32 v40, v42, v40 :: v_dual_fmamk_f32 v37, v37, 0xb102e308, v43
	v_add_f32_e32 v38, v38, v40
	s_delay_alu instid0(VALU_DEP_2) | instskip(NEXT) | instid1(VALU_DEP_2)
	v_add_f32_e32 v40, v44, v37
	v_add_f32_e32 v42, v41, v38
	s_delay_alu instid0(VALU_DEP_2) | instskip(NEXT) | instid1(VALU_DEP_2)
	v_sub_f32_e32 v44, v40, v44
	v_add_f32_e32 v43, v40, v42
	v_sub_f32_e32 v41, v42, v41
	s_delay_alu instid0(VALU_DEP_3) | instskip(NEXT) | instid1(VALU_DEP_2)
	v_sub_f32_e32 v37, v37, v44
	v_dual_sub_f32 v45, v43, v40 :: v_dual_sub_f32 v38, v38, v41
	s_delay_alu instid0(VALU_DEP_1) | instskip(NEXT) | instid1(VALU_DEP_2)
	v_sub_f32_e32 v46, v43, v45
	v_dual_sub_f32 v41, v42, v45 :: v_dual_add_f32 v42, v37, v38
	s_delay_alu instid0(VALU_DEP_2) | instskip(NEXT) | instid1(VALU_DEP_1)
	v_sub_f32_e32 v40, v40, v46
	v_dual_add_f32 v40, v41, v40 :: v_dual_sub_f32 v41, v42, v37
	s_delay_alu instid0(VALU_DEP_1) | instskip(NEXT) | instid1(VALU_DEP_2)
	v_add_f32_e32 v40, v42, v40
	v_sub_f32_e32 v42, v42, v41
	v_sub_f32_e32 v38, v38, v41
	s_delay_alu instid0(VALU_DEP_2) | instskip(NEXT) | instid1(VALU_DEP_1)
	v_dual_add_f32 v44, v43, v40 :: v_dual_sub_f32 v37, v37, v42
	v_sub_f32_e32 v41, v44, v43
	s_delay_alu instid0(VALU_DEP_2) | instskip(NEXT) | instid1(VALU_DEP_2)
	v_add_f32_e32 v37, v38, v37
	v_sub_f32_e32 v38, v40, v41
	s_delay_alu instid0(VALU_DEP_1) | instskip(NEXT) | instid1(VALU_DEP_1)
	v_add_f32_e32 v37, v37, v38
	v_add_f32_e32 v37, v44, v37
	s_wait_alu 0xf1ff
	s_delay_alu instid0(VALU_DEP_1) | instskip(SKIP_2) | instid1(VALU_DEP_1)
	v_cndmask_b32_e64 v37, 0x7f800000, v37, s14
	v_cmp_gt_f32_e64 s14, 0x33800000, |v39|
	s_wait_alu 0xf1ff
	v_cndmask_b32_e64 v37, v37, v39, s14
	s_delay_alu instid0(VALU_DEP_1)
	v_add_f32_e32 v37, v36, v37
.LBB443_246:
	s_or_b32 exec_lo, exec_lo, s22
	s_delay_alu instid0(VALU_DEP_1) | instskip(SKIP_1) | instid1(VALU_DEP_2)
	v_bfe_u32 v36, v37, 16, 1
	v_cmp_o_f32_e64 s14, v37, v37
	v_add3_u32 v36, v37, v36, 0x7fff
	s_delay_alu instid0(VALU_DEP_1) | instskip(SKIP_1) | instid1(VALU_DEP_1)
	v_lshrrev_b32_e32 v36, 16, v36
	s_wait_alu 0xf1ff
	v_cndmask_b32_e64 v36, 0x7fc0, v36, s14
	s_delay_alu instid0(VALU_DEP_1)
	v_and_b32_e32 v37, 0xffff, v36
.LBB443_247:
	s_or_b32 exec_lo, exec_lo, s16
	s_delay_alu instid0(VALU_DEP_1)
	v_mov_b32_dpp v38, v37 row_shr:4 row_mask:0xf bank_mask:0xf
	s_mov_b32 s16, exec_lo
	v_cmpx_lt_u32_e32 3, v35
	s_cbranch_execz .LBB443_251
; %bb.248:
	v_lshlrev_b32_e32 v36, 16, v37
	s_delay_alu instid0(VALU_DEP_1) | instskip(NEXT) | instid1(VALU_DEP_1)
	v_dual_max_num_f32 v38, v36, v36 :: v_dual_lshlrev_b32 v37, 16, v38
	v_max_num_f32_e32 v39, v37, v37
	v_cmp_u_f32_e64 s14, v37, v37
	s_delay_alu instid0(VALU_DEP_2) | instskip(SKIP_2) | instid1(VALU_DEP_2)
	v_min_num_f32_e32 v40, v39, v38
	v_max_num_f32_e32 v38, v39, v38
	s_wait_alu 0xf1ff
	v_cndmask_b32_e64 v39, v40, v37, s14
	s_delay_alu instid0(VALU_DEP_2) | instskip(SKIP_2) | instid1(VALU_DEP_1)
	v_cndmask_b32_e64 v40, v38, v37, s14
	v_cmp_u_f32_e64 s14, v36, v36
	s_wait_alu 0xf1ff
	v_cndmask_b32_e64 v38, v39, v36, s14
	s_delay_alu instid0(VALU_DEP_3) | instskip(NEXT) | instid1(VALU_DEP_2)
	v_cndmask_b32_e64 v36, v40, v36, s14
	v_cmp_class_f32_e64 s22, v38, 0x1f8
	s_delay_alu instid0(VALU_DEP_2)
	v_cmp_neq_f32_e64 s14, v38, v36
	s_or_b32 s14, s14, s22
	s_wait_alu 0xfffe
	s_and_saveexec_b32 s22, s14
	s_cbranch_execz .LBB443_250
; %bb.249:
	v_sub_f32_e32 v37, v38, v36
	s_delay_alu instid0(VALU_DEP_1) | instskip(SKIP_1) | instid1(VALU_DEP_2)
	v_mul_f32_e32 v38, 0x3fb8aa3b, v37
	v_cmp_ngt_f32_e64 s14, 0xc2ce8ed0, v37
	v_fma_f32 v39, 0x3fb8aa3b, v37, -v38
	v_rndne_f32_e32 v40, v38
	s_delay_alu instid0(VALU_DEP_1) | instskip(NEXT) | instid1(VALU_DEP_1)
	v_dual_fmamk_f32 v39, v37, 0x32a5705f, v39 :: v_dual_sub_f32 v38, v38, v40
	v_add_f32_e32 v38, v38, v39
	v_cvt_i32_f32_e32 v39, v40
	s_delay_alu instid0(VALU_DEP_2) | instskip(NEXT) | instid1(TRANS32_DEP_1)
	v_exp_f32_e32 v38, v38
	v_ldexp_f32 v38, v38, v39
	s_wait_alu 0xf1ff
	s_delay_alu instid0(VALU_DEP_1) | instskip(SKIP_2) | instid1(VALU_DEP_1)
	v_cndmask_b32_e64 v38, 0, v38, s14
	v_cmp_nlt_f32_e64 s14, 0x42b17218, v37
	s_wait_alu 0xf1ff
	v_cndmask_b32_e64 v39, 0x7f800000, v38, s14
	s_delay_alu instid0(VALU_DEP_1) | instskip(NEXT) | instid1(VALU_DEP_1)
	v_add_f32_e32 v40, 1.0, v39
	v_cvt_f64_f32_e32 v[37:38], v40
	s_delay_alu instid0(VALU_DEP_1) | instskip(SKIP_1) | instid1(VALU_DEP_1)
	v_frexp_exp_i32_f64_e32 v37, v[37:38]
	v_frexp_mant_f32_e32 v38, v40
	v_cmp_gt_f32_e64 s14, 0x3f2aaaab, v38
	v_add_f32_e32 v38, -1.0, v40
	s_delay_alu instid0(VALU_DEP_1)
	v_sub_f32_e32 v42, v38, v40
	v_sub_f32_e32 v38, v39, v38
	s_wait_alu 0xf1ff
	v_subrev_co_ci_u32_e64 v37, null, 0, v37, s14
	s_mov_b32 s14, 0x3e9b6dac
	v_sub_nc_u32_e32 v41, 0, v37
	v_cvt_f32_i32_e32 v37, v37
	s_delay_alu instid0(VALU_DEP_2) | instskip(NEXT) | instid1(VALU_DEP_1)
	v_ldexp_f32 v40, v40, v41
	v_dual_add_f32 v43, 1.0, v40 :: v_dual_add_f32 v42, 1.0, v42
	s_delay_alu instid0(VALU_DEP_1) | instskip(NEXT) | instid1(VALU_DEP_2)
	v_add_f32_e32 v38, v38, v42
	v_add_f32_e32 v42, -1.0, v43
	s_delay_alu instid0(VALU_DEP_2) | instskip(NEXT) | instid1(VALU_DEP_2)
	v_ldexp_f32 v38, v38, v41
	v_dual_add_f32 v41, -1.0, v40 :: v_dual_sub_f32 v42, v40, v42
	s_delay_alu instid0(VALU_DEP_1) | instskip(NEXT) | instid1(VALU_DEP_2)
	v_add_f32_e32 v44, 1.0, v41
	v_add_f32_e32 v42, v38, v42
	s_delay_alu instid0(VALU_DEP_2) | instskip(NEXT) | instid1(VALU_DEP_2)
	v_sub_f32_e32 v40, v40, v44
	v_add_f32_e32 v44, v43, v42
	s_delay_alu instid0(VALU_DEP_2) | instskip(NEXT) | instid1(VALU_DEP_2)
	v_add_f32_e32 v38, v38, v40
	v_rcp_f32_e32 v40, v44
	v_sub_f32_e32 v43, v43, v44
	s_delay_alu instid0(VALU_DEP_1) | instskip(NEXT) | instid1(VALU_DEP_1)
	v_dual_add_f32 v45, v41, v38 :: v_dual_add_f32 v42, v42, v43
	v_sub_f32_e32 v41, v41, v45
	s_delay_alu instid0(TRANS32_DEP_1) | instskip(NEXT) | instid1(VALU_DEP_1)
	v_mul_f32_e32 v46, v45, v40
	v_dual_add_f32 v38, v38, v41 :: v_dual_mul_f32 v47, v44, v46
	s_delay_alu instid0(VALU_DEP_1) | instskip(NEXT) | instid1(VALU_DEP_1)
	v_fma_f32 v43, v46, v44, -v47
	v_fmac_f32_e32 v43, v46, v42
	s_delay_alu instid0(VALU_DEP_1) | instskip(NEXT) | instid1(VALU_DEP_1)
	v_add_f32_e32 v48, v47, v43
	v_sub_f32_e32 v49, v45, v48
	v_sub_f32_e32 v41, v48, v47
	s_delay_alu instid0(VALU_DEP_2) | instskip(NEXT) | instid1(VALU_DEP_2)
	v_sub_f32_e32 v45, v45, v49
	v_sub_f32_e32 v41, v41, v43
	s_delay_alu instid0(VALU_DEP_2) | instskip(NEXT) | instid1(VALU_DEP_1)
	v_sub_f32_e32 v45, v45, v48
	v_add_f32_e32 v38, v38, v45
	s_delay_alu instid0(VALU_DEP_1) | instskip(NEXT) | instid1(VALU_DEP_1)
	v_add_f32_e32 v38, v41, v38
	v_add_f32_e32 v41, v49, v38
	s_delay_alu instid0(VALU_DEP_1) | instskip(NEXT) | instid1(VALU_DEP_1)
	v_mul_f32_e32 v43, v40, v41
	v_dual_sub_f32 v48, v49, v41 :: v_dual_mul_f32 v45, v44, v43
	s_delay_alu instid0(VALU_DEP_1) | instskip(NEXT) | instid1(VALU_DEP_2)
	v_add_f32_e32 v38, v38, v48
	v_fma_f32 v44, v43, v44, -v45
	s_delay_alu instid0(VALU_DEP_1) | instskip(NEXT) | instid1(VALU_DEP_1)
	v_fmac_f32_e32 v44, v43, v42
	v_add_f32_e32 v42, v45, v44
	s_delay_alu instid0(VALU_DEP_1) | instskip(SKIP_1) | instid1(VALU_DEP_2)
	v_sub_f32_e32 v47, v41, v42
	v_sub_f32_e32 v45, v42, v45
	;; [unrolled: 1-line block ×3, first 2 shown]
	s_delay_alu instid0(VALU_DEP_1) | instskip(NEXT) | instid1(VALU_DEP_3)
	v_sub_f32_e32 v41, v41, v42
	v_sub_f32_e32 v42, v45, v44
	s_delay_alu instid0(VALU_DEP_2) | instskip(SKIP_1) | instid1(VALU_DEP_2)
	v_add_f32_e32 v38, v38, v41
	v_add_f32_e32 v41, v46, v43
	v_add_f32_e32 v38, v42, v38
	s_delay_alu instid0(VALU_DEP_2) | instskip(NEXT) | instid1(VALU_DEP_2)
	v_sub_f32_e32 v42, v41, v46
	v_add_f32_e32 v38, v47, v38
	s_delay_alu instid0(VALU_DEP_2) | instskip(NEXT) | instid1(VALU_DEP_2)
	v_sub_f32_e32 v42, v43, v42
	v_mul_f32_e32 v38, v40, v38
	s_delay_alu instid0(VALU_DEP_1) | instskip(NEXT) | instid1(VALU_DEP_1)
	v_add_f32_e32 v38, v42, v38
	v_add_f32_e32 v40, v41, v38
	s_delay_alu instid0(VALU_DEP_1) | instskip(SKIP_1) | instid1(VALU_DEP_1)
	v_mul_f32_e32 v42, v40, v40
	s_wait_alu 0xfffe
	v_fmaak_f32 v43, s14, v42, 0x3ecc95a3
	v_mul_f32_e32 v44, v40, v42
	v_cmp_neq_f32_e64 s14, 0x7f800000, v39
	s_delay_alu instid0(VALU_DEP_3) | instskip(SKIP_2) | instid1(VALU_DEP_3)
	v_fmaak_f32 v42, v42, v43, 0x3f2aaada
	v_ldexp_f32 v43, v40, 1
	v_sub_f32_e32 v40, v40, v41
	v_mul_f32_e32 v42, v44, v42
	v_mul_f32_e32 v44, 0x3f317218, v37
	s_delay_alu instid0(VALU_DEP_2) | instskip(NEXT) | instid1(VALU_DEP_1)
	v_dual_sub_f32 v38, v38, v40 :: v_dual_add_f32 v41, v43, v42
	v_ldexp_f32 v38, v38, 1
	s_delay_alu instid0(VALU_DEP_2) | instskip(NEXT) | instid1(VALU_DEP_4)
	v_sub_f32_e32 v40, v41, v43
	v_fma_f32 v43, 0x3f317218, v37, -v44
	s_delay_alu instid0(VALU_DEP_1) | instskip(NEXT) | instid1(VALU_DEP_1)
	v_dual_sub_f32 v40, v42, v40 :: v_dual_fmamk_f32 v37, v37, 0xb102e308, v43
	v_add_f32_e32 v38, v38, v40
	s_delay_alu instid0(VALU_DEP_2) | instskip(NEXT) | instid1(VALU_DEP_2)
	v_add_f32_e32 v40, v44, v37
	v_add_f32_e32 v42, v41, v38
	s_delay_alu instid0(VALU_DEP_2) | instskip(NEXT) | instid1(VALU_DEP_2)
	v_sub_f32_e32 v44, v40, v44
	v_add_f32_e32 v43, v40, v42
	v_sub_f32_e32 v41, v42, v41
	s_delay_alu instid0(VALU_DEP_3) | instskip(NEXT) | instid1(VALU_DEP_2)
	v_sub_f32_e32 v37, v37, v44
	v_dual_sub_f32 v45, v43, v40 :: v_dual_sub_f32 v38, v38, v41
	s_delay_alu instid0(VALU_DEP_1) | instskip(NEXT) | instid1(VALU_DEP_2)
	v_sub_f32_e32 v46, v43, v45
	v_dual_sub_f32 v41, v42, v45 :: v_dual_add_f32 v42, v37, v38
	s_delay_alu instid0(VALU_DEP_2) | instskip(NEXT) | instid1(VALU_DEP_1)
	v_sub_f32_e32 v40, v40, v46
	v_dual_add_f32 v40, v41, v40 :: v_dual_sub_f32 v41, v42, v37
	s_delay_alu instid0(VALU_DEP_1) | instskip(NEXT) | instid1(VALU_DEP_2)
	v_add_f32_e32 v40, v42, v40
	v_sub_f32_e32 v42, v42, v41
	v_sub_f32_e32 v38, v38, v41
	s_delay_alu instid0(VALU_DEP_2) | instskip(NEXT) | instid1(VALU_DEP_1)
	v_dual_add_f32 v44, v43, v40 :: v_dual_sub_f32 v37, v37, v42
	v_sub_f32_e32 v41, v44, v43
	s_delay_alu instid0(VALU_DEP_2) | instskip(NEXT) | instid1(VALU_DEP_2)
	v_add_f32_e32 v37, v38, v37
	v_sub_f32_e32 v38, v40, v41
	s_delay_alu instid0(VALU_DEP_1) | instskip(NEXT) | instid1(VALU_DEP_1)
	v_add_f32_e32 v37, v37, v38
	v_add_f32_e32 v37, v44, v37
	s_wait_alu 0xf1ff
	s_delay_alu instid0(VALU_DEP_1) | instskip(SKIP_2) | instid1(VALU_DEP_1)
	v_cndmask_b32_e64 v37, 0x7f800000, v37, s14
	v_cmp_gt_f32_e64 s14, 0x33800000, |v39|
	s_wait_alu 0xf1ff
	v_cndmask_b32_e64 v37, v37, v39, s14
	s_delay_alu instid0(VALU_DEP_1)
	v_add_f32_e32 v37, v36, v37
.LBB443_250:
	s_or_b32 exec_lo, exec_lo, s22
	s_delay_alu instid0(VALU_DEP_1) | instskip(SKIP_1) | instid1(VALU_DEP_2)
	v_bfe_u32 v36, v37, 16, 1
	v_cmp_o_f32_e64 s14, v37, v37
	v_add3_u32 v36, v37, v36, 0x7fff
	s_delay_alu instid0(VALU_DEP_1) | instskip(SKIP_1) | instid1(VALU_DEP_1)
	v_lshrrev_b32_e32 v36, 16, v36
	s_wait_alu 0xf1ff
	v_cndmask_b32_e64 v36, 0x7fc0, v36, s14
	s_delay_alu instid0(VALU_DEP_1)
	v_and_b32_e32 v37, 0xffff, v36
.LBB443_251:
	s_or_b32 exec_lo, exec_lo, s16
	s_delay_alu instid0(VALU_DEP_1)
	v_mov_b32_dpp v38, v37 row_shr:8 row_mask:0xf bank_mask:0xf
	s_mov_b32 s16, exec_lo
	v_cmpx_lt_u32_e32 7, v35
	s_cbranch_execz .LBB443_255
; %bb.252:
	s_delay_alu instid0(VALU_DEP_2) | instskip(NEXT) | instid1(VALU_DEP_1)
	v_lshlrev_b32_e32 v36, 16, v38
	v_dual_max_num_f32 v38, v36, v36 :: v_dual_lshlrev_b32 v35, 16, v37
	s_delay_alu instid0(VALU_DEP_1) | instskip(SKIP_1) | instid1(VALU_DEP_2)
	v_max_num_f32_e32 v37, v35, v35
	v_cmp_u_f32_e64 s14, v36, v36
	v_min_num_f32_e32 v39, v38, v37
	v_max_num_f32_e32 v37, v38, v37
	s_wait_alu 0xf1ff
	s_delay_alu instid0(VALU_DEP_2) | instskip(NEXT) | instid1(VALU_DEP_2)
	v_cndmask_b32_e64 v38, v39, v36, s14
	v_cndmask_b32_e64 v39, v37, v36, s14
	v_cmp_u_f32_e64 s14, v35, v35
	s_wait_alu 0xf1ff
	s_delay_alu instid0(VALU_DEP_1) | instskip(NEXT) | instid1(VALU_DEP_3)
	v_cndmask_b32_e64 v37, v38, v35, s14
	v_cndmask_b32_e64 v35, v39, v35, s14
	s_delay_alu instid0(VALU_DEP_2) | instskip(NEXT) | instid1(VALU_DEP_2)
	v_cmp_class_f32_e64 s22, v37, 0x1f8
	v_cmp_neq_f32_e64 s14, v37, v35
	s_or_b32 s14, s14, s22
	s_wait_alu 0xfffe
	s_and_saveexec_b32 s22, s14
	s_cbranch_execz .LBB443_254
; %bb.253:
	v_sub_f32_e32 v36, v37, v35
	s_delay_alu instid0(VALU_DEP_1) | instskip(SKIP_1) | instid1(VALU_DEP_2)
	v_mul_f32_e32 v37, 0x3fb8aa3b, v36
	v_cmp_ngt_f32_e64 s14, 0xc2ce8ed0, v36
	v_fma_f32 v38, 0x3fb8aa3b, v36, -v37
	v_rndne_f32_e32 v39, v37
	s_delay_alu instid0(VALU_DEP_1) | instskip(NEXT) | instid1(VALU_DEP_1)
	v_dual_fmamk_f32 v38, v36, 0x32a5705f, v38 :: v_dual_sub_f32 v37, v37, v39
	v_add_f32_e32 v37, v37, v38
	v_cvt_i32_f32_e32 v38, v39
	s_delay_alu instid0(VALU_DEP_2) | instskip(NEXT) | instid1(TRANS32_DEP_1)
	v_exp_f32_e32 v37, v37
	v_ldexp_f32 v37, v37, v38
	s_wait_alu 0xf1ff
	s_delay_alu instid0(VALU_DEP_1) | instskip(SKIP_2) | instid1(VALU_DEP_1)
	v_cndmask_b32_e64 v37, 0, v37, s14
	v_cmp_nlt_f32_e64 s14, 0x42b17218, v36
	s_wait_alu 0xf1ff
	v_cndmask_b32_e64 v38, 0x7f800000, v37, s14
	s_delay_alu instid0(VALU_DEP_1) | instskip(NEXT) | instid1(VALU_DEP_1)
	v_add_f32_e32 v39, 1.0, v38
	v_cvt_f64_f32_e32 v[36:37], v39
	s_delay_alu instid0(VALU_DEP_1) | instskip(SKIP_1) | instid1(VALU_DEP_1)
	v_frexp_exp_i32_f64_e32 v36, v[36:37]
	v_frexp_mant_f32_e32 v37, v39
	v_cmp_gt_f32_e64 s14, 0x3f2aaaab, v37
	v_add_f32_e32 v37, -1.0, v39
	s_delay_alu instid0(VALU_DEP_1)
	v_sub_f32_e32 v41, v37, v39
	v_sub_f32_e32 v37, v38, v37
	s_wait_alu 0xf1ff
	v_subrev_co_ci_u32_e64 v36, null, 0, v36, s14
	s_mov_b32 s14, 0x3e9b6dac
	v_sub_nc_u32_e32 v40, 0, v36
	v_cvt_f32_i32_e32 v36, v36
	s_delay_alu instid0(VALU_DEP_2) | instskip(NEXT) | instid1(VALU_DEP_1)
	v_ldexp_f32 v39, v39, v40
	v_dual_add_f32 v42, 1.0, v39 :: v_dual_add_f32 v41, 1.0, v41
	s_delay_alu instid0(VALU_DEP_1) | instskip(NEXT) | instid1(VALU_DEP_2)
	v_add_f32_e32 v37, v37, v41
	v_add_f32_e32 v41, -1.0, v42
	s_delay_alu instid0(VALU_DEP_2) | instskip(NEXT) | instid1(VALU_DEP_2)
	v_ldexp_f32 v37, v37, v40
	v_dual_add_f32 v40, -1.0, v39 :: v_dual_sub_f32 v41, v39, v41
	s_delay_alu instid0(VALU_DEP_1) | instskip(NEXT) | instid1(VALU_DEP_2)
	v_add_f32_e32 v43, 1.0, v40
	v_add_f32_e32 v41, v37, v41
	s_delay_alu instid0(VALU_DEP_2) | instskip(NEXT) | instid1(VALU_DEP_2)
	v_sub_f32_e32 v39, v39, v43
	v_add_f32_e32 v43, v42, v41
	s_delay_alu instid0(VALU_DEP_2) | instskip(NEXT) | instid1(VALU_DEP_2)
	v_add_f32_e32 v37, v37, v39
	v_rcp_f32_e32 v39, v43
	v_sub_f32_e32 v42, v42, v43
	s_delay_alu instid0(VALU_DEP_1) | instskip(NEXT) | instid1(VALU_DEP_1)
	v_dual_add_f32 v44, v40, v37 :: v_dual_add_f32 v41, v41, v42
	v_sub_f32_e32 v40, v40, v44
	s_delay_alu instid0(TRANS32_DEP_1) | instskip(NEXT) | instid1(VALU_DEP_1)
	v_mul_f32_e32 v45, v44, v39
	v_dual_add_f32 v37, v37, v40 :: v_dual_mul_f32 v46, v43, v45
	s_delay_alu instid0(VALU_DEP_1) | instskip(NEXT) | instid1(VALU_DEP_1)
	v_fma_f32 v42, v45, v43, -v46
	v_fmac_f32_e32 v42, v45, v41
	s_delay_alu instid0(VALU_DEP_1) | instskip(NEXT) | instid1(VALU_DEP_1)
	v_add_f32_e32 v47, v46, v42
	v_sub_f32_e32 v48, v44, v47
	v_sub_f32_e32 v40, v47, v46
	s_delay_alu instid0(VALU_DEP_2) | instskip(NEXT) | instid1(VALU_DEP_2)
	v_sub_f32_e32 v44, v44, v48
	v_sub_f32_e32 v40, v40, v42
	s_delay_alu instid0(VALU_DEP_2) | instskip(NEXT) | instid1(VALU_DEP_1)
	v_sub_f32_e32 v44, v44, v47
	v_add_f32_e32 v37, v37, v44
	s_delay_alu instid0(VALU_DEP_1) | instskip(NEXT) | instid1(VALU_DEP_1)
	v_add_f32_e32 v37, v40, v37
	v_add_f32_e32 v40, v48, v37
	s_delay_alu instid0(VALU_DEP_1) | instskip(NEXT) | instid1(VALU_DEP_1)
	v_mul_f32_e32 v42, v39, v40
	v_dual_sub_f32 v47, v48, v40 :: v_dual_mul_f32 v44, v43, v42
	s_delay_alu instid0(VALU_DEP_1) | instskip(NEXT) | instid1(VALU_DEP_2)
	v_add_f32_e32 v37, v37, v47
	v_fma_f32 v43, v42, v43, -v44
	s_delay_alu instid0(VALU_DEP_1) | instskip(NEXT) | instid1(VALU_DEP_1)
	v_fmac_f32_e32 v43, v42, v41
	v_add_f32_e32 v41, v44, v43
	s_delay_alu instid0(VALU_DEP_1) | instskip(SKIP_1) | instid1(VALU_DEP_2)
	v_sub_f32_e32 v46, v40, v41
	v_sub_f32_e32 v44, v41, v44
	;; [unrolled: 1-line block ×3, first 2 shown]
	s_delay_alu instid0(VALU_DEP_1) | instskip(NEXT) | instid1(VALU_DEP_3)
	v_sub_f32_e32 v40, v40, v41
	v_sub_f32_e32 v41, v44, v43
	s_delay_alu instid0(VALU_DEP_2) | instskip(SKIP_1) | instid1(VALU_DEP_2)
	v_add_f32_e32 v37, v37, v40
	v_add_f32_e32 v40, v45, v42
	;; [unrolled: 1-line block ×3, first 2 shown]
	s_delay_alu instid0(VALU_DEP_2) | instskip(NEXT) | instid1(VALU_DEP_2)
	v_sub_f32_e32 v41, v40, v45
	v_add_f32_e32 v37, v46, v37
	s_delay_alu instid0(VALU_DEP_2) | instskip(NEXT) | instid1(VALU_DEP_2)
	v_sub_f32_e32 v41, v42, v41
	v_mul_f32_e32 v37, v39, v37
	s_delay_alu instid0(VALU_DEP_1) | instskip(NEXT) | instid1(VALU_DEP_1)
	v_add_f32_e32 v37, v41, v37
	v_add_f32_e32 v39, v40, v37
	s_delay_alu instid0(VALU_DEP_1) | instskip(SKIP_1) | instid1(VALU_DEP_1)
	v_mul_f32_e32 v41, v39, v39
	s_wait_alu 0xfffe
	v_fmaak_f32 v42, s14, v41, 0x3ecc95a3
	v_mul_f32_e32 v43, v39, v41
	v_cmp_neq_f32_e64 s14, 0x7f800000, v38
	s_delay_alu instid0(VALU_DEP_3) | instskip(SKIP_2) | instid1(VALU_DEP_3)
	v_fmaak_f32 v41, v41, v42, 0x3f2aaada
	v_ldexp_f32 v42, v39, 1
	v_sub_f32_e32 v39, v39, v40
	v_mul_f32_e32 v41, v43, v41
	v_mul_f32_e32 v43, 0x3f317218, v36
	s_delay_alu instid0(VALU_DEP_2) | instskip(NEXT) | instid1(VALU_DEP_1)
	v_dual_sub_f32 v37, v37, v39 :: v_dual_add_f32 v40, v42, v41
	v_ldexp_f32 v37, v37, 1
	s_delay_alu instid0(VALU_DEP_2) | instskip(NEXT) | instid1(VALU_DEP_4)
	v_sub_f32_e32 v39, v40, v42
	v_fma_f32 v42, 0x3f317218, v36, -v43
	s_delay_alu instid0(VALU_DEP_1) | instskip(NEXT) | instid1(VALU_DEP_1)
	v_dual_sub_f32 v39, v41, v39 :: v_dual_fmamk_f32 v36, v36, 0xb102e308, v42
	v_add_f32_e32 v37, v37, v39
	s_delay_alu instid0(VALU_DEP_2) | instskip(NEXT) | instid1(VALU_DEP_2)
	v_add_f32_e32 v39, v43, v36
	v_add_f32_e32 v41, v40, v37
	s_delay_alu instid0(VALU_DEP_2) | instskip(NEXT) | instid1(VALU_DEP_2)
	v_sub_f32_e32 v43, v39, v43
	v_add_f32_e32 v42, v39, v41
	v_sub_f32_e32 v40, v41, v40
	s_delay_alu instid0(VALU_DEP_3) | instskip(NEXT) | instid1(VALU_DEP_2)
	v_sub_f32_e32 v36, v36, v43
	v_dual_sub_f32 v44, v42, v39 :: v_dual_sub_f32 v37, v37, v40
	s_delay_alu instid0(VALU_DEP_1) | instskip(NEXT) | instid1(VALU_DEP_2)
	v_sub_f32_e32 v45, v42, v44
	v_dual_sub_f32 v40, v41, v44 :: v_dual_add_f32 v41, v36, v37
	s_delay_alu instid0(VALU_DEP_2) | instskip(NEXT) | instid1(VALU_DEP_1)
	v_sub_f32_e32 v39, v39, v45
	v_dual_add_f32 v39, v40, v39 :: v_dual_sub_f32 v40, v41, v36
	s_delay_alu instid0(VALU_DEP_1) | instskip(NEXT) | instid1(VALU_DEP_2)
	v_add_f32_e32 v39, v41, v39
	v_sub_f32_e32 v41, v41, v40
	v_sub_f32_e32 v37, v37, v40
	s_delay_alu instid0(VALU_DEP_2) | instskip(NEXT) | instid1(VALU_DEP_1)
	v_dual_add_f32 v43, v42, v39 :: v_dual_sub_f32 v36, v36, v41
	v_sub_f32_e32 v40, v43, v42
	s_delay_alu instid0(VALU_DEP_2) | instskip(NEXT) | instid1(VALU_DEP_2)
	v_add_f32_e32 v36, v37, v36
	v_sub_f32_e32 v37, v39, v40
	s_delay_alu instid0(VALU_DEP_1) | instskip(NEXT) | instid1(VALU_DEP_1)
	v_add_f32_e32 v36, v36, v37
	v_add_f32_e32 v36, v43, v36
	s_wait_alu 0xf1ff
	s_delay_alu instid0(VALU_DEP_1) | instskip(SKIP_2) | instid1(VALU_DEP_1)
	v_cndmask_b32_e64 v36, 0x7f800000, v36, s14
	v_cmp_gt_f32_e64 s14, 0x33800000, |v38|
	s_wait_alu 0xf1ff
	v_cndmask_b32_e64 v36, v36, v38, s14
	s_delay_alu instid0(VALU_DEP_1)
	v_add_f32_e32 v36, v35, v36
.LBB443_254:
	s_or_b32 exec_lo, exec_lo, s22
	s_delay_alu instid0(VALU_DEP_1) | instskip(SKIP_1) | instid1(VALU_DEP_2)
	v_bfe_u32 v35, v36, 16, 1
	v_cmp_o_f32_e64 s14, v36, v36
	v_add3_u32 v35, v36, v35, 0x7fff
	s_delay_alu instid0(VALU_DEP_1) | instskip(SKIP_1) | instid1(VALU_DEP_1)
	v_lshrrev_b32_e32 v35, 16, v35
	s_wait_alu 0xf1ff
	v_cndmask_b32_e64 v36, 0x7fc0, v35, s14
	s_delay_alu instid0(VALU_DEP_1)
	v_and_b32_e32 v37, 0xffff, v36
.LBB443_255:
	s_or_b32 exec_lo, exec_lo, s16
	ds_swizzle_b32 v35, v37 offset:swizzle(BROADCAST,32,15)
	v_and_b32_e32 v38, 16, v34
	s_mov_b32 s16, exec_lo
	s_delay_alu instid0(VALU_DEP_1)
	v_cmpx_ne_u32_e32 0, v38
	s_cbranch_execz .LBB443_259
; %bb.256:
	s_wait_dscnt 0x0
	v_lshlrev_b32_e32 v36, 16, v35
	s_delay_alu instid0(VALU_DEP_1) | instskip(NEXT) | instid1(VALU_DEP_1)
	v_dual_max_num_f32 v37, v36, v36 :: v_dual_lshlrev_b32 v38, 16, v37
	v_max_num_f32_e32 v35, v38, v38
	v_cmp_u_f32_e64 s14, v36, v36
	s_delay_alu instid0(VALU_DEP_2) | instskip(SKIP_2) | instid1(VALU_DEP_2)
	v_min_num_f32_e32 v39, v37, v35
	v_max_num_f32_e32 v35, v37, v35
	s_wait_alu 0xf1ff
	v_cndmask_b32_e64 v37, v39, v36, s14
	s_delay_alu instid0(VALU_DEP_2) | instskip(SKIP_2) | instid1(VALU_DEP_1)
	v_cndmask_b32_e64 v35, v35, v36, s14
	v_cmp_u_f32_e64 s14, v38, v38
	s_wait_alu 0xf1ff
	v_cndmask_b32_e64 v37, v37, v38, s14
	s_delay_alu instid0(VALU_DEP_3) | instskip(NEXT) | instid1(VALU_DEP_2)
	v_cndmask_b32_e64 v35, v35, v38, s14
	v_cmp_class_f32_e64 s22, v37, 0x1f8
	s_delay_alu instid0(VALU_DEP_2)
	v_cmp_neq_f32_e64 s14, v37, v35
	s_or_b32 s14, s14, s22
	s_wait_alu 0xfffe
	s_and_saveexec_b32 s22, s14
	s_cbranch_execz .LBB443_258
; %bb.257:
	v_sub_f32_e32 v36, v37, v35
	s_delay_alu instid0(VALU_DEP_1) | instskip(SKIP_1) | instid1(VALU_DEP_2)
	v_mul_f32_e32 v37, 0x3fb8aa3b, v36
	v_cmp_ngt_f32_e64 s14, 0xc2ce8ed0, v36
	v_fma_f32 v38, 0x3fb8aa3b, v36, -v37
	v_rndne_f32_e32 v39, v37
	s_delay_alu instid0(VALU_DEP_1) | instskip(NEXT) | instid1(VALU_DEP_1)
	v_dual_fmamk_f32 v38, v36, 0x32a5705f, v38 :: v_dual_sub_f32 v37, v37, v39
	v_add_f32_e32 v37, v37, v38
	v_cvt_i32_f32_e32 v38, v39
	s_delay_alu instid0(VALU_DEP_2) | instskip(NEXT) | instid1(TRANS32_DEP_1)
	v_exp_f32_e32 v37, v37
	v_ldexp_f32 v37, v37, v38
	s_wait_alu 0xf1ff
	s_delay_alu instid0(VALU_DEP_1) | instskip(SKIP_2) | instid1(VALU_DEP_1)
	v_cndmask_b32_e64 v37, 0, v37, s14
	v_cmp_nlt_f32_e64 s14, 0x42b17218, v36
	s_wait_alu 0xf1ff
	v_cndmask_b32_e64 v38, 0x7f800000, v37, s14
	s_delay_alu instid0(VALU_DEP_1) | instskip(NEXT) | instid1(VALU_DEP_1)
	v_add_f32_e32 v39, 1.0, v38
	v_cvt_f64_f32_e32 v[36:37], v39
	s_delay_alu instid0(VALU_DEP_1) | instskip(SKIP_1) | instid1(VALU_DEP_1)
	v_frexp_exp_i32_f64_e32 v36, v[36:37]
	v_frexp_mant_f32_e32 v37, v39
	v_cmp_gt_f32_e64 s14, 0x3f2aaaab, v37
	v_add_f32_e32 v37, -1.0, v39
	s_delay_alu instid0(VALU_DEP_1)
	v_sub_f32_e32 v41, v37, v39
	v_sub_f32_e32 v37, v38, v37
	s_wait_alu 0xf1ff
	v_subrev_co_ci_u32_e64 v36, null, 0, v36, s14
	s_mov_b32 s14, 0x3e9b6dac
	v_sub_nc_u32_e32 v40, 0, v36
	v_cvt_f32_i32_e32 v36, v36
	s_delay_alu instid0(VALU_DEP_2) | instskip(NEXT) | instid1(VALU_DEP_1)
	v_ldexp_f32 v39, v39, v40
	v_dual_add_f32 v42, 1.0, v39 :: v_dual_add_f32 v41, 1.0, v41
	s_delay_alu instid0(VALU_DEP_1) | instskip(NEXT) | instid1(VALU_DEP_2)
	v_add_f32_e32 v37, v37, v41
	v_add_f32_e32 v41, -1.0, v42
	s_delay_alu instid0(VALU_DEP_2) | instskip(NEXT) | instid1(VALU_DEP_2)
	v_ldexp_f32 v37, v37, v40
	v_dual_add_f32 v40, -1.0, v39 :: v_dual_sub_f32 v41, v39, v41
	s_delay_alu instid0(VALU_DEP_1) | instskip(NEXT) | instid1(VALU_DEP_2)
	v_add_f32_e32 v43, 1.0, v40
	v_add_f32_e32 v41, v37, v41
	s_delay_alu instid0(VALU_DEP_2) | instskip(NEXT) | instid1(VALU_DEP_2)
	v_sub_f32_e32 v39, v39, v43
	v_add_f32_e32 v43, v42, v41
	s_delay_alu instid0(VALU_DEP_2) | instskip(NEXT) | instid1(VALU_DEP_2)
	v_add_f32_e32 v37, v37, v39
	v_rcp_f32_e32 v39, v43
	v_sub_f32_e32 v42, v42, v43
	s_delay_alu instid0(VALU_DEP_1) | instskip(NEXT) | instid1(VALU_DEP_1)
	v_dual_add_f32 v44, v40, v37 :: v_dual_add_f32 v41, v41, v42
	v_sub_f32_e32 v40, v40, v44
	s_delay_alu instid0(TRANS32_DEP_1) | instskip(NEXT) | instid1(VALU_DEP_1)
	v_mul_f32_e32 v45, v44, v39
	v_dual_add_f32 v37, v37, v40 :: v_dual_mul_f32 v46, v43, v45
	s_delay_alu instid0(VALU_DEP_1) | instskip(NEXT) | instid1(VALU_DEP_1)
	v_fma_f32 v42, v45, v43, -v46
	v_fmac_f32_e32 v42, v45, v41
	s_delay_alu instid0(VALU_DEP_1) | instskip(NEXT) | instid1(VALU_DEP_1)
	v_add_f32_e32 v47, v46, v42
	v_sub_f32_e32 v48, v44, v47
	v_sub_f32_e32 v40, v47, v46
	s_delay_alu instid0(VALU_DEP_2) | instskip(NEXT) | instid1(VALU_DEP_2)
	v_sub_f32_e32 v44, v44, v48
	v_sub_f32_e32 v40, v40, v42
	s_delay_alu instid0(VALU_DEP_2) | instskip(NEXT) | instid1(VALU_DEP_1)
	v_sub_f32_e32 v44, v44, v47
	v_add_f32_e32 v37, v37, v44
	s_delay_alu instid0(VALU_DEP_1) | instskip(NEXT) | instid1(VALU_DEP_1)
	v_add_f32_e32 v37, v40, v37
	v_add_f32_e32 v40, v48, v37
	s_delay_alu instid0(VALU_DEP_1) | instskip(NEXT) | instid1(VALU_DEP_1)
	v_mul_f32_e32 v42, v39, v40
	v_dual_sub_f32 v47, v48, v40 :: v_dual_mul_f32 v44, v43, v42
	s_delay_alu instid0(VALU_DEP_1) | instskip(NEXT) | instid1(VALU_DEP_2)
	v_add_f32_e32 v37, v37, v47
	v_fma_f32 v43, v42, v43, -v44
	s_delay_alu instid0(VALU_DEP_1) | instskip(NEXT) | instid1(VALU_DEP_1)
	v_fmac_f32_e32 v43, v42, v41
	v_add_f32_e32 v41, v44, v43
	s_delay_alu instid0(VALU_DEP_1) | instskip(SKIP_1) | instid1(VALU_DEP_2)
	v_sub_f32_e32 v46, v40, v41
	v_sub_f32_e32 v44, v41, v44
	;; [unrolled: 1-line block ×3, first 2 shown]
	s_delay_alu instid0(VALU_DEP_1) | instskip(NEXT) | instid1(VALU_DEP_3)
	v_sub_f32_e32 v40, v40, v41
	v_sub_f32_e32 v41, v44, v43
	s_delay_alu instid0(VALU_DEP_2) | instskip(SKIP_1) | instid1(VALU_DEP_2)
	v_add_f32_e32 v37, v37, v40
	v_add_f32_e32 v40, v45, v42
	;; [unrolled: 1-line block ×3, first 2 shown]
	s_delay_alu instid0(VALU_DEP_2) | instskip(NEXT) | instid1(VALU_DEP_2)
	v_sub_f32_e32 v41, v40, v45
	v_add_f32_e32 v37, v46, v37
	s_delay_alu instid0(VALU_DEP_2) | instskip(NEXT) | instid1(VALU_DEP_2)
	v_sub_f32_e32 v41, v42, v41
	v_mul_f32_e32 v37, v39, v37
	s_delay_alu instid0(VALU_DEP_1) | instskip(NEXT) | instid1(VALU_DEP_1)
	v_add_f32_e32 v37, v41, v37
	v_add_f32_e32 v39, v40, v37
	s_delay_alu instid0(VALU_DEP_1) | instskip(SKIP_1) | instid1(VALU_DEP_1)
	v_mul_f32_e32 v41, v39, v39
	s_wait_alu 0xfffe
	v_fmaak_f32 v42, s14, v41, 0x3ecc95a3
	v_mul_f32_e32 v43, v39, v41
	v_cmp_neq_f32_e64 s14, 0x7f800000, v38
	s_delay_alu instid0(VALU_DEP_3) | instskip(SKIP_2) | instid1(VALU_DEP_3)
	v_fmaak_f32 v41, v41, v42, 0x3f2aaada
	v_ldexp_f32 v42, v39, 1
	v_sub_f32_e32 v39, v39, v40
	v_mul_f32_e32 v41, v43, v41
	v_mul_f32_e32 v43, 0x3f317218, v36
	s_delay_alu instid0(VALU_DEP_2) | instskip(NEXT) | instid1(VALU_DEP_1)
	v_dual_sub_f32 v37, v37, v39 :: v_dual_add_f32 v40, v42, v41
	v_ldexp_f32 v37, v37, 1
	s_delay_alu instid0(VALU_DEP_2) | instskip(NEXT) | instid1(VALU_DEP_4)
	v_sub_f32_e32 v39, v40, v42
	v_fma_f32 v42, 0x3f317218, v36, -v43
	s_delay_alu instid0(VALU_DEP_1) | instskip(NEXT) | instid1(VALU_DEP_1)
	v_dual_sub_f32 v39, v41, v39 :: v_dual_fmamk_f32 v36, v36, 0xb102e308, v42
	v_add_f32_e32 v37, v37, v39
	s_delay_alu instid0(VALU_DEP_2) | instskip(NEXT) | instid1(VALU_DEP_2)
	v_add_f32_e32 v39, v43, v36
	v_add_f32_e32 v41, v40, v37
	s_delay_alu instid0(VALU_DEP_2) | instskip(NEXT) | instid1(VALU_DEP_2)
	v_sub_f32_e32 v43, v39, v43
	v_add_f32_e32 v42, v39, v41
	v_sub_f32_e32 v40, v41, v40
	s_delay_alu instid0(VALU_DEP_3) | instskip(NEXT) | instid1(VALU_DEP_2)
	v_sub_f32_e32 v36, v36, v43
	v_dual_sub_f32 v44, v42, v39 :: v_dual_sub_f32 v37, v37, v40
	s_delay_alu instid0(VALU_DEP_1) | instskip(NEXT) | instid1(VALU_DEP_2)
	v_sub_f32_e32 v45, v42, v44
	v_dual_sub_f32 v40, v41, v44 :: v_dual_add_f32 v41, v36, v37
	s_delay_alu instid0(VALU_DEP_2) | instskip(NEXT) | instid1(VALU_DEP_1)
	v_sub_f32_e32 v39, v39, v45
	v_dual_add_f32 v39, v40, v39 :: v_dual_sub_f32 v40, v41, v36
	s_delay_alu instid0(VALU_DEP_1) | instskip(NEXT) | instid1(VALU_DEP_2)
	v_add_f32_e32 v39, v41, v39
	v_sub_f32_e32 v41, v41, v40
	v_sub_f32_e32 v37, v37, v40
	s_delay_alu instid0(VALU_DEP_2) | instskip(NEXT) | instid1(VALU_DEP_1)
	v_dual_add_f32 v43, v42, v39 :: v_dual_sub_f32 v36, v36, v41
	v_sub_f32_e32 v40, v43, v42
	s_delay_alu instid0(VALU_DEP_2) | instskip(NEXT) | instid1(VALU_DEP_2)
	v_add_f32_e32 v36, v37, v36
	v_sub_f32_e32 v37, v39, v40
	s_delay_alu instid0(VALU_DEP_1) | instskip(NEXT) | instid1(VALU_DEP_1)
	v_add_f32_e32 v36, v36, v37
	v_add_f32_e32 v36, v43, v36
	s_wait_alu 0xf1ff
	s_delay_alu instid0(VALU_DEP_1) | instskip(SKIP_2) | instid1(VALU_DEP_1)
	v_cndmask_b32_e64 v36, 0x7f800000, v36, s14
	v_cmp_gt_f32_e64 s14, 0x33800000, |v38|
	s_wait_alu 0xf1ff
	v_cndmask_b32_e64 v36, v36, v38, s14
	s_delay_alu instid0(VALU_DEP_1)
	v_add_f32_e32 v36, v35, v36
.LBB443_258:
	s_or_b32 exec_lo, exec_lo, s22
	s_delay_alu instid0(VALU_DEP_1) | instskip(SKIP_1) | instid1(VALU_DEP_2)
	v_bfe_u32 v35, v36, 16, 1
	v_cmp_o_f32_e64 s14, v36, v36
	v_add3_u32 v35, v36, v35, 0x7fff
	s_delay_alu instid0(VALU_DEP_1) | instskip(SKIP_1) | instid1(VALU_DEP_1)
	v_lshrrev_b32_e32 v35, 16, v35
	s_wait_alu 0xf1ff
	v_cndmask_b32_e64 v36, 0x7fc0, v35, s14
.LBB443_259:
	s_or_b32 exec_lo, exec_lo, s16
	s_wait_dscnt 0x0
	v_add_nc_u32_e32 v35, -1, v34
	s_delay_alu instid0(VALU_DEP_1) | instskip(SKIP_1) | instid1(VALU_DEP_1)
	v_cmp_gt_i32_e64 s14, 0, v35
	s_wait_alu 0xf1ff
	v_cndmask_b32_e64 v34, v35, v34, s14
	v_and_b32_e32 v35, 0xffff, v36
	s_delay_alu instid0(VALU_DEP_2) | instskip(SKIP_3) | instid1(VALU_DEP_1)
	v_lshlrev_b32_e32 v34, 2, v34
	ds_bpermute_b32 v34, v34, v35
	s_wait_dscnt 0x0
	v_lshlrev_b32_e32 v34, 16, v34
	v_max_num_f32_e32 v35, v34, v34
	v_cmp_u_f32_e64 s14, v34, v34
	s_delay_alu instid0(VALU_DEP_2) | instskip(SKIP_2) | instid1(VALU_DEP_2)
	v_min_num_f32_e32 v36, v35, v33
	v_max_num_f32_e32 v33, v35, v33
	s_wait_alu 0xf1ff
	v_cndmask_b32_e64 v35, v36, v34, s14
	s_delay_alu instid0(VALU_DEP_2) | instskip(NEXT) | instid1(VALU_DEP_2)
	v_cndmask_b32_e64 v36, v33, v34, s14
	v_cndmask_b32_e64 v33, v35, v32, s13
	s_delay_alu instid0(VALU_DEP_2) | instskip(NEXT) | instid1(VALU_DEP_2)
	v_cndmask_b32_e64 v32, v36, v32, s13
	v_cmp_class_f32_e64 s14, v33, 0x1f8
	s_delay_alu instid0(VALU_DEP_2)
	v_cmp_neq_f32_e64 s13, v33, v32
	s_or_b32 s13, s13, s14
	s_wait_alu 0xfffe
	s_and_saveexec_b32 s14, s13
	s_cbranch_execz .LBB443_261
; %bb.260:
	v_sub_f32_e32 v33, v33, v32
	s_delay_alu instid0(VALU_DEP_1) | instskip(NEXT) | instid1(VALU_DEP_1)
	v_mul_f32_e32 v34, 0x3fb8aa3b, v33
	v_fma_f32 v35, 0x3fb8aa3b, v33, -v34
	v_rndne_f32_e32 v36, v34
	s_delay_alu instid0(VALU_DEP_1) | instskip(NEXT) | instid1(VALU_DEP_1)
	v_dual_fmamk_f32 v35, v33, 0x32a5705f, v35 :: v_dual_sub_f32 v34, v34, v36
	v_add_f32_e32 v34, v34, v35
	v_cvt_i32_f32_e32 v35, v36
	v_cmp_ngt_f32_e64 s13, 0xc2ce8ed0, v33
	s_delay_alu instid0(VALU_DEP_3) | instskip(NEXT) | instid1(TRANS32_DEP_1)
	v_exp_f32_e32 v34, v34
	v_ldexp_f32 v34, v34, v35
	s_wait_alu 0xf1ff
	s_delay_alu instid0(VALU_DEP_1) | instskip(SKIP_2) | instid1(VALU_DEP_1)
	v_cndmask_b32_e64 v34, 0, v34, s13
	v_cmp_nlt_f32_e64 s13, 0x42b17218, v33
	s_wait_alu 0xf1ff
	v_cndmask_b32_e64 v35, 0x7f800000, v34, s13
	s_delay_alu instid0(VALU_DEP_1) | instskip(NEXT) | instid1(VALU_DEP_1)
	v_add_f32_e32 v36, 1.0, v35
	v_cvt_f64_f32_e32 v[33:34], v36
	s_delay_alu instid0(VALU_DEP_1) | instskip(SKIP_1) | instid1(VALU_DEP_1)
	v_frexp_exp_i32_f64_e32 v33, v[33:34]
	v_frexp_mant_f32_e32 v34, v36
	v_cmp_gt_f32_e64 s13, 0x3f2aaaab, v34
	v_add_f32_e32 v34, -1.0, v36
	s_delay_alu instid0(VALU_DEP_1) | instskip(SKIP_1) | instid1(VALU_DEP_3)
	v_sub_f32_e32 v38, v34, v36
	s_wait_alu 0xf1ff
	v_subrev_co_ci_u32_e64 v33, null, 0, v33, s13
	s_mov_b32 s13, 0x3e9b6dac
	v_sub_nc_u32_e32 v37, 0, v33
	v_cvt_f32_i32_e32 v33, v33
	s_delay_alu instid0(VALU_DEP_2) | instskip(NEXT) | instid1(VALU_DEP_1)
	v_ldexp_f32 v36, v36, v37
	v_dual_sub_f32 v34, v35, v34 :: v_dual_add_f32 v39, 1.0, v36
	v_add_f32_e32 v38, 1.0, v38
	s_delay_alu instid0(VALU_DEP_1) | instskip(NEXT) | instid1(VALU_DEP_3)
	v_add_f32_e32 v34, v34, v38
	v_add_f32_e32 v38, -1.0, v39
	s_delay_alu instid0(VALU_DEP_2) | instskip(NEXT) | instid1(VALU_DEP_2)
	v_ldexp_f32 v34, v34, v37
	v_dual_add_f32 v37, -1.0, v36 :: v_dual_sub_f32 v38, v36, v38
	s_delay_alu instid0(VALU_DEP_1) | instskip(NEXT) | instid1(VALU_DEP_2)
	v_add_f32_e32 v40, 1.0, v37
	v_add_f32_e32 v38, v34, v38
	s_delay_alu instid0(VALU_DEP_2) | instskip(NEXT) | instid1(VALU_DEP_2)
	v_sub_f32_e32 v36, v36, v40
	v_add_f32_e32 v40, v39, v38
	s_delay_alu instid0(VALU_DEP_2) | instskip(NEXT) | instid1(VALU_DEP_2)
	v_add_f32_e32 v34, v34, v36
	v_rcp_f32_e32 v36, v40
	v_sub_f32_e32 v39, v39, v40
	s_delay_alu instid0(VALU_DEP_1) | instskip(NEXT) | instid1(VALU_DEP_1)
	v_dual_add_f32 v41, v37, v34 :: v_dual_add_f32 v38, v38, v39
	v_sub_f32_e32 v37, v37, v41
	s_delay_alu instid0(TRANS32_DEP_1) | instskip(NEXT) | instid1(VALU_DEP_1)
	v_mul_f32_e32 v42, v41, v36
	v_dual_add_f32 v34, v34, v37 :: v_dual_mul_f32 v43, v40, v42
	s_delay_alu instid0(VALU_DEP_1) | instskip(NEXT) | instid1(VALU_DEP_1)
	v_fma_f32 v39, v42, v40, -v43
	v_fmac_f32_e32 v39, v42, v38
	s_delay_alu instid0(VALU_DEP_1) | instskip(NEXT) | instid1(VALU_DEP_1)
	v_add_f32_e32 v44, v43, v39
	v_sub_f32_e32 v45, v41, v44
	v_sub_f32_e32 v37, v44, v43
	s_delay_alu instid0(VALU_DEP_2) | instskip(NEXT) | instid1(VALU_DEP_2)
	v_sub_f32_e32 v41, v41, v45
	v_sub_f32_e32 v37, v37, v39
	s_delay_alu instid0(VALU_DEP_2) | instskip(NEXT) | instid1(VALU_DEP_1)
	v_sub_f32_e32 v41, v41, v44
	v_add_f32_e32 v34, v34, v41
	s_delay_alu instid0(VALU_DEP_1) | instskip(NEXT) | instid1(VALU_DEP_1)
	v_add_f32_e32 v34, v37, v34
	v_add_f32_e32 v37, v45, v34
	s_delay_alu instid0(VALU_DEP_1) | instskip(NEXT) | instid1(VALU_DEP_1)
	v_mul_f32_e32 v39, v36, v37
	v_dual_sub_f32 v44, v45, v37 :: v_dual_mul_f32 v41, v40, v39
	s_delay_alu instid0(VALU_DEP_1) | instskip(NEXT) | instid1(VALU_DEP_2)
	v_add_f32_e32 v34, v34, v44
	v_fma_f32 v40, v39, v40, -v41
	s_delay_alu instid0(VALU_DEP_1) | instskip(NEXT) | instid1(VALU_DEP_1)
	v_fmac_f32_e32 v40, v39, v38
	v_add_f32_e32 v38, v41, v40
	s_delay_alu instid0(VALU_DEP_1) | instskip(SKIP_1) | instid1(VALU_DEP_2)
	v_sub_f32_e32 v43, v37, v38
	v_sub_f32_e32 v41, v38, v41
	v_sub_f32_e32 v37, v37, v43
	s_delay_alu instid0(VALU_DEP_1) | instskip(NEXT) | instid1(VALU_DEP_3)
	v_sub_f32_e32 v37, v37, v38
	v_sub_f32_e32 v38, v41, v40
	s_delay_alu instid0(VALU_DEP_2) | instskip(SKIP_1) | instid1(VALU_DEP_2)
	v_add_f32_e32 v34, v34, v37
	v_add_f32_e32 v37, v42, v39
	;; [unrolled: 1-line block ×3, first 2 shown]
	s_delay_alu instid0(VALU_DEP_2) | instskip(NEXT) | instid1(VALU_DEP_2)
	v_sub_f32_e32 v38, v37, v42
	v_add_f32_e32 v34, v43, v34
	s_delay_alu instid0(VALU_DEP_2) | instskip(NEXT) | instid1(VALU_DEP_2)
	v_sub_f32_e32 v38, v39, v38
	v_mul_f32_e32 v34, v36, v34
	s_delay_alu instid0(VALU_DEP_1) | instskip(NEXT) | instid1(VALU_DEP_1)
	v_add_f32_e32 v34, v38, v34
	v_add_f32_e32 v36, v37, v34
	s_delay_alu instid0(VALU_DEP_1) | instskip(SKIP_1) | instid1(VALU_DEP_1)
	v_mul_f32_e32 v38, v36, v36
	s_wait_alu 0xfffe
	v_fmaak_f32 v39, s13, v38, 0x3ecc95a3
	v_mul_f32_e32 v40, v36, v38
	v_cmp_neq_f32_e64 s13, 0x7f800000, v35
	s_delay_alu instid0(VALU_DEP_3) | instskip(SKIP_2) | instid1(VALU_DEP_3)
	v_fmaak_f32 v38, v38, v39, 0x3f2aaada
	v_ldexp_f32 v39, v36, 1
	v_sub_f32_e32 v36, v36, v37
	v_mul_f32_e32 v38, v40, v38
	v_mul_f32_e32 v40, 0x3f317218, v33
	s_delay_alu instid0(VALU_DEP_2) | instskip(NEXT) | instid1(VALU_DEP_1)
	v_dual_sub_f32 v34, v34, v36 :: v_dual_add_f32 v37, v39, v38
	v_ldexp_f32 v34, v34, 1
	s_delay_alu instid0(VALU_DEP_2) | instskip(NEXT) | instid1(VALU_DEP_4)
	v_sub_f32_e32 v36, v37, v39
	v_fma_f32 v39, 0x3f317218, v33, -v40
	s_delay_alu instid0(VALU_DEP_1) | instskip(NEXT) | instid1(VALU_DEP_1)
	v_dual_sub_f32 v36, v38, v36 :: v_dual_fmamk_f32 v33, v33, 0xb102e308, v39
	v_add_f32_e32 v34, v34, v36
	s_delay_alu instid0(VALU_DEP_2) | instskip(NEXT) | instid1(VALU_DEP_2)
	v_add_f32_e32 v36, v40, v33
	v_add_f32_e32 v38, v37, v34
	s_delay_alu instid0(VALU_DEP_2) | instskip(NEXT) | instid1(VALU_DEP_2)
	v_sub_f32_e32 v40, v36, v40
	v_add_f32_e32 v39, v36, v38
	v_sub_f32_e32 v37, v38, v37
	s_delay_alu instid0(VALU_DEP_3) | instskip(NEXT) | instid1(VALU_DEP_2)
	v_sub_f32_e32 v33, v33, v40
	v_dual_sub_f32 v41, v39, v36 :: v_dual_sub_f32 v34, v34, v37
	s_delay_alu instid0(VALU_DEP_1) | instskip(NEXT) | instid1(VALU_DEP_2)
	v_sub_f32_e32 v42, v39, v41
	v_dual_sub_f32 v37, v38, v41 :: v_dual_add_f32 v38, v33, v34
	s_delay_alu instid0(VALU_DEP_2) | instskip(NEXT) | instid1(VALU_DEP_1)
	v_sub_f32_e32 v36, v36, v42
	v_dual_add_f32 v36, v37, v36 :: v_dual_sub_f32 v37, v38, v33
	s_delay_alu instid0(VALU_DEP_1) | instskip(NEXT) | instid1(VALU_DEP_2)
	v_add_f32_e32 v36, v38, v36
	v_sub_f32_e32 v38, v38, v37
	v_sub_f32_e32 v34, v34, v37
	s_delay_alu instid0(VALU_DEP_2) | instskip(NEXT) | instid1(VALU_DEP_1)
	v_dual_add_f32 v40, v39, v36 :: v_dual_sub_f32 v33, v33, v38
	v_sub_f32_e32 v37, v40, v39
	s_delay_alu instid0(VALU_DEP_2) | instskip(NEXT) | instid1(VALU_DEP_2)
	v_add_f32_e32 v33, v34, v33
	v_sub_f32_e32 v34, v36, v37
	s_delay_alu instid0(VALU_DEP_1) | instskip(NEXT) | instid1(VALU_DEP_1)
	v_add_f32_e32 v33, v33, v34
	v_add_f32_e32 v33, v40, v33
	s_wait_alu 0xf1ff
	s_delay_alu instid0(VALU_DEP_1) | instskip(SKIP_2) | instid1(VALU_DEP_1)
	v_cndmask_b32_e64 v33, 0x7f800000, v33, s13
	v_cmp_gt_f32_e64 s13, 0x33800000, |v35|
	s_wait_alu 0xf1ff
	v_cndmask_b32_e64 v33, v33, v35, s13
	s_delay_alu instid0(VALU_DEP_1)
	v_add_f32_e32 v34, v32, v33
.LBB443_261:
	s_wait_alu 0xfffe
	s_or_b32 exec_lo, exec_lo, s14
	s_delay_alu instid0(VALU_DEP_1) | instskip(SKIP_1) | instid1(VALU_DEP_2)
	v_bfe_u32 v32, v34, 16, 1
	v_cmp_o_f32_e64 s13, v34, v34
	; wave barrier
	v_add3_u32 v32, v34, v32, 0x7fff
	s_delay_alu instid0(VALU_DEP_1) | instskip(SKIP_1) | instid1(VALU_DEP_1)
	v_lshrrev_b32_e32 v32, 16, v32
	s_wait_alu 0xf1ff
	v_cndmask_b32_e64 v32, 0x7fc0, v32, s13
	s_delay_alu instid0(VALU_DEP_1)
	v_cndmask_b32_e64 v31, v32, v31, s12
	ds_store_b16 v30, v31
	; wave barrier
	ds_load_u16 v33, v30 offset:2
	v_lshlrev_b32_e32 v32, 16, v31
	s_wait_dscnt 0x0
	v_lshlrev_b32_e32 v31, 16, v33
	s_delay_alu instid0(VALU_DEP_1) | instskip(NEXT) | instid1(VALU_DEP_1)
	v_dual_max_num_f32 v33, v32, v32 :: v_dual_max_num_f32 v34, v31, v31
	v_min_num_f32_e32 v35, v33, v34
	v_max_num_f32_e32 v33, v33, v34
	v_cmp_u_f32_e64 s12, v32, v32
	s_wait_alu 0xf1ff
	s_delay_alu instid0(VALU_DEP_1) | instskip(NEXT) | instid1(VALU_DEP_3)
	v_cndmask_b32_e64 v34, v35, v32, s12
	v_cndmask_b32_e64 v35, v33, v32, s12
	v_cmp_u_f32_e64 s12, v31, v31
	s_wait_alu 0xf1ff
	s_delay_alu instid0(VALU_DEP_1) | instskip(NEXT) | instid1(VALU_DEP_3)
	v_cndmask_b32_e64 v33, v34, v31, s12
	v_cndmask_b32_e64 v31, v35, v31, s12
	s_delay_alu instid0(VALU_DEP_2) | instskip(NEXT) | instid1(VALU_DEP_2)
	v_cmp_class_f32_e64 s13, v33, 0x1f8
	v_cmp_neq_f32_e64 s12, v33, v31
	s_or_b32 s12, s12, s13
	s_wait_alu 0xfffe
	s_and_saveexec_b32 s13, s12
	s_cbranch_execz .LBB443_263
; %bb.262:
	v_sub_f32_e32 v32, v33, v31
	s_delay_alu instid0(VALU_DEP_1) | instskip(SKIP_1) | instid1(VALU_DEP_2)
	v_mul_f32_e32 v33, 0x3fb8aa3b, v32
	v_cmp_ngt_f32_e64 s12, 0xc2ce8ed0, v32
	v_fma_f32 v34, 0x3fb8aa3b, v32, -v33
	v_rndne_f32_e32 v35, v33
	s_delay_alu instid0(VALU_DEP_1) | instskip(NEXT) | instid1(VALU_DEP_1)
	v_dual_fmamk_f32 v34, v32, 0x32a5705f, v34 :: v_dual_sub_f32 v33, v33, v35
	v_add_f32_e32 v33, v33, v34
	v_cvt_i32_f32_e32 v34, v35
	s_delay_alu instid0(VALU_DEP_2) | instskip(NEXT) | instid1(TRANS32_DEP_1)
	v_exp_f32_e32 v33, v33
	v_ldexp_f32 v33, v33, v34
	s_wait_alu 0xf1ff
	s_delay_alu instid0(VALU_DEP_1) | instskip(SKIP_2) | instid1(VALU_DEP_1)
	v_cndmask_b32_e64 v33, 0, v33, s12
	v_cmp_nlt_f32_e64 s12, 0x42b17218, v32
	s_wait_alu 0xf1ff
	v_cndmask_b32_e64 v34, 0x7f800000, v33, s12
	s_delay_alu instid0(VALU_DEP_1) | instskip(NEXT) | instid1(VALU_DEP_1)
	v_add_f32_e32 v35, 1.0, v34
	v_cvt_f64_f32_e32 v[32:33], v35
	s_delay_alu instid0(VALU_DEP_1) | instskip(SKIP_1) | instid1(VALU_DEP_1)
	v_frexp_exp_i32_f64_e32 v32, v[32:33]
	v_frexp_mant_f32_e32 v33, v35
	v_cmp_gt_f32_e64 s12, 0x3f2aaaab, v33
	v_add_f32_e32 v33, -1.0, v35
	s_delay_alu instid0(VALU_DEP_1)
	v_sub_f32_e32 v37, v33, v35
	v_sub_f32_e32 v33, v34, v33
	s_wait_alu 0xf1ff
	v_subrev_co_ci_u32_e64 v32, null, 0, v32, s12
	s_mov_b32 s12, 0x3e9b6dac
	v_sub_nc_u32_e32 v36, 0, v32
	v_cvt_f32_i32_e32 v32, v32
	s_delay_alu instid0(VALU_DEP_2) | instskip(NEXT) | instid1(VALU_DEP_1)
	v_ldexp_f32 v35, v35, v36
	v_dual_add_f32 v38, 1.0, v35 :: v_dual_add_f32 v37, 1.0, v37
	s_delay_alu instid0(VALU_DEP_1) | instskip(NEXT) | instid1(VALU_DEP_2)
	v_add_f32_e32 v33, v33, v37
	v_add_f32_e32 v37, -1.0, v38
	s_delay_alu instid0(VALU_DEP_2) | instskip(NEXT) | instid1(VALU_DEP_2)
	v_ldexp_f32 v33, v33, v36
	v_dual_add_f32 v36, -1.0, v35 :: v_dual_sub_f32 v37, v35, v37
	s_delay_alu instid0(VALU_DEP_1) | instskip(NEXT) | instid1(VALU_DEP_2)
	v_add_f32_e32 v39, 1.0, v36
	v_add_f32_e32 v37, v33, v37
	s_delay_alu instid0(VALU_DEP_2) | instskip(NEXT) | instid1(VALU_DEP_2)
	v_sub_f32_e32 v35, v35, v39
	v_add_f32_e32 v39, v38, v37
	s_delay_alu instid0(VALU_DEP_2) | instskip(NEXT) | instid1(VALU_DEP_2)
	v_add_f32_e32 v33, v33, v35
	v_rcp_f32_e32 v35, v39
	v_sub_f32_e32 v38, v38, v39
	s_delay_alu instid0(VALU_DEP_1) | instskip(NEXT) | instid1(VALU_DEP_1)
	v_dual_add_f32 v40, v36, v33 :: v_dual_add_f32 v37, v37, v38
	v_sub_f32_e32 v36, v36, v40
	s_delay_alu instid0(TRANS32_DEP_1) | instskip(NEXT) | instid1(VALU_DEP_1)
	v_mul_f32_e32 v41, v40, v35
	v_dual_add_f32 v33, v33, v36 :: v_dual_mul_f32 v42, v39, v41
	s_delay_alu instid0(VALU_DEP_1) | instskip(NEXT) | instid1(VALU_DEP_1)
	v_fma_f32 v38, v41, v39, -v42
	v_fmac_f32_e32 v38, v41, v37
	s_delay_alu instid0(VALU_DEP_1) | instskip(NEXT) | instid1(VALU_DEP_1)
	v_add_f32_e32 v43, v42, v38
	v_sub_f32_e32 v44, v40, v43
	v_sub_f32_e32 v36, v43, v42
	s_delay_alu instid0(VALU_DEP_2) | instskip(NEXT) | instid1(VALU_DEP_2)
	v_sub_f32_e32 v40, v40, v44
	v_sub_f32_e32 v36, v36, v38
	s_delay_alu instid0(VALU_DEP_2) | instskip(NEXT) | instid1(VALU_DEP_1)
	v_sub_f32_e32 v40, v40, v43
	v_add_f32_e32 v33, v33, v40
	s_delay_alu instid0(VALU_DEP_1) | instskip(NEXT) | instid1(VALU_DEP_1)
	v_add_f32_e32 v33, v36, v33
	v_add_f32_e32 v36, v44, v33
	s_delay_alu instid0(VALU_DEP_1) | instskip(NEXT) | instid1(VALU_DEP_1)
	v_mul_f32_e32 v38, v35, v36
	v_dual_sub_f32 v43, v44, v36 :: v_dual_mul_f32 v40, v39, v38
	s_delay_alu instid0(VALU_DEP_1) | instskip(NEXT) | instid1(VALU_DEP_2)
	v_add_f32_e32 v33, v33, v43
	v_fma_f32 v39, v38, v39, -v40
	s_delay_alu instid0(VALU_DEP_1) | instskip(NEXT) | instid1(VALU_DEP_1)
	v_fmac_f32_e32 v39, v38, v37
	v_add_f32_e32 v37, v40, v39
	s_delay_alu instid0(VALU_DEP_1) | instskip(SKIP_1) | instid1(VALU_DEP_2)
	v_sub_f32_e32 v42, v36, v37
	v_sub_f32_e32 v40, v37, v40
	;; [unrolled: 1-line block ×3, first 2 shown]
	s_delay_alu instid0(VALU_DEP_1) | instskip(NEXT) | instid1(VALU_DEP_3)
	v_sub_f32_e32 v36, v36, v37
	v_sub_f32_e32 v37, v40, v39
	s_delay_alu instid0(VALU_DEP_2) | instskip(SKIP_1) | instid1(VALU_DEP_2)
	v_add_f32_e32 v33, v33, v36
	v_add_f32_e32 v36, v41, v38
	;; [unrolled: 1-line block ×3, first 2 shown]
	s_delay_alu instid0(VALU_DEP_2) | instskip(NEXT) | instid1(VALU_DEP_2)
	v_sub_f32_e32 v37, v36, v41
	v_add_f32_e32 v33, v42, v33
	s_delay_alu instid0(VALU_DEP_2) | instskip(NEXT) | instid1(VALU_DEP_2)
	v_sub_f32_e32 v37, v38, v37
	v_mul_f32_e32 v33, v35, v33
	s_delay_alu instid0(VALU_DEP_1) | instskip(NEXT) | instid1(VALU_DEP_1)
	v_add_f32_e32 v33, v37, v33
	v_add_f32_e32 v35, v36, v33
	s_delay_alu instid0(VALU_DEP_1) | instskip(SKIP_1) | instid1(VALU_DEP_1)
	v_mul_f32_e32 v37, v35, v35
	s_wait_alu 0xfffe
	v_fmaak_f32 v38, s12, v37, 0x3ecc95a3
	v_mul_f32_e32 v39, v35, v37
	v_cmp_neq_f32_e64 s12, 0x7f800000, v34
	s_delay_alu instid0(VALU_DEP_3) | instskip(SKIP_2) | instid1(VALU_DEP_3)
	v_fmaak_f32 v37, v37, v38, 0x3f2aaada
	v_ldexp_f32 v38, v35, 1
	v_sub_f32_e32 v35, v35, v36
	v_mul_f32_e32 v37, v39, v37
	v_mul_f32_e32 v39, 0x3f317218, v32
	s_delay_alu instid0(VALU_DEP_2) | instskip(NEXT) | instid1(VALU_DEP_1)
	v_dual_sub_f32 v33, v33, v35 :: v_dual_add_f32 v36, v38, v37
	v_ldexp_f32 v33, v33, 1
	s_delay_alu instid0(VALU_DEP_2) | instskip(NEXT) | instid1(VALU_DEP_4)
	v_sub_f32_e32 v35, v36, v38
	v_fma_f32 v38, 0x3f317218, v32, -v39
	s_delay_alu instid0(VALU_DEP_1) | instskip(NEXT) | instid1(VALU_DEP_1)
	v_dual_sub_f32 v35, v37, v35 :: v_dual_fmamk_f32 v32, v32, 0xb102e308, v38
	v_add_f32_e32 v33, v33, v35
	s_delay_alu instid0(VALU_DEP_2) | instskip(NEXT) | instid1(VALU_DEP_2)
	v_add_f32_e32 v35, v39, v32
	v_add_f32_e32 v37, v36, v33
	s_delay_alu instid0(VALU_DEP_2) | instskip(NEXT) | instid1(VALU_DEP_2)
	v_sub_f32_e32 v39, v35, v39
	v_add_f32_e32 v38, v35, v37
	v_sub_f32_e32 v36, v37, v36
	s_delay_alu instid0(VALU_DEP_3) | instskip(NEXT) | instid1(VALU_DEP_2)
	v_sub_f32_e32 v32, v32, v39
	v_dual_sub_f32 v40, v38, v35 :: v_dual_sub_f32 v33, v33, v36
	s_delay_alu instid0(VALU_DEP_1) | instskip(NEXT) | instid1(VALU_DEP_2)
	v_sub_f32_e32 v41, v38, v40
	v_dual_sub_f32 v36, v37, v40 :: v_dual_add_f32 v37, v32, v33
	s_delay_alu instid0(VALU_DEP_2) | instskip(NEXT) | instid1(VALU_DEP_1)
	v_sub_f32_e32 v35, v35, v41
	v_dual_add_f32 v35, v36, v35 :: v_dual_sub_f32 v36, v37, v32
	s_delay_alu instid0(VALU_DEP_1) | instskip(NEXT) | instid1(VALU_DEP_2)
	v_add_f32_e32 v35, v37, v35
	v_sub_f32_e32 v37, v37, v36
	v_sub_f32_e32 v33, v33, v36
	s_delay_alu instid0(VALU_DEP_2) | instskip(NEXT) | instid1(VALU_DEP_1)
	v_dual_add_f32 v39, v38, v35 :: v_dual_sub_f32 v32, v32, v37
	v_sub_f32_e32 v36, v39, v38
	s_delay_alu instid0(VALU_DEP_2) | instskip(NEXT) | instid1(VALU_DEP_2)
	v_add_f32_e32 v32, v33, v32
	v_sub_f32_e32 v33, v35, v36
	s_delay_alu instid0(VALU_DEP_1) | instskip(NEXT) | instid1(VALU_DEP_1)
	v_add_f32_e32 v32, v32, v33
	v_add_f32_e32 v32, v39, v32
	s_wait_alu 0xf1ff
	s_delay_alu instid0(VALU_DEP_1) | instskip(SKIP_2) | instid1(VALU_DEP_1)
	v_cndmask_b32_e64 v32, 0x7f800000, v32, s12
	v_cmp_gt_f32_e64 s12, 0x33800000, |v34|
	s_wait_alu 0xf1ff
	v_cndmask_b32_e64 v32, v32, v34, s12
	s_delay_alu instid0(VALU_DEP_1)
	v_add_f32_e32 v32, v31, v32
.LBB443_263:
	s_wait_alu 0xfffe
	s_or_b32 exec_lo, exec_lo, s13
	s_delay_alu instid0(VALU_DEP_1) | instskip(SKIP_3) | instid1(VALU_DEP_1)
	v_bfe_u32 v31, v32, 16, 1
	ds_load_u16 v33, v30 offset:4
	v_cmp_o_f32_e64 s12, v32, v32
	v_add3_u32 v31, v32, v31, 0x7fff
	v_lshrrev_b32_e32 v31, 16, v31
	s_wait_alu 0xf1ff
	s_delay_alu instid0(VALU_DEP_1) | instskip(SKIP_3) | instid1(VALU_DEP_1)
	v_cndmask_b32_e64 v34, 0x7fc0, v31, s12
	ds_store_b16 v30, v34 offset:2
	s_wait_dscnt 0x1
	v_lshlrev_b32_e32 v31, 16, v33
	v_dual_max_num_f32 v35, v31, v31 :: v_dual_lshlrev_b32 v32, 16, v34
	s_delay_alu instid0(VALU_DEP_1) | instskip(SKIP_1) | instid1(VALU_DEP_2)
	v_max_num_f32_e32 v33, v32, v32
	v_cmp_u_f32_e64 s12, v32, v32
	v_min_num_f32_e32 v36, v33, v35
	v_max_num_f32_e32 v33, v33, v35
	s_wait_alu 0xf1ff
	s_delay_alu instid0(VALU_DEP_2) | instskip(NEXT) | instid1(VALU_DEP_2)
	v_cndmask_b32_e64 v35, v36, v32, s12
	v_cndmask_b32_e64 v36, v33, v32, s12
	v_cmp_u_f32_e64 s12, v31, v31
	s_wait_alu 0xf1ff
	s_delay_alu instid0(VALU_DEP_1) | instskip(NEXT) | instid1(VALU_DEP_3)
	v_cndmask_b32_e64 v33, v35, v31, s12
	v_cndmask_b32_e64 v31, v36, v31, s12
	s_delay_alu instid0(VALU_DEP_2) | instskip(NEXT) | instid1(VALU_DEP_2)
	v_cmp_class_f32_e64 s13, v33, 0x1f8
	v_cmp_neq_f32_e64 s12, v33, v31
	s_or_b32 s12, s12, s13
	s_wait_alu 0xfffe
	s_and_saveexec_b32 s13, s12
	s_cbranch_execz .LBB443_265
; %bb.264:
	v_sub_f32_e32 v32, v33, v31
	s_delay_alu instid0(VALU_DEP_1) | instskip(SKIP_1) | instid1(VALU_DEP_2)
	v_mul_f32_e32 v33, 0x3fb8aa3b, v32
	v_cmp_ngt_f32_e64 s12, 0xc2ce8ed0, v32
	v_fma_f32 v34, 0x3fb8aa3b, v32, -v33
	v_rndne_f32_e32 v35, v33
	s_delay_alu instid0(VALU_DEP_1) | instskip(NEXT) | instid1(VALU_DEP_1)
	v_dual_fmamk_f32 v34, v32, 0x32a5705f, v34 :: v_dual_sub_f32 v33, v33, v35
	v_add_f32_e32 v33, v33, v34
	v_cvt_i32_f32_e32 v34, v35
	s_delay_alu instid0(VALU_DEP_2) | instskip(NEXT) | instid1(TRANS32_DEP_1)
	v_exp_f32_e32 v33, v33
	v_ldexp_f32 v33, v33, v34
	s_wait_alu 0xf1ff
	s_delay_alu instid0(VALU_DEP_1) | instskip(SKIP_2) | instid1(VALU_DEP_1)
	v_cndmask_b32_e64 v33, 0, v33, s12
	v_cmp_nlt_f32_e64 s12, 0x42b17218, v32
	s_wait_alu 0xf1ff
	v_cndmask_b32_e64 v34, 0x7f800000, v33, s12
	s_delay_alu instid0(VALU_DEP_1) | instskip(NEXT) | instid1(VALU_DEP_1)
	v_add_f32_e32 v35, 1.0, v34
	v_cvt_f64_f32_e32 v[32:33], v35
	s_delay_alu instid0(VALU_DEP_1) | instskip(SKIP_1) | instid1(VALU_DEP_1)
	v_frexp_exp_i32_f64_e32 v32, v[32:33]
	v_frexp_mant_f32_e32 v33, v35
	v_cmp_gt_f32_e64 s12, 0x3f2aaaab, v33
	v_add_f32_e32 v33, -1.0, v35
	s_delay_alu instid0(VALU_DEP_1)
	v_sub_f32_e32 v37, v33, v35
	v_sub_f32_e32 v33, v34, v33
	s_wait_alu 0xf1ff
	v_subrev_co_ci_u32_e64 v32, null, 0, v32, s12
	s_mov_b32 s12, 0x3e9b6dac
	v_sub_nc_u32_e32 v36, 0, v32
	v_cvt_f32_i32_e32 v32, v32
	s_delay_alu instid0(VALU_DEP_2) | instskip(NEXT) | instid1(VALU_DEP_1)
	v_ldexp_f32 v35, v35, v36
	v_dual_add_f32 v38, 1.0, v35 :: v_dual_add_f32 v37, 1.0, v37
	s_delay_alu instid0(VALU_DEP_1) | instskip(NEXT) | instid1(VALU_DEP_2)
	v_add_f32_e32 v33, v33, v37
	v_add_f32_e32 v37, -1.0, v38
	s_delay_alu instid0(VALU_DEP_2) | instskip(NEXT) | instid1(VALU_DEP_2)
	v_ldexp_f32 v33, v33, v36
	v_dual_add_f32 v36, -1.0, v35 :: v_dual_sub_f32 v37, v35, v37
	s_delay_alu instid0(VALU_DEP_1) | instskip(NEXT) | instid1(VALU_DEP_2)
	v_add_f32_e32 v39, 1.0, v36
	v_add_f32_e32 v37, v33, v37
	s_delay_alu instid0(VALU_DEP_2) | instskip(NEXT) | instid1(VALU_DEP_2)
	v_sub_f32_e32 v35, v35, v39
	v_add_f32_e32 v39, v38, v37
	s_delay_alu instid0(VALU_DEP_2) | instskip(NEXT) | instid1(VALU_DEP_2)
	v_add_f32_e32 v33, v33, v35
	v_rcp_f32_e32 v35, v39
	v_sub_f32_e32 v38, v38, v39
	s_delay_alu instid0(VALU_DEP_1) | instskip(NEXT) | instid1(VALU_DEP_1)
	v_dual_add_f32 v40, v36, v33 :: v_dual_add_f32 v37, v37, v38
	v_sub_f32_e32 v36, v36, v40
	s_delay_alu instid0(TRANS32_DEP_1) | instskip(NEXT) | instid1(VALU_DEP_1)
	v_mul_f32_e32 v41, v40, v35
	v_dual_add_f32 v33, v33, v36 :: v_dual_mul_f32 v42, v39, v41
	s_delay_alu instid0(VALU_DEP_1) | instskip(NEXT) | instid1(VALU_DEP_1)
	v_fma_f32 v38, v41, v39, -v42
	v_fmac_f32_e32 v38, v41, v37
	s_delay_alu instid0(VALU_DEP_1) | instskip(NEXT) | instid1(VALU_DEP_1)
	v_add_f32_e32 v43, v42, v38
	v_sub_f32_e32 v44, v40, v43
	v_sub_f32_e32 v36, v43, v42
	s_delay_alu instid0(VALU_DEP_2) | instskip(NEXT) | instid1(VALU_DEP_2)
	v_sub_f32_e32 v40, v40, v44
	v_sub_f32_e32 v36, v36, v38
	s_delay_alu instid0(VALU_DEP_2) | instskip(NEXT) | instid1(VALU_DEP_1)
	v_sub_f32_e32 v40, v40, v43
	v_add_f32_e32 v33, v33, v40
	s_delay_alu instid0(VALU_DEP_1) | instskip(NEXT) | instid1(VALU_DEP_1)
	v_add_f32_e32 v33, v36, v33
	v_add_f32_e32 v36, v44, v33
	s_delay_alu instid0(VALU_DEP_1) | instskip(NEXT) | instid1(VALU_DEP_1)
	v_mul_f32_e32 v38, v35, v36
	v_dual_sub_f32 v43, v44, v36 :: v_dual_mul_f32 v40, v39, v38
	s_delay_alu instid0(VALU_DEP_1) | instskip(NEXT) | instid1(VALU_DEP_2)
	v_add_f32_e32 v33, v33, v43
	v_fma_f32 v39, v38, v39, -v40
	s_delay_alu instid0(VALU_DEP_1) | instskip(NEXT) | instid1(VALU_DEP_1)
	v_fmac_f32_e32 v39, v38, v37
	v_add_f32_e32 v37, v40, v39
	s_delay_alu instid0(VALU_DEP_1) | instskip(SKIP_1) | instid1(VALU_DEP_2)
	v_sub_f32_e32 v42, v36, v37
	v_sub_f32_e32 v40, v37, v40
	;; [unrolled: 1-line block ×3, first 2 shown]
	s_delay_alu instid0(VALU_DEP_1) | instskip(NEXT) | instid1(VALU_DEP_3)
	v_sub_f32_e32 v36, v36, v37
	v_sub_f32_e32 v37, v40, v39
	s_delay_alu instid0(VALU_DEP_2) | instskip(SKIP_1) | instid1(VALU_DEP_2)
	v_add_f32_e32 v33, v33, v36
	v_add_f32_e32 v36, v41, v38
	;; [unrolled: 1-line block ×3, first 2 shown]
	s_delay_alu instid0(VALU_DEP_2) | instskip(NEXT) | instid1(VALU_DEP_2)
	v_sub_f32_e32 v37, v36, v41
	v_add_f32_e32 v33, v42, v33
	s_delay_alu instid0(VALU_DEP_2) | instskip(NEXT) | instid1(VALU_DEP_2)
	v_sub_f32_e32 v37, v38, v37
	v_mul_f32_e32 v33, v35, v33
	s_delay_alu instid0(VALU_DEP_1) | instskip(NEXT) | instid1(VALU_DEP_1)
	v_add_f32_e32 v33, v37, v33
	v_add_f32_e32 v35, v36, v33
	s_delay_alu instid0(VALU_DEP_1) | instskip(SKIP_1) | instid1(VALU_DEP_1)
	v_mul_f32_e32 v37, v35, v35
	s_wait_alu 0xfffe
	v_fmaak_f32 v38, s12, v37, 0x3ecc95a3
	v_mul_f32_e32 v39, v35, v37
	v_cmp_neq_f32_e64 s12, 0x7f800000, v34
	s_delay_alu instid0(VALU_DEP_3) | instskip(SKIP_2) | instid1(VALU_DEP_3)
	v_fmaak_f32 v37, v37, v38, 0x3f2aaada
	v_ldexp_f32 v38, v35, 1
	v_sub_f32_e32 v35, v35, v36
	v_mul_f32_e32 v37, v39, v37
	v_mul_f32_e32 v39, 0x3f317218, v32
	s_delay_alu instid0(VALU_DEP_2) | instskip(NEXT) | instid1(VALU_DEP_1)
	v_dual_sub_f32 v33, v33, v35 :: v_dual_add_f32 v36, v38, v37
	v_ldexp_f32 v33, v33, 1
	s_delay_alu instid0(VALU_DEP_2) | instskip(NEXT) | instid1(VALU_DEP_4)
	v_sub_f32_e32 v35, v36, v38
	v_fma_f32 v38, 0x3f317218, v32, -v39
	s_delay_alu instid0(VALU_DEP_1) | instskip(NEXT) | instid1(VALU_DEP_1)
	v_dual_sub_f32 v35, v37, v35 :: v_dual_fmamk_f32 v32, v32, 0xb102e308, v38
	v_add_f32_e32 v33, v33, v35
	s_delay_alu instid0(VALU_DEP_2) | instskip(NEXT) | instid1(VALU_DEP_2)
	v_add_f32_e32 v35, v39, v32
	v_add_f32_e32 v37, v36, v33
	s_delay_alu instid0(VALU_DEP_2) | instskip(NEXT) | instid1(VALU_DEP_2)
	v_sub_f32_e32 v39, v35, v39
	v_add_f32_e32 v38, v35, v37
	v_sub_f32_e32 v36, v37, v36
	s_delay_alu instid0(VALU_DEP_3) | instskip(NEXT) | instid1(VALU_DEP_2)
	v_sub_f32_e32 v32, v32, v39
	v_dual_sub_f32 v40, v38, v35 :: v_dual_sub_f32 v33, v33, v36
	s_delay_alu instid0(VALU_DEP_1) | instskip(NEXT) | instid1(VALU_DEP_2)
	v_sub_f32_e32 v41, v38, v40
	v_dual_sub_f32 v36, v37, v40 :: v_dual_add_f32 v37, v32, v33
	s_delay_alu instid0(VALU_DEP_2) | instskip(NEXT) | instid1(VALU_DEP_1)
	v_sub_f32_e32 v35, v35, v41
	v_dual_add_f32 v35, v36, v35 :: v_dual_sub_f32 v36, v37, v32
	s_delay_alu instid0(VALU_DEP_1) | instskip(NEXT) | instid1(VALU_DEP_2)
	v_add_f32_e32 v35, v37, v35
	v_sub_f32_e32 v37, v37, v36
	v_sub_f32_e32 v33, v33, v36
	s_delay_alu instid0(VALU_DEP_2) | instskip(NEXT) | instid1(VALU_DEP_1)
	v_dual_add_f32 v39, v38, v35 :: v_dual_sub_f32 v32, v32, v37
	v_sub_f32_e32 v36, v39, v38
	s_delay_alu instid0(VALU_DEP_2) | instskip(NEXT) | instid1(VALU_DEP_2)
	v_add_f32_e32 v32, v33, v32
	v_sub_f32_e32 v33, v35, v36
	s_delay_alu instid0(VALU_DEP_1) | instskip(NEXT) | instid1(VALU_DEP_1)
	v_add_f32_e32 v32, v32, v33
	v_add_f32_e32 v32, v39, v32
	s_wait_alu 0xf1ff
	s_delay_alu instid0(VALU_DEP_1) | instskip(SKIP_2) | instid1(VALU_DEP_1)
	v_cndmask_b32_e64 v32, 0x7f800000, v32, s12
	v_cmp_gt_f32_e64 s12, 0x33800000, |v34|
	s_wait_alu 0xf1ff
	v_cndmask_b32_e64 v32, v32, v34, s12
	s_delay_alu instid0(VALU_DEP_1)
	v_add_f32_e32 v32, v31, v32
.LBB443_265:
	s_wait_alu 0xfffe
	s_or_b32 exec_lo, exec_lo, s13
	s_delay_alu instid0(VALU_DEP_1) | instskip(SKIP_3) | instid1(VALU_DEP_1)
	v_bfe_u32 v31, v32, 16, 1
	ds_load_u16 v33, v30 offset:6
	v_cmp_o_f32_e64 s12, v32, v32
	v_add3_u32 v31, v32, v31, 0x7fff
	v_lshrrev_b32_e32 v31, 16, v31
	s_wait_alu 0xf1ff
	s_delay_alu instid0(VALU_DEP_1) | instskip(SKIP_3) | instid1(VALU_DEP_1)
	v_cndmask_b32_e64 v34, 0x7fc0, v31, s12
	ds_store_b16 v30, v34 offset:4
	s_wait_dscnt 0x1
	v_lshlrev_b32_e32 v31, 16, v33
	v_dual_max_num_f32 v35, v31, v31 :: v_dual_lshlrev_b32 v32, 16, v34
	s_delay_alu instid0(VALU_DEP_1) | instskip(SKIP_1) | instid1(VALU_DEP_2)
	v_max_num_f32_e32 v33, v32, v32
	v_cmp_u_f32_e64 s12, v32, v32
	v_min_num_f32_e32 v36, v33, v35
	v_max_num_f32_e32 v33, v33, v35
	s_wait_alu 0xf1ff
	s_delay_alu instid0(VALU_DEP_2) | instskip(NEXT) | instid1(VALU_DEP_2)
	v_cndmask_b32_e64 v35, v36, v32, s12
	v_cndmask_b32_e64 v36, v33, v32, s12
	v_cmp_u_f32_e64 s12, v31, v31
	s_wait_alu 0xf1ff
	s_delay_alu instid0(VALU_DEP_1) | instskip(NEXT) | instid1(VALU_DEP_3)
	v_cndmask_b32_e64 v33, v35, v31, s12
	v_cndmask_b32_e64 v31, v36, v31, s12
	s_delay_alu instid0(VALU_DEP_2) | instskip(NEXT) | instid1(VALU_DEP_2)
	v_cmp_class_f32_e64 s13, v33, 0x1f8
	v_cmp_neq_f32_e64 s12, v33, v31
	s_or_b32 s12, s12, s13
	s_wait_alu 0xfffe
	s_and_saveexec_b32 s13, s12
	s_cbranch_execz .LBB443_267
; %bb.266:
	v_sub_f32_e32 v32, v33, v31
	s_delay_alu instid0(VALU_DEP_1) | instskip(SKIP_1) | instid1(VALU_DEP_2)
	v_mul_f32_e32 v33, 0x3fb8aa3b, v32
	v_cmp_ngt_f32_e64 s12, 0xc2ce8ed0, v32
	v_fma_f32 v34, 0x3fb8aa3b, v32, -v33
	v_rndne_f32_e32 v35, v33
	s_delay_alu instid0(VALU_DEP_1) | instskip(NEXT) | instid1(VALU_DEP_1)
	v_dual_fmamk_f32 v34, v32, 0x32a5705f, v34 :: v_dual_sub_f32 v33, v33, v35
	v_add_f32_e32 v33, v33, v34
	v_cvt_i32_f32_e32 v34, v35
	s_delay_alu instid0(VALU_DEP_2) | instskip(NEXT) | instid1(TRANS32_DEP_1)
	v_exp_f32_e32 v33, v33
	v_ldexp_f32 v33, v33, v34
	s_wait_alu 0xf1ff
	s_delay_alu instid0(VALU_DEP_1) | instskip(SKIP_2) | instid1(VALU_DEP_1)
	v_cndmask_b32_e64 v33, 0, v33, s12
	v_cmp_nlt_f32_e64 s12, 0x42b17218, v32
	s_wait_alu 0xf1ff
	v_cndmask_b32_e64 v34, 0x7f800000, v33, s12
	s_delay_alu instid0(VALU_DEP_1) | instskip(NEXT) | instid1(VALU_DEP_1)
	v_add_f32_e32 v35, 1.0, v34
	v_cvt_f64_f32_e32 v[32:33], v35
	s_delay_alu instid0(VALU_DEP_1) | instskip(SKIP_1) | instid1(VALU_DEP_1)
	v_frexp_exp_i32_f64_e32 v32, v[32:33]
	v_frexp_mant_f32_e32 v33, v35
	v_cmp_gt_f32_e64 s12, 0x3f2aaaab, v33
	v_add_f32_e32 v33, -1.0, v35
	s_delay_alu instid0(VALU_DEP_1)
	v_sub_f32_e32 v37, v33, v35
	v_sub_f32_e32 v33, v34, v33
	s_wait_alu 0xf1ff
	v_subrev_co_ci_u32_e64 v32, null, 0, v32, s12
	s_mov_b32 s12, 0x3e9b6dac
	v_sub_nc_u32_e32 v36, 0, v32
	v_cvt_f32_i32_e32 v32, v32
	s_delay_alu instid0(VALU_DEP_2) | instskip(NEXT) | instid1(VALU_DEP_1)
	v_ldexp_f32 v35, v35, v36
	v_dual_add_f32 v38, 1.0, v35 :: v_dual_add_f32 v37, 1.0, v37
	s_delay_alu instid0(VALU_DEP_1) | instskip(NEXT) | instid1(VALU_DEP_2)
	v_add_f32_e32 v33, v33, v37
	v_add_f32_e32 v37, -1.0, v38
	s_delay_alu instid0(VALU_DEP_2) | instskip(NEXT) | instid1(VALU_DEP_2)
	v_ldexp_f32 v33, v33, v36
	v_dual_add_f32 v36, -1.0, v35 :: v_dual_sub_f32 v37, v35, v37
	s_delay_alu instid0(VALU_DEP_1) | instskip(NEXT) | instid1(VALU_DEP_2)
	v_add_f32_e32 v39, 1.0, v36
	v_add_f32_e32 v37, v33, v37
	s_delay_alu instid0(VALU_DEP_2) | instskip(NEXT) | instid1(VALU_DEP_2)
	v_sub_f32_e32 v35, v35, v39
	v_add_f32_e32 v39, v38, v37
	s_delay_alu instid0(VALU_DEP_2) | instskip(NEXT) | instid1(VALU_DEP_2)
	v_add_f32_e32 v33, v33, v35
	v_rcp_f32_e32 v35, v39
	v_sub_f32_e32 v38, v38, v39
	s_delay_alu instid0(VALU_DEP_1) | instskip(NEXT) | instid1(VALU_DEP_1)
	v_dual_add_f32 v40, v36, v33 :: v_dual_add_f32 v37, v37, v38
	v_sub_f32_e32 v36, v36, v40
	s_delay_alu instid0(TRANS32_DEP_1) | instskip(NEXT) | instid1(VALU_DEP_1)
	v_mul_f32_e32 v41, v40, v35
	v_dual_add_f32 v33, v33, v36 :: v_dual_mul_f32 v42, v39, v41
	s_delay_alu instid0(VALU_DEP_1) | instskip(NEXT) | instid1(VALU_DEP_1)
	v_fma_f32 v38, v41, v39, -v42
	v_fmac_f32_e32 v38, v41, v37
	s_delay_alu instid0(VALU_DEP_1) | instskip(NEXT) | instid1(VALU_DEP_1)
	v_add_f32_e32 v43, v42, v38
	v_sub_f32_e32 v44, v40, v43
	v_sub_f32_e32 v36, v43, v42
	s_delay_alu instid0(VALU_DEP_2) | instskip(NEXT) | instid1(VALU_DEP_2)
	v_sub_f32_e32 v40, v40, v44
	v_sub_f32_e32 v36, v36, v38
	s_delay_alu instid0(VALU_DEP_2) | instskip(NEXT) | instid1(VALU_DEP_1)
	v_sub_f32_e32 v40, v40, v43
	v_add_f32_e32 v33, v33, v40
	s_delay_alu instid0(VALU_DEP_1) | instskip(NEXT) | instid1(VALU_DEP_1)
	v_add_f32_e32 v33, v36, v33
	v_add_f32_e32 v36, v44, v33
	s_delay_alu instid0(VALU_DEP_1) | instskip(NEXT) | instid1(VALU_DEP_1)
	v_mul_f32_e32 v38, v35, v36
	v_dual_sub_f32 v43, v44, v36 :: v_dual_mul_f32 v40, v39, v38
	s_delay_alu instid0(VALU_DEP_1) | instskip(NEXT) | instid1(VALU_DEP_2)
	v_add_f32_e32 v33, v33, v43
	v_fma_f32 v39, v38, v39, -v40
	s_delay_alu instid0(VALU_DEP_1) | instskip(NEXT) | instid1(VALU_DEP_1)
	v_fmac_f32_e32 v39, v38, v37
	v_add_f32_e32 v37, v40, v39
	s_delay_alu instid0(VALU_DEP_1) | instskip(SKIP_1) | instid1(VALU_DEP_2)
	v_sub_f32_e32 v42, v36, v37
	v_sub_f32_e32 v40, v37, v40
	;; [unrolled: 1-line block ×3, first 2 shown]
	s_delay_alu instid0(VALU_DEP_1) | instskip(NEXT) | instid1(VALU_DEP_3)
	v_sub_f32_e32 v36, v36, v37
	v_sub_f32_e32 v37, v40, v39
	s_delay_alu instid0(VALU_DEP_2) | instskip(SKIP_1) | instid1(VALU_DEP_2)
	v_add_f32_e32 v33, v33, v36
	v_add_f32_e32 v36, v41, v38
	v_add_f32_e32 v33, v37, v33
	s_delay_alu instid0(VALU_DEP_2) | instskip(NEXT) | instid1(VALU_DEP_2)
	v_sub_f32_e32 v37, v36, v41
	v_add_f32_e32 v33, v42, v33
	s_delay_alu instid0(VALU_DEP_2) | instskip(NEXT) | instid1(VALU_DEP_2)
	v_sub_f32_e32 v37, v38, v37
	v_mul_f32_e32 v33, v35, v33
	s_delay_alu instid0(VALU_DEP_1) | instskip(NEXT) | instid1(VALU_DEP_1)
	v_add_f32_e32 v33, v37, v33
	v_add_f32_e32 v35, v36, v33
	s_delay_alu instid0(VALU_DEP_1) | instskip(SKIP_1) | instid1(VALU_DEP_1)
	v_mul_f32_e32 v37, v35, v35
	s_wait_alu 0xfffe
	v_fmaak_f32 v38, s12, v37, 0x3ecc95a3
	v_mul_f32_e32 v39, v35, v37
	v_cmp_neq_f32_e64 s12, 0x7f800000, v34
	s_delay_alu instid0(VALU_DEP_3) | instskip(SKIP_2) | instid1(VALU_DEP_3)
	v_fmaak_f32 v37, v37, v38, 0x3f2aaada
	v_ldexp_f32 v38, v35, 1
	v_sub_f32_e32 v35, v35, v36
	v_mul_f32_e32 v37, v39, v37
	v_mul_f32_e32 v39, 0x3f317218, v32
	s_delay_alu instid0(VALU_DEP_2) | instskip(NEXT) | instid1(VALU_DEP_1)
	v_dual_sub_f32 v33, v33, v35 :: v_dual_add_f32 v36, v38, v37
	v_ldexp_f32 v33, v33, 1
	s_delay_alu instid0(VALU_DEP_2) | instskip(NEXT) | instid1(VALU_DEP_4)
	v_sub_f32_e32 v35, v36, v38
	v_fma_f32 v38, 0x3f317218, v32, -v39
	s_delay_alu instid0(VALU_DEP_1) | instskip(NEXT) | instid1(VALU_DEP_1)
	v_dual_sub_f32 v35, v37, v35 :: v_dual_fmamk_f32 v32, v32, 0xb102e308, v38
	v_add_f32_e32 v33, v33, v35
	s_delay_alu instid0(VALU_DEP_2) | instskip(NEXT) | instid1(VALU_DEP_2)
	v_add_f32_e32 v35, v39, v32
	v_add_f32_e32 v37, v36, v33
	s_delay_alu instid0(VALU_DEP_2) | instskip(NEXT) | instid1(VALU_DEP_2)
	v_sub_f32_e32 v39, v35, v39
	v_add_f32_e32 v38, v35, v37
	v_sub_f32_e32 v36, v37, v36
	s_delay_alu instid0(VALU_DEP_3) | instskip(NEXT) | instid1(VALU_DEP_2)
	v_sub_f32_e32 v32, v32, v39
	v_dual_sub_f32 v40, v38, v35 :: v_dual_sub_f32 v33, v33, v36
	s_delay_alu instid0(VALU_DEP_1) | instskip(NEXT) | instid1(VALU_DEP_2)
	v_sub_f32_e32 v41, v38, v40
	v_dual_sub_f32 v36, v37, v40 :: v_dual_add_f32 v37, v32, v33
	s_delay_alu instid0(VALU_DEP_2) | instskip(NEXT) | instid1(VALU_DEP_1)
	v_sub_f32_e32 v35, v35, v41
	v_dual_add_f32 v35, v36, v35 :: v_dual_sub_f32 v36, v37, v32
	s_delay_alu instid0(VALU_DEP_1) | instskip(NEXT) | instid1(VALU_DEP_2)
	v_add_f32_e32 v35, v37, v35
	v_sub_f32_e32 v37, v37, v36
	v_sub_f32_e32 v33, v33, v36
	s_delay_alu instid0(VALU_DEP_2) | instskip(NEXT) | instid1(VALU_DEP_1)
	v_dual_add_f32 v39, v38, v35 :: v_dual_sub_f32 v32, v32, v37
	v_sub_f32_e32 v36, v39, v38
	s_delay_alu instid0(VALU_DEP_2) | instskip(NEXT) | instid1(VALU_DEP_2)
	v_add_f32_e32 v32, v33, v32
	v_sub_f32_e32 v33, v35, v36
	s_delay_alu instid0(VALU_DEP_1) | instskip(NEXT) | instid1(VALU_DEP_1)
	v_add_f32_e32 v32, v32, v33
	v_add_f32_e32 v32, v39, v32
	s_wait_alu 0xf1ff
	s_delay_alu instid0(VALU_DEP_1) | instskip(SKIP_2) | instid1(VALU_DEP_1)
	v_cndmask_b32_e64 v32, 0x7f800000, v32, s12
	v_cmp_gt_f32_e64 s12, 0x33800000, |v34|
	s_wait_alu 0xf1ff
	v_cndmask_b32_e64 v32, v32, v34, s12
	s_delay_alu instid0(VALU_DEP_1)
	v_add_f32_e32 v32, v31, v32
.LBB443_267:
	s_wait_alu 0xfffe
	s_or_b32 exec_lo, exec_lo, s13
	s_delay_alu instid0(VALU_DEP_1) | instskip(SKIP_3) | instid1(VALU_DEP_1)
	v_bfe_u32 v31, v32, 16, 1
	ds_load_u16 v33, v30 offset:8
	v_cmp_o_f32_e64 s12, v32, v32
	v_add3_u32 v31, v32, v31, 0x7fff
	v_lshrrev_b32_e32 v31, 16, v31
	s_wait_alu 0xf1ff
	s_delay_alu instid0(VALU_DEP_1) | instskip(SKIP_3) | instid1(VALU_DEP_1)
	v_cndmask_b32_e64 v34, 0x7fc0, v31, s12
	ds_store_b16 v30, v34 offset:6
	s_wait_dscnt 0x1
	v_lshlrev_b32_e32 v31, 16, v33
	v_dual_max_num_f32 v35, v31, v31 :: v_dual_lshlrev_b32 v32, 16, v34
	s_delay_alu instid0(VALU_DEP_1) | instskip(SKIP_1) | instid1(VALU_DEP_2)
	v_max_num_f32_e32 v33, v32, v32
	v_cmp_u_f32_e64 s12, v32, v32
	v_min_num_f32_e32 v36, v33, v35
	v_max_num_f32_e32 v33, v33, v35
	s_wait_alu 0xf1ff
	s_delay_alu instid0(VALU_DEP_2) | instskip(NEXT) | instid1(VALU_DEP_2)
	v_cndmask_b32_e64 v35, v36, v32, s12
	v_cndmask_b32_e64 v36, v33, v32, s12
	v_cmp_u_f32_e64 s12, v31, v31
	s_wait_alu 0xf1ff
	s_delay_alu instid0(VALU_DEP_1) | instskip(NEXT) | instid1(VALU_DEP_3)
	v_cndmask_b32_e64 v33, v35, v31, s12
	v_cndmask_b32_e64 v31, v36, v31, s12
	s_delay_alu instid0(VALU_DEP_2) | instskip(NEXT) | instid1(VALU_DEP_2)
	v_cmp_class_f32_e64 s13, v33, 0x1f8
	v_cmp_neq_f32_e64 s12, v33, v31
	s_or_b32 s12, s12, s13
	s_wait_alu 0xfffe
	s_and_saveexec_b32 s13, s12
	s_cbranch_execz .LBB443_269
; %bb.268:
	v_sub_f32_e32 v32, v33, v31
	s_delay_alu instid0(VALU_DEP_1) | instskip(SKIP_1) | instid1(VALU_DEP_2)
	v_mul_f32_e32 v33, 0x3fb8aa3b, v32
	v_cmp_ngt_f32_e64 s12, 0xc2ce8ed0, v32
	v_fma_f32 v34, 0x3fb8aa3b, v32, -v33
	v_rndne_f32_e32 v35, v33
	s_delay_alu instid0(VALU_DEP_1) | instskip(NEXT) | instid1(VALU_DEP_1)
	v_dual_fmamk_f32 v34, v32, 0x32a5705f, v34 :: v_dual_sub_f32 v33, v33, v35
	v_add_f32_e32 v33, v33, v34
	v_cvt_i32_f32_e32 v34, v35
	s_delay_alu instid0(VALU_DEP_2) | instskip(NEXT) | instid1(TRANS32_DEP_1)
	v_exp_f32_e32 v33, v33
	v_ldexp_f32 v33, v33, v34
	s_wait_alu 0xf1ff
	s_delay_alu instid0(VALU_DEP_1) | instskip(SKIP_2) | instid1(VALU_DEP_1)
	v_cndmask_b32_e64 v33, 0, v33, s12
	v_cmp_nlt_f32_e64 s12, 0x42b17218, v32
	s_wait_alu 0xf1ff
	v_cndmask_b32_e64 v34, 0x7f800000, v33, s12
	s_delay_alu instid0(VALU_DEP_1) | instskip(NEXT) | instid1(VALU_DEP_1)
	v_add_f32_e32 v35, 1.0, v34
	v_cvt_f64_f32_e32 v[32:33], v35
	s_delay_alu instid0(VALU_DEP_1) | instskip(SKIP_1) | instid1(VALU_DEP_1)
	v_frexp_exp_i32_f64_e32 v32, v[32:33]
	v_frexp_mant_f32_e32 v33, v35
	v_cmp_gt_f32_e64 s12, 0x3f2aaaab, v33
	v_add_f32_e32 v33, -1.0, v35
	s_delay_alu instid0(VALU_DEP_1)
	v_sub_f32_e32 v37, v33, v35
	v_sub_f32_e32 v33, v34, v33
	s_wait_alu 0xf1ff
	v_subrev_co_ci_u32_e64 v32, null, 0, v32, s12
	s_mov_b32 s12, 0x3e9b6dac
	v_sub_nc_u32_e32 v36, 0, v32
	v_cvt_f32_i32_e32 v32, v32
	s_delay_alu instid0(VALU_DEP_2) | instskip(NEXT) | instid1(VALU_DEP_1)
	v_ldexp_f32 v35, v35, v36
	v_dual_add_f32 v38, 1.0, v35 :: v_dual_add_f32 v37, 1.0, v37
	s_delay_alu instid0(VALU_DEP_1) | instskip(NEXT) | instid1(VALU_DEP_2)
	v_add_f32_e32 v33, v33, v37
	v_add_f32_e32 v37, -1.0, v38
	s_delay_alu instid0(VALU_DEP_2) | instskip(NEXT) | instid1(VALU_DEP_2)
	v_ldexp_f32 v33, v33, v36
	v_dual_add_f32 v36, -1.0, v35 :: v_dual_sub_f32 v37, v35, v37
	s_delay_alu instid0(VALU_DEP_1) | instskip(NEXT) | instid1(VALU_DEP_2)
	v_add_f32_e32 v39, 1.0, v36
	v_add_f32_e32 v37, v33, v37
	s_delay_alu instid0(VALU_DEP_2) | instskip(NEXT) | instid1(VALU_DEP_2)
	v_sub_f32_e32 v35, v35, v39
	v_add_f32_e32 v39, v38, v37
	s_delay_alu instid0(VALU_DEP_2) | instskip(NEXT) | instid1(VALU_DEP_2)
	v_add_f32_e32 v33, v33, v35
	v_rcp_f32_e32 v35, v39
	v_sub_f32_e32 v38, v38, v39
	s_delay_alu instid0(VALU_DEP_1) | instskip(NEXT) | instid1(VALU_DEP_1)
	v_dual_add_f32 v40, v36, v33 :: v_dual_add_f32 v37, v37, v38
	v_sub_f32_e32 v36, v36, v40
	s_delay_alu instid0(TRANS32_DEP_1) | instskip(NEXT) | instid1(VALU_DEP_1)
	v_mul_f32_e32 v41, v40, v35
	v_dual_add_f32 v33, v33, v36 :: v_dual_mul_f32 v42, v39, v41
	s_delay_alu instid0(VALU_DEP_1) | instskip(NEXT) | instid1(VALU_DEP_1)
	v_fma_f32 v38, v41, v39, -v42
	v_fmac_f32_e32 v38, v41, v37
	s_delay_alu instid0(VALU_DEP_1) | instskip(NEXT) | instid1(VALU_DEP_1)
	v_add_f32_e32 v43, v42, v38
	v_sub_f32_e32 v44, v40, v43
	v_sub_f32_e32 v36, v43, v42
	s_delay_alu instid0(VALU_DEP_2) | instskip(NEXT) | instid1(VALU_DEP_2)
	v_sub_f32_e32 v40, v40, v44
	v_sub_f32_e32 v36, v36, v38
	s_delay_alu instid0(VALU_DEP_2) | instskip(NEXT) | instid1(VALU_DEP_1)
	v_sub_f32_e32 v40, v40, v43
	v_add_f32_e32 v33, v33, v40
	s_delay_alu instid0(VALU_DEP_1) | instskip(NEXT) | instid1(VALU_DEP_1)
	v_add_f32_e32 v33, v36, v33
	v_add_f32_e32 v36, v44, v33
	s_delay_alu instid0(VALU_DEP_1) | instskip(NEXT) | instid1(VALU_DEP_1)
	v_mul_f32_e32 v38, v35, v36
	v_dual_sub_f32 v43, v44, v36 :: v_dual_mul_f32 v40, v39, v38
	s_delay_alu instid0(VALU_DEP_1) | instskip(NEXT) | instid1(VALU_DEP_2)
	v_add_f32_e32 v33, v33, v43
	v_fma_f32 v39, v38, v39, -v40
	s_delay_alu instid0(VALU_DEP_1) | instskip(NEXT) | instid1(VALU_DEP_1)
	v_fmac_f32_e32 v39, v38, v37
	v_add_f32_e32 v37, v40, v39
	s_delay_alu instid0(VALU_DEP_1) | instskip(SKIP_1) | instid1(VALU_DEP_2)
	v_sub_f32_e32 v42, v36, v37
	v_sub_f32_e32 v40, v37, v40
	v_sub_f32_e32 v36, v36, v42
	s_delay_alu instid0(VALU_DEP_1) | instskip(NEXT) | instid1(VALU_DEP_3)
	v_sub_f32_e32 v36, v36, v37
	v_sub_f32_e32 v37, v40, v39
	s_delay_alu instid0(VALU_DEP_2) | instskip(SKIP_1) | instid1(VALU_DEP_2)
	v_add_f32_e32 v33, v33, v36
	v_add_f32_e32 v36, v41, v38
	v_add_f32_e32 v33, v37, v33
	s_delay_alu instid0(VALU_DEP_2) | instskip(NEXT) | instid1(VALU_DEP_2)
	v_sub_f32_e32 v37, v36, v41
	v_add_f32_e32 v33, v42, v33
	s_delay_alu instid0(VALU_DEP_2) | instskip(NEXT) | instid1(VALU_DEP_2)
	v_sub_f32_e32 v37, v38, v37
	v_mul_f32_e32 v33, v35, v33
	s_delay_alu instid0(VALU_DEP_1) | instskip(NEXT) | instid1(VALU_DEP_1)
	v_add_f32_e32 v33, v37, v33
	v_add_f32_e32 v35, v36, v33
	s_delay_alu instid0(VALU_DEP_1) | instskip(SKIP_1) | instid1(VALU_DEP_1)
	v_mul_f32_e32 v37, v35, v35
	s_wait_alu 0xfffe
	v_fmaak_f32 v38, s12, v37, 0x3ecc95a3
	v_mul_f32_e32 v39, v35, v37
	v_cmp_neq_f32_e64 s12, 0x7f800000, v34
	s_delay_alu instid0(VALU_DEP_3) | instskip(SKIP_2) | instid1(VALU_DEP_3)
	v_fmaak_f32 v37, v37, v38, 0x3f2aaada
	v_ldexp_f32 v38, v35, 1
	v_sub_f32_e32 v35, v35, v36
	v_mul_f32_e32 v37, v39, v37
	v_mul_f32_e32 v39, 0x3f317218, v32
	s_delay_alu instid0(VALU_DEP_2) | instskip(NEXT) | instid1(VALU_DEP_1)
	v_dual_sub_f32 v33, v33, v35 :: v_dual_add_f32 v36, v38, v37
	v_ldexp_f32 v33, v33, 1
	s_delay_alu instid0(VALU_DEP_2) | instskip(NEXT) | instid1(VALU_DEP_4)
	v_sub_f32_e32 v35, v36, v38
	v_fma_f32 v38, 0x3f317218, v32, -v39
	s_delay_alu instid0(VALU_DEP_1) | instskip(NEXT) | instid1(VALU_DEP_1)
	v_dual_sub_f32 v35, v37, v35 :: v_dual_fmamk_f32 v32, v32, 0xb102e308, v38
	v_add_f32_e32 v33, v33, v35
	s_delay_alu instid0(VALU_DEP_2) | instskip(NEXT) | instid1(VALU_DEP_2)
	v_add_f32_e32 v35, v39, v32
	v_add_f32_e32 v37, v36, v33
	s_delay_alu instid0(VALU_DEP_2) | instskip(NEXT) | instid1(VALU_DEP_2)
	v_sub_f32_e32 v39, v35, v39
	v_add_f32_e32 v38, v35, v37
	v_sub_f32_e32 v36, v37, v36
	s_delay_alu instid0(VALU_DEP_3) | instskip(NEXT) | instid1(VALU_DEP_2)
	v_sub_f32_e32 v32, v32, v39
	v_dual_sub_f32 v40, v38, v35 :: v_dual_sub_f32 v33, v33, v36
	s_delay_alu instid0(VALU_DEP_1) | instskip(NEXT) | instid1(VALU_DEP_2)
	v_sub_f32_e32 v41, v38, v40
	v_dual_sub_f32 v36, v37, v40 :: v_dual_add_f32 v37, v32, v33
	s_delay_alu instid0(VALU_DEP_2) | instskip(NEXT) | instid1(VALU_DEP_1)
	v_sub_f32_e32 v35, v35, v41
	v_dual_add_f32 v35, v36, v35 :: v_dual_sub_f32 v36, v37, v32
	s_delay_alu instid0(VALU_DEP_1) | instskip(NEXT) | instid1(VALU_DEP_2)
	v_add_f32_e32 v35, v37, v35
	v_sub_f32_e32 v37, v37, v36
	v_sub_f32_e32 v33, v33, v36
	s_delay_alu instid0(VALU_DEP_2) | instskip(NEXT) | instid1(VALU_DEP_1)
	v_dual_add_f32 v39, v38, v35 :: v_dual_sub_f32 v32, v32, v37
	v_sub_f32_e32 v36, v39, v38
	s_delay_alu instid0(VALU_DEP_2) | instskip(NEXT) | instid1(VALU_DEP_2)
	v_add_f32_e32 v32, v33, v32
	v_sub_f32_e32 v33, v35, v36
	s_delay_alu instid0(VALU_DEP_1) | instskip(NEXT) | instid1(VALU_DEP_1)
	v_add_f32_e32 v32, v32, v33
	v_add_f32_e32 v32, v39, v32
	s_wait_alu 0xf1ff
	s_delay_alu instid0(VALU_DEP_1) | instskip(SKIP_2) | instid1(VALU_DEP_1)
	v_cndmask_b32_e64 v32, 0x7f800000, v32, s12
	v_cmp_gt_f32_e64 s12, 0x33800000, |v34|
	s_wait_alu 0xf1ff
	v_cndmask_b32_e64 v32, v32, v34, s12
	s_delay_alu instid0(VALU_DEP_1)
	v_add_f32_e32 v32, v31, v32
.LBB443_269:
	s_wait_alu 0xfffe
	s_or_b32 exec_lo, exec_lo, s13
	s_delay_alu instid0(VALU_DEP_1) | instskip(SKIP_3) | instid1(VALU_DEP_1)
	v_bfe_u32 v31, v32, 16, 1
	ds_load_u16 v33, v30 offset:10
	v_cmp_o_f32_e64 s12, v32, v32
	v_add3_u32 v31, v32, v31, 0x7fff
	v_lshrrev_b32_e32 v31, 16, v31
	s_wait_alu 0xf1ff
	s_delay_alu instid0(VALU_DEP_1) | instskip(SKIP_3) | instid1(VALU_DEP_1)
	v_cndmask_b32_e64 v34, 0x7fc0, v31, s12
	ds_store_b16 v30, v34 offset:8
	s_wait_dscnt 0x1
	v_lshlrev_b32_e32 v31, 16, v33
	v_dual_max_num_f32 v35, v31, v31 :: v_dual_lshlrev_b32 v32, 16, v34
	s_delay_alu instid0(VALU_DEP_1) | instskip(SKIP_1) | instid1(VALU_DEP_2)
	v_max_num_f32_e32 v33, v32, v32
	v_cmp_u_f32_e64 s12, v32, v32
	v_min_num_f32_e32 v36, v33, v35
	v_max_num_f32_e32 v33, v33, v35
	s_wait_alu 0xf1ff
	s_delay_alu instid0(VALU_DEP_2) | instskip(NEXT) | instid1(VALU_DEP_2)
	v_cndmask_b32_e64 v35, v36, v32, s12
	v_cndmask_b32_e64 v36, v33, v32, s12
	v_cmp_u_f32_e64 s12, v31, v31
	s_wait_alu 0xf1ff
	s_delay_alu instid0(VALU_DEP_1) | instskip(NEXT) | instid1(VALU_DEP_3)
	v_cndmask_b32_e64 v33, v35, v31, s12
	v_cndmask_b32_e64 v31, v36, v31, s12
	s_delay_alu instid0(VALU_DEP_2) | instskip(NEXT) | instid1(VALU_DEP_2)
	v_cmp_class_f32_e64 s13, v33, 0x1f8
	v_cmp_neq_f32_e64 s12, v33, v31
	s_or_b32 s12, s12, s13
	s_wait_alu 0xfffe
	s_and_saveexec_b32 s13, s12
	s_cbranch_execz .LBB443_271
; %bb.270:
	v_sub_f32_e32 v32, v33, v31
	s_delay_alu instid0(VALU_DEP_1) | instskip(SKIP_1) | instid1(VALU_DEP_2)
	v_mul_f32_e32 v33, 0x3fb8aa3b, v32
	v_cmp_ngt_f32_e64 s12, 0xc2ce8ed0, v32
	v_fma_f32 v34, 0x3fb8aa3b, v32, -v33
	v_rndne_f32_e32 v35, v33
	s_delay_alu instid0(VALU_DEP_1) | instskip(NEXT) | instid1(VALU_DEP_1)
	v_dual_fmamk_f32 v34, v32, 0x32a5705f, v34 :: v_dual_sub_f32 v33, v33, v35
	v_add_f32_e32 v33, v33, v34
	v_cvt_i32_f32_e32 v34, v35
	s_delay_alu instid0(VALU_DEP_2) | instskip(NEXT) | instid1(TRANS32_DEP_1)
	v_exp_f32_e32 v33, v33
	v_ldexp_f32 v33, v33, v34
	s_wait_alu 0xf1ff
	s_delay_alu instid0(VALU_DEP_1) | instskip(SKIP_2) | instid1(VALU_DEP_1)
	v_cndmask_b32_e64 v33, 0, v33, s12
	v_cmp_nlt_f32_e64 s12, 0x42b17218, v32
	s_wait_alu 0xf1ff
	v_cndmask_b32_e64 v34, 0x7f800000, v33, s12
	s_delay_alu instid0(VALU_DEP_1) | instskip(NEXT) | instid1(VALU_DEP_1)
	v_add_f32_e32 v35, 1.0, v34
	v_cvt_f64_f32_e32 v[32:33], v35
	s_delay_alu instid0(VALU_DEP_1) | instskip(SKIP_1) | instid1(VALU_DEP_1)
	v_frexp_exp_i32_f64_e32 v32, v[32:33]
	v_frexp_mant_f32_e32 v33, v35
	v_cmp_gt_f32_e64 s12, 0x3f2aaaab, v33
	v_add_f32_e32 v33, -1.0, v35
	s_delay_alu instid0(VALU_DEP_1)
	v_sub_f32_e32 v37, v33, v35
	v_sub_f32_e32 v33, v34, v33
	s_wait_alu 0xf1ff
	v_subrev_co_ci_u32_e64 v32, null, 0, v32, s12
	s_mov_b32 s12, 0x3e9b6dac
	v_sub_nc_u32_e32 v36, 0, v32
	v_cvt_f32_i32_e32 v32, v32
	s_delay_alu instid0(VALU_DEP_2) | instskip(NEXT) | instid1(VALU_DEP_1)
	v_ldexp_f32 v35, v35, v36
	v_dual_add_f32 v38, 1.0, v35 :: v_dual_add_f32 v37, 1.0, v37
	s_delay_alu instid0(VALU_DEP_1) | instskip(NEXT) | instid1(VALU_DEP_2)
	v_add_f32_e32 v33, v33, v37
	v_add_f32_e32 v37, -1.0, v38
	s_delay_alu instid0(VALU_DEP_2) | instskip(NEXT) | instid1(VALU_DEP_2)
	v_ldexp_f32 v33, v33, v36
	v_dual_add_f32 v36, -1.0, v35 :: v_dual_sub_f32 v37, v35, v37
	s_delay_alu instid0(VALU_DEP_1) | instskip(NEXT) | instid1(VALU_DEP_2)
	v_add_f32_e32 v39, 1.0, v36
	v_add_f32_e32 v37, v33, v37
	s_delay_alu instid0(VALU_DEP_2) | instskip(NEXT) | instid1(VALU_DEP_2)
	v_sub_f32_e32 v35, v35, v39
	v_add_f32_e32 v39, v38, v37
	s_delay_alu instid0(VALU_DEP_2) | instskip(NEXT) | instid1(VALU_DEP_2)
	v_add_f32_e32 v33, v33, v35
	v_rcp_f32_e32 v35, v39
	v_sub_f32_e32 v38, v38, v39
	s_delay_alu instid0(VALU_DEP_1) | instskip(NEXT) | instid1(VALU_DEP_1)
	v_dual_add_f32 v40, v36, v33 :: v_dual_add_f32 v37, v37, v38
	v_sub_f32_e32 v36, v36, v40
	s_delay_alu instid0(TRANS32_DEP_1) | instskip(NEXT) | instid1(VALU_DEP_1)
	v_mul_f32_e32 v41, v40, v35
	v_dual_add_f32 v33, v33, v36 :: v_dual_mul_f32 v42, v39, v41
	s_delay_alu instid0(VALU_DEP_1) | instskip(NEXT) | instid1(VALU_DEP_1)
	v_fma_f32 v38, v41, v39, -v42
	v_fmac_f32_e32 v38, v41, v37
	s_delay_alu instid0(VALU_DEP_1) | instskip(NEXT) | instid1(VALU_DEP_1)
	v_add_f32_e32 v43, v42, v38
	v_sub_f32_e32 v44, v40, v43
	v_sub_f32_e32 v36, v43, v42
	s_delay_alu instid0(VALU_DEP_2) | instskip(NEXT) | instid1(VALU_DEP_2)
	v_sub_f32_e32 v40, v40, v44
	v_sub_f32_e32 v36, v36, v38
	s_delay_alu instid0(VALU_DEP_2) | instskip(NEXT) | instid1(VALU_DEP_1)
	v_sub_f32_e32 v40, v40, v43
	v_add_f32_e32 v33, v33, v40
	s_delay_alu instid0(VALU_DEP_1) | instskip(NEXT) | instid1(VALU_DEP_1)
	v_add_f32_e32 v33, v36, v33
	v_add_f32_e32 v36, v44, v33
	s_delay_alu instid0(VALU_DEP_1) | instskip(NEXT) | instid1(VALU_DEP_1)
	v_mul_f32_e32 v38, v35, v36
	v_dual_sub_f32 v43, v44, v36 :: v_dual_mul_f32 v40, v39, v38
	s_delay_alu instid0(VALU_DEP_1) | instskip(NEXT) | instid1(VALU_DEP_2)
	v_add_f32_e32 v33, v33, v43
	v_fma_f32 v39, v38, v39, -v40
	s_delay_alu instid0(VALU_DEP_1) | instskip(NEXT) | instid1(VALU_DEP_1)
	v_fmac_f32_e32 v39, v38, v37
	v_add_f32_e32 v37, v40, v39
	s_delay_alu instid0(VALU_DEP_1) | instskip(SKIP_1) | instid1(VALU_DEP_2)
	v_sub_f32_e32 v42, v36, v37
	v_sub_f32_e32 v40, v37, v40
	;; [unrolled: 1-line block ×3, first 2 shown]
	s_delay_alu instid0(VALU_DEP_1) | instskip(NEXT) | instid1(VALU_DEP_3)
	v_sub_f32_e32 v36, v36, v37
	v_sub_f32_e32 v37, v40, v39
	s_delay_alu instid0(VALU_DEP_2) | instskip(SKIP_1) | instid1(VALU_DEP_2)
	v_add_f32_e32 v33, v33, v36
	v_add_f32_e32 v36, v41, v38
	;; [unrolled: 1-line block ×3, first 2 shown]
	s_delay_alu instid0(VALU_DEP_2) | instskip(NEXT) | instid1(VALU_DEP_2)
	v_sub_f32_e32 v37, v36, v41
	v_add_f32_e32 v33, v42, v33
	s_delay_alu instid0(VALU_DEP_2) | instskip(NEXT) | instid1(VALU_DEP_2)
	v_sub_f32_e32 v37, v38, v37
	v_mul_f32_e32 v33, v35, v33
	s_delay_alu instid0(VALU_DEP_1) | instskip(NEXT) | instid1(VALU_DEP_1)
	v_add_f32_e32 v33, v37, v33
	v_add_f32_e32 v35, v36, v33
	s_delay_alu instid0(VALU_DEP_1) | instskip(SKIP_1) | instid1(VALU_DEP_1)
	v_mul_f32_e32 v37, v35, v35
	s_wait_alu 0xfffe
	v_fmaak_f32 v38, s12, v37, 0x3ecc95a3
	v_mul_f32_e32 v39, v35, v37
	v_cmp_neq_f32_e64 s12, 0x7f800000, v34
	s_delay_alu instid0(VALU_DEP_3) | instskip(SKIP_2) | instid1(VALU_DEP_3)
	v_fmaak_f32 v37, v37, v38, 0x3f2aaada
	v_ldexp_f32 v38, v35, 1
	v_sub_f32_e32 v35, v35, v36
	v_mul_f32_e32 v37, v39, v37
	v_mul_f32_e32 v39, 0x3f317218, v32
	s_delay_alu instid0(VALU_DEP_2) | instskip(NEXT) | instid1(VALU_DEP_1)
	v_dual_sub_f32 v33, v33, v35 :: v_dual_add_f32 v36, v38, v37
	v_ldexp_f32 v33, v33, 1
	s_delay_alu instid0(VALU_DEP_2) | instskip(NEXT) | instid1(VALU_DEP_4)
	v_sub_f32_e32 v35, v36, v38
	v_fma_f32 v38, 0x3f317218, v32, -v39
	s_delay_alu instid0(VALU_DEP_1) | instskip(NEXT) | instid1(VALU_DEP_1)
	v_dual_sub_f32 v35, v37, v35 :: v_dual_fmamk_f32 v32, v32, 0xb102e308, v38
	v_add_f32_e32 v33, v33, v35
	s_delay_alu instid0(VALU_DEP_2) | instskip(NEXT) | instid1(VALU_DEP_2)
	v_add_f32_e32 v35, v39, v32
	v_add_f32_e32 v37, v36, v33
	s_delay_alu instid0(VALU_DEP_2) | instskip(NEXT) | instid1(VALU_DEP_2)
	v_sub_f32_e32 v39, v35, v39
	v_add_f32_e32 v38, v35, v37
	v_sub_f32_e32 v36, v37, v36
	s_delay_alu instid0(VALU_DEP_3) | instskip(NEXT) | instid1(VALU_DEP_2)
	v_sub_f32_e32 v32, v32, v39
	v_dual_sub_f32 v40, v38, v35 :: v_dual_sub_f32 v33, v33, v36
	s_delay_alu instid0(VALU_DEP_1) | instskip(NEXT) | instid1(VALU_DEP_2)
	v_sub_f32_e32 v41, v38, v40
	v_dual_sub_f32 v36, v37, v40 :: v_dual_add_f32 v37, v32, v33
	s_delay_alu instid0(VALU_DEP_2) | instskip(NEXT) | instid1(VALU_DEP_1)
	v_sub_f32_e32 v35, v35, v41
	v_dual_add_f32 v35, v36, v35 :: v_dual_sub_f32 v36, v37, v32
	s_delay_alu instid0(VALU_DEP_1) | instskip(NEXT) | instid1(VALU_DEP_2)
	v_add_f32_e32 v35, v37, v35
	v_sub_f32_e32 v37, v37, v36
	v_sub_f32_e32 v33, v33, v36
	s_delay_alu instid0(VALU_DEP_2) | instskip(NEXT) | instid1(VALU_DEP_1)
	v_dual_add_f32 v39, v38, v35 :: v_dual_sub_f32 v32, v32, v37
	v_sub_f32_e32 v36, v39, v38
	s_delay_alu instid0(VALU_DEP_2) | instskip(NEXT) | instid1(VALU_DEP_2)
	v_add_f32_e32 v32, v33, v32
	v_sub_f32_e32 v33, v35, v36
	s_delay_alu instid0(VALU_DEP_1) | instskip(NEXT) | instid1(VALU_DEP_1)
	v_add_f32_e32 v32, v32, v33
	v_add_f32_e32 v32, v39, v32
	s_wait_alu 0xf1ff
	s_delay_alu instid0(VALU_DEP_1) | instskip(SKIP_2) | instid1(VALU_DEP_1)
	v_cndmask_b32_e64 v32, 0x7f800000, v32, s12
	v_cmp_gt_f32_e64 s12, 0x33800000, |v34|
	s_wait_alu 0xf1ff
	v_cndmask_b32_e64 v32, v32, v34, s12
	s_delay_alu instid0(VALU_DEP_1)
	v_add_f32_e32 v32, v31, v32
.LBB443_271:
	s_wait_alu 0xfffe
	s_or_b32 exec_lo, exec_lo, s13
	s_delay_alu instid0(VALU_DEP_1) | instskip(SKIP_3) | instid1(VALU_DEP_1)
	v_bfe_u32 v31, v32, 16, 1
	ds_load_u16 v33, v30 offset:12
	v_cmp_o_f32_e64 s12, v32, v32
	v_add3_u32 v31, v32, v31, 0x7fff
	v_lshrrev_b32_e32 v31, 16, v31
	s_wait_alu 0xf1ff
	s_delay_alu instid0(VALU_DEP_1) | instskip(SKIP_3) | instid1(VALU_DEP_1)
	v_cndmask_b32_e64 v34, 0x7fc0, v31, s12
	ds_store_b16 v30, v34 offset:10
	s_wait_dscnt 0x1
	v_lshlrev_b32_e32 v31, 16, v33
	v_dual_max_num_f32 v35, v31, v31 :: v_dual_lshlrev_b32 v32, 16, v34
	s_delay_alu instid0(VALU_DEP_1) | instskip(SKIP_1) | instid1(VALU_DEP_2)
	v_max_num_f32_e32 v33, v32, v32
	v_cmp_u_f32_e64 s12, v32, v32
	v_min_num_f32_e32 v36, v33, v35
	v_max_num_f32_e32 v33, v33, v35
	s_wait_alu 0xf1ff
	s_delay_alu instid0(VALU_DEP_2) | instskip(NEXT) | instid1(VALU_DEP_2)
	v_cndmask_b32_e64 v35, v36, v32, s12
	v_cndmask_b32_e64 v36, v33, v32, s12
	v_cmp_u_f32_e64 s12, v31, v31
	s_wait_alu 0xf1ff
	s_delay_alu instid0(VALU_DEP_1) | instskip(NEXT) | instid1(VALU_DEP_3)
	v_cndmask_b32_e64 v33, v35, v31, s12
	v_cndmask_b32_e64 v31, v36, v31, s12
	s_delay_alu instid0(VALU_DEP_2) | instskip(NEXT) | instid1(VALU_DEP_2)
	v_cmp_class_f32_e64 s13, v33, 0x1f8
	v_cmp_neq_f32_e64 s12, v33, v31
	s_or_b32 s12, s12, s13
	s_wait_alu 0xfffe
	s_and_saveexec_b32 s13, s12
	s_cbranch_execz .LBB443_273
; %bb.272:
	v_sub_f32_e32 v32, v33, v31
	s_delay_alu instid0(VALU_DEP_1) | instskip(SKIP_1) | instid1(VALU_DEP_2)
	v_mul_f32_e32 v33, 0x3fb8aa3b, v32
	v_cmp_ngt_f32_e64 s12, 0xc2ce8ed0, v32
	v_fma_f32 v34, 0x3fb8aa3b, v32, -v33
	v_rndne_f32_e32 v35, v33
	s_delay_alu instid0(VALU_DEP_1) | instskip(NEXT) | instid1(VALU_DEP_1)
	v_dual_fmamk_f32 v34, v32, 0x32a5705f, v34 :: v_dual_sub_f32 v33, v33, v35
	v_add_f32_e32 v33, v33, v34
	v_cvt_i32_f32_e32 v34, v35
	s_delay_alu instid0(VALU_DEP_2) | instskip(NEXT) | instid1(TRANS32_DEP_1)
	v_exp_f32_e32 v33, v33
	v_ldexp_f32 v33, v33, v34
	s_wait_alu 0xf1ff
	s_delay_alu instid0(VALU_DEP_1) | instskip(SKIP_2) | instid1(VALU_DEP_1)
	v_cndmask_b32_e64 v33, 0, v33, s12
	v_cmp_nlt_f32_e64 s12, 0x42b17218, v32
	s_wait_alu 0xf1ff
	v_cndmask_b32_e64 v34, 0x7f800000, v33, s12
	s_delay_alu instid0(VALU_DEP_1) | instskip(NEXT) | instid1(VALU_DEP_1)
	v_add_f32_e32 v35, 1.0, v34
	v_cvt_f64_f32_e32 v[32:33], v35
	s_delay_alu instid0(VALU_DEP_1) | instskip(SKIP_1) | instid1(VALU_DEP_1)
	v_frexp_exp_i32_f64_e32 v32, v[32:33]
	v_frexp_mant_f32_e32 v33, v35
	v_cmp_gt_f32_e64 s12, 0x3f2aaaab, v33
	v_add_f32_e32 v33, -1.0, v35
	s_delay_alu instid0(VALU_DEP_1)
	v_sub_f32_e32 v37, v33, v35
	v_sub_f32_e32 v33, v34, v33
	s_wait_alu 0xf1ff
	v_subrev_co_ci_u32_e64 v32, null, 0, v32, s12
	s_mov_b32 s12, 0x3e9b6dac
	v_sub_nc_u32_e32 v36, 0, v32
	v_cvt_f32_i32_e32 v32, v32
	s_delay_alu instid0(VALU_DEP_2) | instskip(NEXT) | instid1(VALU_DEP_1)
	v_ldexp_f32 v35, v35, v36
	v_dual_add_f32 v38, 1.0, v35 :: v_dual_add_f32 v37, 1.0, v37
	s_delay_alu instid0(VALU_DEP_1) | instskip(NEXT) | instid1(VALU_DEP_2)
	v_add_f32_e32 v33, v33, v37
	v_add_f32_e32 v37, -1.0, v38
	s_delay_alu instid0(VALU_DEP_2) | instskip(NEXT) | instid1(VALU_DEP_2)
	v_ldexp_f32 v33, v33, v36
	v_dual_add_f32 v36, -1.0, v35 :: v_dual_sub_f32 v37, v35, v37
	s_delay_alu instid0(VALU_DEP_1) | instskip(NEXT) | instid1(VALU_DEP_2)
	v_add_f32_e32 v39, 1.0, v36
	v_add_f32_e32 v37, v33, v37
	s_delay_alu instid0(VALU_DEP_2) | instskip(NEXT) | instid1(VALU_DEP_2)
	v_sub_f32_e32 v35, v35, v39
	v_add_f32_e32 v39, v38, v37
	s_delay_alu instid0(VALU_DEP_2) | instskip(NEXT) | instid1(VALU_DEP_2)
	v_add_f32_e32 v33, v33, v35
	v_rcp_f32_e32 v35, v39
	v_sub_f32_e32 v38, v38, v39
	s_delay_alu instid0(VALU_DEP_1) | instskip(NEXT) | instid1(VALU_DEP_1)
	v_dual_add_f32 v40, v36, v33 :: v_dual_add_f32 v37, v37, v38
	v_sub_f32_e32 v36, v36, v40
	s_delay_alu instid0(TRANS32_DEP_1) | instskip(NEXT) | instid1(VALU_DEP_1)
	v_mul_f32_e32 v41, v40, v35
	v_dual_add_f32 v33, v33, v36 :: v_dual_mul_f32 v42, v39, v41
	s_delay_alu instid0(VALU_DEP_1) | instskip(NEXT) | instid1(VALU_DEP_1)
	v_fma_f32 v38, v41, v39, -v42
	v_fmac_f32_e32 v38, v41, v37
	s_delay_alu instid0(VALU_DEP_1) | instskip(NEXT) | instid1(VALU_DEP_1)
	v_add_f32_e32 v43, v42, v38
	v_sub_f32_e32 v44, v40, v43
	v_sub_f32_e32 v36, v43, v42
	s_delay_alu instid0(VALU_DEP_2) | instskip(NEXT) | instid1(VALU_DEP_2)
	v_sub_f32_e32 v40, v40, v44
	v_sub_f32_e32 v36, v36, v38
	s_delay_alu instid0(VALU_DEP_2) | instskip(NEXT) | instid1(VALU_DEP_1)
	v_sub_f32_e32 v40, v40, v43
	v_add_f32_e32 v33, v33, v40
	s_delay_alu instid0(VALU_DEP_1) | instskip(NEXT) | instid1(VALU_DEP_1)
	v_add_f32_e32 v33, v36, v33
	v_add_f32_e32 v36, v44, v33
	s_delay_alu instid0(VALU_DEP_1) | instskip(NEXT) | instid1(VALU_DEP_1)
	v_mul_f32_e32 v38, v35, v36
	v_dual_sub_f32 v43, v44, v36 :: v_dual_mul_f32 v40, v39, v38
	s_delay_alu instid0(VALU_DEP_1) | instskip(NEXT) | instid1(VALU_DEP_2)
	v_add_f32_e32 v33, v33, v43
	v_fma_f32 v39, v38, v39, -v40
	s_delay_alu instid0(VALU_DEP_1) | instskip(NEXT) | instid1(VALU_DEP_1)
	v_fmac_f32_e32 v39, v38, v37
	v_add_f32_e32 v37, v40, v39
	s_delay_alu instid0(VALU_DEP_1) | instskip(SKIP_1) | instid1(VALU_DEP_2)
	v_sub_f32_e32 v42, v36, v37
	v_sub_f32_e32 v40, v37, v40
	;; [unrolled: 1-line block ×3, first 2 shown]
	s_delay_alu instid0(VALU_DEP_1) | instskip(NEXT) | instid1(VALU_DEP_3)
	v_sub_f32_e32 v36, v36, v37
	v_sub_f32_e32 v37, v40, v39
	s_delay_alu instid0(VALU_DEP_2) | instskip(SKIP_1) | instid1(VALU_DEP_2)
	v_add_f32_e32 v33, v33, v36
	v_add_f32_e32 v36, v41, v38
	;; [unrolled: 1-line block ×3, first 2 shown]
	s_delay_alu instid0(VALU_DEP_2) | instskip(NEXT) | instid1(VALU_DEP_2)
	v_sub_f32_e32 v37, v36, v41
	v_add_f32_e32 v33, v42, v33
	s_delay_alu instid0(VALU_DEP_2) | instskip(NEXT) | instid1(VALU_DEP_2)
	v_sub_f32_e32 v37, v38, v37
	v_mul_f32_e32 v33, v35, v33
	s_delay_alu instid0(VALU_DEP_1) | instskip(NEXT) | instid1(VALU_DEP_1)
	v_add_f32_e32 v33, v37, v33
	v_add_f32_e32 v35, v36, v33
	s_delay_alu instid0(VALU_DEP_1) | instskip(SKIP_1) | instid1(VALU_DEP_1)
	v_mul_f32_e32 v37, v35, v35
	s_wait_alu 0xfffe
	v_fmaak_f32 v38, s12, v37, 0x3ecc95a3
	v_mul_f32_e32 v39, v35, v37
	v_cmp_neq_f32_e64 s12, 0x7f800000, v34
	s_delay_alu instid0(VALU_DEP_3) | instskip(SKIP_2) | instid1(VALU_DEP_3)
	v_fmaak_f32 v37, v37, v38, 0x3f2aaada
	v_ldexp_f32 v38, v35, 1
	v_sub_f32_e32 v35, v35, v36
	v_mul_f32_e32 v37, v39, v37
	v_mul_f32_e32 v39, 0x3f317218, v32
	s_delay_alu instid0(VALU_DEP_2) | instskip(NEXT) | instid1(VALU_DEP_1)
	v_dual_sub_f32 v33, v33, v35 :: v_dual_add_f32 v36, v38, v37
	v_ldexp_f32 v33, v33, 1
	s_delay_alu instid0(VALU_DEP_2) | instskip(NEXT) | instid1(VALU_DEP_4)
	v_sub_f32_e32 v35, v36, v38
	v_fma_f32 v38, 0x3f317218, v32, -v39
	s_delay_alu instid0(VALU_DEP_1) | instskip(NEXT) | instid1(VALU_DEP_1)
	v_dual_sub_f32 v35, v37, v35 :: v_dual_fmamk_f32 v32, v32, 0xb102e308, v38
	v_add_f32_e32 v33, v33, v35
	s_delay_alu instid0(VALU_DEP_2) | instskip(NEXT) | instid1(VALU_DEP_2)
	v_add_f32_e32 v35, v39, v32
	v_add_f32_e32 v37, v36, v33
	s_delay_alu instid0(VALU_DEP_2) | instskip(NEXT) | instid1(VALU_DEP_2)
	v_sub_f32_e32 v39, v35, v39
	v_add_f32_e32 v38, v35, v37
	v_sub_f32_e32 v36, v37, v36
	s_delay_alu instid0(VALU_DEP_3) | instskip(NEXT) | instid1(VALU_DEP_2)
	v_sub_f32_e32 v32, v32, v39
	v_dual_sub_f32 v40, v38, v35 :: v_dual_sub_f32 v33, v33, v36
	s_delay_alu instid0(VALU_DEP_1) | instskip(NEXT) | instid1(VALU_DEP_2)
	v_sub_f32_e32 v41, v38, v40
	v_dual_sub_f32 v36, v37, v40 :: v_dual_add_f32 v37, v32, v33
	s_delay_alu instid0(VALU_DEP_2) | instskip(NEXT) | instid1(VALU_DEP_1)
	v_sub_f32_e32 v35, v35, v41
	v_dual_add_f32 v35, v36, v35 :: v_dual_sub_f32 v36, v37, v32
	s_delay_alu instid0(VALU_DEP_1) | instskip(NEXT) | instid1(VALU_DEP_2)
	v_add_f32_e32 v35, v37, v35
	v_sub_f32_e32 v37, v37, v36
	v_sub_f32_e32 v33, v33, v36
	s_delay_alu instid0(VALU_DEP_2) | instskip(NEXT) | instid1(VALU_DEP_1)
	v_dual_add_f32 v39, v38, v35 :: v_dual_sub_f32 v32, v32, v37
	v_sub_f32_e32 v36, v39, v38
	s_delay_alu instid0(VALU_DEP_2) | instskip(NEXT) | instid1(VALU_DEP_2)
	v_add_f32_e32 v32, v33, v32
	v_sub_f32_e32 v33, v35, v36
	s_delay_alu instid0(VALU_DEP_1) | instskip(NEXT) | instid1(VALU_DEP_1)
	v_add_f32_e32 v32, v32, v33
	v_add_f32_e32 v32, v39, v32
	s_wait_alu 0xf1ff
	s_delay_alu instid0(VALU_DEP_1) | instskip(SKIP_2) | instid1(VALU_DEP_1)
	v_cndmask_b32_e64 v32, 0x7f800000, v32, s12
	v_cmp_gt_f32_e64 s12, 0x33800000, |v34|
	s_wait_alu 0xf1ff
	v_cndmask_b32_e64 v32, v32, v34, s12
	s_delay_alu instid0(VALU_DEP_1)
	v_add_f32_e32 v32, v31, v32
.LBB443_273:
	s_wait_alu 0xfffe
	s_or_b32 exec_lo, exec_lo, s13
	s_delay_alu instid0(VALU_DEP_1) | instskip(SKIP_3) | instid1(VALU_DEP_1)
	v_bfe_u32 v31, v32, 16, 1
	ds_load_u16 v33, v30 offset:14
	v_cmp_o_f32_e64 s12, v32, v32
	v_add3_u32 v31, v32, v31, 0x7fff
	v_lshrrev_b32_e32 v31, 16, v31
	s_wait_alu 0xf1ff
	s_delay_alu instid0(VALU_DEP_1) | instskip(SKIP_3) | instid1(VALU_DEP_1)
	v_cndmask_b32_e64 v34, 0x7fc0, v31, s12
	ds_store_b16 v30, v34 offset:12
	s_wait_dscnt 0x1
	v_lshlrev_b32_e32 v31, 16, v33
	v_dual_max_num_f32 v35, v31, v31 :: v_dual_lshlrev_b32 v32, 16, v34
	s_delay_alu instid0(VALU_DEP_1) | instskip(SKIP_1) | instid1(VALU_DEP_2)
	v_max_num_f32_e32 v33, v32, v32
	v_cmp_u_f32_e64 s12, v32, v32
	v_min_num_f32_e32 v36, v33, v35
	v_max_num_f32_e32 v33, v33, v35
	s_wait_alu 0xf1ff
	s_delay_alu instid0(VALU_DEP_2) | instskip(NEXT) | instid1(VALU_DEP_2)
	v_cndmask_b32_e64 v35, v36, v32, s12
	v_cndmask_b32_e64 v36, v33, v32, s12
	v_cmp_u_f32_e64 s12, v31, v31
	s_wait_alu 0xf1ff
	s_delay_alu instid0(VALU_DEP_1) | instskip(NEXT) | instid1(VALU_DEP_3)
	v_cndmask_b32_e64 v33, v35, v31, s12
	v_cndmask_b32_e64 v31, v36, v31, s12
	s_delay_alu instid0(VALU_DEP_2) | instskip(NEXT) | instid1(VALU_DEP_2)
	v_cmp_class_f32_e64 s13, v33, 0x1f8
	v_cmp_neq_f32_e64 s12, v33, v31
	s_or_b32 s12, s12, s13
	s_wait_alu 0xfffe
	s_and_saveexec_b32 s13, s12
	s_cbranch_execz .LBB443_275
; %bb.274:
	v_sub_f32_e32 v32, v33, v31
	s_delay_alu instid0(VALU_DEP_1) | instskip(SKIP_1) | instid1(VALU_DEP_2)
	v_mul_f32_e32 v33, 0x3fb8aa3b, v32
	v_cmp_ngt_f32_e64 s12, 0xc2ce8ed0, v32
	v_fma_f32 v34, 0x3fb8aa3b, v32, -v33
	v_rndne_f32_e32 v35, v33
	s_delay_alu instid0(VALU_DEP_1) | instskip(NEXT) | instid1(VALU_DEP_1)
	v_dual_fmamk_f32 v34, v32, 0x32a5705f, v34 :: v_dual_sub_f32 v33, v33, v35
	v_add_f32_e32 v33, v33, v34
	v_cvt_i32_f32_e32 v34, v35
	s_delay_alu instid0(VALU_DEP_2) | instskip(NEXT) | instid1(TRANS32_DEP_1)
	v_exp_f32_e32 v33, v33
	v_ldexp_f32 v33, v33, v34
	s_wait_alu 0xf1ff
	s_delay_alu instid0(VALU_DEP_1) | instskip(SKIP_2) | instid1(VALU_DEP_1)
	v_cndmask_b32_e64 v33, 0, v33, s12
	v_cmp_nlt_f32_e64 s12, 0x42b17218, v32
	s_wait_alu 0xf1ff
	v_cndmask_b32_e64 v34, 0x7f800000, v33, s12
	s_delay_alu instid0(VALU_DEP_1) | instskip(NEXT) | instid1(VALU_DEP_1)
	v_add_f32_e32 v35, 1.0, v34
	v_cvt_f64_f32_e32 v[32:33], v35
	s_delay_alu instid0(VALU_DEP_1) | instskip(SKIP_1) | instid1(VALU_DEP_1)
	v_frexp_exp_i32_f64_e32 v32, v[32:33]
	v_frexp_mant_f32_e32 v33, v35
	v_cmp_gt_f32_e64 s12, 0x3f2aaaab, v33
	v_add_f32_e32 v33, -1.0, v35
	s_delay_alu instid0(VALU_DEP_1)
	v_sub_f32_e32 v37, v33, v35
	v_sub_f32_e32 v33, v34, v33
	s_wait_alu 0xf1ff
	v_subrev_co_ci_u32_e64 v32, null, 0, v32, s12
	s_mov_b32 s12, 0x3e9b6dac
	v_sub_nc_u32_e32 v36, 0, v32
	v_cvt_f32_i32_e32 v32, v32
	s_delay_alu instid0(VALU_DEP_2) | instskip(NEXT) | instid1(VALU_DEP_1)
	v_ldexp_f32 v35, v35, v36
	v_dual_add_f32 v38, 1.0, v35 :: v_dual_add_f32 v37, 1.0, v37
	s_delay_alu instid0(VALU_DEP_1) | instskip(NEXT) | instid1(VALU_DEP_2)
	v_add_f32_e32 v33, v33, v37
	v_add_f32_e32 v37, -1.0, v38
	s_delay_alu instid0(VALU_DEP_2) | instskip(NEXT) | instid1(VALU_DEP_2)
	v_ldexp_f32 v33, v33, v36
	v_dual_add_f32 v36, -1.0, v35 :: v_dual_sub_f32 v37, v35, v37
	s_delay_alu instid0(VALU_DEP_1) | instskip(NEXT) | instid1(VALU_DEP_2)
	v_add_f32_e32 v39, 1.0, v36
	v_add_f32_e32 v37, v33, v37
	s_delay_alu instid0(VALU_DEP_2) | instskip(NEXT) | instid1(VALU_DEP_2)
	v_sub_f32_e32 v35, v35, v39
	v_add_f32_e32 v39, v38, v37
	s_delay_alu instid0(VALU_DEP_2) | instskip(NEXT) | instid1(VALU_DEP_2)
	v_add_f32_e32 v33, v33, v35
	v_rcp_f32_e32 v35, v39
	v_sub_f32_e32 v38, v38, v39
	s_delay_alu instid0(VALU_DEP_1) | instskip(NEXT) | instid1(VALU_DEP_1)
	v_dual_add_f32 v40, v36, v33 :: v_dual_add_f32 v37, v37, v38
	v_sub_f32_e32 v36, v36, v40
	s_delay_alu instid0(TRANS32_DEP_1) | instskip(NEXT) | instid1(VALU_DEP_1)
	v_mul_f32_e32 v41, v40, v35
	v_dual_add_f32 v33, v33, v36 :: v_dual_mul_f32 v42, v39, v41
	s_delay_alu instid0(VALU_DEP_1) | instskip(NEXT) | instid1(VALU_DEP_1)
	v_fma_f32 v38, v41, v39, -v42
	v_fmac_f32_e32 v38, v41, v37
	s_delay_alu instid0(VALU_DEP_1) | instskip(NEXT) | instid1(VALU_DEP_1)
	v_add_f32_e32 v43, v42, v38
	v_sub_f32_e32 v44, v40, v43
	v_sub_f32_e32 v36, v43, v42
	s_delay_alu instid0(VALU_DEP_2) | instskip(NEXT) | instid1(VALU_DEP_2)
	v_sub_f32_e32 v40, v40, v44
	v_sub_f32_e32 v36, v36, v38
	s_delay_alu instid0(VALU_DEP_2) | instskip(NEXT) | instid1(VALU_DEP_1)
	v_sub_f32_e32 v40, v40, v43
	v_add_f32_e32 v33, v33, v40
	s_delay_alu instid0(VALU_DEP_1) | instskip(NEXT) | instid1(VALU_DEP_1)
	v_add_f32_e32 v33, v36, v33
	v_add_f32_e32 v36, v44, v33
	s_delay_alu instid0(VALU_DEP_1) | instskip(NEXT) | instid1(VALU_DEP_1)
	v_mul_f32_e32 v38, v35, v36
	v_dual_sub_f32 v43, v44, v36 :: v_dual_mul_f32 v40, v39, v38
	s_delay_alu instid0(VALU_DEP_1) | instskip(NEXT) | instid1(VALU_DEP_2)
	v_add_f32_e32 v33, v33, v43
	v_fma_f32 v39, v38, v39, -v40
	s_delay_alu instid0(VALU_DEP_1) | instskip(NEXT) | instid1(VALU_DEP_1)
	v_fmac_f32_e32 v39, v38, v37
	v_add_f32_e32 v37, v40, v39
	s_delay_alu instid0(VALU_DEP_1) | instskip(SKIP_1) | instid1(VALU_DEP_2)
	v_sub_f32_e32 v42, v36, v37
	v_sub_f32_e32 v40, v37, v40
	;; [unrolled: 1-line block ×3, first 2 shown]
	s_delay_alu instid0(VALU_DEP_1) | instskip(NEXT) | instid1(VALU_DEP_3)
	v_sub_f32_e32 v36, v36, v37
	v_sub_f32_e32 v37, v40, v39
	s_delay_alu instid0(VALU_DEP_2) | instskip(SKIP_1) | instid1(VALU_DEP_2)
	v_add_f32_e32 v33, v33, v36
	v_add_f32_e32 v36, v41, v38
	;; [unrolled: 1-line block ×3, first 2 shown]
	s_delay_alu instid0(VALU_DEP_2) | instskip(NEXT) | instid1(VALU_DEP_2)
	v_sub_f32_e32 v37, v36, v41
	v_add_f32_e32 v33, v42, v33
	s_delay_alu instid0(VALU_DEP_2) | instskip(NEXT) | instid1(VALU_DEP_2)
	v_sub_f32_e32 v37, v38, v37
	v_mul_f32_e32 v33, v35, v33
	s_delay_alu instid0(VALU_DEP_1) | instskip(NEXT) | instid1(VALU_DEP_1)
	v_add_f32_e32 v33, v37, v33
	v_add_f32_e32 v35, v36, v33
	s_delay_alu instid0(VALU_DEP_1) | instskip(SKIP_1) | instid1(VALU_DEP_1)
	v_mul_f32_e32 v37, v35, v35
	s_wait_alu 0xfffe
	v_fmaak_f32 v38, s12, v37, 0x3ecc95a3
	v_mul_f32_e32 v39, v35, v37
	v_cmp_neq_f32_e64 s12, 0x7f800000, v34
	s_delay_alu instid0(VALU_DEP_3) | instskip(SKIP_2) | instid1(VALU_DEP_3)
	v_fmaak_f32 v37, v37, v38, 0x3f2aaada
	v_ldexp_f32 v38, v35, 1
	v_sub_f32_e32 v35, v35, v36
	v_mul_f32_e32 v37, v39, v37
	v_mul_f32_e32 v39, 0x3f317218, v32
	s_delay_alu instid0(VALU_DEP_2) | instskip(NEXT) | instid1(VALU_DEP_1)
	v_dual_sub_f32 v33, v33, v35 :: v_dual_add_f32 v36, v38, v37
	v_ldexp_f32 v33, v33, 1
	s_delay_alu instid0(VALU_DEP_2) | instskip(NEXT) | instid1(VALU_DEP_4)
	v_sub_f32_e32 v35, v36, v38
	v_fma_f32 v38, 0x3f317218, v32, -v39
	s_delay_alu instid0(VALU_DEP_1) | instskip(NEXT) | instid1(VALU_DEP_1)
	v_dual_sub_f32 v35, v37, v35 :: v_dual_fmamk_f32 v32, v32, 0xb102e308, v38
	v_add_f32_e32 v33, v33, v35
	s_delay_alu instid0(VALU_DEP_2) | instskip(NEXT) | instid1(VALU_DEP_2)
	v_add_f32_e32 v35, v39, v32
	v_add_f32_e32 v37, v36, v33
	s_delay_alu instid0(VALU_DEP_2) | instskip(NEXT) | instid1(VALU_DEP_2)
	v_sub_f32_e32 v39, v35, v39
	v_add_f32_e32 v38, v35, v37
	v_sub_f32_e32 v36, v37, v36
	s_delay_alu instid0(VALU_DEP_3) | instskip(NEXT) | instid1(VALU_DEP_2)
	v_sub_f32_e32 v32, v32, v39
	v_dual_sub_f32 v40, v38, v35 :: v_dual_sub_f32 v33, v33, v36
	s_delay_alu instid0(VALU_DEP_1) | instskip(NEXT) | instid1(VALU_DEP_2)
	v_sub_f32_e32 v41, v38, v40
	v_dual_sub_f32 v36, v37, v40 :: v_dual_add_f32 v37, v32, v33
	s_delay_alu instid0(VALU_DEP_2) | instskip(NEXT) | instid1(VALU_DEP_1)
	v_sub_f32_e32 v35, v35, v41
	v_dual_add_f32 v35, v36, v35 :: v_dual_sub_f32 v36, v37, v32
	s_delay_alu instid0(VALU_DEP_1) | instskip(NEXT) | instid1(VALU_DEP_2)
	v_add_f32_e32 v35, v37, v35
	v_sub_f32_e32 v37, v37, v36
	v_sub_f32_e32 v33, v33, v36
	s_delay_alu instid0(VALU_DEP_2) | instskip(NEXT) | instid1(VALU_DEP_1)
	v_dual_add_f32 v39, v38, v35 :: v_dual_sub_f32 v32, v32, v37
	v_sub_f32_e32 v36, v39, v38
	s_delay_alu instid0(VALU_DEP_2) | instskip(NEXT) | instid1(VALU_DEP_2)
	v_add_f32_e32 v32, v33, v32
	v_sub_f32_e32 v33, v35, v36
	s_delay_alu instid0(VALU_DEP_1) | instskip(NEXT) | instid1(VALU_DEP_1)
	v_add_f32_e32 v32, v32, v33
	v_add_f32_e32 v32, v39, v32
	s_wait_alu 0xf1ff
	s_delay_alu instid0(VALU_DEP_1) | instskip(SKIP_2) | instid1(VALU_DEP_1)
	v_cndmask_b32_e64 v32, 0x7f800000, v32, s12
	v_cmp_gt_f32_e64 s12, 0x33800000, |v34|
	s_wait_alu 0xf1ff
	v_cndmask_b32_e64 v32, v32, v34, s12
	s_delay_alu instid0(VALU_DEP_1)
	v_add_f32_e32 v32, v31, v32
.LBB443_275:
	s_wait_alu 0xfffe
	s_or_b32 exec_lo, exec_lo, s13
	s_delay_alu instid0(VALU_DEP_1) | instskip(SKIP_1) | instid1(VALU_DEP_2)
	v_bfe_u32 v31, v32, 16, 1
	v_cmp_o_f32_e64 s12, v32, v32
	v_add3_u32 v31, v32, v31, 0x7fff
	s_delay_alu instid0(VALU_DEP_1) | instskip(SKIP_1) | instid1(VALU_DEP_1)
	v_lshrrev_b32_e32 v31, 16, v31
	s_wait_alu 0xf1ff
	v_cndmask_b32_e64 v31, 0x7fc0, v31, s12
	ds_store_b16 v30, v31 offset:14
.LBB443_276:
	s_or_b32 exec_lo, exec_lo, s15
	s_wait_loadcnt_dscnt 0x0
	s_barrier_signal -1
	s_barrier_wait -1
	global_inv scope:SCOPE_SE
	s_and_saveexec_b32 s12, vcc_lo
	s_cbranch_execz .LBB443_280
; %bb.277:
	v_add_nc_u32_e32 v3, -1, v0
	s_delay_alu instid0(VALU_DEP_1) | instskip(NEXT) | instid1(VALU_DEP_1)
	v_lshrrev_b32_e32 v27, 4, v3
	v_and_b32_e32 v27, 0xffffffe, v27
	s_delay_alu instid0(VALU_DEP_1) | instskip(SKIP_3) | instid1(VALU_DEP_1)
	v_lshl_add_u32 v3, v3, 1, v27
	ds_load_u16 v3, v3
	s_wait_dscnt 0x0
	v_lshlrev_b32_e32 v27, 16, v3
	v_max_num_f32_e32 v3, v27, v27
	v_cmp_u_f32_e32 vcc_lo, v27, v27
	s_delay_alu instid0(VALU_DEP_2) | instskip(NEXT) | instid1(VALU_DEP_1)
	v_min_num_f32_e32 v28, v3, v29
	v_dual_max_num_f32 v3, v3, v29 :: v_dual_cndmask_b32 v28, v28, v27
	s_delay_alu instid0(VALU_DEP_1) | instskip(NEXT) | instid1(VALU_DEP_2)
	v_cndmask_b32_e32 v3, v3, v27, vcc_lo
	v_cndmask_b32_e64 v28, v28, v26, s11
	s_delay_alu instid0(VALU_DEP_2) | instskip(NEXT) | instid1(VALU_DEP_2)
	v_cndmask_b32_e64 v3, v3, v26, s11
	v_cmp_class_f32_e64 s11, v28, 0x1f8
	s_delay_alu instid0(VALU_DEP_2)
	v_cmp_neq_f32_e32 vcc_lo, v28, v3
	s_or_b32 s13, vcc_lo, s11
	s_wait_alu 0xfffe
	s_and_saveexec_b32 s11, s13
	s_cbranch_execz .LBB443_279
; %bb.278:
	v_sub_f32_e32 v26, v28, v3
	s_mov_b32 s13, 0x3e9b6dac
	s_delay_alu instid0(VALU_DEP_1) | instskip(NEXT) | instid1(VALU_DEP_1)
	v_mul_f32_e32 v27, 0x3fb8aa3b, v26
	v_fma_f32 v28, 0x3fb8aa3b, v26, -v27
	v_rndne_f32_e32 v29, v27
	s_delay_alu instid0(VALU_DEP_1) | instskip(SKIP_1) | instid1(VALU_DEP_4)
	v_sub_f32_e32 v27, v27, v29
	v_cmp_ngt_f32_e32 vcc_lo, 0xc2ce8ed0, v26
	v_fmamk_f32 v28, v26, 0x32a5705f, v28
	s_delay_alu instid0(VALU_DEP_1) | instskip(SKIP_1) | instid1(VALU_DEP_2)
	v_add_f32_e32 v27, v27, v28
	v_cvt_i32_f32_e32 v28, v29
	v_exp_f32_e32 v27, v27
	s_delay_alu instid0(TRANS32_DEP_1) | instskip(SKIP_1) | instid1(VALU_DEP_1)
	v_ldexp_f32 v27, v27, v28
	s_wait_alu 0xfffd
	v_cndmask_b32_e32 v27, 0, v27, vcc_lo
	v_cmp_nlt_f32_e32 vcc_lo, 0x42b17218, v26
	s_wait_alu 0xfffd
	s_delay_alu instid0(VALU_DEP_2) | instskip(NEXT) | instid1(VALU_DEP_1)
	v_cndmask_b32_e32 v28, 0x7f800000, v27, vcc_lo
	v_add_f32_e32 v29, 1.0, v28
	s_delay_alu instid0(VALU_DEP_1) | instskip(NEXT) | instid1(VALU_DEP_1)
	v_cvt_f64_f32_e32 v[26:27], v29
	v_frexp_exp_i32_f64_e32 v26, v[26:27]
	v_frexp_mant_f32_e32 v27, v29
	s_delay_alu instid0(VALU_DEP_1) | instskip(SKIP_1) | instid1(VALU_DEP_1)
	v_cmp_gt_f32_e32 vcc_lo, 0x3f2aaaab, v27
	v_add_f32_e32 v27, -1.0, v29
	v_sub_f32_e32 v31, v27, v29
	v_sub_f32_e32 v27, v28, v27
	s_wait_alu 0xfffd
	v_subrev_co_ci_u32_e64 v26, null, 0, v26, vcc_lo
	v_cmp_neq_f32_e32 vcc_lo, 0x7f800000, v28
	s_delay_alu instid0(VALU_DEP_2) | instskip(SKIP_1) | instid1(VALU_DEP_2)
	v_sub_nc_u32_e32 v30, 0, v26
	v_cvt_f32_i32_e32 v26, v26
	v_ldexp_f32 v29, v29, v30
	s_delay_alu instid0(VALU_DEP_1) | instskip(NEXT) | instid1(VALU_DEP_1)
	v_dual_add_f32 v32, 1.0, v29 :: v_dual_add_f32 v31, 1.0, v31
	v_add_f32_e32 v27, v27, v31
	s_delay_alu instid0(VALU_DEP_2) | instskip(NEXT) | instid1(VALU_DEP_2)
	v_add_f32_e32 v31, -1.0, v32
	v_ldexp_f32 v27, v27, v30
	s_delay_alu instid0(VALU_DEP_2) | instskip(NEXT) | instid1(VALU_DEP_1)
	v_dual_add_f32 v30, -1.0, v29 :: v_dual_sub_f32 v31, v29, v31
	v_add_f32_e32 v33, 1.0, v30
	s_delay_alu instid0(VALU_DEP_2) | instskip(NEXT) | instid1(VALU_DEP_2)
	v_add_f32_e32 v31, v27, v31
	v_sub_f32_e32 v29, v29, v33
	s_delay_alu instid0(VALU_DEP_2) | instskip(NEXT) | instid1(VALU_DEP_2)
	v_add_f32_e32 v33, v32, v31
	v_add_f32_e32 v27, v27, v29
	s_delay_alu instid0(VALU_DEP_2) | instskip(SKIP_1) | instid1(VALU_DEP_1)
	v_rcp_f32_e32 v29, v33
	v_sub_f32_e32 v32, v32, v33
	v_dual_add_f32 v34, v30, v27 :: v_dual_add_f32 v31, v31, v32
	s_delay_alu instid0(VALU_DEP_1) | instskip(NEXT) | instid1(TRANS32_DEP_1)
	v_sub_f32_e32 v30, v30, v34
	v_mul_f32_e32 v35, v34, v29
	s_delay_alu instid0(VALU_DEP_1) | instskip(NEXT) | instid1(VALU_DEP_1)
	v_dual_add_f32 v27, v27, v30 :: v_dual_mul_f32 v36, v33, v35
	v_fma_f32 v32, v35, v33, -v36
	s_delay_alu instid0(VALU_DEP_1) | instskip(NEXT) | instid1(VALU_DEP_1)
	v_fmac_f32_e32 v32, v35, v31
	v_add_f32_e32 v37, v36, v32
	s_delay_alu instid0(VALU_DEP_1) | instskip(SKIP_1) | instid1(VALU_DEP_2)
	v_sub_f32_e32 v38, v34, v37
	v_sub_f32_e32 v30, v37, v36
	;; [unrolled: 1-line block ×3, first 2 shown]
	s_delay_alu instid0(VALU_DEP_2) | instskip(NEXT) | instid1(VALU_DEP_2)
	v_sub_f32_e32 v30, v30, v32
	v_sub_f32_e32 v34, v34, v37
	s_delay_alu instid0(VALU_DEP_1) | instskip(NEXT) | instid1(VALU_DEP_1)
	v_add_f32_e32 v27, v27, v34
	v_add_f32_e32 v27, v30, v27
	s_delay_alu instid0(VALU_DEP_1) | instskip(NEXT) | instid1(VALU_DEP_1)
	v_add_f32_e32 v30, v38, v27
	v_mul_f32_e32 v32, v29, v30
	s_delay_alu instid0(VALU_DEP_1) | instskip(NEXT) | instid1(VALU_DEP_1)
	v_dual_sub_f32 v37, v38, v30 :: v_dual_mul_f32 v34, v33, v32
	v_add_f32_e32 v27, v27, v37
	s_delay_alu instid0(VALU_DEP_2) | instskip(NEXT) | instid1(VALU_DEP_1)
	v_fma_f32 v33, v32, v33, -v34
	v_fmac_f32_e32 v33, v32, v31
	s_delay_alu instid0(VALU_DEP_1) | instskip(NEXT) | instid1(VALU_DEP_1)
	v_add_f32_e32 v31, v34, v33
	v_sub_f32_e32 v36, v30, v31
	v_sub_f32_e32 v34, v31, v34
	s_delay_alu instid0(VALU_DEP_2) | instskip(NEXT) | instid1(VALU_DEP_1)
	v_sub_f32_e32 v30, v30, v36
	v_sub_f32_e32 v30, v30, v31
	s_delay_alu instid0(VALU_DEP_3) | instskip(NEXT) | instid1(VALU_DEP_2)
	v_sub_f32_e32 v31, v34, v33
	v_add_f32_e32 v27, v27, v30
	v_add_f32_e32 v30, v35, v32
	s_delay_alu instid0(VALU_DEP_2) | instskip(NEXT) | instid1(VALU_DEP_2)
	v_add_f32_e32 v27, v31, v27
	v_sub_f32_e32 v31, v30, v35
	s_delay_alu instid0(VALU_DEP_2) | instskip(NEXT) | instid1(VALU_DEP_2)
	v_add_f32_e32 v27, v36, v27
	v_sub_f32_e32 v31, v32, v31
	s_delay_alu instid0(VALU_DEP_2) | instskip(NEXT) | instid1(VALU_DEP_1)
	v_mul_f32_e32 v27, v29, v27
	v_add_f32_e32 v27, v31, v27
	s_delay_alu instid0(VALU_DEP_1) | instskip(NEXT) | instid1(VALU_DEP_1)
	v_add_f32_e32 v29, v30, v27
	v_mul_f32_e32 v31, v29, v29
	s_wait_alu 0xfffe
	s_delay_alu instid0(VALU_DEP_1) | instskip(SKIP_1) | instid1(VALU_DEP_2)
	v_fmaak_f32 v32, s13, v31, 0x3ecc95a3
	v_mul_f32_e32 v33, v29, v31
	v_fmaak_f32 v31, v31, v32, 0x3f2aaada
	v_ldexp_f32 v32, v29, 1
	v_sub_f32_e32 v29, v29, v30
	s_delay_alu instid0(VALU_DEP_3) | instskip(SKIP_1) | instid1(VALU_DEP_2)
	v_mul_f32_e32 v31, v33, v31
	v_mul_f32_e32 v33, 0x3f317218, v26
	v_dual_sub_f32 v27, v27, v29 :: v_dual_add_f32 v30, v32, v31
	s_delay_alu instid0(VALU_DEP_1) | instskip(NEXT) | instid1(VALU_DEP_2)
	v_ldexp_f32 v27, v27, 1
	v_sub_f32_e32 v29, v30, v32
	s_delay_alu instid0(VALU_DEP_4) | instskip(NEXT) | instid1(VALU_DEP_1)
	v_fma_f32 v32, 0x3f317218, v26, -v33
	v_dual_sub_f32 v29, v31, v29 :: v_dual_fmamk_f32 v26, v26, 0xb102e308, v32
	s_delay_alu instid0(VALU_DEP_1) | instskip(NEXT) | instid1(VALU_DEP_2)
	v_add_f32_e32 v27, v27, v29
	v_add_f32_e32 v29, v33, v26
	s_delay_alu instid0(VALU_DEP_2) | instskip(NEXT) | instid1(VALU_DEP_2)
	v_add_f32_e32 v31, v30, v27
	v_sub_f32_e32 v33, v29, v33
	s_delay_alu instid0(VALU_DEP_2) | instskip(SKIP_1) | instid1(VALU_DEP_3)
	v_add_f32_e32 v32, v29, v31
	v_sub_f32_e32 v30, v31, v30
	v_sub_f32_e32 v26, v26, v33
	s_delay_alu instid0(VALU_DEP_2) | instskip(NEXT) | instid1(VALU_DEP_1)
	v_dual_sub_f32 v34, v32, v29 :: v_dual_sub_f32 v27, v27, v30
	v_sub_f32_e32 v35, v32, v34
	s_delay_alu instid0(VALU_DEP_2) | instskip(NEXT) | instid1(VALU_DEP_2)
	v_dual_sub_f32 v30, v31, v34 :: v_dual_add_f32 v31, v26, v27
	v_sub_f32_e32 v29, v29, v35
	s_delay_alu instid0(VALU_DEP_1) | instskip(NEXT) | instid1(VALU_DEP_1)
	v_dual_add_f32 v29, v30, v29 :: v_dual_sub_f32 v30, v31, v26
	v_add_f32_e32 v29, v31, v29
	s_delay_alu instid0(VALU_DEP_2) | instskip(SKIP_1) | instid1(VALU_DEP_2)
	v_sub_f32_e32 v31, v31, v30
	v_sub_f32_e32 v27, v27, v30
	v_dual_add_f32 v33, v32, v29 :: v_dual_sub_f32 v26, v26, v31
	s_delay_alu instid0(VALU_DEP_1) | instskip(NEXT) | instid1(VALU_DEP_2)
	v_sub_f32_e32 v30, v33, v32
	v_add_f32_e32 v26, v27, v26
	s_delay_alu instid0(VALU_DEP_2) | instskip(NEXT) | instid1(VALU_DEP_1)
	v_sub_f32_e32 v27, v29, v30
	v_add_f32_e32 v26, v26, v27
	s_delay_alu instid0(VALU_DEP_1) | instskip(SKIP_1) | instid1(VALU_DEP_1)
	v_add_f32_e32 v26, v33, v26
	s_wait_alu 0xfffd
	v_cndmask_b32_e32 v26, 0x7f800000, v26, vcc_lo
	v_cmp_gt_f32_e64 vcc_lo, 0x33800000, |v28|
	s_wait_alu 0xfffd
	s_delay_alu instid0(VALU_DEP_2) | instskip(NEXT) | instid1(VALU_DEP_1)
	v_cndmask_b32_e32 v26, v26, v28, vcc_lo
	v_add_f32_e32 v27, v3, v26
.LBB443_279:
	s_wait_alu 0xfffe
	s_or_b32 exec_lo, exec_lo, s11
	s_delay_alu instid0(VALU_DEP_1) | instskip(SKIP_2) | instid1(VALU_DEP_2)
	v_bfe_u32 v3, v27, 16, 1
	v_cmp_o_f32_e32 vcc_lo, v27, v27
	;;#ASMSTART
	;;#ASMEND
	v_add3_u32 v3, v27, v3, 0x7fff
	s_delay_alu instid0(VALU_DEP_1) | instskip(SKIP_1) | instid1(VALU_DEP_1)
	v_lshrrev_b32_e32 v3, 16, v3
	s_wait_alu 0xfffd
	v_cndmask_b32_e32 v3, 0x7fc0, v3, vcc_lo
	s_delay_alu instid0(VALU_DEP_1) | instskip(NEXT) | instid1(VALU_DEP_1)
	v_lshlrev_b32_e32 v26, 16, v3
	v_max_num_f32_e32 v28, v26, v26
	s_delay_alu instid0(VALU_DEP_1)
	v_min_num_f32_e32 v27, v28, v19
	v_max_num_f32_e32 v28, v28, v19
.LBB443_280:
	s_wait_alu 0xfffe
	s_or_b32 exec_lo, exec_lo, s12
	v_cmp_u_f32_e32 vcc_lo, v26, v26
	s_wait_alu 0xfffd
	v_cndmask_b32_e32 v19, v27, v26, vcc_lo
	v_cndmask_b32_e32 v27, v28, v26, vcc_lo
	s_delay_alu instid0(VALU_DEP_2) | instskip(NEXT) | instid1(VALU_DEP_2)
	v_cndmask_b32_e64 v19, v19, v6, s0
	v_cndmask_b32_e64 v6, v27, v6, s0
	s_delay_alu instid0(VALU_DEP_2) | instskip(NEXT) | instid1(VALU_DEP_2)
	v_cmp_class_f32_e64 s0, v19, 0x1f8
	v_cmp_neq_f32_e32 vcc_lo, v19, v6
	s_or_b32 s11, vcc_lo, s0
	s_wait_alu 0xfffe
	s_and_saveexec_b32 s0, s11
	s_cbranch_execz .LBB443_282
; %bb.281:
	v_sub_f32_e32 v19, v19, v6
	s_mov_b32 s11, 0x3e9b6dac
	s_delay_alu instid0(VALU_DEP_1) | instskip(NEXT) | instid1(VALU_DEP_1)
	v_mul_f32_e32 v26, 0x3fb8aa3b, v19
	v_fma_f32 v27, 0x3fb8aa3b, v19, -v26
	v_rndne_f32_e32 v28, v26
	s_delay_alu instid0(VALU_DEP_1) | instskip(SKIP_1) | instid1(VALU_DEP_4)
	v_sub_f32_e32 v26, v26, v28
	v_cmp_ngt_f32_e32 vcc_lo, 0xc2ce8ed0, v19
	v_fmamk_f32 v27, v19, 0x32a5705f, v27
	s_delay_alu instid0(VALU_DEP_1) | instskip(SKIP_1) | instid1(VALU_DEP_2)
	v_add_f32_e32 v26, v26, v27
	v_cvt_i32_f32_e32 v27, v28
	v_exp_f32_e32 v26, v26
	s_delay_alu instid0(TRANS32_DEP_1) | instskip(SKIP_1) | instid1(VALU_DEP_1)
	v_ldexp_f32 v26, v26, v27
	s_wait_alu 0xfffd
	v_cndmask_b32_e32 v26, 0, v26, vcc_lo
	v_cmp_nlt_f32_e32 vcc_lo, 0x42b17218, v19
	s_wait_alu 0xfffd
	s_delay_alu instid0(VALU_DEP_2) | instskip(NEXT) | instid1(VALU_DEP_1)
	v_cndmask_b32_e32 v19, 0x7f800000, v26, vcc_lo
	v_add_f32_e32 v28, 1.0, v19
	s_delay_alu instid0(VALU_DEP_1) | instskip(NEXT) | instid1(VALU_DEP_1)
	v_cvt_f64_f32_e32 v[26:27], v28
	v_frexp_exp_i32_f64_e32 v26, v[26:27]
	v_frexp_mant_f32_e32 v27, v28
	s_delay_alu instid0(VALU_DEP_1) | instskip(SKIP_1) | instid1(VALU_DEP_1)
	v_cmp_gt_f32_e32 vcc_lo, 0x3f2aaaab, v27
	v_add_f32_e32 v27, -1.0, v28
	v_sub_f32_e32 v30, v27, v28
	s_delay_alu instid0(VALU_DEP_1) | instskip(NEXT) | instid1(VALU_DEP_1)
	v_dual_sub_f32 v27, v19, v27 :: v_dual_add_f32 v30, 1.0, v30
	v_add_f32_e32 v27, v27, v30
	s_wait_alu 0xfffd
	v_subrev_co_ci_u32_e64 v26, null, 0, v26, vcc_lo
	v_cmp_neq_f32_e32 vcc_lo, 0x7f800000, v19
	s_delay_alu instid0(VALU_DEP_2) | instskip(SKIP_1) | instid1(VALU_DEP_2)
	v_sub_nc_u32_e32 v29, 0, v26
	v_cvt_f32_i32_e32 v26, v26
	v_ldexp_f32 v28, v28, v29
	v_ldexp_f32 v27, v27, v29
	s_delay_alu instid0(VALU_DEP_2) | instskip(NEXT) | instid1(VALU_DEP_1)
	v_add_f32_e32 v31, 1.0, v28
	v_dual_add_f32 v29, -1.0, v28 :: v_dual_add_f32 v30, -1.0, v31
	s_delay_alu instid0(VALU_DEP_1) | instskip(NEXT) | instid1(VALU_DEP_2)
	v_add_f32_e32 v32, 1.0, v29
	v_sub_f32_e32 v30, v28, v30
	s_delay_alu instid0(VALU_DEP_2) | instskip(NEXT) | instid1(VALU_DEP_2)
	v_sub_f32_e32 v28, v28, v32
	v_add_f32_e32 v30, v27, v30
	s_delay_alu instid0(VALU_DEP_2) | instskip(NEXT) | instid1(VALU_DEP_1)
	v_add_f32_e32 v27, v27, v28
	v_dual_add_f32 v33, v29, v27 :: v_dual_add_f32 v32, v31, v30
	s_delay_alu instid0(VALU_DEP_1) | instskip(NEXT) | instid1(VALU_DEP_2)
	v_sub_f32_e32 v29, v29, v33
	v_rcp_f32_e32 v28, v32
	v_sub_f32_e32 v31, v31, v32
	s_delay_alu instid0(VALU_DEP_1) | instskip(NEXT) | instid1(TRANS32_DEP_1)
	v_dual_add_f32 v27, v27, v29 :: v_dual_add_f32 v30, v30, v31
	v_mul_f32_e32 v34, v33, v28
	s_delay_alu instid0(VALU_DEP_1) | instskip(NEXT) | instid1(VALU_DEP_1)
	v_mul_f32_e32 v35, v32, v34
	v_fma_f32 v31, v34, v32, -v35
	s_delay_alu instid0(VALU_DEP_1) | instskip(NEXT) | instid1(VALU_DEP_1)
	v_fmac_f32_e32 v31, v34, v30
	v_add_f32_e32 v36, v35, v31
	s_delay_alu instid0(VALU_DEP_1) | instskip(NEXT) | instid1(VALU_DEP_1)
	v_sub_f32_e32 v37, v33, v36
	v_sub_f32_e32 v33, v33, v37
	;; [unrolled: 1-line block ×3, first 2 shown]
	s_delay_alu instid0(VALU_DEP_2) | instskip(NEXT) | instid1(VALU_DEP_2)
	v_sub_f32_e32 v33, v33, v36
	v_sub_f32_e32 v29, v29, v31
	s_delay_alu instid0(VALU_DEP_2) | instskip(NEXT) | instid1(VALU_DEP_1)
	v_add_f32_e32 v27, v27, v33
	v_add_f32_e32 v27, v29, v27
	s_delay_alu instid0(VALU_DEP_1) | instskip(NEXT) | instid1(VALU_DEP_1)
	v_add_f32_e32 v29, v37, v27
	v_mul_f32_e32 v31, v28, v29
	s_delay_alu instid0(VALU_DEP_1) | instskip(NEXT) | instid1(VALU_DEP_1)
	v_dual_sub_f32 v36, v37, v29 :: v_dual_mul_f32 v33, v32, v31
	v_add_f32_e32 v27, v27, v36
	s_delay_alu instid0(VALU_DEP_2) | instskip(NEXT) | instid1(VALU_DEP_1)
	v_fma_f32 v32, v31, v32, -v33
	v_fmac_f32_e32 v32, v31, v30
	s_delay_alu instid0(VALU_DEP_1) | instskip(NEXT) | instid1(VALU_DEP_1)
	v_add_f32_e32 v30, v33, v32
	v_sub_f32_e32 v35, v29, v30
	v_sub_f32_e32 v33, v30, v33
	s_delay_alu instid0(VALU_DEP_2) | instskip(NEXT) | instid1(VALU_DEP_1)
	v_sub_f32_e32 v29, v29, v35
	v_sub_f32_e32 v29, v29, v30
	s_delay_alu instid0(VALU_DEP_1) | instskip(SKIP_1) | instid1(VALU_DEP_1)
	v_dual_sub_f32 v30, v33, v32 :: v_dual_add_f32 v27, v27, v29
	v_add_f32_e32 v29, v34, v31
	v_dual_add_f32 v27, v30, v27 :: v_dual_sub_f32 v30, v29, v34
	s_delay_alu instid0(VALU_DEP_1) | instskip(NEXT) | instid1(VALU_DEP_1)
	v_add_f32_e32 v27, v35, v27
	v_dual_sub_f32 v30, v31, v30 :: v_dual_mul_f32 v27, v28, v27
	s_delay_alu instid0(VALU_DEP_1) | instskip(NEXT) | instid1(VALU_DEP_1)
	v_add_f32_e32 v27, v30, v27
	v_add_f32_e32 v28, v29, v27
	s_delay_alu instid0(VALU_DEP_1) | instskip(SKIP_1) | instid1(VALU_DEP_1)
	v_mul_f32_e32 v30, v28, v28
	s_wait_alu 0xfffe
	v_fmaak_f32 v31, s11, v30, 0x3ecc95a3
	v_mul_f32_e32 v32, v28, v30
	s_delay_alu instid0(VALU_DEP_2) | instskip(SKIP_2) | instid1(VALU_DEP_3)
	v_fmaak_f32 v30, v30, v31, 0x3f2aaada
	v_ldexp_f32 v31, v28, 1
	v_sub_f32_e32 v28, v28, v29
	v_mul_f32_e32 v30, v32, v30
	s_delay_alu instid0(VALU_DEP_2) | instskip(NEXT) | instid1(VALU_DEP_2)
	v_dual_mul_f32 v32, 0x3f317218, v26 :: v_dual_sub_f32 v27, v27, v28
	v_add_f32_e32 v29, v31, v30
	s_delay_alu instid0(VALU_DEP_2) | instskip(NEXT) | instid1(VALU_DEP_2)
	v_ldexp_f32 v27, v27, 1
	v_sub_f32_e32 v28, v29, v31
	s_delay_alu instid0(VALU_DEP_4) | instskip(NEXT) | instid1(VALU_DEP_2)
	v_fma_f32 v31, 0x3f317218, v26, -v32
	v_sub_f32_e32 v28, v30, v28
	s_delay_alu instid0(VALU_DEP_1) | instskip(NEXT) | instid1(VALU_DEP_1)
	v_dual_fmamk_f32 v26, v26, 0xb102e308, v31 :: v_dual_add_f32 v27, v27, v28
	v_add_f32_e32 v28, v32, v26
	s_delay_alu instid0(VALU_DEP_1) | instskip(NEXT) | instid1(VALU_DEP_1)
	v_sub_f32_e32 v32, v28, v32
	v_sub_f32_e32 v26, v26, v32
	s_delay_alu instid0(VALU_DEP_4) | instskip(NEXT) | instid1(VALU_DEP_1)
	v_add_f32_e32 v30, v29, v27
	v_sub_f32_e32 v29, v30, v29
	s_delay_alu instid0(VALU_DEP_1) | instskip(SKIP_1) | instid1(VALU_DEP_1)
	v_sub_f32_e32 v27, v27, v29
	v_add_f32_e32 v31, v28, v30
	v_sub_f32_e32 v33, v31, v28
	s_delay_alu instid0(VALU_DEP_1) | instskip(NEXT) | instid1(VALU_DEP_4)
	v_sub_f32_e32 v29, v30, v33
	v_add_f32_e32 v30, v26, v27
	v_sub_f32_e32 v34, v31, v33
	s_delay_alu instid0(VALU_DEP_1) | instskip(NEXT) | instid1(VALU_DEP_1)
	v_sub_f32_e32 v28, v28, v34
	v_dual_add_f32 v28, v29, v28 :: v_dual_sub_f32 v29, v30, v26
	s_delay_alu instid0(VALU_DEP_1) | instskip(SKIP_1) | instid1(VALU_DEP_2)
	v_dual_add_f32 v28, v30, v28 :: v_dual_sub_f32 v27, v27, v29
	v_sub_f32_e32 v30, v30, v29
	v_add_f32_e32 v32, v31, v28
	s_delay_alu instid0(VALU_DEP_1) | instskip(NEXT) | instid1(VALU_DEP_1)
	v_dual_sub_f32 v26, v26, v30 :: v_dual_sub_f32 v29, v32, v31
	v_dual_add_f32 v26, v27, v26 :: v_dual_sub_f32 v27, v28, v29
	s_delay_alu instid0(VALU_DEP_1) | instskip(NEXT) | instid1(VALU_DEP_1)
	v_add_f32_e32 v26, v26, v27
	v_add_f32_e32 v26, v32, v26
	s_wait_alu 0xfffd
	s_delay_alu instid0(VALU_DEP_1) | instskip(SKIP_2) | instid1(VALU_DEP_2)
	v_cndmask_b32_e32 v26, 0x7f800000, v26, vcc_lo
	v_cmp_gt_f32_e64 vcc_lo, 0x33800000, |v19|
	s_wait_alu 0xfffd
	v_cndmask_b32_e32 v19, v26, v19, vcc_lo
	s_delay_alu instid0(VALU_DEP_1)
	v_add_f32_e32 v26, v6, v19
.LBB443_282:
	s_wait_alu 0xfffe
	s_or_b32 exec_lo, exec_lo, s0
	s_delay_alu instid0(VALU_DEP_1) | instskip(SKIP_1) | instid1(VALU_DEP_2)
	v_bfe_u32 v6, v26, 16, 1
	v_cmp_o_f32_e32 vcc_lo, v26, v26
	v_add3_u32 v6, v26, v6, 0x7fff
	s_delay_alu instid0(VALU_DEP_1) | instskip(SKIP_1) | instid1(VALU_DEP_1)
	v_lshrrev_b32_e32 v6, 16, v6
	s_wait_alu 0xfffd
	v_cndmask_b32_e32 v40, 0x7fc0, v6, vcc_lo
	s_delay_alu instid0(VALU_DEP_1) | instskip(NEXT) | instid1(VALU_DEP_1)
	v_lshlrev_b32_e32 v6, 16, v40
	v_max_num_f32_e32 v19, v6, v6
	v_cmp_u_f32_e32 vcc_lo, v6, v6
	s_delay_alu instid0(VALU_DEP_2) | instskip(SKIP_2) | instid1(VALU_DEP_2)
	v_min_num_f32_e32 v26, v19, v5
	v_max_num_f32_e32 v5, v19, v5
	s_wait_alu 0xfffd
	v_cndmask_b32_e32 v19, v26, v6, vcc_lo
	s_delay_alu instid0(VALU_DEP_2) | instskip(NEXT) | instid1(VALU_DEP_2)
	v_cndmask_b32_e32 v26, v5, v6, vcc_lo
	v_cndmask_b32_e64 v5, v19, v1, s1
	s_delay_alu instid0(VALU_DEP_2) | instskip(NEXT) | instid1(VALU_DEP_2)
	v_cndmask_b32_e64 v1, v26, v1, s1
	v_cmp_class_f32_e64 s0, v5, 0x1f8
	s_delay_alu instid0(VALU_DEP_2)
	v_cmp_neq_f32_e32 vcc_lo, v5, v1
	s_or_b32 s1, vcc_lo, s0
	s_wait_alu 0xfffe
	s_and_saveexec_b32 s0, s1
	s_cbranch_execz .LBB443_284
; %bb.283:
	v_sub_f32_e32 v5, v5, v1
	s_mov_b32 s1, 0x3e9b6dac
	s_delay_alu instid0(VALU_DEP_1) | instskip(NEXT) | instid1(VALU_DEP_1)
	v_mul_f32_e32 v6, 0x3fb8aa3b, v5
	v_fma_f32 v19, 0x3fb8aa3b, v5, -v6
	v_rndne_f32_e32 v26, v6
	s_delay_alu instid0(VALU_DEP_1) | instskip(SKIP_1) | instid1(VALU_DEP_4)
	v_sub_f32_e32 v6, v6, v26
	v_cmp_ngt_f32_e32 vcc_lo, 0xc2ce8ed0, v5
	v_fmamk_f32 v19, v5, 0x32a5705f, v19
	s_delay_alu instid0(VALU_DEP_1) | instskip(SKIP_1) | instid1(VALU_DEP_2)
	v_add_f32_e32 v6, v6, v19
	v_cvt_i32_f32_e32 v19, v26
	v_exp_f32_e32 v6, v6
	s_delay_alu instid0(TRANS32_DEP_1) | instskip(SKIP_1) | instid1(VALU_DEP_1)
	v_ldexp_f32 v6, v6, v19
	s_wait_alu 0xfffd
	v_cndmask_b32_e32 v6, 0, v6, vcc_lo
	v_cmp_nlt_f32_e32 vcc_lo, 0x42b17218, v5
	s_wait_alu 0xfffd
	s_delay_alu instid0(VALU_DEP_2) | instskip(NEXT) | instid1(VALU_DEP_1)
	v_cndmask_b32_e32 v19, 0x7f800000, v6, vcc_lo
	v_add_f32_e32 v26, 1.0, v19
	s_delay_alu instid0(VALU_DEP_1) | instskip(NEXT) | instid1(VALU_DEP_1)
	v_cvt_f64_f32_e32 v[5:6], v26
	v_frexp_exp_i32_f64_e32 v5, v[5:6]
	v_frexp_mant_f32_e32 v6, v26
	s_delay_alu instid0(VALU_DEP_1) | instskip(SKIP_1) | instid1(VALU_DEP_1)
	v_cmp_gt_f32_e32 vcc_lo, 0x3f2aaaab, v6
	v_add_f32_e32 v6, -1.0, v26
	v_sub_f32_e32 v28, v6, v26
	s_delay_alu instid0(VALU_DEP_1) | instskip(SKIP_4) | instid1(VALU_DEP_2)
	v_add_f32_e32 v28, 1.0, v28
	v_sub_f32_e32 v6, v19, v6
	s_wait_alu 0xfffd
	v_subrev_co_ci_u32_e64 v5, null, 0, v5, vcc_lo
	v_cmp_neq_f32_e32 vcc_lo, 0x7f800000, v19
	v_sub_nc_u32_e32 v27, 0, v5
	v_cvt_f32_i32_e32 v5, v5
	s_delay_alu instid0(VALU_DEP_2) | instskip(NEXT) | instid1(VALU_DEP_1)
	v_ldexp_f32 v26, v26, v27
	v_dual_add_f32 v29, 1.0, v26 :: v_dual_add_f32 v6, v6, v28
	s_delay_alu instid0(VALU_DEP_1) | instskip(NEXT) | instid1(VALU_DEP_2)
	v_add_f32_e32 v28, -1.0, v29
	v_ldexp_f32 v6, v6, v27
	s_delay_alu instid0(VALU_DEP_2) | instskip(NEXT) | instid1(VALU_DEP_1)
	v_dual_add_f32 v27, -1.0, v26 :: v_dual_sub_f32 v28, v26, v28
	v_add_f32_e32 v30, 1.0, v27
	s_delay_alu instid0(VALU_DEP_2) | instskip(NEXT) | instid1(VALU_DEP_2)
	v_add_f32_e32 v28, v6, v28
	v_sub_f32_e32 v26, v26, v30
	s_delay_alu instid0(VALU_DEP_2) | instskip(NEXT) | instid1(VALU_DEP_2)
	v_add_f32_e32 v30, v29, v28
	v_add_f32_e32 v6, v6, v26
	s_delay_alu instid0(VALU_DEP_2) | instskip(SKIP_1) | instid1(VALU_DEP_1)
	v_rcp_f32_e32 v26, v30
	v_sub_f32_e32 v29, v29, v30
	v_dual_add_f32 v31, v27, v6 :: v_dual_add_f32 v28, v28, v29
	s_delay_alu instid0(VALU_DEP_1) | instskip(NEXT) | instid1(TRANS32_DEP_1)
	v_sub_f32_e32 v27, v27, v31
	v_mul_f32_e32 v32, v31, v26
	s_delay_alu instid0(VALU_DEP_2) | instskip(NEXT) | instid1(VALU_DEP_2)
	v_add_f32_e32 v6, v6, v27
	v_mul_f32_e32 v33, v30, v32
	s_delay_alu instid0(VALU_DEP_1) | instskip(NEXT) | instid1(VALU_DEP_1)
	v_fma_f32 v29, v32, v30, -v33
	v_fmac_f32_e32 v29, v32, v28
	s_delay_alu instid0(VALU_DEP_1) | instskip(NEXT) | instid1(VALU_DEP_1)
	v_add_f32_e32 v34, v33, v29
	v_sub_f32_e32 v35, v31, v34
	v_sub_f32_e32 v27, v34, v33
	s_delay_alu instid0(VALU_DEP_2) | instskip(NEXT) | instid1(VALU_DEP_2)
	v_sub_f32_e32 v31, v31, v35
	v_sub_f32_e32 v27, v27, v29
	s_delay_alu instid0(VALU_DEP_2) | instskip(NEXT) | instid1(VALU_DEP_1)
	v_sub_f32_e32 v31, v31, v34
	v_add_f32_e32 v6, v6, v31
	s_delay_alu instid0(VALU_DEP_1) | instskip(NEXT) | instid1(VALU_DEP_1)
	v_add_f32_e32 v6, v27, v6
	v_add_f32_e32 v27, v35, v6
	s_delay_alu instid0(VALU_DEP_1) | instskip(NEXT) | instid1(VALU_DEP_1)
	v_mul_f32_e32 v29, v26, v27
	v_dual_sub_f32 v34, v35, v27 :: v_dual_mul_f32 v31, v30, v29
	s_delay_alu instid0(VALU_DEP_1) | instskip(NEXT) | instid1(VALU_DEP_2)
	v_add_f32_e32 v6, v6, v34
	v_fma_f32 v30, v29, v30, -v31
	s_delay_alu instid0(VALU_DEP_1) | instskip(NEXT) | instid1(VALU_DEP_1)
	v_fmac_f32_e32 v30, v29, v28
	v_add_f32_e32 v28, v31, v30
	s_delay_alu instid0(VALU_DEP_1) | instskip(SKIP_1) | instid1(VALU_DEP_2)
	v_sub_f32_e32 v33, v27, v28
	v_sub_f32_e32 v31, v28, v31
	;; [unrolled: 1-line block ×3, first 2 shown]
	s_delay_alu instid0(VALU_DEP_1) | instskip(NEXT) | instid1(VALU_DEP_1)
	v_sub_f32_e32 v27, v27, v28
	v_dual_add_f32 v6, v6, v27 :: v_dual_add_f32 v27, v32, v29
	s_delay_alu instid0(VALU_DEP_4) | instskip(NEXT) | instid1(VALU_DEP_1)
	v_sub_f32_e32 v28, v31, v30
	v_add_f32_e32 v6, v28, v6
	s_delay_alu instid0(VALU_DEP_3) | instskip(NEXT) | instid1(VALU_DEP_2)
	v_sub_f32_e32 v28, v27, v32
	v_add_f32_e32 v6, v33, v6
	s_delay_alu instid0(VALU_DEP_2) | instskip(NEXT) | instid1(VALU_DEP_2)
	v_sub_f32_e32 v28, v29, v28
	v_mul_f32_e32 v6, v26, v6
	s_delay_alu instid0(VALU_DEP_1) | instskip(NEXT) | instid1(VALU_DEP_1)
	v_add_f32_e32 v6, v28, v6
	v_add_f32_e32 v26, v27, v6
	s_delay_alu instid0(VALU_DEP_1) | instskip(SKIP_1) | instid1(VALU_DEP_1)
	v_mul_f32_e32 v28, v26, v26
	s_wait_alu 0xfffe
	v_fmaak_f32 v29, s1, v28, 0x3ecc95a3
	v_mul_f32_e32 v30, v26, v28
	s_delay_alu instid0(VALU_DEP_2) | instskip(SKIP_2) | instid1(VALU_DEP_3)
	v_fmaak_f32 v28, v28, v29, 0x3f2aaada
	v_ldexp_f32 v29, v26, 1
	v_sub_f32_e32 v26, v26, v27
	v_mul_f32_e32 v28, v30, v28
	v_mul_f32_e32 v30, 0x3f317218, v5
	s_delay_alu instid0(VALU_DEP_2) | instskip(NEXT) | instid1(VALU_DEP_1)
	v_dual_sub_f32 v6, v6, v26 :: v_dual_add_f32 v27, v29, v28
	v_ldexp_f32 v6, v6, 1
	s_delay_alu instid0(VALU_DEP_2) | instskip(NEXT) | instid1(VALU_DEP_4)
	v_sub_f32_e32 v26, v27, v29
	v_fma_f32 v29, 0x3f317218, v5, -v30
	s_delay_alu instid0(VALU_DEP_1) | instskip(NEXT) | instid1(VALU_DEP_1)
	v_dual_sub_f32 v26, v28, v26 :: v_dual_fmamk_f32 v5, v5, 0xb102e308, v29
	v_add_f32_e32 v6, v6, v26
	s_delay_alu instid0(VALU_DEP_2) | instskip(NEXT) | instid1(VALU_DEP_2)
	v_add_f32_e32 v26, v30, v5
	v_add_f32_e32 v28, v27, v6
	s_delay_alu instid0(VALU_DEP_2) | instskip(NEXT) | instid1(VALU_DEP_2)
	v_sub_f32_e32 v30, v26, v30
	v_add_f32_e32 v29, v26, v28
	v_sub_f32_e32 v27, v28, v27
	s_delay_alu instid0(VALU_DEP_3) | instskip(NEXT) | instid1(VALU_DEP_2)
	v_sub_f32_e32 v5, v5, v30
	v_dual_sub_f32 v31, v29, v26 :: v_dual_sub_f32 v6, v6, v27
	s_delay_alu instid0(VALU_DEP_1) | instskip(NEXT) | instid1(VALU_DEP_2)
	v_sub_f32_e32 v32, v29, v31
	v_dual_sub_f32 v27, v28, v31 :: v_dual_add_f32 v28, v5, v6
	s_delay_alu instid0(VALU_DEP_2) | instskip(NEXT) | instid1(VALU_DEP_1)
	v_sub_f32_e32 v26, v26, v32
	v_dual_add_f32 v26, v27, v26 :: v_dual_sub_f32 v27, v28, v5
	s_delay_alu instid0(VALU_DEP_1) | instskip(NEXT) | instid1(VALU_DEP_2)
	v_add_f32_e32 v26, v28, v26
	v_sub_f32_e32 v28, v28, v27
	v_sub_f32_e32 v6, v6, v27
	s_delay_alu instid0(VALU_DEP_3) | instskip(NEXT) | instid1(VALU_DEP_3)
	v_add_f32_e32 v30, v29, v26
	v_sub_f32_e32 v5, v5, v28
	s_delay_alu instid0(VALU_DEP_2) | instskip(NEXT) | instid1(VALU_DEP_2)
	v_sub_f32_e32 v27, v30, v29
	v_add_f32_e32 v5, v6, v5
	s_delay_alu instid0(VALU_DEP_2) | instskip(NEXT) | instid1(VALU_DEP_1)
	v_sub_f32_e32 v6, v26, v27
	v_add_f32_e32 v5, v5, v6
	s_delay_alu instid0(VALU_DEP_1) | instskip(SKIP_1) | instid1(VALU_DEP_1)
	v_add_f32_e32 v5, v30, v5
	s_wait_alu 0xfffd
	v_cndmask_b32_e32 v5, 0x7f800000, v5, vcc_lo
	v_cmp_gt_f32_e64 vcc_lo, 0x33800000, |v19|
	s_wait_alu 0xfffd
	s_delay_alu instid0(VALU_DEP_2) | instskip(NEXT) | instid1(VALU_DEP_1)
	v_cndmask_b32_e32 v5, v5, v19, vcc_lo
	v_add_f32_e32 v6, v1, v5
.LBB443_284:
	s_wait_alu 0xfffe
	s_or_b32 exec_lo, exec_lo, s0
	s_delay_alu instid0(VALU_DEP_1) | instskip(SKIP_1) | instid1(VALU_DEP_2)
	v_bfe_u32 v1, v6, 16, 1
	v_cmp_o_f32_e32 vcc_lo, v6, v6
	v_add3_u32 v1, v6, v1, 0x7fff
	s_delay_alu instid0(VALU_DEP_1) | instskip(SKIP_1) | instid1(VALU_DEP_1)
	v_lshrrev_b32_e32 v1, 16, v1
	s_wait_alu 0xfffd
	v_cndmask_b32_e32 v5, 0x7fc0, v1, vcc_lo
	s_delay_alu instid0(VALU_DEP_1) | instskip(NEXT) | instid1(VALU_DEP_1)
	v_lshlrev_b32_e32 v6, 16, v5
	v_max_num_f32_e32 v1, v6, v6
	v_cmp_u_f32_e32 vcc_lo, v6, v6
	s_delay_alu instid0(VALU_DEP_2) | instskip(SKIP_2) | instid1(VALU_DEP_2)
	v_min_num_f32_e32 v19, v1, v17
	v_max_num_f32_e32 v1, v1, v17
	s_wait_alu 0xfffd
	v_cndmask_b32_e32 v17, v19, v6, vcc_lo
	s_delay_alu instid0(VALU_DEP_2) | instskip(NEXT) | instid1(VALU_DEP_2)
	v_cndmask_b32_e32 v1, v1, v6, vcc_lo
	v_cndmask_b32_e64 v17, v17, v2, s2
	s_delay_alu instid0(VALU_DEP_2) | instskip(NEXT) | instid1(VALU_DEP_2)
	v_cndmask_b32_e64 v1, v1, v2, s2
	v_cmp_class_f32_e64 s0, v17, 0x1f8
	s_delay_alu instid0(VALU_DEP_2)
	v_cmp_neq_f32_e32 vcc_lo, v17, v1
	s_or_b32 s1, vcc_lo, s0
	s_wait_alu 0xfffe
	s_and_saveexec_b32 s0, s1
	s_cbranch_execz .LBB443_286
; %bb.285:
	v_sub_f32_e32 v2, v17, v1
	s_mov_b32 s1, 0x3e9b6dac
	s_delay_alu instid0(VALU_DEP_1) | instskip(SKIP_1) | instid1(VALU_DEP_2)
	v_mul_f32_e32 v6, 0x3fb8aa3b, v2
	v_cmp_ngt_f32_e32 vcc_lo, 0xc2ce8ed0, v2
	v_fma_f32 v17, 0x3fb8aa3b, v2, -v6
	v_rndne_f32_e32 v19, v6
	s_delay_alu instid0(VALU_DEP_2) | instskip(NEXT) | instid1(VALU_DEP_2)
	v_fmamk_f32 v17, v2, 0x32a5705f, v17
	v_sub_f32_e32 v6, v6, v19
	s_delay_alu instid0(VALU_DEP_1) | instskip(SKIP_1) | instid1(VALU_DEP_2)
	v_add_f32_e32 v6, v6, v17
	v_cvt_i32_f32_e32 v17, v19
	v_exp_f32_e32 v6, v6
	s_delay_alu instid0(TRANS32_DEP_1) | instskip(SKIP_1) | instid1(VALU_DEP_1)
	v_ldexp_f32 v6, v6, v17
	s_wait_alu 0xfffd
	v_cndmask_b32_e32 v6, 0, v6, vcc_lo
	v_cmp_nlt_f32_e32 vcc_lo, 0x42b17218, v2
	s_wait_alu 0xfffd
	s_delay_alu instid0(VALU_DEP_2) | instskip(NEXT) | instid1(VALU_DEP_1)
	v_cndmask_b32_e32 v2, 0x7f800000, v6, vcc_lo
	v_add_f32_e32 v6, 1.0, v2
	s_delay_alu instid0(VALU_DEP_1) | instskip(SKIP_1) | instid1(VALU_DEP_1)
	v_cvt_f64_f32_e32 v[26:27], v6
	v_frexp_mant_f32_e32 v19, v6
	v_cmp_gt_f32_e32 vcc_lo, 0x3f2aaaab, v19
	v_add_f32_e32 v19, -1.0, v6
	s_delay_alu instid0(VALU_DEP_4) | instskip(NEXT) | instid1(VALU_DEP_2)
	v_frexp_exp_i32_f64_e32 v17, v[26:27]
	v_sub_f32_e32 v27, v19, v6
	v_sub_f32_e32 v19, v2, v19
	s_delay_alu instid0(VALU_DEP_2) | instskip(NEXT) | instid1(VALU_DEP_1)
	v_add_f32_e32 v27, 1.0, v27
	v_add_f32_e32 v19, v19, v27
	s_wait_alu 0xfffd
	v_subrev_co_ci_u32_e64 v17, null, 0, v17, vcc_lo
	v_cmp_neq_f32_e32 vcc_lo, 0x7f800000, v2
	s_delay_alu instid0(VALU_DEP_2) | instskip(SKIP_1) | instid1(VALU_DEP_2)
	v_sub_nc_u32_e32 v26, 0, v17
	v_cvt_f32_i32_e32 v17, v17
	v_ldexp_f32 v6, v6, v26
	v_ldexp_f32 v19, v19, v26
	s_delay_alu instid0(VALU_DEP_2) | instskip(NEXT) | instid1(VALU_DEP_1)
	v_add_f32_e32 v28, 1.0, v6
	v_add_f32_e32 v27, -1.0, v28
	s_delay_alu instid0(VALU_DEP_1) | instskip(NEXT) | instid1(VALU_DEP_1)
	v_sub_f32_e32 v27, v6, v27
	v_dual_add_f32 v27, v19, v27 :: v_dual_add_f32 v26, -1.0, v6
	s_delay_alu instid0(VALU_DEP_1) | instskip(NEXT) | instid1(VALU_DEP_1)
	v_add_f32_e32 v29, 1.0, v26
	v_dual_sub_f32 v6, v6, v29 :: v_dual_add_f32 v29, v28, v27
	s_delay_alu instid0(VALU_DEP_1) | instskip(NEXT) | instid1(VALU_DEP_2)
	v_add_f32_e32 v6, v19, v6
	v_rcp_f32_e32 v19, v29
	v_sub_f32_e32 v28, v28, v29
	s_delay_alu instid0(VALU_DEP_1) | instskip(NEXT) | instid1(VALU_DEP_1)
	v_dual_add_f32 v30, v26, v6 :: v_dual_add_f32 v27, v27, v28
	v_sub_f32_e32 v26, v26, v30
	s_delay_alu instid0(TRANS32_DEP_1) | instskip(NEXT) | instid1(VALU_DEP_2)
	v_mul_f32_e32 v31, v30, v19
	v_add_f32_e32 v6, v6, v26
	s_delay_alu instid0(VALU_DEP_2) | instskip(NEXT) | instid1(VALU_DEP_1)
	v_mul_f32_e32 v32, v29, v31
	v_fma_f32 v28, v31, v29, -v32
	s_delay_alu instid0(VALU_DEP_1) | instskip(NEXT) | instid1(VALU_DEP_1)
	v_fmac_f32_e32 v28, v31, v27
	v_add_f32_e32 v33, v32, v28
	s_delay_alu instid0(VALU_DEP_1) | instskip(SKIP_1) | instid1(VALU_DEP_2)
	v_sub_f32_e32 v34, v30, v33
	v_sub_f32_e32 v26, v33, v32
	;; [unrolled: 1-line block ×3, first 2 shown]
	s_delay_alu instid0(VALU_DEP_2) | instskip(NEXT) | instid1(VALU_DEP_2)
	v_sub_f32_e32 v26, v26, v28
	v_sub_f32_e32 v30, v30, v33
	s_delay_alu instid0(VALU_DEP_1) | instskip(NEXT) | instid1(VALU_DEP_1)
	v_add_f32_e32 v6, v6, v30
	v_add_f32_e32 v6, v26, v6
	s_delay_alu instid0(VALU_DEP_1) | instskip(NEXT) | instid1(VALU_DEP_1)
	v_add_f32_e32 v26, v34, v6
	v_mul_f32_e32 v28, v19, v26
	s_delay_alu instid0(VALU_DEP_1) | instskip(NEXT) | instid1(VALU_DEP_1)
	v_mul_f32_e32 v30, v29, v28
	v_fma_f32 v29, v28, v29, -v30
	s_delay_alu instid0(VALU_DEP_1) | instskip(SKIP_1) | instid1(VALU_DEP_2)
	v_fmac_f32_e32 v29, v28, v27
	v_sub_f32_e32 v33, v34, v26
	v_add_f32_e32 v27, v30, v29
	s_delay_alu instid0(VALU_DEP_2) | instskip(NEXT) | instid1(VALU_DEP_2)
	v_add_f32_e32 v6, v6, v33
	v_sub_f32_e32 v32, v26, v27
	v_sub_f32_e32 v30, v27, v30
	s_delay_alu instid0(VALU_DEP_2) | instskip(NEXT) | instid1(VALU_DEP_1)
	v_sub_f32_e32 v26, v26, v32
	v_sub_f32_e32 v26, v26, v27
	s_delay_alu instid0(VALU_DEP_3) | instskip(NEXT) | instid1(VALU_DEP_2)
	v_sub_f32_e32 v27, v30, v29
	v_add_f32_e32 v6, v6, v26
	v_add_f32_e32 v26, v31, v28
	s_delay_alu instid0(VALU_DEP_1) | instskip(NEXT) | instid1(VALU_DEP_1)
	v_dual_add_f32 v6, v27, v6 :: v_dual_sub_f32 v27, v26, v31
	v_add_f32_e32 v6, v32, v6
	s_delay_alu instid0(VALU_DEP_1) | instskip(NEXT) | instid1(VALU_DEP_1)
	v_dual_sub_f32 v27, v28, v27 :: v_dual_mul_f32 v6, v19, v6
	v_add_f32_e32 v6, v27, v6
	s_delay_alu instid0(VALU_DEP_1) | instskip(NEXT) | instid1(VALU_DEP_1)
	v_add_f32_e32 v19, v26, v6
	v_mul_f32_e32 v27, v19, v19
	s_wait_alu 0xfffe
	s_delay_alu instid0(VALU_DEP_1) | instskip(SKIP_1) | instid1(VALU_DEP_2)
	v_fmaak_f32 v28, s1, v27, 0x3ecc95a3
	v_mul_f32_e32 v29, v19, v27
	v_fmaak_f32 v27, v27, v28, 0x3f2aaada
	v_ldexp_f32 v28, v19, 1
	v_sub_f32_e32 v19, v19, v26
	s_delay_alu instid0(VALU_DEP_3) | instskip(NEXT) | instid1(VALU_DEP_2)
	v_mul_f32_e32 v27, v29, v27
	v_dual_mul_f32 v29, 0x3f317218, v17 :: v_dual_sub_f32 v6, v6, v19
	s_delay_alu instid0(VALU_DEP_2) | instskip(NEXT) | instid1(VALU_DEP_2)
	v_add_f32_e32 v26, v28, v27
	v_ldexp_f32 v6, v6, 1
	s_delay_alu instid0(VALU_DEP_2) | instskip(NEXT) | instid1(VALU_DEP_4)
	v_sub_f32_e32 v19, v26, v28
	v_fma_f32 v28, 0x3f317218, v17, -v29
	s_delay_alu instid0(VALU_DEP_2) | instskip(NEXT) | instid1(VALU_DEP_1)
	v_sub_f32_e32 v19, v27, v19
	v_dual_fmamk_f32 v17, v17, 0xb102e308, v28 :: v_dual_add_f32 v6, v6, v19
	s_delay_alu instid0(VALU_DEP_1) | instskip(NEXT) | instid1(VALU_DEP_2)
	v_add_f32_e32 v19, v29, v17
	v_add_f32_e32 v27, v26, v6
	s_delay_alu instid0(VALU_DEP_2) | instskip(NEXT) | instid1(VALU_DEP_2)
	v_sub_f32_e32 v29, v19, v29
	v_add_f32_e32 v28, v19, v27
	s_delay_alu instid0(VALU_DEP_2) | instskip(NEXT) | instid1(VALU_DEP_2)
	v_dual_sub_f32 v26, v27, v26 :: v_dual_sub_f32 v17, v17, v29
	v_sub_f32_e32 v30, v28, v19
	s_delay_alu instid0(VALU_DEP_2) | instskip(NEXT) | instid1(VALU_DEP_2)
	v_sub_f32_e32 v6, v6, v26
	v_sub_f32_e32 v31, v28, v30
	;; [unrolled: 1-line block ×3, first 2 shown]
	s_delay_alu instid0(VALU_DEP_3) | instskip(NEXT) | instid1(VALU_DEP_3)
	v_add_f32_e32 v27, v17, v6
	v_sub_f32_e32 v19, v19, v31
	s_delay_alu instid0(VALU_DEP_1) | instskip(NEXT) | instid1(VALU_DEP_1)
	v_dual_add_f32 v19, v26, v19 :: v_dual_sub_f32 v26, v27, v17
	v_add_f32_e32 v19, v27, v19
	s_delay_alu instid0(VALU_DEP_2) | instskip(NEXT) | instid1(VALU_DEP_2)
	v_sub_f32_e32 v27, v27, v26
	v_dual_sub_f32 v6, v6, v26 :: v_dual_add_f32 v29, v28, v19
	s_delay_alu instid0(VALU_DEP_2) | instskip(NEXT) | instid1(VALU_DEP_2)
	v_sub_f32_e32 v17, v17, v27
	v_sub_f32_e32 v26, v29, v28
	s_delay_alu instid0(VALU_DEP_1) | instskip(NEXT) | instid1(VALU_DEP_1)
	v_dual_add_f32 v6, v6, v17 :: v_dual_sub_f32 v17, v19, v26
	v_add_f32_e32 v6, v6, v17
	s_delay_alu instid0(VALU_DEP_1) | instskip(SKIP_1) | instid1(VALU_DEP_1)
	v_add_f32_e32 v6, v29, v6
	s_wait_alu 0xfffd
	v_cndmask_b32_e32 v6, 0x7f800000, v6, vcc_lo
	v_cmp_gt_f32_e64 vcc_lo, 0x33800000, |v2|
	s_wait_alu 0xfffd
	s_delay_alu instid0(VALU_DEP_2) | instskip(NEXT) | instid1(VALU_DEP_1)
	v_cndmask_b32_e32 v2, v6, v2, vcc_lo
	v_add_f32_e32 v6, v1, v2
.LBB443_286:
	s_wait_alu 0xfffe
	s_or_b32 exec_lo, exec_lo, s0
	s_delay_alu instid0(VALU_DEP_1) | instskip(SKIP_1) | instid1(VALU_DEP_2)
	v_bfe_u32 v1, v6, 16, 1
	v_cmp_o_f32_e32 vcc_lo, v6, v6
	v_add3_u32 v1, v6, v1, 0x7fff
	s_delay_alu instid0(VALU_DEP_1) | instskip(SKIP_1) | instid1(VALU_DEP_1)
	v_lshrrev_b32_e32 v1, 16, v1
	s_wait_alu 0xfffd
	v_cndmask_b32_e32 v19, 0x7fc0, v1, vcc_lo
	s_delay_alu instid0(VALU_DEP_1) | instskip(NEXT) | instid1(VALU_DEP_1)
	v_lshlrev_b32_e32 v2, 16, v19
	v_max_num_f32_e32 v1, v2, v2
	s_delay_alu instid0(VALU_DEP_1) | instskip(SKIP_3) | instid1(VALU_DEP_3)
	v_min_num_f32_e32 v6, v1, v16
	v_max_num_f32_e32 v1, v1, v16
	v_cmp_u_f32_e32 vcc_lo, v2, v2
	s_wait_alu 0xfffd
	v_cndmask_b32_e32 v6, v6, v2, vcc_lo
	s_delay_alu instid0(VALU_DEP_3) | instskip(NEXT) | instid1(VALU_DEP_2)
	v_cndmask_b32_e32 v1, v1, v2, vcc_lo
	v_cndmask_b32_e64 v6, v6, v4, s3
	s_delay_alu instid0(VALU_DEP_2) | instskip(NEXT) | instid1(VALU_DEP_2)
	v_cndmask_b32_e64 v1, v1, v4, s3
	v_cmp_class_f32_e64 s0, v6, 0x1f8
	s_delay_alu instid0(VALU_DEP_2)
	v_cmp_neq_f32_e32 vcc_lo, v6, v1
	s_or_b32 s1, vcc_lo, s0
	s_wait_alu 0xfffe
	s_and_saveexec_b32 s0, s1
	s_cbranch_execz .LBB443_288
; %bb.287:
	v_sub_f32_e32 v2, v6, v1
	s_mov_b32 s1, 0x3e9b6dac
	s_delay_alu instid0(VALU_DEP_1) | instskip(SKIP_1) | instid1(VALU_DEP_2)
	v_mul_f32_e32 v4, 0x3fb8aa3b, v2
	v_cmp_ngt_f32_e32 vcc_lo, 0xc2ce8ed0, v2
	v_fma_f32 v6, 0x3fb8aa3b, v2, -v4
	v_rndne_f32_e32 v16, v4
	s_delay_alu instid0(VALU_DEP_2) | instskip(NEXT) | instid1(VALU_DEP_2)
	v_fmamk_f32 v6, v2, 0x32a5705f, v6
	v_sub_f32_e32 v4, v4, v16
	s_delay_alu instid0(VALU_DEP_1) | instskip(SKIP_1) | instid1(VALU_DEP_2)
	v_add_f32_e32 v4, v4, v6
	v_cvt_i32_f32_e32 v6, v16
	v_exp_f32_e32 v4, v4
	s_delay_alu instid0(TRANS32_DEP_1) | instskip(SKIP_1) | instid1(VALU_DEP_1)
	v_ldexp_f32 v4, v4, v6
	s_wait_alu 0xfffd
	v_cndmask_b32_e32 v4, 0, v4, vcc_lo
	v_cmp_nlt_f32_e32 vcc_lo, 0x42b17218, v2
	s_wait_alu 0xfffd
	s_delay_alu instid0(VALU_DEP_2) | instskip(NEXT) | instid1(VALU_DEP_1)
	v_cndmask_b32_e32 v2, 0x7f800000, v4, vcc_lo
	v_add_f32_e32 v4, 1.0, v2
	s_delay_alu instid0(VALU_DEP_1) | instskip(NEXT) | instid1(VALU_DEP_1)
	v_cvt_f64_f32_e32 v[16:17], v4
	v_frexp_exp_i32_f64_e32 v6, v[16:17]
	v_frexp_mant_f32_e32 v16, v4
	s_delay_alu instid0(VALU_DEP_1) | instskip(SKIP_1) | instid1(VALU_DEP_1)
	v_cmp_gt_f32_e32 vcc_lo, 0x3f2aaaab, v16
	v_add_f32_e32 v16, -1.0, v4
	v_sub_f32_e32 v26, v16, v4
	v_sub_f32_e32 v16, v2, v16
	s_delay_alu instid0(VALU_DEP_2) | instskip(NEXT) | instid1(VALU_DEP_1)
	v_add_f32_e32 v26, 1.0, v26
	v_add_f32_e32 v16, v16, v26
	s_wait_alu 0xfffd
	v_subrev_co_ci_u32_e64 v6, null, 0, v6, vcc_lo
	s_delay_alu instid0(VALU_DEP_1) | instskip(SKIP_1) | instid1(VALU_DEP_2)
	v_sub_nc_u32_e32 v17, 0, v6
	v_cvt_f32_i32_e32 v6, v6
	v_ldexp_f32 v4, v4, v17
	v_ldexp_f32 v16, v16, v17
	s_delay_alu instid0(VALU_DEP_2) | instskip(NEXT) | instid1(VALU_DEP_1)
	v_add_f32_e32 v27, 1.0, v4
	v_dual_add_f32 v17, -1.0, v4 :: v_dual_add_f32 v26, -1.0, v27
	s_delay_alu instid0(VALU_DEP_1) | instskip(NEXT) | instid1(VALU_DEP_2)
	v_add_f32_e32 v28, 1.0, v17
	v_sub_f32_e32 v26, v4, v26
	s_delay_alu instid0(VALU_DEP_2) | instskip(NEXT) | instid1(VALU_DEP_2)
	v_sub_f32_e32 v4, v4, v28
	v_add_f32_e32 v26, v16, v26
	s_delay_alu instid0(VALU_DEP_2) | instskip(NEXT) | instid1(VALU_DEP_1)
	v_add_f32_e32 v4, v16, v4
	v_dual_add_f32 v28, v27, v26 :: v_dual_add_f32 v29, v17, v4
	s_delay_alu instid0(VALU_DEP_1) | instskip(SKIP_1) | instid1(VALU_DEP_2)
	v_rcp_f32_e32 v16, v28
	v_sub_f32_e32 v27, v27, v28
	v_sub_f32_e32 v17, v17, v29
	v_cmp_neq_f32_e32 vcc_lo, 0x7f800000, v2
	s_delay_alu instid0(VALU_DEP_3) | instskip(NEXT) | instid1(VALU_DEP_3)
	v_add_f32_e32 v26, v26, v27
	v_add_f32_e32 v4, v4, v17
	s_delay_alu instid0(TRANS32_DEP_1) | instskip(NEXT) | instid1(VALU_DEP_1)
	v_mul_f32_e32 v30, v29, v16
	v_mul_f32_e32 v31, v28, v30
	s_delay_alu instid0(VALU_DEP_1) | instskip(NEXT) | instid1(VALU_DEP_1)
	v_fma_f32 v27, v30, v28, -v31
	v_fmac_f32_e32 v27, v30, v26
	s_delay_alu instid0(VALU_DEP_1) | instskip(NEXT) | instid1(VALU_DEP_1)
	v_add_f32_e32 v32, v31, v27
	v_sub_f32_e32 v33, v29, v32
	v_sub_f32_e32 v17, v32, v31
	s_delay_alu instid0(VALU_DEP_2) | instskip(NEXT) | instid1(VALU_DEP_2)
	v_sub_f32_e32 v29, v29, v33
	v_sub_f32_e32 v17, v17, v27
	s_delay_alu instid0(VALU_DEP_2) | instskip(NEXT) | instid1(VALU_DEP_1)
	v_sub_f32_e32 v29, v29, v32
	v_add_f32_e32 v4, v4, v29
	s_delay_alu instid0(VALU_DEP_1) | instskip(NEXT) | instid1(VALU_DEP_1)
	v_add_f32_e32 v4, v17, v4
	v_add_f32_e32 v17, v33, v4
	s_delay_alu instid0(VALU_DEP_1) | instskip(NEXT) | instid1(VALU_DEP_1)
	v_mul_f32_e32 v27, v16, v17
	v_dual_sub_f32 v32, v33, v17 :: v_dual_mul_f32 v29, v28, v27
	s_delay_alu instid0(VALU_DEP_1) | instskip(NEXT) | instid1(VALU_DEP_2)
	v_add_f32_e32 v4, v4, v32
	v_fma_f32 v28, v27, v28, -v29
	s_delay_alu instid0(VALU_DEP_1) | instskip(NEXT) | instid1(VALU_DEP_1)
	v_fmac_f32_e32 v28, v27, v26
	v_add_f32_e32 v26, v29, v28
	s_delay_alu instid0(VALU_DEP_1) | instskip(SKIP_1) | instid1(VALU_DEP_2)
	v_sub_f32_e32 v31, v17, v26
	v_sub_f32_e32 v29, v26, v29
	;; [unrolled: 1-line block ×3, first 2 shown]
	s_delay_alu instid0(VALU_DEP_1) | instskip(NEXT) | instid1(VALU_DEP_3)
	v_sub_f32_e32 v17, v17, v26
	v_sub_f32_e32 v26, v29, v28
	s_delay_alu instid0(VALU_DEP_2) | instskip(NEXT) | instid1(VALU_DEP_1)
	v_dual_add_f32 v4, v4, v17 :: v_dual_add_f32 v17, v30, v27
	v_add_f32_e32 v4, v26, v4
	s_delay_alu instid0(VALU_DEP_2) | instskip(NEXT) | instid1(VALU_DEP_2)
	v_sub_f32_e32 v26, v17, v30
	v_add_f32_e32 v4, v31, v4
	s_delay_alu instid0(VALU_DEP_2) | instskip(NEXT) | instid1(VALU_DEP_2)
	v_sub_f32_e32 v26, v27, v26
	v_mul_f32_e32 v4, v16, v4
	s_delay_alu instid0(VALU_DEP_1) | instskip(NEXT) | instid1(VALU_DEP_1)
	v_add_f32_e32 v4, v26, v4
	v_add_f32_e32 v16, v17, v4
	s_delay_alu instid0(VALU_DEP_1) | instskip(SKIP_1) | instid1(VALU_DEP_1)
	v_mul_f32_e32 v26, v16, v16
	s_wait_alu 0xfffe
	v_fmaak_f32 v27, s1, v26, 0x3ecc95a3
	v_mul_f32_e32 v28, v16, v26
	s_delay_alu instid0(VALU_DEP_2) | instskip(SKIP_2) | instid1(VALU_DEP_3)
	v_fmaak_f32 v26, v26, v27, 0x3f2aaada
	v_ldexp_f32 v27, v16, 1
	v_sub_f32_e32 v16, v16, v17
	v_mul_f32_e32 v26, v28, v26
	v_mul_f32_e32 v28, 0x3f317218, v6
	s_delay_alu instid0(VALU_DEP_2) | instskip(NEXT) | instid1(VALU_DEP_1)
	v_dual_sub_f32 v4, v4, v16 :: v_dual_add_f32 v17, v27, v26
	v_ldexp_f32 v4, v4, 1
	s_delay_alu instid0(VALU_DEP_2) | instskip(NEXT) | instid1(VALU_DEP_4)
	v_sub_f32_e32 v16, v17, v27
	v_fma_f32 v27, 0x3f317218, v6, -v28
	s_delay_alu instid0(VALU_DEP_2) | instskip(NEXT) | instid1(VALU_DEP_2)
	v_sub_f32_e32 v16, v26, v16
	v_fmamk_f32 v6, v6, 0xb102e308, v27
	s_delay_alu instid0(VALU_DEP_2) | instskip(NEXT) | instid1(VALU_DEP_2)
	v_add_f32_e32 v4, v4, v16
	v_add_f32_e32 v16, v28, v6
	s_delay_alu instid0(VALU_DEP_2) | instskip(NEXT) | instid1(VALU_DEP_2)
	v_add_f32_e32 v26, v17, v4
	v_sub_f32_e32 v28, v16, v28
	s_delay_alu instid0(VALU_DEP_2) | instskip(SKIP_1) | instid1(VALU_DEP_3)
	v_add_f32_e32 v27, v16, v26
	v_sub_f32_e32 v17, v26, v17
	v_sub_f32_e32 v6, v6, v28
	s_delay_alu instid0(VALU_DEP_2) | instskip(NEXT) | instid1(VALU_DEP_1)
	v_dual_sub_f32 v29, v27, v16 :: v_dual_sub_f32 v4, v4, v17
	v_sub_f32_e32 v30, v27, v29
	v_sub_f32_e32 v17, v26, v29
	s_delay_alu instid0(VALU_DEP_3) | instskip(NEXT) | instid1(VALU_DEP_3)
	v_add_f32_e32 v26, v6, v4
	v_sub_f32_e32 v16, v16, v30
	s_delay_alu instid0(VALU_DEP_1) | instskip(NEXT) | instid1(VALU_DEP_1)
	v_dual_add_f32 v16, v17, v16 :: v_dual_sub_f32 v17, v26, v6
	v_add_f32_e32 v16, v26, v16
	s_delay_alu instid0(VALU_DEP_2) | instskip(SKIP_1) | instid1(VALU_DEP_3)
	v_sub_f32_e32 v26, v26, v17
	v_sub_f32_e32 v4, v4, v17
	v_add_f32_e32 v28, v27, v16
	s_delay_alu instid0(VALU_DEP_1) | instskip(NEXT) | instid1(VALU_DEP_1)
	v_dual_sub_f32 v6, v6, v26 :: v_dual_sub_f32 v17, v28, v27
	v_add_f32_e32 v4, v4, v6
	s_delay_alu instid0(VALU_DEP_2) | instskip(NEXT) | instid1(VALU_DEP_1)
	v_sub_f32_e32 v6, v16, v17
	v_add_f32_e32 v4, v4, v6
	s_delay_alu instid0(VALU_DEP_1) | instskip(SKIP_1) | instid1(VALU_DEP_1)
	v_add_f32_e32 v4, v28, v4
	s_wait_alu 0xfffd
	v_cndmask_b32_e32 v4, 0x7f800000, v4, vcc_lo
	v_cmp_gt_f32_e64 vcc_lo, 0x33800000, |v2|
	s_wait_alu 0xfffd
	s_delay_alu instid0(VALU_DEP_2) | instskip(NEXT) | instid1(VALU_DEP_1)
	v_cndmask_b32_e32 v2, v4, v2, vcc_lo
	v_add_f32_e32 v2, v1, v2
.LBB443_288:
	s_wait_alu 0xfffe
	s_or_b32 exec_lo, exec_lo, s0
	s_delay_alu instid0(VALU_DEP_1) | instskip(SKIP_1) | instid1(VALU_DEP_2)
	v_bfe_u32 v1, v2, 16, 1
	v_cmp_o_f32_e32 vcc_lo, v2, v2
	v_add3_u32 v1, v2, v1, 0x7fff
	s_delay_alu instid0(VALU_DEP_1) | instskip(SKIP_1) | instid1(VALU_DEP_1)
	v_lshrrev_b32_e32 v1, 16, v1
	s_wait_alu 0xfffd
	v_cndmask_b32_e32 v4, 0x7fc0, v1, vcc_lo
	s_delay_alu instid0(VALU_DEP_1) | instskip(NEXT) | instid1(VALU_DEP_1)
	v_lshlrev_b32_e32 v2, 16, v4
	v_max_num_f32_e32 v1, v2, v2
	s_delay_alu instid0(VALU_DEP_1) | instskip(SKIP_3) | instid1(VALU_DEP_3)
	v_min_num_f32_e32 v6, v1, v18
	v_max_num_f32_e32 v1, v1, v18
	v_cmp_u_f32_e32 vcc_lo, v2, v2
	s_wait_alu 0xfffd
	v_cndmask_b32_e32 v6, v6, v2, vcc_lo
	s_delay_alu instid0(VALU_DEP_3) | instskip(NEXT) | instid1(VALU_DEP_2)
	v_cndmask_b32_e32 v1, v1, v2, vcc_lo
	v_cndmask_b32_e64 v6, v6, v15, s4
	s_delay_alu instid0(VALU_DEP_2) | instskip(NEXT) | instid1(VALU_DEP_2)
	v_cndmask_b32_e64 v1, v1, v15, s4
	v_cmp_class_f32_e64 s0, v6, 0x1f8
	s_delay_alu instid0(VALU_DEP_2)
	v_cmp_neq_f32_e32 vcc_lo, v6, v1
	s_or_b32 s1, vcc_lo, s0
	s_wait_alu 0xfffe
	s_and_saveexec_b32 s0, s1
	s_cbranch_execz .LBB443_290
; %bb.289:
	v_sub_f32_e32 v2, v6, v1
	s_mov_b32 s1, 0x3e9b6dac
	s_delay_alu instid0(VALU_DEP_1) | instskip(SKIP_1) | instid1(VALU_DEP_2)
	v_mul_f32_e32 v6, 0x3fb8aa3b, v2
	v_cmp_ngt_f32_e32 vcc_lo, 0xc2ce8ed0, v2
	v_fma_f32 v15, 0x3fb8aa3b, v2, -v6
	v_rndne_f32_e32 v16, v6
	s_delay_alu instid0(VALU_DEP_2) | instskip(NEXT) | instid1(VALU_DEP_2)
	v_fmamk_f32 v15, v2, 0x32a5705f, v15
	v_sub_f32_e32 v6, v6, v16
	s_delay_alu instid0(VALU_DEP_1) | instskip(SKIP_1) | instid1(VALU_DEP_2)
	v_add_f32_e32 v6, v6, v15
	v_cvt_i32_f32_e32 v15, v16
	v_exp_f32_e32 v6, v6
	s_delay_alu instid0(TRANS32_DEP_1) | instskip(SKIP_1) | instid1(VALU_DEP_1)
	v_ldexp_f32 v6, v6, v15
	s_wait_alu 0xfffd
	v_cndmask_b32_e32 v6, 0, v6, vcc_lo
	v_cmp_nlt_f32_e32 vcc_lo, 0x42b17218, v2
	s_wait_alu 0xfffd
	s_delay_alu instid0(VALU_DEP_2) | instskip(NEXT) | instid1(VALU_DEP_1)
	v_cndmask_b32_e32 v2, 0x7f800000, v6, vcc_lo
	v_add_f32_e32 v6, 1.0, v2
	s_delay_alu instid0(VALU_DEP_1) | instskip(NEXT) | instid1(VALU_DEP_1)
	v_cvt_f64_f32_e32 v[15:16], v6
	v_frexp_exp_i32_f64_e32 v15, v[15:16]
	v_frexp_mant_f32_e32 v16, v6
	s_delay_alu instid0(VALU_DEP_1) | instskip(SKIP_1) | instid1(VALU_DEP_3)
	v_cmp_gt_f32_e32 vcc_lo, 0x3f2aaaab, v16
	s_wait_alu 0xfffd
	v_subrev_co_ci_u32_e64 v15, null, 0, v15, vcc_lo
	s_delay_alu instid0(VALU_DEP_1) | instskip(SKIP_2) | instid1(VALU_DEP_1)
	v_sub_nc_u32_e32 v17, 0, v15
	v_cvt_f32_i32_e32 v15, v15
	v_add_f32_e32 v16, -1.0, v6
	v_sub_f32_e32 v18, v16, v6
	v_sub_f32_e32 v16, v2, v16
	v_ldexp_f32 v6, v6, v17
	s_delay_alu instid0(VALU_DEP_3) | instskip(NEXT) | instid1(VALU_DEP_2)
	v_add_f32_e32 v18, 1.0, v18
	v_add_f32_e32 v26, 1.0, v6
	s_delay_alu instid0(VALU_DEP_2) | instskip(NEXT) | instid1(VALU_DEP_2)
	v_add_f32_e32 v16, v16, v18
	v_add_f32_e32 v18, -1.0, v26
	s_delay_alu instid0(VALU_DEP_2) | instskip(SKIP_1) | instid1(VALU_DEP_1)
	v_ldexp_f32 v16, v16, v17
	v_add_f32_e32 v17, -1.0, v6
	v_dual_sub_f32 v18, v6, v18 :: v_dual_add_f32 v27, 1.0, v17
	s_delay_alu instid0(VALU_DEP_1) | instskip(NEXT) | instid1(VALU_DEP_2)
	v_add_f32_e32 v18, v16, v18
	v_sub_f32_e32 v6, v6, v27
	s_delay_alu instid0(VALU_DEP_1) | instskip(NEXT) | instid1(VALU_DEP_1)
	v_add_f32_e32 v6, v16, v6
	v_add_f32_e32 v28, v17, v6
	s_delay_alu instid0(VALU_DEP_4) | instskip(NEXT) | instid1(VALU_DEP_2)
	v_add_f32_e32 v27, v26, v18
	v_sub_f32_e32 v17, v17, v28
	s_delay_alu instid0(VALU_DEP_2) | instskip(SKIP_2) | instid1(VALU_DEP_3)
	v_rcp_f32_e32 v16, v27
	v_sub_f32_e32 v26, v26, v27
	v_cmp_neq_f32_e32 vcc_lo, 0x7f800000, v2
	v_add_f32_e32 v6, v6, v17
	s_delay_alu instid0(TRANS32_DEP_1) | instid1(VALU_DEP_3)
	v_dual_add_f32 v18, v18, v26 :: v_dual_mul_f32 v29, v28, v16
	s_delay_alu instid0(VALU_DEP_1) | instskip(NEXT) | instid1(VALU_DEP_1)
	v_mul_f32_e32 v30, v27, v29
	v_fma_f32 v26, v29, v27, -v30
	s_delay_alu instid0(VALU_DEP_1) | instskip(NEXT) | instid1(VALU_DEP_1)
	v_fmac_f32_e32 v26, v29, v18
	v_add_f32_e32 v31, v30, v26
	s_delay_alu instid0(VALU_DEP_1) | instskip(NEXT) | instid1(VALU_DEP_1)
	v_sub_f32_e32 v32, v28, v31
	v_dual_sub_f32 v28, v28, v32 :: v_dual_sub_f32 v17, v31, v30
	s_delay_alu instid0(VALU_DEP_1) | instskip(NEXT) | instid1(VALU_DEP_1)
	v_dual_sub_f32 v28, v28, v31 :: v_dual_sub_f32 v17, v17, v26
	v_add_f32_e32 v6, v6, v28
	s_delay_alu instid0(VALU_DEP_1) | instskip(NEXT) | instid1(VALU_DEP_1)
	v_add_f32_e32 v6, v17, v6
	v_add_f32_e32 v17, v32, v6
	s_delay_alu instid0(VALU_DEP_1) | instskip(NEXT) | instid1(VALU_DEP_1)
	v_mul_f32_e32 v26, v16, v17
	v_dual_sub_f32 v31, v32, v17 :: v_dual_mul_f32 v28, v27, v26
	s_delay_alu instid0(VALU_DEP_1) | instskip(NEXT) | instid1(VALU_DEP_2)
	v_add_f32_e32 v6, v6, v31
	v_fma_f32 v27, v26, v27, -v28
	s_delay_alu instid0(VALU_DEP_1) | instskip(NEXT) | instid1(VALU_DEP_1)
	v_fmac_f32_e32 v27, v26, v18
	v_add_f32_e32 v18, v28, v27
	s_delay_alu instid0(VALU_DEP_1) | instskip(NEXT) | instid1(VALU_DEP_1)
	v_sub_f32_e32 v30, v17, v18
	v_dual_sub_f32 v28, v18, v28 :: v_dual_sub_f32 v17, v17, v30
	s_delay_alu instid0(VALU_DEP_1) | instskip(NEXT) | instid1(VALU_DEP_1)
	v_dual_sub_f32 v17, v17, v18 :: v_dual_sub_f32 v18, v28, v27
	v_dual_add_f32 v6, v6, v17 :: v_dual_add_f32 v17, v29, v26
	s_delay_alu instid0(VALU_DEP_1) | instskip(NEXT) | instid1(VALU_DEP_2)
	v_add_f32_e32 v6, v18, v6
	v_sub_f32_e32 v18, v17, v29
	s_delay_alu instid0(VALU_DEP_2) | instskip(NEXT) | instid1(VALU_DEP_2)
	v_add_f32_e32 v6, v30, v6
	v_sub_f32_e32 v18, v26, v18
	s_delay_alu instid0(VALU_DEP_2) | instskip(NEXT) | instid1(VALU_DEP_1)
	v_mul_f32_e32 v6, v16, v6
	v_add_f32_e32 v6, v18, v6
	s_delay_alu instid0(VALU_DEP_1) | instskip(NEXT) | instid1(VALU_DEP_1)
	v_add_f32_e32 v16, v17, v6
	v_mul_f32_e32 v18, v16, v16
	s_wait_alu 0xfffe
	s_delay_alu instid0(VALU_DEP_1) | instskip(SKIP_1) | instid1(VALU_DEP_2)
	v_fmaak_f32 v26, s1, v18, 0x3ecc95a3
	v_mul_f32_e32 v27, v16, v18
	v_fmaak_f32 v18, v18, v26, 0x3f2aaada
	v_ldexp_f32 v26, v16, 1
	s_delay_alu instid0(VALU_DEP_2) | instskip(SKIP_1) | instid1(VALU_DEP_2)
	v_mul_f32_e32 v18, v27, v18
	v_dual_sub_f32 v16, v16, v17 :: v_dual_mul_f32 v27, 0x3f317218, v15
	v_add_f32_e32 v17, v26, v18
	s_delay_alu instid0(VALU_DEP_2) | instskip(NEXT) | instid1(VALU_DEP_2)
	v_sub_f32_e32 v6, v6, v16
	v_sub_f32_e32 v16, v17, v26
	s_delay_alu instid0(VALU_DEP_4) | instskip(NEXT) | instid1(VALU_DEP_3)
	v_fma_f32 v26, 0x3f317218, v15, -v27
	v_ldexp_f32 v6, v6, 1
	s_delay_alu instid0(VALU_DEP_2) | instskip(NEXT) | instid1(VALU_DEP_1)
	v_dual_sub_f32 v16, v18, v16 :: v_dual_fmamk_f32 v15, v15, 0xb102e308, v26
	v_add_f32_e32 v6, v6, v16
	s_delay_alu instid0(VALU_DEP_2) | instskip(NEXT) | instid1(VALU_DEP_1)
	v_add_f32_e32 v16, v27, v15
	v_dual_add_f32 v18, v17, v6 :: v_dual_sub_f32 v27, v16, v27
	s_delay_alu instid0(VALU_DEP_1) | instskip(NEXT) | instid1(VALU_DEP_1)
	v_dual_add_f32 v26, v16, v18 :: v_dual_sub_f32 v17, v18, v17
	v_dual_sub_f32 v15, v15, v27 :: v_dual_sub_f32 v28, v26, v16
	s_delay_alu instid0(VALU_DEP_2) | instskip(NEXT) | instid1(VALU_DEP_2)
	v_sub_f32_e32 v6, v6, v17
	v_sub_f32_e32 v29, v26, v28
	s_delay_alu instid0(VALU_DEP_2) | instskip(NEXT) | instid1(VALU_DEP_2)
	v_dual_sub_f32 v17, v18, v28 :: v_dual_add_f32 v18, v15, v6
	v_sub_f32_e32 v16, v16, v29
	s_delay_alu instid0(VALU_DEP_1) | instskip(NEXT) | instid1(VALU_DEP_1)
	v_dual_add_f32 v16, v17, v16 :: v_dual_sub_f32 v17, v18, v15
	v_add_f32_e32 v16, v18, v16
	s_delay_alu instid0(VALU_DEP_2) | instskip(SKIP_1) | instid1(VALU_DEP_3)
	v_sub_f32_e32 v18, v18, v17
	v_sub_f32_e32 v6, v6, v17
	v_add_f32_e32 v27, v26, v16
	s_delay_alu instid0(VALU_DEP_3) | instskip(NEXT) | instid1(VALU_DEP_1)
	v_sub_f32_e32 v15, v15, v18
	v_dual_sub_f32 v17, v27, v26 :: v_dual_add_f32 v6, v6, v15
	s_delay_alu instid0(VALU_DEP_1) | instskip(NEXT) | instid1(VALU_DEP_1)
	v_sub_f32_e32 v15, v16, v17
	v_add_f32_e32 v6, v6, v15
	s_delay_alu instid0(VALU_DEP_1) | instskip(SKIP_1) | instid1(VALU_DEP_1)
	v_add_f32_e32 v6, v27, v6
	s_wait_alu 0xfffd
	v_cndmask_b32_e32 v6, 0x7f800000, v6, vcc_lo
	v_cmp_gt_f32_e64 vcc_lo, 0x33800000, |v2|
	s_wait_alu 0xfffd
	s_delay_alu instid0(VALU_DEP_2) | instskip(NEXT) | instid1(VALU_DEP_1)
	v_cndmask_b32_e32 v2, v6, v2, vcc_lo
	v_add_f32_e32 v2, v1, v2
.LBB443_290:
	s_wait_alu 0xfffe
	s_or_b32 exec_lo, exec_lo, s0
	s_delay_alu instid0(VALU_DEP_1) | instskip(SKIP_1) | instid1(VALU_DEP_2)
	v_bfe_u32 v1, v2, 16, 1
	v_cmp_o_f32_e32 vcc_lo, v2, v2
	v_add3_u32 v1, v2, v1, 0x7fff
	s_delay_alu instid0(VALU_DEP_1) | instskip(SKIP_1) | instid1(VALU_DEP_1)
	v_lshrrev_b32_e32 v1, 16, v1
	s_wait_alu 0xfffd
	v_cndmask_b32_e32 v27, 0x7fc0, v1, vcc_lo
	s_delay_alu instid0(VALU_DEP_1) | instskip(NEXT) | instid1(VALU_DEP_1)
	v_lshlrev_b32_e32 v2, 16, v27
	v_max_num_f32_e32 v1, v2, v2
	s_delay_alu instid0(VALU_DEP_1) | instskip(SKIP_3) | instid1(VALU_DEP_3)
	v_min_num_f32_e32 v6, v1, v20
	v_max_num_f32_e32 v1, v1, v20
	v_cmp_u_f32_e32 vcc_lo, v2, v2
	s_wait_alu 0xfffd
	v_cndmask_b32_e32 v6, v6, v2, vcc_lo
	s_delay_alu instid0(VALU_DEP_3) | instskip(NEXT) | instid1(VALU_DEP_2)
	v_cndmask_b32_e32 v1, v1, v2, vcc_lo
	v_cndmask_b32_e64 v6, v6, v14, s5
	s_delay_alu instid0(VALU_DEP_2) | instskip(NEXT) | instid1(VALU_DEP_2)
	v_cndmask_b32_e64 v1, v1, v14, s5
	v_cmp_class_f32_e64 s0, v6, 0x1f8
	s_delay_alu instid0(VALU_DEP_2)
	v_cmp_neq_f32_e32 vcc_lo, v6, v1
	s_or_b32 s1, vcc_lo, s0
	s_wait_alu 0xfffe
	s_and_saveexec_b32 s0, s1
	s_cbranch_execz .LBB443_292
; %bb.291:
	v_sub_f32_e32 v2, v6, v1
	s_mov_b32 s1, 0x3e9b6dac
	s_delay_alu instid0(VALU_DEP_1) | instskip(SKIP_1) | instid1(VALU_DEP_2)
	v_mul_f32_e32 v6, 0x3fb8aa3b, v2
	v_cmp_ngt_f32_e32 vcc_lo, 0xc2ce8ed0, v2
	v_fma_f32 v14, 0x3fb8aa3b, v2, -v6
	v_rndne_f32_e32 v15, v6
	s_delay_alu instid0(VALU_DEP_2) | instskip(NEXT) | instid1(VALU_DEP_2)
	v_fmamk_f32 v14, v2, 0x32a5705f, v14
	v_sub_f32_e32 v6, v6, v15
	s_delay_alu instid0(VALU_DEP_1) | instskip(SKIP_1) | instid1(VALU_DEP_2)
	v_add_f32_e32 v6, v6, v14
	v_cvt_i32_f32_e32 v14, v15
	v_exp_f32_e32 v6, v6
	s_delay_alu instid0(TRANS32_DEP_1) | instskip(SKIP_1) | instid1(VALU_DEP_1)
	v_ldexp_f32 v6, v6, v14
	s_wait_alu 0xfffd
	v_cndmask_b32_e32 v6, 0, v6, vcc_lo
	v_cmp_nlt_f32_e32 vcc_lo, 0x42b17218, v2
	s_wait_alu 0xfffd
	s_delay_alu instid0(VALU_DEP_2) | instskip(NEXT) | instid1(VALU_DEP_1)
	v_cndmask_b32_e32 v2, 0x7f800000, v6, vcc_lo
	v_add_f32_e32 v6, 1.0, v2
	s_delay_alu instid0(VALU_DEP_1) | instskip(NEXT) | instid1(VALU_DEP_1)
	v_cvt_f64_f32_e32 v[14:15], v6
	v_frexp_exp_i32_f64_e32 v14, v[14:15]
	v_frexp_mant_f32_e32 v15, v6
	s_delay_alu instid0(VALU_DEP_1) | instskip(SKIP_1) | instid1(VALU_DEP_1)
	v_cmp_gt_f32_e32 vcc_lo, 0x3f2aaaab, v15
	v_add_f32_e32 v15, -1.0, v6
	v_sub_f32_e32 v17, v15, v6
	v_sub_f32_e32 v15, v2, v15
	s_delay_alu instid0(VALU_DEP_2) | instskip(NEXT) | instid1(VALU_DEP_1)
	v_add_f32_e32 v17, 1.0, v17
	v_add_f32_e32 v15, v15, v17
	s_wait_alu 0xfffd
	v_subrev_co_ci_u32_e64 v14, null, 0, v14, vcc_lo
	s_delay_alu instid0(VALU_DEP_1) | instskip(SKIP_1) | instid1(VALU_DEP_2)
	v_sub_nc_u32_e32 v16, 0, v14
	v_cvt_f32_i32_e32 v14, v14
	v_ldexp_f32 v6, v6, v16
	v_ldexp_f32 v15, v15, v16
	s_delay_alu instid0(VALU_DEP_2) | instskip(SKIP_1) | instid1(VALU_DEP_1)
	v_add_f32_e32 v18, 1.0, v6
	v_add_f32_e32 v16, -1.0, v6
	v_dual_add_f32 v17, -1.0, v18 :: v_dual_add_f32 v20, 1.0, v16
	s_delay_alu instid0(VALU_DEP_1) | instskip(SKIP_1) | instid1(VALU_DEP_2)
	v_sub_f32_e32 v17, v6, v17
	v_cmp_neq_f32_e32 vcc_lo, 0x7f800000, v2
	v_dual_add_f32 v17, v15, v17 :: v_dual_sub_f32 v6, v6, v20
	s_delay_alu instid0(VALU_DEP_1) | instskip(NEXT) | instid1(VALU_DEP_1)
	v_add_f32_e32 v20, v18, v17
	v_sub_f32_e32 v18, v18, v20
	s_delay_alu instid0(VALU_DEP_1) | instskip(NEXT) | instid1(VALU_DEP_4)
	v_add_f32_e32 v17, v17, v18
	v_add_f32_e32 v6, v15, v6
	v_rcp_f32_e32 v15, v20
	s_delay_alu instid0(VALU_DEP_1) | instskip(NEXT) | instid1(VALU_DEP_1)
	v_add_f32_e32 v26, v16, v6
	v_sub_f32_e32 v16, v16, v26
	s_delay_alu instid0(TRANS32_DEP_1) | instskip(NEXT) | instid1(VALU_DEP_2)
	v_mul_f32_e32 v28, v26, v15
	v_add_f32_e32 v6, v6, v16
	s_delay_alu instid0(VALU_DEP_2) | instskip(NEXT) | instid1(VALU_DEP_1)
	v_mul_f32_e32 v29, v20, v28
	v_fma_f32 v18, v28, v20, -v29
	s_delay_alu instid0(VALU_DEP_1) | instskip(NEXT) | instid1(VALU_DEP_1)
	v_fmac_f32_e32 v18, v28, v17
	v_add_f32_e32 v30, v29, v18
	s_delay_alu instid0(VALU_DEP_1) | instskip(SKIP_1) | instid1(VALU_DEP_2)
	v_sub_f32_e32 v31, v26, v30
	v_sub_f32_e32 v16, v30, v29
	;; [unrolled: 1-line block ×3, first 2 shown]
	s_delay_alu instid0(VALU_DEP_2) | instskip(NEXT) | instid1(VALU_DEP_2)
	v_sub_f32_e32 v16, v16, v18
	v_sub_f32_e32 v26, v26, v30
	s_delay_alu instid0(VALU_DEP_1) | instskip(NEXT) | instid1(VALU_DEP_1)
	v_add_f32_e32 v6, v6, v26
	v_add_f32_e32 v6, v16, v6
	s_delay_alu instid0(VALU_DEP_1) | instskip(NEXT) | instid1(VALU_DEP_1)
	v_add_f32_e32 v16, v31, v6
	v_mul_f32_e32 v18, v15, v16
	v_sub_f32_e32 v30, v31, v16
	s_delay_alu instid0(VALU_DEP_2) | instskip(NEXT) | instid1(VALU_DEP_2)
	v_mul_f32_e32 v26, v20, v18
	v_add_f32_e32 v6, v6, v30
	s_delay_alu instid0(VALU_DEP_2) | instskip(NEXT) | instid1(VALU_DEP_1)
	v_fma_f32 v20, v18, v20, -v26
	v_fmac_f32_e32 v20, v18, v17
	s_delay_alu instid0(VALU_DEP_1) | instskip(NEXT) | instid1(VALU_DEP_1)
	v_add_f32_e32 v17, v26, v20
	v_dual_sub_f32 v29, v16, v17 :: v_dual_sub_f32 v26, v17, v26
	s_delay_alu instid0(VALU_DEP_1) | instskip(NEXT) | instid1(VALU_DEP_1)
	v_sub_f32_e32 v16, v16, v29
	v_dual_sub_f32 v16, v16, v17 :: v_dual_sub_f32 v17, v26, v20
	s_delay_alu instid0(VALU_DEP_1) | instskip(SKIP_1) | instid1(VALU_DEP_1)
	v_add_f32_e32 v6, v6, v16
	v_add_f32_e32 v16, v28, v18
	v_dual_add_f32 v6, v17, v6 :: v_dual_sub_f32 v17, v16, v28
	s_delay_alu instid0(VALU_DEP_1) | instskip(NEXT) | instid1(VALU_DEP_1)
	v_dual_add_f32 v6, v29, v6 :: v_dual_sub_f32 v17, v18, v17
	v_mul_f32_e32 v6, v15, v6
	s_delay_alu instid0(VALU_DEP_1) | instskip(NEXT) | instid1(VALU_DEP_1)
	v_add_f32_e32 v6, v17, v6
	v_add_f32_e32 v15, v16, v6
	s_delay_alu instid0(VALU_DEP_1) | instskip(SKIP_1) | instid1(VALU_DEP_1)
	v_mul_f32_e32 v17, v15, v15
	s_wait_alu 0xfffe
	v_fmaak_f32 v18, s1, v17, 0x3ecc95a3
	s_delay_alu instid0(VALU_DEP_1) | instskip(SKIP_2) | instid1(VALU_DEP_3)
	v_dual_mul_f32 v20, v15, v17 :: v_dual_fmaak_f32 v17, v17, v18, 0x3f2aaada
	v_ldexp_f32 v18, v15, 1
	v_sub_f32_e32 v15, v15, v16
	v_dual_mul_f32 v17, v20, v17 :: v_dual_mul_f32 v20, 0x3f317218, v14
	s_delay_alu instid0(VALU_DEP_2) | instskip(NEXT) | instid1(VALU_DEP_2)
	v_sub_f32_e32 v6, v6, v15
	v_add_f32_e32 v16, v18, v17
	s_delay_alu instid0(VALU_DEP_2) | instskip(NEXT) | instid1(VALU_DEP_2)
	v_ldexp_f32 v6, v6, 1
	v_sub_f32_e32 v15, v16, v18
	v_fma_f32 v18, 0x3f317218, v14, -v20
	s_delay_alu instid0(VALU_DEP_1) | instskip(NEXT) | instid1(VALU_DEP_1)
	v_dual_sub_f32 v15, v17, v15 :: v_dual_fmamk_f32 v14, v14, 0xb102e308, v18
	v_dual_add_f32 v6, v6, v15 :: v_dual_add_f32 v15, v20, v14
	s_delay_alu instid0(VALU_DEP_1) | instskip(NEXT) | instid1(VALU_DEP_1)
	v_dual_add_f32 v17, v16, v6 :: v_dual_sub_f32 v20, v15, v20
	v_add_f32_e32 v18, v15, v17
	v_sub_f32_e32 v16, v17, v16
	s_delay_alu instid0(VALU_DEP_3) | instskip(NEXT) | instid1(VALU_DEP_3)
	v_sub_f32_e32 v14, v14, v20
	v_sub_f32_e32 v26, v18, v15
	s_delay_alu instid0(VALU_DEP_3) | instskip(NEXT) | instid1(VALU_DEP_2)
	v_sub_f32_e32 v6, v6, v16
	v_sub_f32_e32 v28, v18, v26
	;; [unrolled: 1-line block ×3, first 2 shown]
	s_delay_alu instid0(VALU_DEP_3) | instskip(NEXT) | instid1(VALU_DEP_3)
	v_add_f32_e32 v17, v14, v6
	v_sub_f32_e32 v15, v15, v28
	s_delay_alu instid0(VALU_DEP_1) | instskip(NEXT) | instid1(VALU_DEP_1)
	v_dual_add_f32 v15, v16, v15 :: v_dual_sub_f32 v16, v17, v14
	v_add_f32_e32 v15, v17, v15
	s_delay_alu instid0(VALU_DEP_2) | instskip(SKIP_1) | instid1(VALU_DEP_3)
	v_sub_f32_e32 v17, v17, v16
	v_sub_f32_e32 v6, v6, v16
	v_add_f32_e32 v20, v18, v15
	s_delay_alu instid0(VALU_DEP_3) | instskip(NEXT) | instid1(VALU_DEP_2)
	v_sub_f32_e32 v14, v14, v17
	v_sub_f32_e32 v16, v20, v18
	s_delay_alu instid0(VALU_DEP_2) | instskip(NEXT) | instid1(VALU_DEP_2)
	v_add_f32_e32 v6, v6, v14
	v_sub_f32_e32 v14, v15, v16
	s_delay_alu instid0(VALU_DEP_1) | instskip(NEXT) | instid1(VALU_DEP_1)
	v_add_f32_e32 v6, v6, v14
	v_add_f32_e32 v6, v20, v6
	s_wait_alu 0xfffd
	s_delay_alu instid0(VALU_DEP_1) | instskip(SKIP_2) | instid1(VALU_DEP_2)
	v_cndmask_b32_e32 v6, 0x7f800000, v6, vcc_lo
	v_cmp_gt_f32_e64 vcc_lo, 0x33800000, |v2|
	s_wait_alu 0xfffd
	v_cndmask_b32_e32 v2, v6, v2, vcc_lo
	s_delay_alu instid0(VALU_DEP_1)
	v_add_f32_e32 v2, v1, v2
.LBB443_292:
	s_wait_alu 0xfffe
	s_or_b32 exec_lo, exec_lo, s0
	s_delay_alu instid0(VALU_DEP_1) | instskip(SKIP_1) | instid1(VALU_DEP_2)
	v_bfe_u32 v1, v2, 16, 1
	v_cmp_o_f32_e32 vcc_lo, v2, v2
	v_add3_u32 v1, v2, v1, 0x7fff
	s_delay_alu instid0(VALU_DEP_1) | instskip(SKIP_1) | instid1(VALU_DEP_1)
	v_lshrrev_b32_e32 v1, 16, v1
	s_wait_alu 0xfffd
	v_cndmask_b32_e32 v2, 0x7fc0, v1, vcc_lo
	s_delay_alu instid0(VALU_DEP_1) | instskip(NEXT) | instid1(VALU_DEP_1)
	v_lshlrev_b32_e32 v6, 16, v2
	v_max_num_f32_e32 v1, v6, v6
	s_delay_alu instid0(VALU_DEP_1) | instskip(SKIP_3) | instid1(VALU_DEP_3)
	v_min_num_f32_e32 v14, v1, v21
	v_max_num_f32_e32 v1, v1, v21
	v_cmp_u_f32_e32 vcc_lo, v6, v6
	s_wait_alu 0xfffd
	v_cndmask_b32_e32 v14, v14, v6, vcc_lo
	s_delay_alu instid0(VALU_DEP_3) | instskip(NEXT) | instid1(VALU_DEP_2)
	v_cndmask_b32_e32 v1, v1, v6, vcc_lo
	v_cndmask_b32_e64 v14, v14, v13, s6
	s_delay_alu instid0(VALU_DEP_2) | instskip(NEXT) | instid1(VALU_DEP_2)
	v_cndmask_b32_e64 v1, v1, v13, s6
	v_cmp_class_f32_e64 s0, v14, 0x1f8
	s_delay_alu instid0(VALU_DEP_2)
	v_cmp_neq_f32_e32 vcc_lo, v14, v1
	s_or_b32 s1, vcc_lo, s0
	s_wait_alu 0xfffe
	s_and_saveexec_b32 s0, s1
	s_cbranch_execz .LBB443_294
; %bb.293:
	v_sub_f32_e32 v6, v14, v1
	s_mov_b32 s1, 0x3e9b6dac
	s_delay_alu instid0(VALU_DEP_1) | instskip(NEXT) | instid1(VALU_DEP_1)
	v_mul_f32_e32 v13, 0x3fb8aa3b, v6
	v_fma_f32 v14, 0x3fb8aa3b, v6, -v13
	v_rndne_f32_e32 v15, v13
	s_delay_alu instid0(VALU_DEP_1) | instskip(SKIP_1) | instid1(VALU_DEP_4)
	v_sub_f32_e32 v13, v13, v15
	v_cmp_ngt_f32_e32 vcc_lo, 0xc2ce8ed0, v6
	v_fmamk_f32 v14, v6, 0x32a5705f, v14
	s_delay_alu instid0(VALU_DEP_1) | instskip(SKIP_1) | instid1(VALU_DEP_2)
	v_add_f32_e32 v13, v13, v14
	v_cvt_i32_f32_e32 v14, v15
	v_exp_f32_e32 v13, v13
	s_delay_alu instid0(TRANS32_DEP_1) | instskip(SKIP_1) | instid1(VALU_DEP_1)
	v_ldexp_f32 v13, v13, v14
	s_wait_alu 0xfffd
	v_cndmask_b32_e32 v13, 0, v13, vcc_lo
	v_cmp_nlt_f32_e32 vcc_lo, 0x42b17218, v6
	s_wait_alu 0xfffd
	s_delay_alu instid0(VALU_DEP_2) | instskip(NEXT) | instid1(VALU_DEP_1)
	v_cndmask_b32_e32 v6, 0x7f800000, v13, vcc_lo
	v_add_f32_e32 v15, 1.0, v6
	s_delay_alu instid0(VALU_DEP_1) | instskip(NEXT) | instid1(VALU_DEP_1)
	v_cvt_f64_f32_e32 v[13:14], v15
	v_frexp_exp_i32_f64_e32 v13, v[13:14]
	v_frexp_mant_f32_e32 v14, v15
	s_delay_alu instid0(VALU_DEP_1) | instskip(SKIP_1) | instid1(VALU_DEP_1)
	v_cmp_gt_f32_e32 vcc_lo, 0x3f2aaaab, v14
	v_add_f32_e32 v14, -1.0, v15
	v_sub_f32_e32 v17, v14, v15
	s_delay_alu instid0(VALU_DEP_1) | instskip(NEXT) | instid1(VALU_DEP_1)
	v_dual_sub_f32 v14, v6, v14 :: v_dual_add_f32 v17, 1.0, v17
	v_add_f32_e32 v14, v14, v17
	s_wait_alu 0xfffd
	v_subrev_co_ci_u32_e64 v13, null, 0, v13, vcc_lo
	v_cmp_neq_f32_e32 vcc_lo, 0x7f800000, v6
	s_delay_alu instid0(VALU_DEP_2) | instskip(SKIP_1) | instid1(VALU_DEP_2)
	v_sub_nc_u32_e32 v16, 0, v13
	v_cvt_f32_i32_e32 v13, v13
	v_ldexp_f32 v15, v15, v16
	v_ldexp_f32 v14, v14, v16
	s_delay_alu instid0(VALU_DEP_2) | instskip(NEXT) | instid1(VALU_DEP_1)
	v_add_f32_e32 v18, 1.0, v15
	v_dual_add_f32 v16, -1.0, v15 :: v_dual_add_f32 v17, -1.0, v18
	s_delay_alu instid0(VALU_DEP_1) | instskip(NEXT) | instid1(VALU_DEP_1)
	v_dual_add_f32 v20, 1.0, v16 :: v_dual_sub_f32 v17, v15, v17
	v_add_f32_e32 v17, v14, v17
	s_delay_alu instid0(VALU_DEP_1) | instskip(NEXT) | instid1(VALU_DEP_1)
	v_dual_sub_f32 v15, v15, v20 :: v_dual_add_f32 v20, v18, v17
	v_sub_f32_e32 v18, v18, v20
	s_delay_alu instid0(VALU_DEP_2) | instskip(SKIP_1) | instid1(VALU_DEP_1)
	v_add_f32_e32 v14, v14, v15
	v_rcp_f32_e32 v15, v20
	v_add_f32_e32 v21, v16, v14
	s_delay_alu instid0(TRANS32_DEP_1) | instid1(VALU_DEP_1)
	v_mul_f32_e32 v26, v21, v15
	v_add_f32_e32 v17, v17, v18
	s_delay_alu instid0(VALU_DEP_2) | instskip(NEXT) | instid1(VALU_DEP_1)
	v_mul_f32_e32 v28, v20, v26
	v_fma_f32 v18, v26, v20, -v28
	s_delay_alu instid0(VALU_DEP_1) | instskip(SKIP_1) | instid1(VALU_DEP_1)
	v_fmac_f32_e32 v18, v26, v17
	v_sub_f32_e32 v16, v16, v21
	v_dual_add_f32 v29, v28, v18 :: v_dual_add_f32 v14, v14, v16
	s_delay_alu instid0(VALU_DEP_1) | instskip(NEXT) | instid1(VALU_DEP_1)
	v_sub_f32_e32 v30, v21, v29
	v_sub_f32_e32 v21, v21, v30
	s_delay_alu instid0(VALU_DEP_1) | instskip(SKIP_1) | instid1(VALU_DEP_2)
	v_sub_f32_e32 v21, v21, v29
	v_sub_f32_e32 v16, v29, v28
	v_add_f32_e32 v14, v14, v21
	s_delay_alu instid0(VALU_DEP_2) | instskip(NEXT) | instid1(VALU_DEP_1)
	v_sub_f32_e32 v16, v16, v18
	v_add_f32_e32 v14, v16, v14
	s_delay_alu instid0(VALU_DEP_1) | instskip(NEXT) | instid1(VALU_DEP_1)
	v_add_f32_e32 v16, v30, v14
	v_mul_f32_e32 v18, v15, v16
	s_delay_alu instid0(VALU_DEP_1) | instskip(SKIP_1) | instid1(VALU_DEP_2)
	v_mul_f32_e32 v21, v20, v18
	v_sub_f32_e32 v29, v30, v16
	v_fma_f32 v20, v18, v20, -v21
	s_delay_alu instid0(VALU_DEP_2) | instskip(NEXT) | instid1(VALU_DEP_2)
	v_add_f32_e32 v14, v14, v29
	v_fmac_f32_e32 v20, v18, v17
	s_delay_alu instid0(VALU_DEP_1) | instskip(NEXT) | instid1(VALU_DEP_1)
	v_add_f32_e32 v17, v21, v20
	v_sub_f32_e32 v28, v16, v17
	s_delay_alu instid0(VALU_DEP_1) | instskip(NEXT) | instid1(VALU_DEP_1)
	v_dual_sub_f32 v21, v17, v21 :: v_dual_sub_f32 v16, v16, v28
	v_dual_sub_f32 v16, v16, v17 :: v_dual_sub_f32 v17, v21, v20
	s_delay_alu instid0(VALU_DEP_1) | instskip(SKIP_1) | instid1(VALU_DEP_2)
	v_add_f32_e32 v14, v14, v16
	v_add_f32_e32 v16, v26, v18
	;; [unrolled: 1-line block ×3, first 2 shown]
	s_delay_alu instid0(VALU_DEP_2) | instskip(NEXT) | instid1(VALU_DEP_1)
	v_sub_f32_e32 v17, v16, v26
	v_dual_add_f32 v14, v28, v14 :: v_dual_sub_f32 v17, v18, v17
	s_delay_alu instid0(VALU_DEP_1) | instskip(NEXT) | instid1(VALU_DEP_1)
	v_mul_f32_e32 v14, v15, v14
	v_add_f32_e32 v14, v17, v14
	s_delay_alu instid0(VALU_DEP_1) | instskip(NEXT) | instid1(VALU_DEP_1)
	v_add_f32_e32 v15, v16, v14
	v_mul_f32_e32 v17, v15, v15
	s_wait_alu 0xfffe
	s_delay_alu instid0(VALU_DEP_1) | instskip(NEXT) | instid1(VALU_DEP_1)
	v_fmaak_f32 v18, s1, v17, 0x3ecc95a3
	v_dual_mul_f32 v20, v15, v17 :: v_dual_fmaak_f32 v17, v17, v18, 0x3f2aaada
	v_ldexp_f32 v18, v15, 1
	v_sub_f32_e32 v15, v15, v16
	s_delay_alu instid0(VALU_DEP_3) | instskip(SKIP_1) | instid1(VALU_DEP_3)
	v_mul_f32_e32 v17, v20, v17
	v_mul_f32_e32 v20, 0x3f317218, v13
	v_sub_f32_e32 v14, v14, v15
	s_delay_alu instid0(VALU_DEP_3) | instskip(NEXT) | instid1(VALU_DEP_2)
	v_add_f32_e32 v16, v18, v17
	v_ldexp_f32 v14, v14, 1
	s_delay_alu instid0(VALU_DEP_2) | instskip(SKIP_1) | instid1(VALU_DEP_2)
	v_sub_f32_e32 v15, v16, v18
	v_fma_f32 v18, 0x3f317218, v13, -v20
	v_sub_f32_e32 v15, v17, v15
	s_delay_alu instid0(VALU_DEP_1) | instskip(NEXT) | instid1(VALU_DEP_1)
	v_dual_fmamk_f32 v13, v13, 0xb102e308, v18 :: v_dual_add_f32 v14, v14, v15
	v_add_f32_e32 v15, v20, v13
	s_delay_alu instid0(VALU_DEP_1) | instskip(NEXT) | instid1(VALU_DEP_1)
	v_dual_add_f32 v17, v16, v14 :: v_dual_sub_f32 v20, v15, v20
	v_dual_add_f32 v18, v15, v17 :: v_dual_sub_f32 v13, v13, v20
	s_delay_alu instid0(VALU_DEP_1) | instskip(NEXT) | instid1(VALU_DEP_1)
	v_sub_f32_e32 v21, v18, v15
	v_sub_f32_e32 v26, v18, v21
	s_delay_alu instid0(VALU_DEP_1) | instskip(NEXT) | instid1(VALU_DEP_1)
	v_dual_sub_f32 v15, v15, v26 :: v_dual_sub_f32 v16, v17, v16
	v_sub_f32_e32 v14, v14, v16
	v_sub_f32_e32 v16, v17, v21
	s_delay_alu instid0(VALU_DEP_2) | instskip(NEXT) | instid1(VALU_DEP_1)
	v_add_f32_e32 v17, v13, v14
	v_dual_add_f32 v15, v16, v15 :: v_dual_sub_f32 v16, v17, v13
	s_delay_alu instid0(VALU_DEP_1) | instskip(NEXT) | instid1(VALU_DEP_1)
	v_add_f32_e32 v15, v17, v15
	v_dual_sub_f32 v17, v17, v16 :: v_dual_add_f32 v20, v18, v15
	s_delay_alu instid0(VALU_DEP_1) | instskip(NEXT) | instid1(VALU_DEP_1)
	v_dual_sub_f32 v14, v14, v16 :: v_dual_sub_f32 v13, v13, v17
	v_dual_sub_f32 v16, v20, v18 :: v_dual_add_f32 v13, v14, v13
	s_delay_alu instid0(VALU_DEP_1) | instskip(NEXT) | instid1(VALU_DEP_1)
	v_sub_f32_e32 v14, v15, v16
	v_add_f32_e32 v13, v13, v14
	s_delay_alu instid0(VALU_DEP_1) | instskip(SKIP_1) | instid1(VALU_DEP_1)
	v_add_f32_e32 v13, v20, v13
	s_wait_alu 0xfffd
	v_cndmask_b32_e32 v13, 0x7f800000, v13, vcc_lo
	v_cmp_gt_f32_e64 vcc_lo, 0x33800000, |v6|
	s_wait_alu 0xfffd
	s_delay_alu instid0(VALU_DEP_2) | instskip(NEXT) | instid1(VALU_DEP_1)
	v_cndmask_b32_e32 v6, v13, v6, vcc_lo
	v_add_f32_e32 v6, v1, v6
.LBB443_294:
	s_wait_alu 0xfffe
	s_or_b32 exec_lo, exec_lo, s0
	s_delay_alu instid0(VALU_DEP_1) | instskip(SKIP_1) | instid1(VALU_DEP_2)
	v_bfe_u32 v1, v6, 16, 1
	v_cmp_o_f32_e32 vcc_lo, v6, v6
	v_add3_u32 v1, v6, v1, 0x7fff
	s_delay_alu instid0(VALU_DEP_1) | instskip(SKIP_1) | instid1(VALU_DEP_1)
	v_lshrrev_b32_e32 v1, 16, v1
	s_wait_alu 0xfffd
	v_cndmask_b32_e32 v20, 0x7fc0, v1, vcc_lo
	s_delay_alu instid0(VALU_DEP_1) | instskip(NEXT) | instid1(VALU_DEP_1)
	v_lshlrev_b32_e32 v6, 16, v20
	v_max_num_f32_e32 v1, v6, v6
	s_delay_alu instid0(VALU_DEP_1) | instskip(SKIP_3) | instid1(VALU_DEP_3)
	v_min_num_f32_e32 v13, v1, v22
	v_max_num_f32_e32 v1, v1, v22
	v_cmp_u_f32_e32 vcc_lo, v6, v6
	s_wait_alu 0xfffd
	v_cndmask_b32_e32 v13, v13, v6, vcc_lo
	s_delay_alu instid0(VALU_DEP_3) | instskip(NEXT) | instid1(VALU_DEP_2)
	v_cndmask_b32_e32 v1, v1, v6, vcc_lo
	v_cndmask_b32_e64 v13, v13, v12, s7
	s_delay_alu instid0(VALU_DEP_2) | instskip(NEXT) | instid1(VALU_DEP_2)
	v_cndmask_b32_e64 v1, v1, v12, s7
	v_cmp_class_f32_e64 s0, v13, 0x1f8
	s_delay_alu instid0(VALU_DEP_2)
	v_cmp_neq_f32_e32 vcc_lo, v13, v1
	s_or_b32 s1, vcc_lo, s0
	s_wait_alu 0xfffe
	s_and_saveexec_b32 s0, s1
	s_cbranch_execz .LBB443_296
; %bb.295:
	v_sub_f32_e32 v6, v13, v1
	s_mov_b32 s1, 0x3e9b6dac
	s_delay_alu instid0(VALU_DEP_1) | instskip(SKIP_1) | instid1(VALU_DEP_2)
	v_mul_f32_e32 v12, 0x3fb8aa3b, v6
	v_cmp_ngt_f32_e32 vcc_lo, 0xc2ce8ed0, v6
	v_fma_f32 v13, 0x3fb8aa3b, v6, -v12
	v_rndne_f32_e32 v14, v12
	s_delay_alu instid0(VALU_DEP_1) | instskip(NEXT) | instid1(VALU_DEP_1)
	v_dual_fmamk_f32 v13, v6, 0x32a5705f, v13 :: v_dual_sub_f32 v12, v12, v14
	v_add_f32_e32 v12, v12, v13
	v_cvt_i32_f32_e32 v13, v14
	s_delay_alu instid0(VALU_DEP_2) | instskip(NEXT) | instid1(TRANS32_DEP_1)
	v_exp_f32_e32 v12, v12
	v_ldexp_f32 v12, v12, v13
	s_wait_alu 0xfffd
	s_delay_alu instid0(VALU_DEP_1) | instskip(SKIP_2) | instid1(VALU_DEP_2)
	v_cndmask_b32_e32 v12, 0, v12, vcc_lo
	v_cmp_nlt_f32_e32 vcc_lo, 0x42b17218, v6
	s_wait_alu 0xfffd
	v_cndmask_b32_e32 v6, 0x7f800000, v12, vcc_lo
	s_delay_alu instid0(VALU_DEP_1) | instskip(NEXT) | instid1(VALU_DEP_1)
	v_add_f32_e32 v14, 1.0, v6
	v_cvt_f64_f32_e32 v[12:13], v14
	s_delay_alu instid0(VALU_DEP_1) | instskip(SKIP_1) | instid1(VALU_DEP_1)
	v_frexp_exp_i32_f64_e32 v12, v[12:13]
	v_frexp_mant_f32_e32 v13, v14
	v_cmp_gt_f32_e32 vcc_lo, 0x3f2aaaab, v13
	v_add_f32_e32 v13, -1.0, v14
	s_delay_alu instid0(VALU_DEP_1) | instskip(NEXT) | instid1(VALU_DEP_1)
	v_dual_sub_f32 v16, v13, v14 :: v_dual_sub_f32 v13, v6, v13
	v_add_f32_e32 v16, 1.0, v16
	s_delay_alu instid0(VALU_DEP_1) | instskip(SKIP_2) | instid1(VALU_DEP_1)
	v_add_f32_e32 v13, v13, v16
	s_wait_alu 0xfffd
	v_subrev_co_ci_u32_e64 v12, null, 0, v12, vcc_lo
	v_sub_nc_u32_e32 v15, 0, v12
	v_cvt_f32_i32_e32 v12, v12
	s_delay_alu instid0(VALU_DEP_2) | instskip(SKIP_1) | instid1(VALU_DEP_2)
	v_ldexp_f32 v14, v14, v15
	v_ldexp_f32 v13, v13, v15
	v_add_f32_e32 v17, 1.0, v14
	s_delay_alu instid0(VALU_DEP_1) | instskip(NEXT) | instid1(VALU_DEP_1)
	v_dual_add_f32 v15, -1.0, v14 :: v_dual_add_f32 v16, -1.0, v17
	v_add_f32_e32 v18, 1.0, v15
	s_delay_alu instid0(VALU_DEP_2) | instskip(NEXT) | instid1(VALU_DEP_2)
	v_sub_f32_e32 v16, v14, v16
	v_sub_f32_e32 v14, v14, v18
	s_delay_alu instid0(VALU_DEP_2) | instskip(NEXT) | instid1(VALU_DEP_2)
	v_add_f32_e32 v16, v13, v16
	v_add_f32_e32 v13, v13, v14
	v_cmp_neq_f32_e32 vcc_lo, 0x7f800000, v6
	s_delay_alu instid0(VALU_DEP_2) | instskip(NEXT) | instid1(VALU_DEP_1)
	v_dual_add_f32 v18, v17, v16 :: v_dual_add_f32 v21, v15, v13
	v_rcp_f32_e32 v14, v18
	v_sub_f32_e32 v17, v17, v18
	s_delay_alu instid0(VALU_DEP_2) | instskip(NEXT) | instid1(VALU_DEP_1)
	v_sub_f32_e32 v15, v15, v21
	v_dual_add_f32 v16, v16, v17 :: v_dual_add_f32 v13, v13, v15
	s_delay_alu instid0(TRANS32_DEP_1) | instskip(NEXT) | instid1(VALU_DEP_1)
	v_mul_f32_e32 v22, v21, v14
	v_mul_f32_e32 v26, v18, v22
	s_delay_alu instid0(VALU_DEP_1) | instskip(NEXT) | instid1(VALU_DEP_1)
	v_fma_f32 v17, v22, v18, -v26
	v_fmac_f32_e32 v17, v22, v16
	s_delay_alu instid0(VALU_DEP_1) | instskip(NEXT) | instid1(VALU_DEP_1)
	v_add_f32_e32 v28, v26, v17
	v_sub_f32_e32 v29, v21, v28
	v_sub_f32_e32 v15, v28, v26
	s_delay_alu instid0(VALU_DEP_2) | instskip(NEXT) | instid1(VALU_DEP_2)
	v_sub_f32_e32 v21, v21, v29
	v_sub_f32_e32 v15, v15, v17
	s_delay_alu instid0(VALU_DEP_2) | instskip(NEXT) | instid1(VALU_DEP_1)
	v_sub_f32_e32 v21, v21, v28
	v_add_f32_e32 v13, v13, v21
	s_delay_alu instid0(VALU_DEP_1) | instskip(NEXT) | instid1(VALU_DEP_1)
	v_add_f32_e32 v13, v15, v13
	v_add_f32_e32 v15, v29, v13
	s_delay_alu instid0(VALU_DEP_1) | instskip(NEXT) | instid1(VALU_DEP_1)
	v_mul_f32_e32 v17, v14, v15
	v_mul_f32_e32 v21, v18, v17
	s_delay_alu instid0(VALU_DEP_1) | instskip(NEXT) | instid1(VALU_DEP_1)
	v_fma_f32 v18, v17, v18, -v21
	v_fmac_f32_e32 v18, v17, v16
	s_delay_alu instid0(VALU_DEP_1) | instskip(NEXT) | instid1(VALU_DEP_1)
	v_add_f32_e32 v16, v21, v18
	v_dual_sub_f32 v28, v29, v15 :: v_dual_sub_f32 v21, v16, v21
	v_sub_f32_e32 v26, v15, v16
	s_delay_alu instid0(VALU_DEP_2) | instskip(NEXT) | instid1(VALU_DEP_2)
	v_add_f32_e32 v13, v13, v28
	v_sub_f32_e32 v15, v15, v26
	s_delay_alu instid0(VALU_DEP_1) | instskip(NEXT) | instid1(VALU_DEP_1)
	v_dual_sub_f32 v15, v15, v16 :: v_dual_sub_f32 v16, v21, v18
	v_add_f32_e32 v13, v13, v15
	v_add_f32_e32 v15, v22, v17
	s_delay_alu instid0(VALU_DEP_1) | instskip(NEXT) | instid1(VALU_DEP_1)
	v_dual_add_f32 v13, v16, v13 :: v_dual_sub_f32 v16, v15, v22
	v_dual_add_f32 v13, v26, v13 :: v_dual_sub_f32 v16, v17, v16
	s_delay_alu instid0(VALU_DEP_1) | instskip(NEXT) | instid1(VALU_DEP_1)
	v_mul_f32_e32 v13, v14, v13
	v_add_f32_e32 v13, v16, v13
	s_delay_alu instid0(VALU_DEP_1) | instskip(NEXT) | instid1(VALU_DEP_1)
	v_add_f32_e32 v14, v15, v13
	v_mul_f32_e32 v16, v14, v14
	s_wait_alu 0xfffe
	s_delay_alu instid0(VALU_DEP_1) | instskip(SKIP_1) | instid1(VALU_DEP_2)
	v_fmaak_f32 v17, s1, v16, 0x3ecc95a3
	v_mul_f32_e32 v18, v14, v16
	v_fmaak_f32 v16, v16, v17, 0x3f2aaada
	v_ldexp_f32 v17, v14, 1
	v_sub_f32_e32 v14, v14, v15
	s_delay_alu instid0(VALU_DEP_1) | instskip(SKIP_1) | instid1(VALU_DEP_2)
	v_dual_sub_f32 v13, v13, v14 :: v_dual_mul_f32 v16, v18, v16
	v_mul_f32_e32 v18, 0x3f317218, v12
	v_ldexp_f32 v13, v13, 1
	s_delay_alu instid0(VALU_DEP_3) | instskip(NEXT) | instid1(VALU_DEP_1)
	v_add_f32_e32 v15, v17, v16
	v_sub_f32_e32 v14, v15, v17
	s_delay_alu instid0(VALU_DEP_4) | instskip(NEXT) | instid1(VALU_DEP_2)
	v_fma_f32 v17, 0x3f317218, v12, -v18
	v_sub_f32_e32 v14, v16, v14
	s_delay_alu instid0(VALU_DEP_1) | instskip(NEXT) | instid1(VALU_DEP_1)
	v_dual_fmamk_f32 v12, v12, 0xb102e308, v17 :: v_dual_add_f32 v13, v13, v14
	v_add_f32_e32 v14, v18, v12
	s_delay_alu instid0(VALU_DEP_2) | instskip(NEXT) | instid1(VALU_DEP_2)
	v_add_f32_e32 v16, v15, v13
	v_sub_f32_e32 v18, v14, v18
	s_delay_alu instid0(VALU_DEP_1) | instskip(NEXT) | instid1(VALU_DEP_1)
	v_dual_add_f32 v17, v14, v16 :: v_dual_sub_f32 v12, v12, v18
	v_sub_f32_e32 v21, v17, v14
	v_sub_f32_e32 v15, v16, v15
	s_delay_alu instid0(VALU_DEP_1) | instskip(NEXT) | instid1(VALU_DEP_3)
	v_sub_f32_e32 v13, v13, v15
	v_sub_f32_e32 v15, v16, v21
	s_delay_alu instid0(VALU_DEP_2) | instskip(SKIP_1) | instid1(VALU_DEP_1)
	v_add_f32_e32 v16, v12, v13
	v_sub_f32_e32 v22, v17, v21
	v_sub_f32_e32 v14, v14, v22
	s_delay_alu instid0(VALU_DEP_1) | instskip(NEXT) | instid1(VALU_DEP_1)
	v_dual_add_f32 v14, v15, v14 :: v_dual_sub_f32 v15, v16, v12
	v_add_f32_e32 v14, v16, v14
	s_delay_alu instid0(VALU_DEP_2) | instskip(SKIP_1) | instid1(VALU_DEP_3)
	v_sub_f32_e32 v16, v16, v15
	v_sub_f32_e32 v13, v13, v15
	v_add_f32_e32 v18, v17, v14
	s_delay_alu instid0(VALU_DEP_1) | instskip(NEXT) | instid1(VALU_DEP_1)
	v_dual_sub_f32 v12, v12, v16 :: v_dual_sub_f32 v15, v18, v17
	v_dual_add_f32 v12, v13, v12 :: v_dual_sub_f32 v13, v14, v15
	s_delay_alu instid0(VALU_DEP_1) | instskip(NEXT) | instid1(VALU_DEP_1)
	v_add_f32_e32 v12, v12, v13
	v_add_f32_e32 v12, v18, v12
	s_wait_alu 0xfffd
	s_delay_alu instid0(VALU_DEP_1) | instskip(SKIP_2) | instid1(VALU_DEP_2)
	v_cndmask_b32_e32 v12, 0x7f800000, v12, vcc_lo
	v_cmp_gt_f32_e64 vcc_lo, 0x33800000, |v6|
	s_wait_alu 0xfffd
	v_cndmask_b32_e32 v6, v12, v6, vcc_lo
	s_delay_alu instid0(VALU_DEP_1)
	v_add_f32_e32 v6, v1, v6
.LBB443_296:
	s_wait_alu 0xfffe
	s_or_b32 exec_lo, exec_lo, s0
	s_delay_alu instid0(VALU_DEP_1) | instskip(SKIP_1) | instid1(VALU_DEP_2)
	v_bfe_u32 v1, v6, 16, 1
	v_cmp_o_f32_e32 vcc_lo, v6, v6
	v_add3_u32 v1, v6, v1, 0x7fff
	s_delay_alu instid0(VALU_DEP_1) | instskip(SKIP_1) | instid1(VALU_DEP_1)
	v_lshrrev_b32_e32 v1, 16, v1
	s_wait_alu 0xfffd
	v_cndmask_b32_e32 v21, 0x7fc0, v1, vcc_lo
	s_delay_alu instid0(VALU_DEP_1) | instskip(NEXT) | instid1(VALU_DEP_1)
	v_lshlrev_b32_e32 v6, 16, v21
	v_max_num_f32_e32 v1, v6, v6
	s_delay_alu instid0(VALU_DEP_1) | instskip(SKIP_3) | instid1(VALU_DEP_3)
	v_min_num_f32_e32 v12, v1, v23
	v_max_num_f32_e32 v1, v1, v23
	v_cmp_u_f32_e32 vcc_lo, v6, v6
	s_wait_alu 0xfffd
	v_cndmask_b32_e32 v12, v12, v6, vcc_lo
	s_delay_alu instid0(VALU_DEP_3) | instskip(NEXT) | instid1(VALU_DEP_2)
	v_cndmask_b32_e32 v1, v1, v6, vcc_lo
	v_cndmask_b32_e64 v12, v12, v11, s8
	s_delay_alu instid0(VALU_DEP_2) | instskip(NEXT) | instid1(VALU_DEP_2)
	v_cndmask_b32_e64 v1, v1, v11, s8
	v_cmp_class_f32_e64 s0, v12, 0x1f8
	s_delay_alu instid0(VALU_DEP_2)
	v_cmp_neq_f32_e32 vcc_lo, v12, v1
	s_or_b32 s1, vcc_lo, s0
	s_wait_alu 0xfffe
	s_and_saveexec_b32 s0, s1
	s_cbranch_execz .LBB443_298
; %bb.297:
	v_sub_f32_e32 v6, v12, v1
	s_mov_b32 s1, 0x3e9b6dac
	s_delay_alu instid0(VALU_DEP_1) | instskip(NEXT) | instid1(VALU_DEP_1)
	v_mul_f32_e32 v11, 0x3fb8aa3b, v6
	v_fma_f32 v12, 0x3fb8aa3b, v6, -v11
	v_rndne_f32_e32 v13, v11
	s_delay_alu instid0(VALU_DEP_1) | instskip(NEXT) | instid1(VALU_DEP_1)
	v_dual_fmamk_f32 v12, v6, 0x32a5705f, v12 :: v_dual_sub_f32 v11, v11, v13
	v_add_f32_e32 v11, v11, v12
	v_cvt_i32_f32_e32 v12, v13
	v_cmp_ngt_f32_e32 vcc_lo, 0xc2ce8ed0, v6
	s_delay_alu instid0(VALU_DEP_3) | instskip(NEXT) | instid1(TRANS32_DEP_1)
	v_exp_f32_e32 v11, v11
	v_ldexp_f32 v11, v11, v12
	s_wait_alu 0xfffd
	s_delay_alu instid0(VALU_DEP_1) | instskip(SKIP_2) | instid1(VALU_DEP_2)
	v_cndmask_b32_e32 v11, 0, v11, vcc_lo
	v_cmp_nlt_f32_e32 vcc_lo, 0x42b17218, v6
	s_wait_alu 0xfffd
	v_cndmask_b32_e32 v6, 0x7f800000, v11, vcc_lo
	s_delay_alu instid0(VALU_DEP_1) | instskip(NEXT) | instid1(VALU_DEP_1)
	v_add_f32_e32 v13, 1.0, v6
	v_cvt_f64_f32_e32 v[11:12], v13
	s_delay_alu instid0(VALU_DEP_1) | instskip(SKIP_1) | instid1(VALU_DEP_1)
	v_frexp_exp_i32_f64_e32 v11, v[11:12]
	v_frexp_mant_f32_e32 v12, v13
	v_cmp_gt_f32_e32 vcc_lo, 0x3f2aaaab, v12
	v_add_f32_e32 v12, -1.0, v13
	s_delay_alu instid0(VALU_DEP_1) | instskip(NEXT) | instid1(VALU_DEP_1)
	v_dual_sub_f32 v15, v12, v13 :: v_dual_sub_f32 v12, v6, v12
	v_add_f32_e32 v15, 1.0, v15
	s_delay_alu instid0(VALU_DEP_1) | instskip(SKIP_3) | instid1(VALU_DEP_2)
	v_add_f32_e32 v12, v12, v15
	s_wait_alu 0xfffd
	v_subrev_co_ci_u32_e64 v11, null, 0, v11, vcc_lo
	v_cmp_neq_f32_e32 vcc_lo, 0x7f800000, v6
	v_sub_nc_u32_e32 v14, 0, v11
	v_cvt_f32_i32_e32 v11, v11
	s_delay_alu instid0(VALU_DEP_2) | instskip(SKIP_1) | instid1(VALU_DEP_2)
	v_ldexp_f32 v13, v13, v14
	v_ldexp_f32 v12, v12, v14
	v_add_f32_e32 v16, 1.0, v13
	s_delay_alu instid0(VALU_DEP_1) | instskip(NEXT) | instid1(VALU_DEP_1)
	v_dual_add_f32 v14, -1.0, v13 :: v_dual_add_f32 v15, -1.0, v16
	v_add_f32_e32 v17, 1.0, v14
	s_delay_alu instid0(VALU_DEP_2) | instskip(NEXT) | instid1(VALU_DEP_2)
	v_sub_f32_e32 v15, v13, v15
	v_sub_f32_e32 v13, v13, v17
	s_delay_alu instid0(VALU_DEP_2) | instskip(NEXT) | instid1(VALU_DEP_2)
	v_add_f32_e32 v15, v12, v15
	v_add_f32_e32 v12, v12, v13
	s_delay_alu instid0(VALU_DEP_1) | instskip(NEXT) | instid1(VALU_DEP_1)
	v_dual_add_f32 v17, v16, v15 :: v_dual_add_f32 v18, v14, v12
	v_rcp_f32_e32 v13, v17
	s_delay_alu instid0(TRANS32_DEP_1) | instskip(NEXT) | instid1(VALU_DEP_1)
	v_mul_f32_e32 v22, v18, v13
	v_dual_sub_f32 v16, v16, v17 :: v_dual_mul_f32 v23, v17, v22
	s_delay_alu instid0(VALU_DEP_1) | instskip(NEXT) | instid1(VALU_DEP_2)
	v_add_f32_e32 v15, v15, v16
	v_fma_f32 v16, v22, v17, -v23
	s_delay_alu instid0(VALU_DEP_1) | instskip(NEXT) | instid1(VALU_DEP_1)
	v_fmac_f32_e32 v16, v22, v15
	v_add_f32_e32 v26, v23, v16
	s_delay_alu instid0(VALU_DEP_1) | instskip(SKIP_1) | instid1(VALU_DEP_2)
	v_sub_f32_e32 v28, v18, v26
	v_sub_f32_e32 v14, v14, v18
	;; [unrolled: 1-line block ×3, first 2 shown]
	s_delay_alu instid0(VALU_DEP_2) | instskip(SKIP_1) | instid1(VALU_DEP_3)
	v_add_f32_e32 v12, v12, v14
	v_sub_f32_e32 v14, v26, v23
	v_sub_f32_e32 v18, v18, v26
	s_delay_alu instid0(VALU_DEP_2) | instskip(NEXT) | instid1(VALU_DEP_2)
	v_sub_f32_e32 v14, v14, v16
	v_add_f32_e32 v12, v12, v18
	s_delay_alu instid0(VALU_DEP_1) | instskip(NEXT) | instid1(VALU_DEP_1)
	v_add_f32_e32 v12, v14, v12
	v_add_f32_e32 v14, v28, v12
	s_delay_alu instid0(VALU_DEP_1) | instskip(SKIP_1) | instid1(VALU_DEP_2)
	v_mul_f32_e32 v16, v13, v14
	v_sub_f32_e32 v26, v28, v14
	v_mul_f32_e32 v18, v17, v16
	s_delay_alu instid0(VALU_DEP_2) | instskip(NEXT) | instid1(VALU_DEP_2)
	v_add_f32_e32 v12, v12, v26
	v_fma_f32 v17, v16, v17, -v18
	s_delay_alu instid0(VALU_DEP_1) | instskip(NEXT) | instid1(VALU_DEP_1)
	v_fmac_f32_e32 v17, v16, v15
	v_add_f32_e32 v15, v18, v17
	s_delay_alu instid0(VALU_DEP_1) | instskip(NEXT) | instid1(VALU_DEP_1)
	v_dual_sub_f32 v23, v14, v15 :: v_dual_sub_f32 v18, v15, v18
	v_sub_f32_e32 v14, v14, v23
	s_delay_alu instid0(VALU_DEP_1) | instskip(NEXT) | instid1(VALU_DEP_1)
	v_sub_f32_e32 v14, v14, v15
	v_dual_sub_f32 v15, v18, v17 :: v_dual_add_f32 v12, v12, v14
	v_add_f32_e32 v14, v22, v16
	s_delay_alu instid0(VALU_DEP_1) | instskip(NEXT) | instid1(VALU_DEP_1)
	v_dual_add_f32 v12, v15, v12 :: v_dual_sub_f32 v15, v14, v22
	v_dual_add_f32 v12, v23, v12 :: v_dual_sub_f32 v15, v16, v15
	s_delay_alu instid0(VALU_DEP_1) | instskip(NEXT) | instid1(VALU_DEP_1)
	v_mul_f32_e32 v12, v13, v12
	v_add_f32_e32 v12, v15, v12
	s_delay_alu instid0(VALU_DEP_1) | instskip(NEXT) | instid1(VALU_DEP_1)
	v_add_f32_e32 v13, v14, v12
	v_mul_f32_e32 v15, v13, v13
	s_wait_alu 0xfffe
	s_delay_alu instid0(VALU_DEP_1) | instskip(SKIP_1) | instid1(VALU_DEP_2)
	v_fmaak_f32 v16, s1, v15, 0x3ecc95a3
	v_mul_f32_e32 v17, v13, v15
	v_fmaak_f32 v15, v15, v16, 0x3f2aaada
	v_ldexp_f32 v16, v13, 1
	v_sub_f32_e32 v13, v13, v14
	s_delay_alu instid0(VALU_DEP_3) | instskip(NEXT) | instid1(VALU_DEP_2)
	v_mul_f32_e32 v15, v17, v15
	v_dual_mul_f32 v17, 0x3f317218, v11 :: v_dual_sub_f32 v12, v12, v13
	s_delay_alu instid0(VALU_DEP_2) | instskip(NEXT) | instid1(VALU_DEP_2)
	v_add_f32_e32 v14, v16, v15
	v_ldexp_f32 v12, v12, 1
	s_delay_alu instid0(VALU_DEP_2) | instskip(NEXT) | instid1(VALU_DEP_4)
	v_sub_f32_e32 v13, v14, v16
	v_fma_f32 v16, 0x3f317218, v11, -v17
	s_delay_alu instid0(VALU_DEP_2) | instskip(NEXT) | instid1(VALU_DEP_1)
	v_sub_f32_e32 v13, v15, v13
	v_dual_fmamk_f32 v11, v11, 0xb102e308, v16 :: v_dual_add_f32 v12, v12, v13
	s_delay_alu instid0(VALU_DEP_1) | instskip(NEXT) | instid1(VALU_DEP_2)
	v_add_f32_e32 v13, v17, v11
	v_add_f32_e32 v15, v14, v12
	s_delay_alu instid0(VALU_DEP_2) | instskip(NEXT) | instid1(VALU_DEP_2)
	v_sub_f32_e32 v17, v13, v17
	v_add_f32_e32 v16, v13, v15
	v_sub_f32_e32 v14, v15, v14
	s_delay_alu instid0(VALU_DEP_3) | instskip(NEXT) | instid1(VALU_DEP_3)
	v_sub_f32_e32 v11, v11, v17
	v_sub_f32_e32 v18, v16, v13
	s_delay_alu instid0(VALU_DEP_3) | instskip(NEXT) | instid1(VALU_DEP_2)
	v_sub_f32_e32 v12, v12, v14
	v_sub_f32_e32 v22, v16, v18
	;; [unrolled: 1-line block ×3, first 2 shown]
	s_delay_alu instid0(VALU_DEP_3) | instskip(NEXT) | instid1(VALU_DEP_3)
	v_add_f32_e32 v15, v11, v12
	v_sub_f32_e32 v13, v13, v22
	s_delay_alu instid0(VALU_DEP_1) | instskip(NEXT) | instid1(VALU_DEP_1)
	v_dual_add_f32 v13, v14, v13 :: v_dual_sub_f32 v14, v15, v11
	v_add_f32_e32 v13, v15, v13
	s_delay_alu instid0(VALU_DEP_2) | instskip(SKIP_1) | instid1(VALU_DEP_3)
	v_sub_f32_e32 v15, v15, v14
	v_sub_f32_e32 v12, v12, v14
	v_add_f32_e32 v17, v16, v13
	s_delay_alu instid0(VALU_DEP_1) | instskip(NEXT) | instid1(VALU_DEP_1)
	v_dual_sub_f32 v11, v11, v15 :: v_dual_sub_f32 v14, v17, v16
	v_dual_add_f32 v11, v12, v11 :: v_dual_sub_f32 v12, v13, v14
	s_delay_alu instid0(VALU_DEP_1) | instskip(NEXT) | instid1(VALU_DEP_1)
	v_add_f32_e32 v11, v11, v12
	v_add_f32_e32 v11, v17, v11
	s_wait_alu 0xfffd
	s_delay_alu instid0(VALU_DEP_1) | instskip(SKIP_2) | instid1(VALU_DEP_2)
	v_cndmask_b32_e32 v11, 0x7f800000, v11, vcc_lo
	v_cmp_gt_f32_e64 vcc_lo, 0x33800000, |v6|
	s_wait_alu 0xfffd
	v_cndmask_b32_e32 v6, v11, v6, vcc_lo
	s_delay_alu instid0(VALU_DEP_1)
	v_add_f32_e32 v6, v1, v6
.LBB443_298:
	s_wait_alu 0xfffe
	s_or_b32 exec_lo, exec_lo, s0
	s_delay_alu instid0(VALU_DEP_1) | instskip(SKIP_1) | instid1(VALU_DEP_2)
	v_bfe_u32 v1, v6, 16, 1
	v_cmp_o_f32_e32 vcc_lo, v6, v6
	v_add3_u32 v1, v6, v1, 0x7fff
	s_delay_alu instid0(VALU_DEP_1) | instskip(SKIP_1) | instid1(VALU_DEP_1)
	v_lshrrev_b32_e32 v1, 16, v1
	s_wait_alu 0xfffd
	v_cndmask_b32_e32 v22, 0x7fc0, v1, vcc_lo
	s_delay_alu instid0(VALU_DEP_1) | instskip(NEXT) | instid1(VALU_DEP_1)
	v_lshlrev_b32_e32 v6, 16, v22
	v_max_num_f32_e32 v1, v6, v6
	s_delay_alu instid0(VALU_DEP_1) | instskip(SKIP_3) | instid1(VALU_DEP_3)
	v_min_num_f32_e32 v11, v1, v24
	v_max_num_f32_e32 v1, v1, v24
	v_cmp_u_f32_e32 vcc_lo, v6, v6
	s_wait_alu 0xfffd
	v_cndmask_b32_e32 v11, v11, v6, vcc_lo
	s_delay_alu instid0(VALU_DEP_3) | instskip(NEXT) | instid1(VALU_DEP_2)
	v_cndmask_b32_e32 v1, v1, v6, vcc_lo
	v_cndmask_b32_e64 v11, v11, v10, s9
	s_delay_alu instid0(VALU_DEP_2) | instskip(NEXT) | instid1(VALU_DEP_2)
	v_cndmask_b32_e64 v1, v1, v10, s9
	v_cmp_class_f32_e64 s0, v11, 0x1f8
	s_delay_alu instid0(VALU_DEP_2)
	v_cmp_neq_f32_e32 vcc_lo, v11, v1
	s_or_b32 s1, vcc_lo, s0
	s_wait_alu 0xfffe
	s_and_saveexec_b32 s0, s1
	s_cbranch_execz .LBB443_300
; %bb.299:
	v_sub_f32_e32 v6, v11, v1
	s_mov_b32 s1, 0x3e9b6dac
	s_delay_alu instid0(VALU_DEP_1) | instskip(SKIP_1) | instid1(VALU_DEP_2)
	v_mul_f32_e32 v10, 0x3fb8aa3b, v6
	v_cmp_ngt_f32_e32 vcc_lo, 0xc2ce8ed0, v6
	v_fma_f32 v11, 0x3fb8aa3b, v6, -v10
	v_rndne_f32_e32 v12, v10
	s_delay_alu instid0(VALU_DEP_2) | instskip(NEXT) | instid1(VALU_DEP_2)
	v_fmamk_f32 v11, v6, 0x32a5705f, v11
	v_sub_f32_e32 v10, v10, v12
	s_delay_alu instid0(VALU_DEP_1) | instskip(SKIP_1) | instid1(VALU_DEP_2)
	v_add_f32_e32 v10, v10, v11
	v_cvt_i32_f32_e32 v11, v12
	v_exp_f32_e32 v10, v10
	s_delay_alu instid0(TRANS32_DEP_1) | instskip(SKIP_1) | instid1(VALU_DEP_1)
	v_ldexp_f32 v10, v10, v11
	s_wait_alu 0xfffd
	v_cndmask_b32_e32 v10, 0, v10, vcc_lo
	v_cmp_nlt_f32_e32 vcc_lo, 0x42b17218, v6
	s_wait_alu 0xfffd
	s_delay_alu instid0(VALU_DEP_2) | instskip(NEXT) | instid1(VALU_DEP_1)
	v_cndmask_b32_e32 v6, 0x7f800000, v10, vcc_lo
	v_add_f32_e32 v12, 1.0, v6
	s_delay_alu instid0(VALU_DEP_1) | instskip(NEXT) | instid1(VALU_DEP_1)
	v_cvt_f64_f32_e32 v[10:11], v12
	v_frexp_exp_i32_f64_e32 v10, v[10:11]
	v_frexp_mant_f32_e32 v11, v12
	s_delay_alu instid0(VALU_DEP_1) | instskip(SKIP_1) | instid1(VALU_DEP_1)
	v_cmp_gt_f32_e32 vcc_lo, 0x3f2aaaab, v11
	v_add_f32_e32 v11, -1.0, v12
	v_dual_sub_f32 v14, v11, v12 :: v_dual_sub_f32 v11, v6, v11
	s_delay_alu instid0(VALU_DEP_1) | instskip(NEXT) | instid1(VALU_DEP_1)
	v_add_f32_e32 v14, 1.0, v14
	v_add_f32_e32 v11, v11, v14
	s_wait_alu 0xfffd
	v_subrev_co_ci_u32_e64 v10, null, 0, v10, vcc_lo
	s_delay_alu instid0(VALU_DEP_1) | instskip(SKIP_1) | instid1(VALU_DEP_2)
	v_sub_nc_u32_e32 v13, 0, v10
	v_cvt_f32_i32_e32 v10, v10
	v_ldexp_f32 v12, v12, v13
	v_ldexp_f32 v11, v11, v13
	s_delay_alu instid0(VALU_DEP_2) | instskip(SKIP_2) | instid1(VALU_DEP_3)
	v_add_f32_e32 v15, 1.0, v12
	v_add_f32_e32 v13, -1.0, v12
	v_cmp_neq_f32_e32 vcc_lo, 0x7f800000, v6
	v_add_f32_e32 v14, -1.0, v15
	s_delay_alu instid0(VALU_DEP_3) | instskip(NEXT) | instid1(VALU_DEP_2)
	v_add_f32_e32 v16, 1.0, v13
	v_sub_f32_e32 v14, v12, v14
	s_delay_alu instid0(VALU_DEP_2) | instskip(NEXT) | instid1(VALU_DEP_2)
	v_sub_f32_e32 v12, v12, v16
	v_add_f32_e32 v14, v11, v14
	s_delay_alu instid0(VALU_DEP_2) | instskip(NEXT) | instid1(VALU_DEP_1)
	v_add_f32_e32 v11, v11, v12
	v_dual_add_f32 v16, v15, v14 :: v_dual_add_f32 v17, v13, v11
	s_delay_alu instid0(VALU_DEP_1) | instskip(NEXT) | instid1(VALU_DEP_1)
	v_rcp_f32_e32 v12, v16
	v_sub_f32_e32 v13, v13, v17
	v_sub_f32_e32 v15, v15, v16
	s_delay_alu instid0(VALU_DEP_1) | instskip(NEXT) | instid1(TRANS32_DEP_1)
	v_dual_add_f32 v11, v11, v13 :: v_dual_add_f32 v14, v14, v15
	v_mul_f32_e32 v18, v17, v12
	s_delay_alu instid0(VALU_DEP_1) | instskip(NEXT) | instid1(VALU_DEP_1)
	v_mul_f32_e32 v23, v16, v18
	v_fma_f32 v15, v18, v16, -v23
	s_delay_alu instid0(VALU_DEP_1) | instskip(NEXT) | instid1(VALU_DEP_1)
	v_fmac_f32_e32 v15, v18, v14
	v_add_f32_e32 v24, v23, v15
	s_delay_alu instid0(VALU_DEP_1) | instskip(NEXT) | instid1(VALU_DEP_1)
	v_dual_sub_f32 v26, v17, v24 :: v_dual_sub_f32 v13, v24, v23
	v_sub_f32_e32 v17, v17, v26
	s_delay_alu instid0(VALU_DEP_1) | instskip(NEXT) | instid1(VALU_DEP_1)
	v_sub_f32_e32 v17, v17, v24
	v_add_f32_e32 v11, v11, v17
	s_delay_alu instid0(VALU_DEP_4) | instskip(NEXT) | instid1(VALU_DEP_1)
	v_sub_f32_e32 v13, v13, v15
	v_add_f32_e32 v11, v13, v11
	s_delay_alu instid0(VALU_DEP_1) | instskip(NEXT) | instid1(VALU_DEP_1)
	v_add_f32_e32 v13, v26, v11
	v_mul_f32_e32 v15, v12, v13
	s_delay_alu instid0(VALU_DEP_1) | instskip(NEXT) | instid1(VALU_DEP_1)
	v_mul_f32_e32 v17, v16, v15
	v_fma_f32 v16, v15, v16, -v17
	s_delay_alu instid0(VALU_DEP_1) | instskip(NEXT) | instid1(VALU_DEP_1)
	v_fmac_f32_e32 v16, v15, v14
	v_add_f32_e32 v14, v17, v16
	s_delay_alu instid0(VALU_DEP_1) | instskip(NEXT) | instid1(VALU_DEP_1)
	v_dual_sub_f32 v24, v26, v13 :: v_dual_sub_f32 v23, v13, v14
	v_add_f32_e32 v11, v11, v24
	s_delay_alu instid0(VALU_DEP_2) | instskip(NEXT) | instid1(VALU_DEP_1)
	v_sub_f32_e32 v13, v13, v23
	v_sub_f32_e32 v13, v13, v14
	s_delay_alu instid0(VALU_DEP_1) | instskip(SKIP_2) | instid1(VALU_DEP_1)
	v_add_f32_e32 v11, v11, v13
	v_add_f32_e32 v13, v18, v15
	v_sub_f32_e32 v17, v14, v17
	v_sub_f32_e32 v14, v17, v16
	s_delay_alu instid0(VALU_DEP_1) | instskip(NEXT) | instid1(VALU_DEP_1)
	v_dual_add_f32 v11, v14, v11 :: v_dual_sub_f32 v14, v13, v18
	v_add_f32_e32 v11, v23, v11
	s_delay_alu instid0(VALU_DEP_1) | instskip(NEXT) | instid1(VALU_DEP_1)
	v_dual_sub_f32 v14, v15, v14 :: v_dual_mul_f32 v11, v12, v11
	v_add_f32_e32 v11, v14, v11
	s_delay_alu instid0(VALU_DEP_1) | instskip(NEXT) | instid1(VALU_DEP_1)
	v_add_f32_e32 v12, v13, v11
	v_mul_f32_e32 v14, v12, v12
	s_wait_alu 0xfffe
	s_delay_alu instid0(VALU_DEP_1) | instskip(SKIP_1) | instid1(VALU_DEP_2)
	v_fmaak_f32 v15, s1, v14, 0x3ecc95a3
	v_mul_f32_e32 v16, v12, v14
	v_fmaak_f32 v14, v14, v15, 0x3f2aaada
	v_ldexp_f32 v15, v12, 1
	s_delay_alu instid0(VALU_DEP_2) | instskip(SKIP_2) | instid1(VALU_DEP_3)
	v_mul_f32_e32 v14, v16, v14
	v_sub_f32_e32 v12, v12, v13
	v_mul_f32_e32 v16, 0x3f317218, v10
	v_add_f32_e32 v13, v15, v14
	s_delay_alu instid0(VALU_DEP_1) | instskip(NEXT) | instid1(VALU_DEP_3)
	v_dual_sub_f32 v11, v11, v12 :: v_dual_sub_f32 v12, v13, v15
	v_fma_f32 v15, 0x3f317218, v10, -v16
	s_delay_alu instid0(VALU_DEP_2) | instskip(NEXT) | instid1(VALU_DEP_3)
	v_ldexp_f32 v11, v11, 1
	v_sub_f32_e32 v12, v14, v12
	s_delay_alu instid0(VALU_DEP_1) | instskip(NEXT) | instid1(VALU_DEP_1)
	v_dual_fmamk_f32 v10, v10, 0xb102e308, v15 :: v_dual_add_f32 v11, v11, v12
	v_add_f32_e32 v12, v16, v10
	s_delay_alu instid0(VALU_DEP_2) | instskip(NEXT) | instid1(VALU_DEP_2)
	v_add_f32_e32 v14, v13, v11
	v_sub_f32_e32 v16, v12, v16
	s_delay_alu instid0(VALU_DEP_1) | instskip(NEXT) | instid1(VALU_DEP_1)
	v_dual_add_f32 v15, v12, v14 :: v_dual_sub_f32 v10, v10, v16
	v_sub_f32_e32 v17, v15, v12
	v_sub_f32_e32 v13, v14, v13
	s_delay_alu instid0(VALU_DEP_2) | instskip(NEXT) | instid1(VALU_DEP_1)
	v_sub_f32_e32 v18, v15, v17
	v_dual_sub_f32 v12, v12, v18 :: v_dual_sub_f32 v11, v11, v13
	v_sub_f32_e32 v13, v14, v17
	s_delay_alu instid0(VALU_DEP_1) | instskip(NEXT) | instid1(VALU_DEP_3)
	v_add_f32_e32 v12, v13, v12
	v_add_f32_e32 v14, v10, v11
	s_delay_alu instid0(VALU_DEP_1) | instskip(NEXT) | instid1(VALU_DEP_1)
	v_sub_f32_e32 v13, v14, v10
	v_dual_sub_f32 v11, v11, v13 :: v_dual_add_f32 v12, v14, v12
	v_sub_f32_e32 v14, v14, v13
	s_delay_alu instid0(VALU_DEP_2) | instskip(NEXT) | instid1(VALU_DEP_1)
	v_add_f32_e32 v16, v15, v12
	v_dual_sub_f32 v13, v16, v15 :: v_dual_sub_f32 v10, v10, v14
	s_delay_alu instid0(VALU_DEP_1) | instskip(NEXT) | instid1(VALU_DEP_1)
	v_dual_add_f32 v10, v11, v10 :: v_dual_sub_f32 v11, v12, v13
	v_add_f32_e32 v10, v10, v11
	s_delay_alu instid0(VALU_DEP_1) | instskip(SKIP_1) | instid1(VALU_DEP_1)
	v_add_f32_e32 v10, v16, v10
	s_wait_alu 0xfffd
	v_cndmask_b32_e32 v10, 0x7f800000, v10, vcc_lo
	v_cmp_gt_f32_e64 vcc_lo, 0x33800000, |v6|
	s_wait_alu 0xfffd
	s_delay_alu instid0(VALU_DEP_2) | instskip(NEXT) | instid1(VALU_DEP_1)
	v_cndmask_b32_e32 v6, v10, v6, vcc_lo
	v_add_f32_e32 v6, v1, v6
.LBB443_300:
	s_wait_alu 0xfffe
	s_or_b32 exec_lo, exec_lo, s0
	s_delay_alu instid0(VALU_DEP_1) | instskip(SKIP_1) | instid1(VALU_DEP_2)
	v_bfe_u32 v1, v6, 16, 1
	v_cmp_o_f32_e32 vcc_lo, v6, v6
	v_add3_u32 v1, v6, v1, 0x7fff
	s_delay_alu instid0(VALU_DEP_1) | instskip(SKIP_1) | instid1(VALU_DEP_1)
	v_lshrrev_b32_e32 v1, 16, v1
	s_wait_alu 0xfffd
	v_cndmask_b32_e32 v23, 0x7fc0, v1, vcc_lo
	s_delay_alu instid0(VALU_DEP_1) | instskip(NEXT) | instid1(VALU_DEP_1)
	v_lshlrev_b32_e32 v6, 16, v23
	v_max_num_f32_e32 v1, v6, v6
	s_delay_alu instid0(VALU_DEP_1) | instskip(SKIP_3) | instid1(VALU_DEP_3)
	v_min_num_f32_e32 v10, v1, v25
	v_max_num_f32_e32 v1, v1, v25
	v_cmp_u_f32_e32 vcc_lo, v6, v6
	s_wait_alu 0xfffd
	v_cndmask_b32_e32 v10, v10, v6, vcc_lo
	s_delay_alu instid0(VALU_DEP_3) | instskip(NEXT) | instid1(VALU_DEP_2)
	v_cndmask_b32_e32 v1, v1, v6, vcc_lo
	v_cndmask_b32_e64 v10, v10, v9, s10
	s_delay_alu instid0(VALU_DEP_2) | instskip(NEXT) | instid1(VALU_DEP_2)
	v_cndmask_b32_e64 v1, v1, v9, s10
	v_cmp_class_f32_e64 s0, v10, 0x1f8
	s_delay_alu instid0(VALU_DEP_2)
	v_cmp_neq_f32_e32 vcc_lo, v10, v1
	s_or_b32 s1, vcc_lo, s0
	s_wait_alu 0xfffe
	s_and_saveexec_b32 s0, s1
	s_cbranch_execz .LBB443_302
; %bb.301:
	v_sub_f32_e32 v6, v10, v1
	s_mov_b32 s1, 0x3e9b6dac
	s_delay_alu instid0(VALU_DEP_1) | instskip(NEXT) | instid1(VALU_DEP_1)
	v_mul_f32_e32 v9, 0x3fb8aa3b, v6
	v_fma_f32 v10, 0x3fb8aa3b, v6, -v9
	v_rndne_f32_e32 v11, v9
	s_delay_alu instid0(VALU_DEP_1) | instskip(SKIP_1) | instid1(VALU_DEP_4)
	v_sub_f32_e32 v9, v9, v11
	v_cmp_ngt_f32_e32 vcc_lo, 0xc2ce8ed0, v6
	v_fmamk_f32 v10, v6, 0x32a5705f, v10
	s_delay_alu instid0(VALU_DEP_1) | instskip(SKIP_1) | instid1(VALU_DEP_2)
	v_add_f32_e32 v9, v9, v10
	v_cvt_i32_f32_e32 v10, v11
	v_exp_f32_e32 v9, v9
	s_delay_alu instid0(TRANS32_DEP_1) | instskip(SKIP_1) | instid1(VALU_DEP_1)
	v_ldexp_f32 v9, v9, v10
	s_wait_alu 0xfffd
	v_cndmask_b32_e32 v9, 0, v9, vcc_lo
	v_cmp_nlt_f32_e32 vcc_lo, 0x42b17218, v6
	s_wait_alu 0xfffd
	s_delay_alu instid0(VALU_DEP_2) | instskip(NEXT) | instid1(VALU_DEP_1)
	v_cndmask_b32_e32 v6, 0x7f800000, v9, vcc_lo
	v_add_f32_e32 v11, 1.0, v6
	s_delay_alu instid0(VALU_DEP_1) | instskip(NEXT) | instid1(VALU_DEP_1)
	v_cvt_f64_f32_e32 v[9:10], v11
	v_frexp_exp_i32_f64_e32 v9, v[9:10]
	v_frexp_mant_f32_e32 v10, v11
	s_delay_alu instid0(VALU_DEP_1) | instskip(SKIP_1) | instid1(VALU_DEP_1)
	v_cmp_gt_f32_e32 vcc_lo, 0x3f2aaaab, v10
	v_add_f32_e32 v10, -1.0, v11
	v_sub_f32_e32 v13, v10, v11
	s_delay_alu instid0(VALU_DEP_1) | instskip(NEXT) | instid1(VALU_DEP_1)
	v_dual_sub_f32 v10, v6, v10 :: v_dual_add_f32 v13, 1.0, v13
	v_add_f32_e32 v10, v10, v13
	s_wait_alu 0xfffd
	v_subrev_co_ci_u32_e64 v9, null, 0, v9, vcc_lo
	v_cmp_neq_f32_e32 vcc_lo, 0x7f800000, v6
	s_delay_alu instid0(VALU_DEP_2) | instskip(SKIP_1) | instid1(VALU_DEP_2)
	v_sub_nc_u32_e32 v12, 0, v9
	v_cvt_f32_i32_e32 v9, v9
	v_ldexp_f32 v11, v11, v12
	v_ldexp_f32 v10, v10, v12
	s_delay_alu instid0(VALU_DEP_2) | instskip(NEXT) | instid1(VALU_DEP_1)
	v_add_f32_e32 v14, 1.0, v11
	v_dual_add_f32 v12, -1.0, v11 :: v_dual_add_f32 v13, -1.0, v14
	s_delay_alu instid0(VALU_DEP_1) | instskip(NEXT) | instid1(VALU_DEP_2)
	v_add_f32_e32 v15, 1.0, v12
	v_sub_f32_e32 v13, v11, v13
	s_delay_alu instid0(VALU_DEP_2) | instskip(NEXT) | instid1(VALU_DEP_2)
	v_sub_f32_e32 v11, v11, v15
	v_add_f32_e32 v13, v10, v13
	s_delay_alu instid0(VALU_DEP_2) | instskip(NEXT) | instid1(VALU_DEP_1)
	v_add_f32_e32 v10, v10, v11
	v_add_f32_e32 v16, v12, v10
	s_delay_alu instid0(VALU_DEP_1) | instskip(NEXT) | instid1(VALU_DEP_1)
	v_dual_sub_f32 v12, v12, v16 :: v_dual_add_f32 v15, v14, v13
	v_add_f32_e32 v10, v10, v12
	s_delay_alu instid0(VALU_DEP_2) | instskip(SKIP_1) | instid1(VALU_DEP_1)
	v_rcp_f32_e32 v11, v15
	v_sub_f32_e32 v14, v14, v15
	v_add_f32_e32 v13, v13, v14
	s_delay_alu instid0(TRANS32_DEP_1) | instskip(NEXT) | instid1(VALU_DEP_1)
	v_mul_f32_e32 v17, v16, v11
	v_mul_f32_e32 v18, v15, v17
	s_delay_alu instid0(VALU_DEP_1) | instskip(NEXT) | instid1(VALU_DEP_1)
	v_fma_f32 v14, v17, v15, -v18
	v_fmac_f32_e32 v14, v17, v13
	s_delay_alu instid0(VALU_DEP_1) | instskip(NEXT) | instid1(VALU_DEP_1)
	v_add_f32_e32 v24, v18, v14
	v_sub_f32_e32 v25, v16, v24
	v_sub_f32_e32 v12, v24, v18
	s_delay_alu instid0(VALU_DEP_2) | instskip(NEXT) | instid1(VALU_DEP_2)
	v_sub_f32_e32 v16, v16, v25
	v_sub_f32_e32 v12, v12, v14
	s_delay_alu instid0(VALU_DEP_2) | instskip(NEXT) | instid1(VALU_DEP_1)
	v_sub_f32_e32 v16, v16, v24
	v_add_f32_e32 v10, v10, v16
	s_delay_alu instid0(VALU_DEP_1) | instskip(NEXT) | instid1(VALU_DEP_1)
	v_add_f32_e32 v10, v12, v10
	v_add_f32_e32 v12, v25, v10
	s_delay_alu instid0(VALU_DEP_1) | instskip(SKIP_1) | instid1(VALU_DEP_2)
	v_mul_f32_e32 v14, v11, v12
	v_sub_f32_e32 v24, v25, v12
	v_mul_f32_e32 v16, v15, v14
	s_delay_alu instid0(VALU_DEP_2) | instskip(NEXT) | instid1(VALU_DEP_2)
	v_add_f32_e32 v10, v10, v24
	v_fma_f32 v15, v14, v15, -v16
	s_delay_alu instid0(VALU_DEP_1) | instskip(NEXT) | instid1(VALU_DEP_1)
	v_fmac_f32_e32 v15, v14, v13
	v_add_f32_e32 v13, v16, v15
	s_delay_alu instid0(VALU_DEP_1) | instskip(SKIP_1) | instid1(VALU_DEP_2)
	v_sub_f32_e32 v18, v12, v13
	v_sub_f32_e32 v16, v13, v16
	;; [unrolled: 1-line block ×3, first 2 shown]
	s_delay_alu instid0(VALU_DEP_1) | instskip(NEXT) | instid1(VALU_DEP_1)
	v_sub_f32_e32 v12, v12, v13
	v_dual_sub_f32 v13, v16, v15 :: v_dual_add_f32 v10, v10, v12
	v_add_f32_e32 v12, v17, v14
	s_delay_alu instid0(VALU_DEP_1) | instskip(NEXT) | instid1(VALU_DEP_1)
	v_dual_add_f32 v10, v13, v10 :: v_dual_sub_f32 v13, v12, v17
	v_add_f32_e32 v10, v18, v10
	s_delay_alu instid0(VALU_DEP_1) | instskip(NEXT) | instid1(VALU_DEP_1)
	v_dual_sub_f32 v13, v14, v13 :: v_dual_mul_f32 v10, v11, v10
	v_add_f32_e32 v10, v13, v10
	s_delay_alu instid0(VALU_DEP_1) | instskip(NEXT) | instid1(VALU_DEP_1)
	v_add_f32_e32 v11, v12, v10
	v_mul_f32_e32 v13, v11, v11
	s_wait_alu 0xfffe
	s_delay_alu instid0(VALU_DEP_1) | instskip(SKIP_1) | instid1(VALU_DEP_2)
	v_fmaak_f32 v14, s1, v13, 0x3ecc95a3
	v_mul_f32_e32 v15, v11, v13
	v_fmaak_f32 v13, v13, v14, 0x3f2aaada
	v_ldexp_f32 v14, v11, 1
	v_sub_f32_e32 v11, v11, v12
	s_delay_alu instid0(VALU_DEP_3) | instskip(NEXT) | instid1(VALU_DEP_2)
	v_mul_f32_e32 v13, v15, v13
	v_dual_mul_f32 v15, 0x3f317218, v9 :: v_dual_sub_f32 v10, v10, v11
	s_delay_alu instid0(VALU_DEP_2) | instskip(NEXT) | instid1(VALU_DEP_2)
	v_add_f32_e32 v12, v14, v13
	v_ldexp_f32 v10, v10, 1
	s_delay_alu instid0(VALU_DEP_2) | instskip(NEXT) | instid1(VALU_DEP_4)
	v_sub_f32_e32 v11, v12, v14
	v_fma_f32 v14, 0x3f317218, v9, -v15
	s_delay_alu instid0(VALU_DEP_2) | instskip(NEXT) | instid1(VALU_DEP_1)
	v_sub_f32_e32 v11, v13, v11
	v_dual_fmamk_f32 v9, v9, 0xb102e308, v14 :: v_dual_add_f32 v10, v10, v11
	s_delay_alu instid0(VALU_DEP_1) | instskip(NEXT) | instid1(VALU_DEP_2)
	v_add_f32_e32 v11, v15, v9
	v_add_f32_e32 v13, v12, v10
	s_delay_alu instid0(VALU_DEP_2) | instskip(NEXT) | instid1(VALU_DEP_2)
	v_sub_f32_e32 v15, v11, v15
	v_add_f32_e32 v14, v11, v13
	v_sub_f32_e32 v12, v13, v12
	s_delay_alu instid0(VALU_DEP_3) | instskip(NEXT) | instid1(VALU_DEP_3)
	v_sub_f32_e32 v9, v9, v15
	v_sub_f32_e32 v16, v14, v11
	s_delay_alu instid0(VALU_DEP_3) | instskip(NEXT) | instid1(VALU_DEP_2)
	v_sub_f32_e32 v10, v10, v12
	v_sub_f32_e32 v17, v14, v16
	;; [unrolled: 1-line block ×3, first 2 shown]
	s_delay_alu instid0(VALU_DEP_3) | instskip(NEXT) | instid1(VALU_DEP_3)
	v_add_f32_e32 v13, v9, v10
	v_sub_f32_e32 v11, v11, v17
	s_delay_alu instid0(VALU_DEP_1) | instskip(NEXT) | instid1(VALU_DEP_1)
	v_dual_add_f32 v11, v12, v11 :: v_dual_sub_f32 v12, v13, v9
	v_add_f32_e32 v11, v13, v11
	s_delay_alu instid0(VALU_DEP_2) | instskip(SKIP_1) | instid1(VALU_DEP_3)
	v_sub_f32_e32 v13, v13, v12
	v_sub_f32_e32 v10, v10, v12
	v_add_f32_e32 v15, v14, v11
	s_delay_alu instid0(VALU_DEP_1) | instskip(NEXT) | instid1(VALU_DEP_1)
	v_dual_sub_f32 v9, v9, v13 :: v_dual_sub_f32 v12, v15, v14
	v_dual_add_f32 v9, v10, v9 :: v_dual_sub_f32 v10, v11, v12
	s_delay_alu instid0(VALU_DEP_1) | instskip(NEXT) | instid1(VALU_DEP_1)
	v_add_f32_e32 v9, v9, v10
	v_add_f32_e32 v9, v15, v9
	s_wait_alu 0xfffd
	s_delay_alu instid0(VALU_DEP_1) | instskip(SKIP_2) | instid1(VALU_DEP_2)
	v_cndmask_b32_e32 v9, 0x7f800000, v9, vcc_lo
	v_cmp_gt_f32_e64 vcc_lo, 0x33800000, |v6|
	s_wait_alu 0xfffd
	v_cndmask_b32_e32 v6, v9, v6, vcc_lo
	s_delay_alu instid0(VALU_DEP_1)
	v_add_f32_e32 v6, v1, v6
.LBB443_302:
	s_wait_alu 0xfffe
	s_or_b32 exec_lo, exec_lo, s0
	s_delay_alu instid0(VALU_DEP_1) | instskip(SKIP_2) | instid1(VALU_DEP_2)
	v_bfe_u32 v1, v6, 16, 1
	v_cmp_o_f32_e32 vcc_lo, v6, v6
	s_mov_b32 s0, exec_lo
	v_add3_u32 v1, v6, v1, 0x7fff
	s_delay_alu instid0(VALU_DEP_1) | instskip(SKIP_1) | instid1(VALU_DEP_1)
	v_lshrrev_b32_e32 v1, 16, v1
	s_wait_alu 0xfffd
	v_cndmask_b32_e32 v24, 0x7fc0, v1, vcc_lo
	v_cmpx_eq_u32_e32 0xff, v0
	s_cbranch_execz .LBB443_304
; %bb.303:
	s_delay_alu instid0(VALU_DEP_2) | instskip(NEXT) | instid1(VALU_DEP_1)
	v_dual_mov_b32 v6, 0 :: v_dual_and_b32 v1, 0xffff, v24
	v_or_b32_e32 v1, 0x20000, v1
	global_store_b32 v6, v1, s[38:39] offset:128 scope:SCOPE_DEV
.LBB443_304:
	s_wait_alu 0xfffe
	s_or_b32 exec_lo, exec_lo, s0
.LBB443_305:
	v_perm_b32 v2, v20, v2, 0x5040100
	v_perm_b32 v1, v27, v4, 0x5040100
	;; [unrolled: 1-line block ×6, first 2 shown]
	s_add_nc_u64 s[0:1], s[20:21], s[34:35]
	s_and_b32 vcc_lo, exec_lo, s17
	s_wait_alu 0xfffe
	s_add_nc_u64 s[0:1], s[0:1], s[36:37]
	s_mov_b32 s2, -1
	s_wait_loadcnt 0x0
	s_wait_storecnt 0x0
	s_barrier_signal -1
	s_barrier_wait -1
	global_inv scope:SCOPE_SE
	s_cbranch_vccz .LBB443_307
; %bb.306:
	ds_store_2addr_b64 v8, v[5:6], v[1:2] offset1:1
	ds_store_b64 v8, v[3:4] offset:16
	s_wait_loadcnt_dscnt 0x0
	s_barrier_signal -1
	s_barrier_wait -1
	global_inv scope:SCOPE_SE
	ds_load_u16 v9, v7
	ds_load_u16 v10, v7 offset:512
	ds_load_u16 v11, v7 offset:1024
	;; [unrolled: 1-line block ×11, first 2 shown]
	s_mov_b32 s2, 0
	s_wait_dscnt 0xb
	global_store_b16 v7, v9, s[0:1]
	s_wait_dscnt 0xa
	global_store_b16 v7, v10, s[0:1] offset:512
	s_wait_dscnt 0x9
	global_store_b16 v7, v11, s[0:1] offset:1024
	;; [unrolled: 2-line block ×11, first 2 shown]
.LBB443_307:
	s_wait_alu 0xfffe
	s_and_not1_b32 vcc_lo, exec_lo, s2
	s_wait_alu 0xfffe
	s_cbranch_vccnz .LBB443_375
; %bb.308:
	ds_store_2addr_b64 v8, v[5:6], v[1:2] offset1:1
	ds_store_b64 v8, v[3:4] offset:16
	s_wait_storecnt 0x0
	s_wait_loadcnt_dscnt 0x0
	s_barrier_signal -1
	s_barrier_wait -1
	global_inv scope:SCOPE_SE
	ds_load_u16 v5, v7
	ds_load_u16 v4, v7 offset:512
	ds_load_u16 v6, v7 offset:1024
	;; [unrolled: 1-line block ×11, first 2 shown]
	v_add_co_u32 v2, s0, s0, v7
	v_mov_b32_e32 v1, 0
	s_wait_alu 0xf1ff
	v_add_co_ci_u32_e64 v3, null, s1, 0, s0
	s_mov_b32 s0, exec_lo
	v_cmpx_gt_u32_e64 s18, v0
	s_cbranch_execz .LBB443_310
; %bb.309:
	s_wait_dscnt 0xb
	global_store_b16 v[2:3], v5, off
.LBB443_310:
	s_wait_alu 0xfffe
	s_or_b32 exec_lo, exec_lo, s0
	v_or_b32_e32 v7, 0x100, v0
	s_mov_b32 s0, exec_lo
	s_delay_alu instid0(VALU_DEP_1)
	v_cmpx_gt_u32_e64 s18, v7
	s_cbranch_execz .LBB443_312
; %bb.311:
	s_wait_dscnt 0xa
	global_store_b16 v[2:3], v4, off offset:512
.LBB443_312:
	s_wait_alu 0xfffe
	s_or_b32 exec_lo, exec_lo, s0
	v_or_b32_e32 v7, 0x200, v0
	s_mov_b32 s0, exec_lo
	s_delay_alu instid0(VALU_DEP_1)
	v_cmpx_gt_u32_e64 s18, v7
	s_cbranch_execz .LBB443_314
; %bb.313:
	s_wait_dscnt 0x9
	global_store_b16 v[2:3], v6, off offset:1024
.LBB443_314:
	;; [unrolled: 11-line block ×11, first 2 shown]
	s_wait_alu 0xfffe
	s_or_b32 exec_lo, exec_lo, s0
	s_wait_kmcnt 0x0
	v_cmp_lt_u64_e64 s0, s[30:31], 2
	s_and_b32 vcc_lo, exec_lo, s0
	s_wait_alu 0xfffe
	s_cbranch_vccnz .LBB443_375
; %bb.333:
	s_add_nc_u64 s[0:1], s[18:19], -1
	s_mov_b32 s3, 0
	s_mov_b64 s[4:5], 0xaaaaaaab
	s_wait_alu 0xfffe
	s_mov_b32 s6, s0
	s_mov_b32 s7, s3
	;; [unrolled: 1-line block ×3, first 2 shown]
	s_wait_alu 0xfffe
	s_mul_u64 s[8:9], s[6:7], s[4:5]
	s_mul_u64 s[4:5], s[2:3], s[4:5]
	s_wait_alu 0xfffe
	s_mov_b32 s8, s9
	s_mov_b32 s9, s3
	s_mov_b64 s[10:11], 0xaaaaaaaa
	s_wait_alu 0xfffe
	s_add_nc_u64 s[4:5], s[4:5], s[8:9]
	s_mul_u64 s[6:7], s[6:7], s[10:11]
	s_wait_alu 0xfffe
	s_mov_b32 s8, s5
	s_mov_b32 s5, s3
	s_wait_alu 0xfffe
	s_add_nc_u64 s[4:5], s[6:7], s[4:5]
	s_mul_u64 s[6:7], s[2:3], s[10:11]
	s_wait_alu 0xfffe
	s_mov_b32 s4, s5
	s_mov_b32 s5, s3
	s_wait_alu 0xfffe
	s_add_nc_u64 s[2:3], s[8:9], s[4:5]
	s_wait_alu 0xfffe
	s_add_nc_u64 s[2:3], s[6:7], s[2:3]
	s_wait_alu 0xfffe
	s_lshr_b64 s[2:3], s[2:3], 3
	s_wait_alu 0xfffe
	v_cmp_eq_u64_e32 vcc_lo, s[2:3], v[0:1]
	s_and_saveexec_b32 s2, vcc_lo
	s_cbranch_execz .LBB443_375
; %bb.334:
	v_mul_u32_u24_e32 v1, 12, v0
	v_mul_hi_u32_u24_e32 v2, 12, v0
	s_delay_alu instid0(VALU_DEP_2) | instskip(SKIP_1) | instid1(VALU_DEP_2)
	v_sub_co_u32 v0, vcc_lo, s0, v1
	s_wait_alu 0xfffd
	v_sub_co_ci_u32_e64 v1, null, s1, v2, vcc_lo
	s_mov_b32 s0, exec_lo
	v_cmpx_lt_i64_e32 5, v[0:1]
	s_wait_alu 0xfffe
	s_xor_b32 s0, exec_lo, s0
	s_cbranch_execz .LBB443_356
; %bb.335:
	s_mov_b32 s1, exec_lo
	v_cmpx_lt_i64_e32 8, v[0:1]
	s_wait_alu 0xfffe
	s_xor_b32 s1, exec_lo, s1
	s_cbranch_execz .LBB443_345
; %bb.336:
	s_mov_b32 s2, exec_lo
	v_cmpx_lt_i64_e32 9, v[0:1]
	s_wait_alu 0xfffe
	s_xor_b32 s2, exec_lo, s2
	s_cbranch_execz .LBB443_342
; %bb.337:
	s_mov_b32 s3, exec_lo
	v_cmpx_lt_i64_e32 10, v[0:1]
	s_wait_alu 0xfffe
	s_xor_b32 s3, exec_lo, s3
	s_cbranch_execz .LBB443_339
; %bb.338:
	v_mov_b32_e32 v0, 0
                                        ; implicit-def: $vgpr14
	s_wait_dscnt 0x0
	global_store_b16 v0, v16, s[26:27]
.LBB443_339:
	s_wait_alu 0xfffe
	s_and_not1_saveexec_b32 s3, s3
	s_cbranch_execz .LBB443_341
; %bb.340:
	v_mov_b32_e32 v0, 0
	s_wait_dscnt 0x1
	global_store_b16 v0, v14, s[26:27]
.LBB443_341:
	s_wait_alu 0xfffe
	s_or_b32 exec_lo, exec_lo, s3
                                        ; implicit-def: $vgpr15
.LBB443_342:
	s_wait_alu 0xfffe
	s_and_not1_saveexec_b32 s2, s2
	s_cbranch_execz .LBB443_344
; %bb.343:
	v_mov_b32_e32 v0, 0
	s_wait_dscnt 0x2
	global_store_b16 v0, v15, s[26:27]
.LBB443_344:
	s_wait_alu 0xfffe
	s_or_b32 exec_lo, exec_lo, s2
                                        ; implicit-def: $vgpr12
                                        ; implicit-def: $vgpr0_vgpr1
                                        ; implicit-def: $vgpr10
                                        ; implicit-def: $vgpr13
.LBB443_345:
	s_wait_alu 0xfffe
	s_and_not1_saveexec_b32 s1, s1
	s_cbranch_execz .LBB443_355
; %bb.346:
	s_mov_b32 s2, exec_lo
	v_cmpx_lt_i64_e32 6, v[0:1]
	s_wait_alu 0xfffe
	s_xor_b32 s2, exec_lo, s2
	s_cbranch_execz .LBB443_352
; %bb.347:
	s_mov_b32 s3, exec_lo
	v_cmpx_lt_i64_e32 7, v[0:1]
	s_wait_alu 0xfffe
	s_xor_b32 s3, exec_lo, s3
	s_cbranch_execz .LBB443_349
; %bb.348:
	v_mov_b32_e32 v0, 0
                                        ; implicit-def: $vgpr10
	s_wait_dscnt 0x3
	global_store_b16 v0, v13, s[26:27]
.LBB443_349:
	s_wait_alu 0xfffe
	s_and_not1_saveexec_b32 s3, s3
	s_cbranch_execz .LBB443_351
; %bb.350:
	v_mov_b32_e32 v0, 0
	s_wait_dscnt 0x4
	global_store_b16 v0, v10, s[26:27]
.LBB443_351:
	s_wait_alu 0xfffe
	s_or_b32 exec_lo, exec_lo, s3
                                        ; implicit-def: $vgpr12
.LBB443_352:
	s_wait_alu 0xfffe
	s_and_not1_saveexec_b32 s2, s2
	s_cbranch_execz .LBB443_354
; %bb.353:
	v_mov_b32_e32 v0, 0
	s_wait_dscnt 0x5
	global_store_b16 v0, v12, s[26:27]
.LBB443_354:
	s_wait_alu 0xfffe
	s_or_b32 exec_lo, exec_lo, s2
.LBB443_355:
	s_wait_alu 0xfffe
	s_or_b32 exec_lo, exec_lo, s1
                                        ; implicit-def: $vgpr0_vgpr1
                                        ; implicit-def: $vgpr9
                                        ; implicit-def: $vgpr6
                                        ; implicit-def: $vgpr4
                                        ; implicit-def: $vgpr5
                                        ; implicit-def: $vgpr8
                                        ; implicit-def: $vgpr11
.LBB443_356:
	s_wait_alu 0xfffe
	s_and_not1_saveexec_b32 s0, s0
	s_cbranch_execz .LBB443_375
; %bb.357:
	s_mov_b32 s0, exec_lo
	v_cmpx_lt_i64_e32 2, v[0:1]
	s_wait_alu 0xfffe
	s_xor_b32 s0, exec_lo, s0
	s_cbranch_execz .LBB443_367
; %bb.358:
	s_mov_b32 s1, exec_lo
	v_cmpx_lt_i64_e32 3, v[0:1]
	s_wait_alu 0xfffe
	s_xor_b32 s1, exec_lo, s1
	s_cbranch_execz .LBB443_364
; %bb.359:
	s_mov_b32 s2, exec_lo
	v_cmpx_lt_i64_e32 4, v[0:1]
	s_wait_alu 0xfffe
	s_xor_b32 s2, exec_lo, s2
	s_cbranch_execz .LBB443_361
; %bb.360:
	v_mov_b32_e32 v0, 0
                                        ; implicit-def: $vgpr8
	s_wait_dscnt 0x6
	global_store_b16 v0, v11, s[26:27]
.LBB443_361:
	s_wait_alu 0xfffe
	s_and_not1_saveexec_b32 s2, s2
	s_cbranch_execz .LBB443_363
; %bb.362:
	v_mov_b32_e32 v0, 0
	s_wait_dscnt 0x7
	global_store_b16 v0, v8, s[26:27]
.LBB443_363:
	s_wait_alu 0xfffe
	s_or_b32 exec_lo, exec_lo, s2
                                        ; implicit-def: $vgpr9
.LBB443_364:
	s_wait_alu 0xfffe
	s_and_not1_saveexec_b32 s1, s1
	s_cbranch_execz .LBB443_366
; %bb.365:
	v_mov_b32_e32 v0, 0
	s_wait_dscnt 0x8
	global_store_b16 v0, v9, s[26:27]
.LBB443_366:
	s_wait_alu 0xfffe
	s_or_b32 exec_lo, exec_lo, s1
                                        ; implicit-def: $vgpr0_vgpr1
                                        ; implicit-def: $vgpr6
                                        ; implicit-def: $vgpr4
                                        ; implicit-def: $vgpr5
.LBB443_367:
	s_wait_alu 0xfffe
	s_and_not1_saveexec_b32 s0, s0
	s_cbranch_execz .LBB443_375
; %bb.368:
	s_mov_b32 s0, exec_lo
	v_cmpx_lt_i64_e32 1, v[0:1]
	s_wait_alu 0xfffe
	s_xor_b32 s0, exec_lo, s0
	s_cbranch_execz .LBB443_370
; %bb.369:
	v_mov_b32_e32 v0, 0
                                        ; implicit-def: $vgpr4
                                        ; implicit-def: $vgpr5
	s_wait_dscnt 0x9
	global_store_b16 v0, v6, s[26:27]
                                        ; implicit-def: $vgpr0_vgpr1
.LBB443_370:
	s_wait_alu 0xfffe
	s_and_not1_saveexec_b32 s0, s0
	s_cbranch_execz .LBB443_375
; %bb.371:
	s_mov_b32 s0, exec_lo
	v_cmpx_ne_u64_e32 1, v[0:1]
	s_wait_alu 0xfffe
	s_xor_b32 s0, exec_lo, s0
	s_cbranch_execz .LBB443_373
; %bb.372:
	v_mov_b32_e32 v0, 0
                                        ; implicit-def: $vgpr4
	s_wait_dscnt 0xb
	global_store_b16 v0, v5, s[26:27]
.LBB443_373:
	s_wait_alu 0xfffe
	s_and_not1_saveexec_b32 s0, s0
	s_cbranch_execz .LBB443_375
; %bb.374:
	v_mov_b32_e32 v0, 0
	s_wait_dscnt 0xa
	global_store_b16 v0, v4, s[26:27]
.LBB443_375:
	s_endpgm
	.section	.rodata,"a",@progbits
	.p2align	6, 0x0
	.amdhsa_kernel _ZN7rocprim17ROCPRIM_400000_NS6detail17trampoline_kernelINS0_14default_configENS1_20scan_config_selectorIN3c108BFloat16EEEZZNS1_9scan_implILNS1_25lookback_scan_determinismE0ELb0ELb0ES3_PKS6_PS6_S6_ZZZN2at6native31launch_logcumsumexp_cuda_kernelERKNSD_10TensorBaseESH_lENKUlvE_clEvENKUlvE4_clEvEUlS6_S6_E_S6_EEDaPvRmT3_T4_T5_mT6_P12ihipStream_tbENKUlT_T0_E_clISt17integral_constantIbLb0EESY_EEDaST_SU_EUlST_E_NS1_11comp_targetILNS1_3genE10ELNS1_11target_archE1201ELNS1_3gpuE5ELNS1_3repE0EEENS1_30default_config_static_selectorELNS0_4arch9wavefront6targetE0EEEvT1_
		.amdhsa_group_segment_fixed_size 6144
		.amdhsa_private_segment_fixed_size 0
		.amdhsa_kernarg_size 96
		.amdhsa_user_sgpr_count 2
		.amdhsa_user_sgpr_dispatch_ptr 0
		.amdhsa_user_sgpr_queue_ptr 0
		.amdhsa_user_sgpr_kernarg_segment_ptr 1
		.amdhsa_user_sgpr_dispatch_id 0
		.amdhsa_user_sgpr_private_segment_size 0
		.amdhsa_wavefront_size32 1
		.amdhsa_uses_dynamic_stack 0
		.amdhsa_enable_private_segment 0
		.amdhsa_system_sgpr_workgroup_id_x 1
		.amdhsa_system_sgpr_workgroup_id_y 0
		.amdhsa_system_sgpr_workgroup_id_z 0
		.amdhsa_system_sgpr_workgroup_info 0
		.amdhsa_system_vgpr_workitem_id 0
		.amdhsa_next_free_vgpr 70
		.amdhsa_next_free_sgpr 40
		.amdhsa_reserve_vcc 1
		.amdhsa_float_round_mode_32 0
		.amdhsa_float_round_mode_16_64 0
		.amdhsa_float_denorm_mode_32 3
		.amdhsa_float_denorm_mode_16_64 3
		.amdhsa_fp16_overflow 0
		.amdhsa_workgroup_processor_mode 1
		.amdhsa_memory_ordered 1
		.amdhsa_forward_progress 1
		.amdhsa_inst_pref_size 255
		.amdhsa_round_robin_scheduling 0
		.amdhsa_exception_fp_ieee_invalid_op 0
		.amdhsa_exception_fp_denorm_src 0
		.amdhsa_exception_fp_ieee_div_zero 0
		.amdhsa_exception_fp_ieee_overflow 0
		.amdhsa_exception_fp_ieee_underflow 0
		.amdhsa_exception_fp_ieee_inexact 0
		.amdhsa_exception_int_div_zero 0
	.end_amdhsa_kernel
	.section	.text._ZN7rocprim17ROCPRIM_400000_NS6detail17trampoline_kernelINS0_14default_configENS1_20scan_config_selectorIN3c108BFloat16EEEZZNS1_9scan_implILNS1_25lookback_scan_determinismE0ELb0ELb0ES3_PKS6_PS6_S6_ZZZN2at6native31launch_logcumsumexp_cuda_kernelERKNSD_10TensorBaseESH_lENKUlvE_clEvENKUlvE4_clEvEUlS6_S6_E_S6_EEDaPvRmT3_T4_T5_mT6_P12ihipStream_tbENKUlT_T0_E_clISt17integral_constantIbLb0EESY_EEDaST_SU_EUlST_E_NS1_11comp_targetILNS1_3genE10ELNS1_11target_archE1201ELNS1_3gpuE5ELNS1_3repE0EEENS1_30default_config_static_selectorELNS0_4arch9wavefront6targetE0EEEvT1_,"axG",@progbits,_ZN7rocprim17ROCPRIM_400000_NS6detail17trampoline_kernelINS0_14default_configENS1_20scan_config_selectorIN3c108BFloat16EEEZZNS1_9scan_implILNS1_25lookback_scan_determinismE0ELb0ELb0ES3_PKS6_PS6_S6_ZZZN2at6native31launch_logcumsumexp_cuda_kernelERKNSD_10TensorBaseESH_lENKUlvE_clEvENKUlvE4_clEvEUlS6_S6_E_S6_EEDaPvRmT3_T4_T5_mT6_P12ihipStream_tbENKUlT_T0_E_clISt17integral_constantIbLb0EESY_EEDaST_SU_EUlST_E_NS1_11comp_targetILNS1_3genE10ELNS1_11target_archE1201ELNS1_3gpuE5ELNS1_3repE0EEENS1_30default_config_static_selectorELNS0_4arch9wavefront6targetE0EEEvT1_,comdat
.Lfunc_end443:
	.size	_ZN7rocprim17ROCPRIM_400000_NS6detail17trampoline_kernelINS0_14default_configENS1_20scan_config_selectorIN3c108BFloat16EEEZZNS1_9scan_implILNS1_25lookback_scan_determinismE0ELb0ELb0ES3_PKS6_PS6_S6_ZZZN2at6native31launch_logcumsumexp_cuda_kernelERKNSD_10TensorBaseESH_lENKUlvE_clEvENKUlvE4_clEvEUlS6_S6_E_S6_EEDaPvRmT3_T4_T5_mT6_P12ihipStream_tbENKUlT_T0_E_clISt17integral_constantIbLb0EESY_EEDaST_SU_EUlST_E_NS1_11comp_targetILNS1_3genE10ELNS1_11target_archE1201ELNS1_3gpuE5ELNS1_3repE0EEENS1_30default_config_static_selectorELNS0_4arch9wavefront6targetE0EEEvT1_, .Lfunc_end443-_ZN7rocprim17ROCPRIM_400000_NS6detail17trampoline_kernelINS0_14default_configENS1_20scan_config_selectorIN3c108BFloat16EEEZZNS1_9scan_implILNS1_25lookback_scan_determinismE0ELb0ELb0ES3_PKS6_PS6_S6_ZZZN2at6native31launch_logcumsumexp_cuda_kernelERKNSD_10TensorBaseESH_lENKUlvE_clEvENKUlvE4_clEvEUlS6_S6_E_S6_EEDaPvRmT3_T4_T5_mT6_P12ihipStream_tbENKUlT_T0_E_clISt17integral_constantIbLb0EESY_EEDaST_SU_EUlST_E_NS1_11comp_targetILNS1_3genE10ELNS1_11target_archE1201ELNS1_3gpuE5ELNS1_3repE0EEENS1_30default_config_static_selectorELNS0_4arch9wavefront6targetE0EEEvT1_
                                        ; -- End function
	.set _ZN7rocprim17ROCPRIM_400000_NS6detail17trampoline_kernelINS0_14default_configENS1_20scan_config_selectorIN3c108BFloat16EEEZZNS1_9scan_implILNS1_25lookback_scan_determinismE0ELb0ELb0ES3_PKS6_PS6_S6_ZZZN2at6native31launch_logcumsumexp_cuda_kernelERKNSD_10TensorBaseESH_lENKUlvE_clEvENKUlvE4_clEvEUlS6_S6_E_S6_EEDaPvRmT3_T4_T5_mT6_P12ihipStream_tbENKUlT_T0_E_clISt17integral_constantIbLb0EESY_EEDaST_SU_EUlST_E_NS1_11comp_targetILNS1_3genE10ELNS1_11target_archE1201ELNS1_3gpuE5ELNS1_3repE0EEENS1_30default_config_static_selectorELNS0_4arch9wavefront6targetE0EEEvT1_.num_vgpr, 70
	.set _ZN7rocprim17ROCPRIM_400000_NS6detail17trampoline_kernelINS0_14default_configENS1_20scan_config_selectorIN3c108BFloat16EEEZZNS1_9scan_implILNS1_25lookback_scan_determinismE0ELb0ELb0ES3_PKS6_PS6_S6_ZZZN2at6native31launch_logcumsumexp_cuda_kernelERKNSD_10TensorBaseESH_lENKUlvE_clEvENKUlvE4_clEvEUlS6_S6_E_S6_EEDaPvRmT3_T4_T5_mT6_P12ihipStream_tbENKUlT_T0_E_clISt17integral_constantIbLb0EESY_EEDaST_SU_EUlST_E_NS1_11comp_targetILNS1_3genE10ELNS1_11target_archE1201ELNS1_3gpuE5ELNS1_3repE0EEENS1_30default_config_static_selectorELNS0_4arch9wavefront6targetE0EEEvT1_.num_agpr, 0
	.set _ZN7rocprim17ROCPRIM_400000_NS6detail17trampoline_kernelINS0_14default_configENS1_20scan_config_selectorIN3c108BFloat16EEEZZNS1_9scan_implILNS1_25lookback_scan_determinismE0ELb0ELb0ES3_PKS6_PS6_S6_ZZZN2at6native31launch_logcumsumexp_cuda_kernelERKNSD_10TensorBaseESH_lENKUlvE_clEvENKUlvE4_clEvEUlS6_S6_E_S6_EEDaPvRmT3_T4_T5_mT6_P12ihipStream_tbENKUlT_T0_E_clISt17integral_constantIbLb0EESY_EEDaST_SU_EUlST_E_NS1_11comp_targetILNS1_3genE10ELNS1_11target_archE1201ELNS1_3gpuE5ELNS1_3repE0EEENS1_30default_config_static_selectorELNS0_4arch9wavefront6targetE0EEEvT1_.numbered_sgpr, 40
	.set _ZN7rocprim17ROCPRIM_400000_NS6detail17trampoline_kernelINS0_14default_configENS1_20scan_config_selectorIN3c108BFloat16EEEZZNS1_9scan_implILNS1_25lookback_scan_determinismE0ELb0ELb0ES3_PKS6_PS6_S6_ZZZN2at6native31launch_logcumsumexp_cuda_kernelERKNSD_10TensorBaseESH_lENKUlvE_clEvENKUlvE4_clEvEUlS6_S6_E_S6_EEDaPvRmT3_T4_T5_mT6_P12ihipStream_tbENKUlT_T0_E_clISt17integral_constantIbLb0EESY_EEDaST_SU_EUlST_E_NS1_11comp_targetILNS1_3genE10ELNS1_11target_archE1201ELNS1_3gpuE5ELNS1_3repE0EEENS1_30default_config_static_selectorELNS0_4arch9wavefront6targetE0EEEvT1_.num_named_barrier, 0
	.set _ZN7rocprim17ROCPRIM_400000_NS6detail17trampoline_kernelINS0_14default_configENS1_20scan_config_selectorIN3c108BFloat16EEEZZNS1_9scan_implILNS1_25lookback_scan_determinismE0ELb0ELb0ES3_PKS6_PS6_S6_ZZZN2at6native31launch_logcumsumexp_cuda_kernelERKNSD_10TensorBaseESH_lENKUlvE_clEvENKUlvE4_clEvEUlS6_S6_E_S6_EEDaPvRmT3_T4_T5_mT6_P12ihipStream_tbENKUlT_T0_E_clISt17integral_constantIbLb0EESY_EEDaST_SU_EUlST_E_NS1_11comp_targetILNS1_3genE10ELNS1_11target_archE1201ELNS1_3gpuE5ELNS1_3repE0EEENS1_30default_config_static_selectorELNS0_4arch9wavefront6targetE0EEEvT1_.private_seg_size, 0
	.set _ZN7rocprim17ROCPRIM_400000_NS6detail17trampoline_kernelINS0_14default_configENS1_20scan_config_selectorIN3c108BFloat16EEEZZNS1_9scan_implILNS1_25lookback_scan_determinismE0ELb0ELb0ES3_PKS6_PS6_S6_ZZZN2at6native31launch_logcumsumexp_cuda_kernelERKNSD_10TensorBaseESH_lENKUlvE_clEvENKUlvE4_clEvEUlS6_S6_E_S6_EEDaPvRmT3_T4_T5_mT6_P12ihipStream_tbENKUlT_T0_E_clISt17integral_constantIbLb0EESY_EEDaST_SU_EUlST_E_NS1_11comp_targetILNS1_3genE10ELNS1_11target_archE1201ELNS1_3gpuE5ELNS1_3repE0EEENS1_30default_config_static_selectorELNS0_4arch9wavefront6targetE0EEEvT1_.uses_vcc, 1
	.set _ZN7rocprim17ROCPRIM_400000_NS6detail17trampoline_kernelINS0_14default_configENS1_20scan_config_selectorIN3c108BFloat16EEEZZNS1_9scan_implILNS1_25lookback_scan_determinismE0ELb0ELb0ES3_PKS6_PS6_S6_ZZZN2at6native31launch_logcumsumexp_cuda_kernelERKNSD_10TensorBaseESH_lENKUlvE_clEvENKUlvE4_clEvEUlS6_S6_E_S6_EEDaPvRmT3_T4_T5_mT6_P12ihipStream_tbENKUlT_T0_E_clISt17integral_constantIbLb0EESY_EEDaST_SU_EUlST_E_NS1_11comp_targetILNS1_3genE10ELNS1_11target_archE1201ELNS1_3gpuE5ELNS1_3repE0EEENS1_30default_config_static_selectorELNS0_4arch9wavefront6targetE0EEEvT1_.uses_flat_scratch, 0
	.set _ZN7rocprim17ROCPRIM_400000_NS6detail17trampoline_kernelINS0_14default_configENS1_20scan_config_selectorIN3c108BFloat16EEEZZNS1_9scan_implILNS1_25lookback_scan_determinismE0ELb0ELb0ES3_PKS6_PS6_S6_ZZZN2at6native31launch_logcumsumexp_cuda_kernelERKNSD_10TensorBaseESH_lENKUlvE_clEvENKUlvE4_clEvEUlS6_S6_E_S6_EEDaPvRmT3_T4_T5_mT6_P12ihipStream_tbENKUlT_T0_E_clISt17integral_constantIbLb0EESY_EEDaST_SU_EUlST_E_NS1_11comp_targetILNS1_3genE10ELNS1_11target_archE1201ELNS1_3gpuE5ELNS1_3repE0EEENS1_30default_config_static_selectorELNS0_4arch9wavefront6targetE0EEEvT1_.has_dyn_sized_stack, 0
	.set _ZN7rocprim17ROCPRIM_400000_NS6detail17trampoline_kernelINS0_14default_configENS1_20scan_config_selectorIN3c108BFloat16EEEZZNS1_9scan_implILNS1_25lookback_scan_determinismE0ELb0ELb0ES3_PKS6_PS6_S6_ZZZN2at6native31launch_logcumsumexp_cuda_kernelERKNSD_10TensorBaseESH_lENKUlvE_clEvENKUlvE4_clEvEUlS6_S6_E_S6_EEDaPvRmT3_T4_T5_mT6_P12ihipStream_tbENKUlT_T0_E_clISt17integral_constantIbLb0EESY_EEDaST_SU_EUlST_E_NS1_11comp_targetILNS1_3genE10ELNS1_11target_archE1201ELNS1_3gpuE5ELNS1_3repE0EEENS1_30default_config_static_selectorELNS0_4arch9wavefront6targetE0EEEvT1_.has_recursion, 0
	.set _ZN7rocprim17ROCPRIM_400000_NS6detail17trampoline_kernelINS0_14default_configENS1_20scan_config_selectorIN3c108BFloat16EEEZZNS1_9scan_implILNS1_25lookback_scan_determinismE0ELb0ELb0ES3_PKS6_PS6_S6_ZZZN2at6native31launch_logcumsumexp_cuda_kernelERKNSD_10TensorBaseESH_lENKUlvE_clEvENKUlvE4_clEvEUlS6_S6_E_S6_EEDaPvRmT3_T4_T5_mT6_P12ihipStream_tbENKUlT_T0_E_clISt17integral_constantIbLb0EESY_EEDaST_SU_EUlST_E_NS1_11comp_targetILNS1_3genE10ELNS1_11target_archE1201ELNS1_3gpuE5ELNS1_3repE0EEENS1_30default_config_static_selectorELNS0_4arch9wavefront6targetE0EEEvT1_.has_indirect_call, 0
	.section	.AMDGPU.csdata,"",@progbits
; Kernel info:
; codeLenInByte = 106268
; TotalNumSgprs: 42
; NumVgprs: 70
; ScratchSize: 0
; MemoryBound: 0
; FloatMode: 240
; IeeeMode: 1
; LDSByteSize: 6144 bytes/workgroup (compile time only)
; SGPRBlocks: 0
; VGPRBlocks: 8
; NumSGPRsForWavesPerEU: 42
; NumVGPRsForWavesPerEU: 70
; Occupancy: 16
; WaveLimiterHint : 1
; COMPUTE_PGM_RSRC2:SCRATCH_EN: 0
; COMPUTE_PGM_RSRC2:USER_SGPR: 2
; COMPUTE_PGM_RSRC2:TRAP_HANDLER: 0
; COMPUTE_PGM_RSRC2:TGID_X_EN: 1
; COMPUTE_PGM_RSRC2:TGID_Y_EN: 0
; COMPUTE_PGM_RSRC2:TGID_Z_EN: 0
; COMPUTE_PGM_RSRC2:TIDIG_COMP_CNT: 0
	.section	.text._ZN7rocprim17ROCPRIM_400000_NS6detail17trampoline_kernelINS0_14default_configENS1_20scan_config_selectorIN3c108BFloat16EEEZZNS1_9scan_implILNS1_25lookback_scan_determinismE0ELb0ELb0ES3_PKS6_PS6_S6_ZZZN2at6native31launch_logcumsumexp_cuda_kernelERKNSD_10TensorBaseESH_lENKUlvE_clEvENKUlvE4_clEvEUlS6_S6_E_S6_EEDaPvRmT3_T4_T5_mT6_P12ihipStream_tbENKUlT_T0_E_clISt17integral_constantIbLb0EESY_EEDaST_SU_EUlST_E_NS1_11comp_targetILNS1_3genE10ELNS1_11target_archE1200ELNS1_3gpuE4ELNS1_3repE0EEENS1_30default_config_static_selectorELNS0_4arch9wavefront6targetE0EEEvT1_,"axG",@progbits,_ZN7rocprim17ROCPRIM_400000_NS6detail17trampoline_kernelINS0_14default_configENS1_20scan_config_selectorIN3c108BFloat16EEEZZNS1_9scan_implILNS1_25lookback_scan_determinismE0ELb0ELb0ES3_PKS6_PS6_S6_ZZZN2at6native31launch_logcumsumexp_cuda_kernelERKNSD_10TensorBaseESH_lENKUlvE_clEvENKUlvE4_clEvEUlS6_S6_E_S6_EEDaPvRmT3_T4_T5_mT6_P12ihipStream_tbENKUlT_T0_E_clISt17integral_constantIbLb0EESY_EEDaST_SU_EUlST_E_NS1_11comp_targetILNS1_3genE10ELNS1_11target_archE1200ELNS1_3gpuE4ELNS1_3repE0EEENS1_30default_config_static_selectorELNS0_4arch9wavefront6targetE0EEEvT1_,comdat
	.globl	_ZN7rocprim17ROCPRIM_400000_NS6detail17trampoline_kernelINS0_14default_configENS1_20scan_config_selectorIN3c108BFloat16EEEZZNS1_9scan_implILNS1_25lookback_scan_determinismE0ELb0ELb0ES3_PKS6_PS6_S6_ZZZN2at6native31launch_logcumsumexp_cuda_kernelERKNSD_10TensorBaseESH_lENKUlvE_clEvENKUlvE4_clEvEUlS6_S6_E_S6_EEDaPvRmT3_T4_T5_mT6_P12ihipStream_tbENKUlT_T0_E_clISt17integral_constantIbLb0EESY_EEDaST_SU_EUlST_E_NS1_11comp_targetILNS1_3genE10ELNS1_11target_archE1200ELNS1_3gpuE4ELNS1_3repE0EEENS1_30default_config_static_selectorELNS0_4arch9wavefront6targetE0EEEvT1_ ; -- Begin function _ZN7rocprim17ROCPRIM_400000_NS6detail17trampoline_kernelINS0_14default_configENS1_20scan_config_selectorIN3c108BFloat16EEEZZNS1_9scan_implILNS1_25lookback_scan_determinismE0ELb0ELb0ES3_PKS6_PS6_S6_ZZZN2at6native31launch_logcumsumexp_cuda_kernelERKNSD_10TensorBaseESH_lENKUlvE_clEvENKUlvE4_clEvEUlS6_S6_E_S6_EEDaPvRmT3_T4_T5_mT6_P12ihipStream_tbENKUlT_T0_E_clISt17integral_constantIbLb0EESY_EEDaST_SU_EUlST_E_NS1_11comp_targetILNS1_3genE10ELNS1_11target_archE1200ELNS1_3gpuE4ELNS1_3repE0EEENS1_30default_config_static_selectorELNS0_4arch9wavefront6targetE0EEEvT1_
	.p2align	8
	.type	_ZN7rocprim17ROCPRIM_400000_NS6detail17trampoline_kernelINS0_14default_configENS1_20scan_config_selectorIN3c108BFloat16EEEZZNS1_9scan_implILNS1_25lookback_scan_determinismE0ELb0ELb0ES3_PKS6_PS6_S6_ZZZN2at6native31launch_logcumsumexp_cuda_kernelERKNSD_10TensorBaseESH_lENKUlvE_clEvENKUlvE4_clEvEUlS6_S6_E_S6_EEDaPvRmT3_T4_T5_mT6_P12ihipStream_tbENKUlT_T0_E_clISt17integral_constantIbLb0EESY_EEDaST_SU_EUlST_E_NS1_11comp_targetILNS1_3genE10ELNS1_11target_archE1200ELNS1_3gpuE4ELNS1_3repE0EEENS1_30default_config_static_selectorELNS0_4arch9wavefront6targetE0EEEvT1_,@function
_ZN7rocprim17ROCPRIM_400000_NS6detail17trampoline_kernelINS0_14default_configENS1_20scan_config_selectorIN3c108BFloat16EEEZZNS1_9scan_implILNS1_25lookback_scan_determinismE0ELb0ELb0ES3_PKS6_PS6_S6_ZZZN2at6native31launch_logcumsumexp_cuda_kernelERKNSD_10TensorBaseESH_lENKUlvE_clEvENKUlvE4_clEvEUlS6_S6_E_S6_EEDaPvRmT3_T4_T5_mT6_P12ihipStream_tbENKUlT_T0_E_clISt17integral_constantIbLb0EESY_EEDaST_SU_EUlST_E_NS1_11comp_targetILNS1_3genE10ELNS1_11target_archE1200ELNS1_3gpuE4ELNS1_3repE0EEENS1_30default_config_static_selectorELNS0_4arch9wavefront6targetE0EEEvT1_: ; @_ZN7rocprim17ROCPRIM_400000_NS6detail17trampoline_kernelINS0_14default_configENS1_20scan_config_selectorIN3c108BFloat16EEEZZNS1_9scan_implILNS1_25lookback_scan_determinismE0ELb0ELb0ES3_PKS6_PS6_S6_ZZZN2at6native31launch_logcumsumexp_cuda_kernelERKNSD_10TensorBaseESH_lENKUlvE_clEvENKUlvE4_clEvEUlS6_S6_E_S6_EEDaPvRmT3_T4_T5_mT6_P12ihipStream_tbENKUlT_T0_E_clISt17integral_constantIbLb0EESY_EEDaST_SU_EUlST_E_NS1_11comp_targetILNS1_3genE10ELNS1_11target_archE1200ELNS1_3gpuE4ELNS1_3repE0EEENS1_30default_config_static_selectorELNS0_4arch9wavefront6targetE0EEEvT1_
; %bb.0:
	.section	.rodata,"a",@progbits
	.p2align	6, 0x0
	.amdhsa_kernel _ZN7rocprim17ROCPRIM_400000_NS6detail17trampoline_kernelINS0_14default_configENS1_20scan_config_selectorIN3c108BFloat16EEEZZNS1_9scan_implILNS1_25lookback_scan_determinismE0ELb0ELb0ES3_PKS6_PS6_S6_ZZZN2at6native31launch_logcumsumexp_cuda_kernelERKNSD_10TensorBaseESH_lENKUlvE_clEvENKUlvE4_clEvEUlS6_S6_E_S6_EEDaPvRmT3_T4_T5_mT6_P12ihipStream_tbENKUlT_T0_E_clISt17integral_constantIbLb0EESY_EEDaST_SU_EUlST_E_NS1_11comp_targetILNS1_3genE10ELNS1_11target_archE1200ELNS1_3gpuE4ELNS1_3repE0EEENS1_30default_config_static_selectorELNS0_4arch9wavefront6targetE0EEEvT1_
		.amdhsa_group_segment_fixed_size 0
		.amdhsa_private_segment_fixed_size 0
		.amdhsa_kernarg_size 96
		.amdhsa_user_sgpr_count 2
		.amdhsa_user_sgpr_dispatch_ptr 0
		.amdhsa_user_sgpr_queue_ptr 0
		.amdhsa_user_sgpr_kernarg_segment_ptr 1
		.amdhsa_user_sgpr_dispatch_id 0
		.amdhsa_user_sgpr_private_segment_size 0
		.amdhsa_wavefront_size32 1
		.amdhsa_uses_dynamic_stack 0
		.amdhsa_enable_private_segment 0
		.amdhsa_system_sgpr_workgroup_id_x 1
		.amdhsa_system_sgpr_workgroup_id_y 0
		.amdhsa_system_sgpr_workgroup_id_z 0
		.amdhsa_system_sgpr_workgroup_info 0
		.amdhsa_system_vgpr_workitem_id 0
		.amdhsa_next_free_vgpr 1
		.amdhsa_next_free_sgpr 1
		.amdhsa_reserve_vcc 0
		.amdhsa_float_round_mode_32 0
		.amdhsa_float_round_mode_16_64 0
		.amdhsa_float_denorm_mode_32 3
		.amdhsa_float_denorm_mode_16_64 3
		.amdhsa_fp16_overflow 0
		.amdhsa_workgroup_processor_mode 1
		.amdhsa_memory_ordered 1
		.amdhsa_forward_progress 1
		.amdhsa_inst_pref_size 0
		.amdhsa_round_robin_scheduling 0
		.amdhsa_exception_fp_ieee_invalid_op 0
		.amdhsa_exception_fp_denorm_src 0
		.amdhsa_exception_fp_ieee_div_zero 0
		.amdhsa_exception_fp_ieee_overflow 0
		.amdhsa_exception_fp_ieee_underflow 0
		.amdhsa_exception_fp_ieee_inexact 0
		.amdhsa_exception_int_div_zero 0
	.end_amdhsa_kernel
	.section	.text._ZN7rocprim17ROCPRIM_400000_NS6detail17trampoline_kernelINS0_14default_configENS1_20scan_config_selectorIN3c108BFloat16EEEZZNS1_9scan_implILNS1_25lookback_scan_determinismE0ELb0ELb0ES3_PKS6_PS6_S6_ZZZN2at6native31launch_logcumsumexp_cuda_kernelERKNSD_10TensorBaseESH_lENKUlvE_clEvENKUlvE4_clEvEUlS6_S6_E_S6_EEDaPvRmT3_T4_T5_mT6_P12ihipStream_tbENKUlT_T0_E_clISt17integral_constantIbLb0EESY_EEDaST_SU_EUlST_E_NS1_11comp_targetILNS1_3genE10ELNS1_11target_archE1200ELNS1_3gpuE4ELNS1_3repE0EEENS1_30default_config_static_selectorELNS0_4arch9wavefront6targetE0EEEvT1_,"axG",@progbits,_ZN7rocprim17ROCPRIM_400000_NS6detail17trampoline_kernelINS0_14default_configENS1_20scan_config_selectorIN3c108BFloat16EEEZZNS1_9scan_implILNS1_25lookback_scan_determinismE0ELb0ELb0ES3_PKS6_PS6_S6_ZZZN2at6native31launch_logcumsumexp_cuda_kernelERKNSD_10TensorBaseESH_lENKUlvE_clEvENKUlvE4_clEvEUlS6_S6_E_S6_EEDaPvRmT3_T4_T5_mT6_P12ihipStream_tbENKUlT_T0_E_clISt17integral_constantIbLb0EESY_EEDaST_SU_EUlST_E_NS1_11comp_targetILNS1_3genE10ELNS1_11target_archE1200ELNS1_3gpuE4ELNS1_3repE0EEENS1_30default_config_static_selectorELNS0_4arch9wavefront6targetE0EEEvT1_,comdat
.Lfunc_end444:
	.size	_ZN7rocprim17ROCPRIM_400000_NS6detail17trampoline_kernelINS0_14default_configENS1_20scan_config_selectorIN3c108BFloat16EEEZZNS1_9scan_implILNS1_25lookback_scan_determinismE0ELb0ELb0ES3_PKS6_PS6_S6_ZZZN2at6native31launch_logcumsumexp_cuda_kernelERKNSD_10TensorBaseESH_lENKUlvE_clEvENKUlvE4_clEvEUlS6_S6_E_S6_EEDaPvRmT3_T4_T5_mT6_P12ihipStream_tbENKUlT_T0_E_clISt17integral_constantIbLb0EESY_EEDaST_SU_EUlST_E_NS1_11comp_targetILNS1_3genE10ELNS1_11target_archE1200ELNS1_3gpuE4ELNS1_3repE0EEENS1_30default_config_static_selectorELNS0_4arch9wavefront6targetE0EEEvT1_, .Lfunc_end444-_ZN7rocprim17ROCPRIM_400000_NS6detail17trampoline_kernelINS0_14default_configENS1_20scan_config_selectorIN3c108BFloat16EEEZZNS1_9scan_implILNS1_25lookback_scan_determinismE0ELb0ELb0ES3_PKS6_PS6_S6_ZZZN2at6native31launch_logcumsumexp_cuda_kernelERKNSD_10TensorBaseESH_lENKUlvE_clEvENKUlvE4_clEvEUlS6_S6_E_S6_EEDaPvRmT3_T4_T5_mT6_P12ihipStream_tbENKUlT_T0_E_clISt17integral_constantIbLb0EESY_EEDaST_SU_EUlST_E_NS1_11comp_targetILNS1_3genE10ELNS1_11target_archE1200ELNS1_3gpuE4ELNS1_3repE0EEENS1_30default_config_static_selectorELNS0_4arch9wavefront6targetE0EEEvT1_
                                        ; -- End function
	.set _ZN7rocprim17ROCPRIM_400000_NS6detail17trampoline_kernelINS0_14default_configENS1_20scan_config_selectorIN3c108BFloat16EEEZZNS1_9scan_implILNS1_25lookback_scan_determinismE0ELb0ELb0ES3_PKS6_PS6_S6_ZZZN2at6native31launch_logcumsumexp_cuda_kernelERKNSD_10TensorBaseESH_lENKUlvE_clEvENKUlvE4_clEvEUlS6_S6_E_S6_EEDaPvRmT3_T4_T5_mT6_P12ihipStream_tbENKUlT_T0_E_clISt17integral_constantIbLb0EESY_EEDaST_SU_EUlST_E_NS1_11comp_targetILNS1_3genE10ELNS1_11target_archE1200ELNS1_3gpuE4ELNS1_3repE0EEENS1_30default_config_static_selectorELNS0_4arch9wavefront6targetE0EEEvT1_.num_vgpr, 0
	.set _ZN7rocprim17ROCPRIM_400000_NS6detail17trampoline_kernelINS0_14default_configENS1_20scan_config_selectorIN3c108BFloat16EEEZZNS1_9scan_implILNS1_25lookback_scan_determinismE0ELb0ELb0ES3_PKS6_PS6_S6_ZZZN2at6native31launch_logcumsumexp_cuda_kernelERKNSD_10TensorBaseESH_lENKUlvE_clEvENKUlvE4_clEvEUlS6_S6_E_S6_EEDaPvRmT3_T4_T5_mT6_P12ihipStream_tbENKUlT_T0_E_clISt17integral_constantIbLb0EESY_EEDaST_SU_EUlST_E_NS1_11comp_targetILNS1_3genE10ELNS1_11target_archE1200ELNS1_3gpuE4ELNS1_3repE0EEENS1_30default_config_static_selectorELNS0_4arch9wavefront6targetE0EEEvT1_.num_agpr, 0
	.set _ZN7rocprim17ROCPRIM_400000_NS6detail17trampoline_kernelINS0_14default_configENS1_20scan_config_selectorIN3c108BFloat16EEEZZNS1_9scan_implILNS1_25lookback_scan_determinismE0ELb0ELb0ES3_PKS6_PS6_S6_ZZZN2at6native31launch_logcumsumexp_cuda_kernelERKNSD_10TensorBaseESH_lENKUlvE_clEvENKUlvE4_clEvEUlS6_S6_E_S6_EEDaPvRmT3_T4_T5_mT6_P12ihipStream_tbENKUlT_T0_E_clISt17integral_constantIbLb0EESY_EEDaST_SU_EUlST_E_NS1_11comp_targetILNS1_3genE10ELNS1_11target_archE1200ELNS1_3gpuE4ELNS1_3repE0EEENS1_30default_config_static_selectorELNS0_4arch9wavefront6targetE0EEEvT1_.numbered_sgpr, 0
	.set _ZN7rocprim17ROCPRIM_400000_NS6detail17trampoline_kernelINS0_14default_configENS1_20scan_config_selectorIN3c108BFloat16EEEZZNS1_9scan_implILNS1_25lookback_scan_determinismE0ELb0ELb0ES3_PKS6_PS6_S6_ZZZN2at6native31launch_logcumsumexp_cuda_kernelERKNSD_10TensorBaseESH_lENKUlvE_clEvENKUlvE4_clEvEUlS6_S6_E_S6_EEDaPvRmT3_T4_T5_mT6_P12ihipStream_tbENKUlT_T0_E_clISt17integral_constantIbLb0EESY_EEDaST_SU_EUlST_E_NS1_11comp_targetILNS1_3genE10ELNS1_11target_archE1200ELNS1_3gpuE4ELNS1_3repE0EEENS1_30default_config_static_selectorELNS0_4arch9wavefront6targetE0EEEvT1_.num_named_barrier, 0
	.set _ZN7rocprim17ROCPRIM_400000_NS6detail17trampoline_kernelINS0_14default_configENS1_20scan_config_selectorIN3c108BFloat16EEEZZNS1_9scan_implILNS1_25lookback_scan_determinismE0ELb0ELb0ES3_PKS6_PS6_S6_ZZZN2at6native31launch_logcumsumexp_cuda_kernelERKNSD_10TensorBaseESH_lENKUlvE_clEvENKUlvE4_clEvEUlS6_S6_E_S6_EEDaPvRmT3_T4_T5_mT6_P12ihipStream_tbENKUlT_T0_E_clISt17integral_constantIbLb0EESY_EEDaST_SU_EUlST_E_NS1_11comp_targetILNS1_3genE10ELNS1_11target_archE1200ELNS1_3gpuE4ELNS1_3repE0EEENS1_30default_config_static_selectorELNS0_4arch9wavefront6targetE0EEEvT1_.private_seg_size, 0
	.set _ZN7rocprim17ROCPRIM_400000_NS6detail17trampoline_kernelINS0_14default_configENS1_20scan_config_selectorIN3c108BFloat16EEEZZNS1_9scan_implILNS1_25lookback_scan_determinismE0ELb0ELb0ES3_PKS6_PS6_S6_ZZZN2at6native31launch_logcumsumexp_cuda_kernelERKNSD_10TensorBaseESH_lENKUlvE_clEvENKUlvE4_clEvEUlS6_S6_E_S6_EEDaPvRmT3_T4_T5_mT6_P12ihipStream_tbENKUlT_T0_E_clISt17integral_constantIbLb0EESY_EEDaST_SU_EUlST_E_NS1_11comp_targetILNS1_3genE10ELNS1_11target_archE1200ELNS1_3gpuE4ELNS1_3repE0EEENS1_30default_config_static_selectorELNS0_4arch9wavefront6targetE0EEEvT1_.uses_vcc, 0
	.set _ZN7rocprim17ROCPRIM_400000_NS6detail17trampoline_kernelINS0_14default_configENS1_20scan_config_selectorIN3c108BFloat16EEEZZNS1_9scan_implILNS1_25lookback_scan_determinismE0ELb0ELb0ES3_PKS6_PS6_S6_ZZZN2at6native31launch_logcumsumexp_cuda_kernelERKNSD_10TensorBaseESH_lENKUlvE_clEvENKUlvE4_clEvEUlS6_S6_E_S6_EEDaPvRmT3_T4_T5_mT6_P12ihipStream_tbENKUlT_T0_E_clISt17integral_constantIbLb0EESY_EEDaST_SU_EUlST_E_NS1_11comp_targetILNS1_3genE10ELNS1_11target_archE1200ELNS1_3gpuE4ELNS1_3repE0EEENS1_30default_config_static_selectorELNS0_4arch9wavefront6targetE0EEEvT1_.uses_flat_scratch, 0
	.set _ZN7rocprim17ROCPRIM_400000_NS6detail17trampoline_kernelINS0_14default_configENS1_20scan_config_selectorIN3c108BFloat16EEEZZNS1_9scan_implILNS1_25lookback_scan_determinismE0ELb0ELb0ES3_PKS6_PS6_S6_ZZZN2at6native31launch_logcumsumexp_cuda_kernelERKNSD_10TensorBaseESH_lENKUlvE_clEvENKUlvE4_clEvEUlS6_S6_E_S6_EEDaPvRmT3_T4_T5_mT6_P12ihipStream_tbENKUlT_T0_E_clISt17integral_constantIbLb0EESY_EEDaST_SU_EUlST_E_NS1_11comp_targetILNS1_3genE10ELNS1_11target_archE1200ELNS1_3gpuE4ELNS1_3repE0EEENS1_30default_config_static_selectorELNS0_4arch9wavefront6targetE0EEEvT1_.has_dyn_sized_stack, 0
	.set _ZN7rocprim17ROCPRIM_400000_NS6detail17trampoline_kernelINS0_14default_configENS1_20scan_config_selectorIN3c108BFloat16EEEZZNS1_9scan_implILNS1_25lookback_scan_determinismE0ELb0ELb0ES3_PKS6_PS6_S6_ZZZN2at6native31launch_logcumsumexp_cuda_kernelERKNSD_10TensorBaseESH_lENKUlvE_clEvENKUlvE4_clEvEUlS6_S6_E_S6_EEDaPvRmT3_T4_T5_mT6_P12ihipStream_tbENKUlT_T0_E_clISt17integral_constantIbLb0EESY_EEDaST_SU_EUlST_E_NS1_11comp_targetILNS1_3genE10ELNS1_11target_archE1200ELNS1_3gpuE4ELNS1_3repE0EEENS1_30default_config_static_selectorELNS0_4arch9wavefront6targetE0EEEvT1_.has_recursion, 0
	.set _ZN7rocprim17ROCPRIM_400000_NS6detail17trampoline_kernelINS0_14default_configENS1_20scan_config_selectorIN3c108BFloat16EEEZZNS1_9scan_implILNS1_25lookback_scan_determinismE0ELb0ELb0ES3_PKS6_PS6_S6_ZZZN2at6native31launch_logcumsumexp_cuda_kernelERKNSD_10TensorBaseESH_lENKUlvE_clEvENKUlvE4_clEvEUlS6_S6_E_S6_EEDaPvRmT3_T4_T5_mT6_P12ihipStream_tbENKUlT_T0_E_clISt17integral_constantIbLb0EESY_EEDaST_SU_EUlST_E_NS1_11comp_targetILNS1_3genE10ELNS1_11target_archE1200ELNS1_3gpuE4ELNS1_3repE0EEENS1_30default_config_static_selectorELNS0_4arch9wavefront6targetE0EEEvT1_.has_indirect_call, 0
	.section	.AMDGPU.csdata,"",@progbits
; Kernel info:
; codeLenInByte = 0
; TotalNumSgprs: 0
; NumVgprs: 0
; ScratchSize: 0
; MemoryBound: 0
; FloatMode: 240
; IeeeMode: 1
; LDSByteSize: 0 bytes/workgroup (compile time only)
; SGPRBlocks: 0
; VGPRBlocks: 0
; NumSGPRsForWavesPerEU: 1
; NumVGPRsForWavesPerEU: 1
; Occupancy: 16
; WaveLimiterHint : 0
; COMPUTE_PGM_RSRC2:SCRATCH_EN: 0
; COMPUTE_PGM_RSRC2:USER_SGPR: 2
; COMPUTE_PGM_RSRC2:TRAP_HANDLER: 0
; COMPUTE_PGM_RSRC2:TGID_X_EN: 1
; COMPUTE_PGM_RSRC2:TGID_Y_EN: 0
; COMPUTE_PGM_RSRC2:TGID_Z_EN: 0
; COMPUTE_PGM_RSRC2:TIDIG_COMP_CNT: 0
	.section	.text._ZN7rocprim17ROCPRIM_400000_NS6detail17trampoline_kernelINS0_14default_configENS1_20scan_config_selectorIN3c108BFloat16EEEZZNS1_9scan_implILNS1_25lookback_scan_determinismE0ELb0ELb0ES3_PKS6_PS6_S6_ZZZN2at6native31launch_logcumsumexp_cuda_kernelERKNSD_10TensorBaseESH_lENKUlvE_clEvENKUlvE4_clEvEUlS6_S6_E_S6_EEDaPvRmT3_T4_T5_mT6_P12ihipStream_tbENKUlT_T0_E_clISt17integral_constantIbLb0EESY_EEDaST_SU_EUlST_E_NS1_11comp_targetILNS1_3genE9ELNS1_11target_archE1100ELNS1_3gpuE3ELNS1_3repE0EEENS1_30default_config_static_selectorELNS0_4arch9wavefront6targetE0EEEvT1_,"axG",@progbits,_ZN7rocprim17ROCPRIM_400000_NS6detail17trampoline_kernelINS0_14default_configENS1_20scan_config_selectorIN3c108BFloat16EEEZZNS1_9scan_implILNS1_25lookback_scan_determinismE0ELb0ELb0ES3_PKS6_PS6_S6_ZZZN2at6native31launch_logcumsumexp_cuda_kernelERKNSD_10TensorBaseESH_lENKUlvE_clEvENKUlvE4_clEvEUlS6_S6_E_S6_EEDaPvRmT3_T4_T5_mT6_P12ihipStream_tbENKUlT_T0_E_clISt17integral_constantIbLb0EESY_EEDaST_SU_EUlST_E_NS1_11comp_targetILNS1_3genE9ELNS1_11target_archE1100ELNS1_3gpuE3ELNS1_3repE0EEENS1_30default_config_static_selectorELNS0_4arch9wavefront6targetE0EEEvT1_,comdat
	.globl	_ZN7rocprim17ROCPRIM_400000_NS6detail17trampoline_kernelINS0_14default_configENS1_20scan_config_selectorIN3c108BFloat16EEEZZNS1_9scan_implILNS1_25lookback_scan_determinismE0ELb0ELb0ES3_PKS6_PS6_S6_ZZZN2at6native31launch_logcumsumexp_cuda_kernelERKNSD_10TensorBaseESH_lENKUlvE_clEvENKUlvE4_clEvEUlS6_S6_E_S6_EEDaPvRmT3_T4_T5_mT6_P12ihipStream_tbENKUlT_T0_E_clISt17integral_constantIbLb0EESY_EEDaST_SU_EUlST_E_NS1_11comp_targetILNS1_3genE9ELNS1_11target_archE1100ELNS1_3gpuE3ELNS1_3repE0EEENS1_30default_config_static_selectorELNS0_4arch9wavefront6targetE0EEEvT1_ ; -- Begin function _ZN7rocprim17ROCPRIM_400000_NS6detail17trampoline_kernelINS0_14default_configENS1_20scan_config_selectorIN3c108BFloat16EEEZZNS1_9scan_implILNS1_25lookback_scan_determinismE0ELb0ELb0ES3_PKS6_PS6_S6_ZZZN2at6native31launch_logcumsumexp_cuda_kernelERKNSD_10TensorBaseESH_lENKUlvE_clEvENKUlvE4_clEvEUlS6_S6_E_S6_EEDaPvRmT3_T4_T5_mT6_P12ihipStream_tbENKUlT_T0_E_clISt17integral_constantIbLb0EESY_EEDaST_SU_EUlST_E_NS1_11comp_targetILNS1_3genE9ELNS1_11target_archE1100ELNS1_3gpuE3ELNS1_3repE0EEENS1_30default_config_static_selectorELNS0_4arch9wavefront6targetE0EEEvT1_
	.p2align	8
	.type	_ZN7rocprim17ROCPRIM_400000_NS6detail17trampoline_kernelINS0_14default_configENS1_20scan_config_selectorIN3c108BFloat16EEEZZNS1_9scan_implILNS1_25lookback_scan_determinismE0ELb0ELb0ES3_PKS6_PS6_S6_ZZZN2at6native31launch_logcumsumexp_cuda_kernelERKNSD_10TensorBaseESH_lENKUlvE_clEvENKUlvE4_clEvEUlS6_S6_E_S6_EEDaPvRmT3_T4_T5_mT6_P12ihipStream_tbENKUlT_T0_E_clISt17integral_constantIbLb0EESY_EEDaST_SU_EUlST_E_NS1_11comp_targetILNS1_3genE9ELNS1_11target_archE1100ELNS1_3gpuE3ELNS1_3repE0EEENS1_30default_config_static_selectorELNS0_4arch9wavefront6targetE0EEEvT1_,@function
_ZN7rocprim17ROCPRIM_400000_NS6detail17trampoline_kernelINS0_14default_configENS1_20scan_config_selectorIN3c108BFloat16EEEZZNS1_9scan_implILNS1_25lookback_scan_determinismE0ELb0ELb0ES3_PKS6_PS6_S6_ZZZN2at6native31launch_logcumsumexp_cuda_kernelERKNSD_10TensorBaseESH_lENKUlvE_clEvENKUlvE4_clEvEUlS6_S6_E_S6_EEDaPvRmT3_T4_T5_mT6_P12ihipStream_tbENKUlT_T0_E_clISt17integral_constantIbLb0EESY_EEDaST_SU_EUlST_E_NS1_11comp_targetILNS1_3genE9ELNS1_11target_archE1100ELNS1_3gpuE3ELNS1_3repE0EEENS1_30default_config_static_selectorELNS0_4arch9wavefront6targetE0EEEvT1_: ; @_ZN7rocprim17ROCPRIM_400000_NS6detail17trampoline_kernelINS0_14default_configENS1_20scan_config_selectorIN3c108BFloat16EEEZZNS1_9scan_implILNS1_25lookback_scan_determinismE0ELb0ELb0ES3_PKS6_PS6_S6_ZZZN2at6native31launch_logcumsumexp_cuda_kernelERKNSD_10TensorBaseESH_lENKUlvE_clEvENKUlvE4_clEvEUlS6_S6_E_S6_EEDaPvRmT3_T4_T5_mT6_P12ihipStream_tbENKUlT_T0_E_clISt17integral_constantIbLb0EESY_EEDaST_SU_EUlST_E_NS1_11comp_targetILNS1_3genE9ELNS1_11target_archE1100ELNS1_3gpuE3ELNS1_3repE0EEENS1_30default_config_static_selectorELNS0_4arch9wavefront6targetE0EEEvT1_
; %bb.0:
	.section	.rodata,"a",@progbits
	.p2align	6, 0x0
	.amdhsa_kernel _ZN7rocprim17ROCPRIM_400000_NS6detail17trampoline_kernelINS0_14default_configENS1_20scan_config_selectorIN3c108BFloat16EEEZZNS1_9scan_implILNS1_25lookback_scan_determinismE0ELb0ELb0ES3_PKS6_PS6_S6_ZZZN2at6native31launch_logcumsumexp_cuda_kernelERKNSD_10TensorBaseESH_lENKUlvE_clEvENKUlvE4_clEvEUlS6_S6_E_S6_EEDaPvRmT3_T4_T5_mT6_P12ihipStream_tbENKUlT_T0_E_clISt17integral_constantIbLb0EESY_EEDaST_SU_EUlST_E_NS1_11comp_targetILNS1_3genE9ELNS1_11target_archE1100ELNS1_3gpuE3ELNS1_3repE0EEENS1_30default_config_static_selectorELNS0_4arch9wavefront6targetE0EEEvT1_
		.amdhsa_group_segment_fixed_size 0
		.amdhsa_private_segment_fixed_size 0
		.amdhsa_kernarg_size 96
		.amdhsa_user_sgpr_count 2
		.amdhsa_user_sgpr_dispatch_ptr 0
		.amdhsa_user_sgpr_queue_ptr 0
		.amdhsa_user_sgpr_kernarg_segment_ptr 1
		.amdhsa_user_sgpr_dispatch_id 0
		.amdhsa_user_sgpr_private_segment_size 0
		.amdhsa_wavefront_size32 1
		.amdhsa_uses_dynamic_stack 0
		.amdhsa_enable_private_segment 0
		.amdhsa_system_sgpr_workgroup_id_x 1
		.amdhsa_system_sgpr_workgroup_id_y 0
		.amdhsa_system_sgpr_workgroup_id_z 0
		.amdhsa_system_sgpr_workgroup_info 0
		.amdhsa_system_vgpr_workitem_id 0
		.amdhsa_next_free_vgpr 1
		.amdhsa_next_free_sgpr 1
		.amdhsa_reserve_vcc 0
		.amdhsa_float_round_mode_32 0
		.amdhsa_float_round_mode_16_64 0
		.amdhsa_float_denorm_mode_32 3
		.amdhsa_float_denorm_mode_16_64 3
		.amdhsa_fp16_overflow 0
		.amdhsa_workgroup_processor_mode 1
		.amdhsa_memory_ordered 1
		.amdhsa_forward_progress 1
		.amdhsa_inst_pref_size 0
		.amdhsa_round_robin_scheduling 0
		.amdhsa_exception_fp_ieee_invalid_op 0
		.amdhsa_exception_fp_denorm_src 0
		.amdhsa_exception_fp_ieee_div_zero 0
		.amdhsa_exception_fp_ieee_overflow 0
		.amdhsa_exception_fp_ieee_underflow 0
		.amdhsa_exception_fp_ieee_inexact 0
		.amdhsa_exception_int_div_zero 0
	.end_amdhsa_kernel
	.section	.text._ZN7rocprim17ROCPRIM_400000_NS6detail17trampoline_kernelINS0_14default_configENS1_20scan_config_selectorIN3c108BFloat16EEEZZNS1_9scan_implILNS1_25lookback_scan_determinismE0ELb0ELb0ES3_PKS6_PS6_S6_ZZZN2at6native31launch_logcumsumexp_cuda_kernelERKNSD_10TensorBaseESH_lENKUlvE_clEvENKUlvE4_clEvEUlS6_S6_E_S6_EEDaPvRmT3_T4_T5_mT6_P12ihipStream_tbENKUlT_T0_E_clISt17integral_constantIbLb0EESY_EEDaST_SU_EUlST_E_NS1_11comp_targetILNS1_3genE9ELNS1_11target_archE1100ELNS1_3gpuE3ELNS1_3repE0EEENS1_30default_config_static_selectorELNS0_4arch9wavefront6targetE0EEEvT1_,"axG",@progbits,_ZN7rocprim17ROCPRIM_400000_NS6detail17trampoline_kernelINS0_14default_configENS1_20scan_config_selectorIN3c108BFloat16EEEZZNS1_9scan_implILNS1_25lookback_scan_determinismE0ELb0ELb0ES3_PKS6_PS6_S6_ZZZN2at6native31launch_logcumsumexp_cuda_kernelERKNSD_10TensorBaseESH_lENKUlvE_clEvENKUlvE4_clEvEUlS6_S6_E_S6_EEDaPvRmT3_T4_T5_mT6_P12ihipStream_tbENKUlT_T0_E_clISt17integral_constantIbLb0EESY_EEDaST_SU_EUlST_E_NS1_11comp_targetILNS1_3genE9ELNS1_11target_archE1100ELNS1_3gpuE3ELNS1_3repE0EEENS1_30default_config_static_selectorELNS0_4arch9wavefront6targetE0EEEvT1_,comdat
.Lfunc_end445:
	.size	_ZN7rocprim17ROCPRIM_400000_NS6detail17trampoline_kernelINS0_14default_configENS1_20scan_config_selectorIN3c108BFloat16EEEZZNS1_9scan_implILNS1_25lookback_scan_determinismE0ELb0ELb0ES3_PKS6_PS6_S6_ZZZN2at6native31launch_logcumsumexp_cuda_kernelERKNSD_10TensorBaseESH_lENKUlvE_clEvENKUlvE4_clEvEUlS6_S6_E_S6_EEDaPvRmT3_T4_T5_mT6_P12ihipStream_tbENKUlT_T0_E_clISt17integral_constantIbLb0EESY_EEDaST_SU_EUlST_E_NS1_11comp_targetILNS1_3genE9ELNS1_11target_archE1100ELNS1_3gpuE3ELNS1_3repE0EEENS1_30default_config_static_selectorELNS0_4arch9wavefront6targetE0EEEvT1_, .Lfunc_end445-_ZN7rocprim17ROCPRIM_400000_NS6detail17trampoline_kernelINS0_14default_configENS1_20scan_config_selectorIN3c108BFloat16EEEZZNS1_9scan_implILNS1_25lookback_scan_determinismE0ELb0ELb0ES3_PKS6_PS6_S6_ZZZN2at6native31launch_logcumsumexp_cuda_kernelERKNSD_10TensorBaseESH_lENKUlvE_clEvENKUlvE4_clEvEUlS6_S6_E_S6_EEDaPvRmT3_T4_T5_mT6_P12ihipStream_tbENKUlT_T0_E_clISt17integral_constantIbLb0EESY_EEDaST_SU_EUlST_E_NS1_11comp_targetILNS1_3genE9ELNS1_11target_archE1100ELNS1_3gpuE3ELNS1_3repE0EEENS1_30default_config_static_selectorELNS0_4arch9wavefront6targetE0EEEvT1_
                                        ; -- End function
	.set _ZN7rocprim17ROCPRIM_400000_NS6detail17trampoline_kernelINS0_14default_configENS1_20scan_config_selectorIN3c108BFloat16EEEZZNS1_9scan_implILNS1_25lookback_scan_determinismE0ELb0ELb0ES3_PKS6_PS6_S6_ZZZN2at6native31launch_logcumsumexp_cuda_kernelERKNSD_10TensorBaseESH_lENKUlvE_clEvENKUlvE4_clEvEUlS6_S6_E_S6_EEDaPvRmT3_T4_T5_mT6_P12ihipStream_tbENKUlT_T0_E_clISt17integral_constantIbLb0EESY_EEDaST_SU_EUlST_E_NS1_11comp_targetILNS1_3genE9ELNS1_11target_archE1100ELNS1_3gpuE3ELNS1_3repE0EEENS1_30default_config_static_selectorELNS0_4arch9wavefront6targetE0EEEvT1_.num_vgpr, 0
	.set _ZN7rocprim17ROCPRIM_400000_NS6detail17trampoline_kernelINS0_14default_configENS1_20scan_config_selectorIN3c108BFloat16EEEZZNS1_9scan_implILNS1_25lookback_scan_determinismE0ELb0ELb0ES3_PKS6_PS6_S6_ZZZN2at6native31launch_logcumsumexp_cuda_kernelERKNSD_10TensorBaseESH_lENKUlvE_clEvENKUlvE4_clEvEUlS6_S6_E_S6_EEDaPvRmT3_T4_T5_mT6_P12ihipStream_tbENKUlT_T0_E_clISt17integral_constantIbLb0EESY_EEDaST_SU_EUlST_E_NS1_11comp_targetILNS1_3genE9ELNS1_11target_archE1100ELNS1_3gpuE3ELNS1_3repE0EEENS1_30default_config_static_selectorELNS0_4arch9wavefront6targetE0EEEvT1_.num_agpr, 0
	.set _ZN7rocprim17ROCPRIM_400000_NS6detail17trampoline_kernelINS0_14default_configENS1_20scan_config_selectorIN3c108BFloat16EEEZZNS1_9scan_implILNS1_25lookback_scan_determinismE0ELb0ELb0ES3_PKS6_PS6_S6_ZZZN2at6native31launch_logcumsumexp_cuda_kernelERKNSD_10TensorBaseESH_lENKUlvE_clEvENKUlvE4_clEvEUlS6_S6_E_S6_EEDaPvRmT3_T4_T5_mT6_P12ihipStream_tbENKUlT_T0_E_clISt17integral_constantIbLb0EESY_EEDaST_SU_EUlST_E_NS1_11comp_targetILNS1_3genE9ELNS1_11target_archE1100ELNS1_3gpuE3ELNS1_3repE0EEENS1_30default_config_static_selectorELNS0_4arch9wavefront6targetE0EEEvT1_.numbered_sgpr, 0
	.set _ZN7rocprim17ROCPRIM_400000_NS6detail17trampoline_kernelINS0_14default_configENS1_20scan_config_selectorIN3c108BFloat16EEEZZNS1_9scan_implILNS1_25lookback_scan_determinismE0ELb0ELb0ES3_PKS6_PS6_S6_ZZZN2at6native31launch_logcumsumexp_cuda_kernelERKNSD_10TensorBaseESH_lENKUlvE_clEvENKUlvE4_clEvEUlS6_S6_E_S6_EEDaPvRmT3_T4_T5_mT6_P12ihipStream_tbENKUlT_T0_E_clISt17integral_constantIbLb0EESY_EEDaST_SU_EUlST_E_NS1_11comp_targetILNS1_3genE9ELNS1_11target_archE1100ELNS1_3gpuE3ELNS1_3repE0EEENS1_30default_config_static_selectorELNS0_4arch9wavefront6targetE0EEEvT1_.num_named_barrier, 0
	.set _ZN7rocprim17ROCPRIM_400000_NS6detail17trampoline_kernelINS0_14default_configENS1_20scan_config_selectorIN3c108BFloat16EEEZZNS1_9scan_implILNS1_25lookback_scan_determinismE0ELb0ELb0ES3_PKS6_PS6_S6_ZZZN2at6native31launch_logcumsumexp_cuda_kernelERKNSD_10TensorBaseESH_lENKUlvE_clEvENKUlvE4_clEvEUlS6_S6_E_S6_EEDaPvRmT3_T4_T5_mT6_P12ihipStream_tbENKUlT_T0_E_clISt17integral_constantIbLb0EESY_EEDaST_SU_EUlST_E_NS1_11comp_targetILNS1_3genE9ELNS1_11target_archE1100ELNS1_3gpuE3ELNS1_3repE0EEENS1_30default_config_static_selectorELNS0_4arch9wavefront6targetE0EEEvT1_.private_seg_size, 0
	.set _ZN7rocprim17ROCPRIM_400000_NS6detail17trampoline_kernelINS0_14default_configENS1_20scan_config_selectorIN3c108BFloat16EEEZZNS1_9scan_implILNS1_25lookback_scan_determinismE0ELb0ELb0ES3_PKS6_PS6_S6_ZZZN2at6native31launch_logcumsumexp_cuda_kernelERKNSD_10TensorBaseESH_lENKUlvE_clEvENKUlvE4_clEvEUlS6_S6_E_S6_EEDaPvRmT3_T4_T5_mT6_P12ihipStream_tbENKUlT_T0_E_clISt17integral_constantIbLb0EESY_EEDaST_SU_EUlST_E_NS1_11comp_targetILNS1_3genE9ELNS1_11target_archE1100ELNS1_3gpuE3ELNS1_3repE0EEENS1_30default_config_static_selectorELNS0_4arch9wavefront6targetE0EEEvT1_.uses_vcc, 0
	.set _ZN7rocprim17ROCPRIM_400000_NS6detail17trampoline_kernelINS0_14default_configENS1_20scan_config_selectorIN3c108BFloat16EEEZZNS1_9scan_implILNS1_25lookback_scan_determinismE0ELb0ELb0ES3_PKS6_PS6_S6_ZZZN2at6native31launch_logcumsumexp_cuda_kernelERKNSD_10TensorBaseESH_lENKUlvE_clEvENKUlvE4_clEvEUlS6_S6_E_S6_EEDaPvRmT3_T4_T5_mT6_P12ihipStream_tbENKUlT_T0_E_clISt17integral_constantIbLb0EESY_EEDaST_SU_EUlST_E_NS1_11comp_targetILNS1_3genE9ELNS1_11target_archE1100ELNS1_3gpuE3ELNS1_3repE0EEENS1_30default_config_static_selectorELNS0_4arch9wavefront6targetE0EEEvT1_.uses_flat_scratch, 0
	.set _ZN7rocprim17ROCPRIM_400000_NS6detail17trampoline_kernelINS0_14default_configENS1_20scan_config_selectorIN3c108BFloat16EEEZZNS1_9scan_implILNS1_25lookback_scan_determinismE0ELb0ELb0ES3_PKS6_PS6_S6_ZZZN2at6native31launch_logcumsumexp_cuda_kernelERKNSD_10TensorBaseESH_lENKUlvE_clEvENKUlvE4_clEvEUlS6_S6_E_S6_EEDaPvRmT3_T4_T5_mT6_P12ihipStream_tbENKUlT_T0_E_clISt17integral_constantIbLb0EESY_EEDaST_SU_EUlST_E_NS1_11comp_targetILNS1_3genE9ELNS1_11target_archE1100ELNS1_3gpuE3ELNS1_3repE0EEENS1_30default_config_static_selectorELNS0_4arch9wavefront6targetE0EEEvT1_.has_dyn_sized_stack, 0
	.set _ZN7rocprim17ROCPRIM_400000_NS6detail17trampoline_kernelINS0_14default_configENS1_20scan_config_selectorIN3c108BFloat16EEEZZNS1_9scan_implILNS1_25lookback_scan_determinismE0ELb0ELb0ES3_PKS6_PS6_S6_ZZZN2at6native31launch_logcumsumexp_cuda_kernelERKNSD_10TensorBaseESH_lENKUlvE_clEvENKUlvE4_clEvEUlS6_S6_E_S6_EEDaPvRmT3_T4_T5_mT6_P12ihipStream_tbENKUlT_T0_E_clISt17integral_constantIbLb0EESY_EEDaST_SU_EUlST_E_NS1_11comp_targetILNS1_3genE9ELNS1_11target_archE1100ELNS1_3gpuE3ELNS1_3repE0EEENS1_30default_config_static_selectorELNS0_4arch9wavefront6targetE0EEEvT1_.has_recursion, 0
	.set _ZN7rocprim17ROCPRIM_400000_NS6detail17trampoline_kernelINS0_14default_configENS1_20scan_config_selectorIN3c108BFloat16EEEZZNS1_9scan_implILNS1_25lookback_scan_determinismE0ELb0ELb0ES3_PKS6_PS6_S6_ZZZN2at6native31launch_logcumsumexp_cuda_kernelERKNSD_10TensorBaseESH_lENKUlvE_clEvENKUlvE4_clEvEUlS6_S6_E_S6_EEDaPvRmT3_T4_T5_mT6_P12ihipStream_tbENKUlT_T0_E_clISt17integral_constantIbLb0EESY_EEDaST_SU_EUlST_E_NS1_11comp_targetILNS1_3genE9ELNS1_11target_archE1100ELNS1_3gpuE3ELNS1_3repE0EEENS1_30default_config_static_selectorELNS0_4arch9wavefront6targetE0EEEvT1_.has_indirect_call, 0
	.section	.AMDGPU.csdata,"",@progbits
; Kernel info:
; codeLenInByte = 0
; TotalNumSgprs: 0
; NumVgprs: 0
; ScratchSize: 0
; MemoryBound: 0
; FloatMode: 240
; IeeeMode: 1
; LDSByteSize: 0 bytes/workgroup (compile time only)
; SGPRBlocks: 0
; VGPRBlocks: 0
; NumSGPRsForWavesPerEU: 1
; NumVGPRsForWavesPerEU: 1
; Occupancy: 16
; WaveLimiterHint : 0
; COMPUTE_PGM_RSRC2:SCRATCH_EN: 0
; COMPUTE_PGM_RSRC2:USER_SGPR: 2
; COMPUTE_PGM_RSRC2:TRAP_HANDLER: 0
; COMPUTE_PGM_RSRC2:TGID_X_EN: 1
; COMPUTE_PGM_RSRC2:TGID_Y_EN: 0
; COMPUTE_PGM_RSRC2:TGID_Z_EN: 0
; COMPUTE_PGM_RSRC2:TIDIG_COMP_CNT: 0
	.section	.text._ZN7rocprim17ROCPRIM_400000_NS6detail17trampoline_kernelINS0_14default_configENS1_20scan_config_selectorIN3c108BFloat16EEEZZNS1_9scan_implILNS1_25lookback_scan_determinismE0ELb0ELb0ES3_PKS6_PS6_S6_ZZZN2at6native31launch_logcumsumexp_cuda_kernelERKNSD_10TensorBaseESH_lENKUlvE_clEvENKUlvE4_clEvEUlS6_S6_E_S6_EEDaPvRmT3_T4_T5_mT6_P12ihipStream_tbENKUlT_T0_E_clISt17integral_constantIbLb0EESY_EEDaST_SU_EUlST_E_NS1_11comp_targetILNS1_3genE8ELNS1_11target_archE1030ELNS1_3gpuE2ELNS1_3repE0EEENS1_30default_config_static_selectorELNS0_4arch9wavefront6targetE0EEEvT1_,"axG",@progbits,_ZN7rocprim17ROCPRIM_400000_NS6detail17trampoline_kernelINS0_14default_configENS1_20scan_config_selectorIN3c108BFloat16EEEZZNS1_9scan_implILNS1_25lookback_scan_determinismE0ELb0ELb0ES3_PKS6_PS6_S6_ZZZN2at6native31launch_logcumsumexp_cuda_kernelERKNSD_10TensorBaseESH_lENKUlvE_clEvENKUlvE4_clEvEUlS6_S6_E_S6_EEDaPvRmT3_T4_T5_mT6_P12ihipStream_tbENKUlT_T0_E_clISt17integral_constantIbLb0EESY_EEDaST_SU_EUlST_E_NS1_11comp_targetILNS1_3genE8ELNS1_11target_archE1030ELNS1_3gpuE2ELNS1_3repE0EEENS1_30default_config_static_selectorELNS0_4arch9wavefront6targetE0EEEvT1_,comdat
	.globl	_ZN7rocprim17ROCPRIM_400000_NS6detail17trampoline_kernelINS0_14default_configENS1_20scan_config_selectorIN3c108BFloat16EEEZZNS1_9scan_implILNS1_25lookback_scan_determinismE0ELb0ELb0ES3_PKS6_PS6_S6_ZZZN2at6native31launch_logcumsumexp_cuda_kernelERKNSD_10TensorBaseESH_lENKUlvE_clEvENKUlvE4_clEvEUlS6_S6_E_S6_EEDaPvRmT3_T4_T5_mT6_P12ihipStream_tbENKUlT_T0_E_clISt17integral_constantIbLb0EESY_EEDaST_SU_EUlST_E_NS1_11comp_targetILNS1_3genE8ELNS1_11target_archE1030ELNS1_3gpuE2ELNS1_3repE0EEENS1_30default_config_static_selectorELNS0_4arch9wavefront6targetE0EEEvT1_ ; -- Begin function _ZN7rocprim17ROCPRIM_400000_NS6detail17trampoline_kernelINS0_14default_configENS1_20scan_config_selectorIN3c108BFloat16EEEZZNS1_9scan_implILNS1_25lookback_scan_determinismE0ELb0ELb0ES3_PKS6_PS6_S6_ZZZN2at6native31launch_logcumsumexp_cuda_kernelERKNSD_10TensorBaseESH_lENKUlvE_clEvENKUlvE4_clEvEUlS6_S6_E_S6_EEDaPvRmT3_T4_T5_mT6_P12ihipStream_tbENKUlT_T0_E_clISt17integral_constantIbLb0EESY_EEDaST_SU_EUlST_E_NS1_11comp_targetILNS1_3genE8ELNS1_11target_archE1030ELNS1_3gpuE2ELNS1_3repE0EEENS1_30default_config_static_selectorELNS0_4arch9wavefront6targetE0EEEvT1_
	.p2align	8
	.type	_ZN7rocprim17ROCPRIM_400000_NS6detail17trampoline_kernelINS0_14default_configENS1_20scan_config_selectorIN3c108BFloat16EEEZZNS1_9scan_implILNS1_25lookback_scan_determinismE0ELb0ELb0ES3_PKS6_PS6_S6_ZZZN2at6native31launch_logcumsumexp_cuda_kernelERKNSD_10TensorBaseESH_lENKUlvE_clEvENKUlvE4_clEvEUlS6_S6_E_S6_EEDaPvRmT3_T4_T5_mT6_P12ihipStream_tbENKUlT_T0_E_clISt17integral_constantIbLb0EESY_EEDaST_SU_EUlST_E_NS1_11comp_targetILNS1_3genE8ELNS1_11target_archE1030ELNS1_3gpuE2ELNS1_3repE0EEENS1_30default_config_static_selectorELNS0_4arch9wavefront6targetE0EEEvT1_,@function
_ZN7rocprim17ROCPRIM_400000_NS6detail17trampoline_kernelINS0_14default_configENS1_20scan_config_selectorIN3c108BFloat16EEEZZNS1_9scan_implILNS1_25lookback_scan_determinismE0ELb0ELb0ES3_PKS6_PS6_S6_ZZZN2at6native31launch_logcumsumexp_cuda_kernelERKNSD_10TensorBaseESH_lENKUlvE_clEvENKUlvE4_clEvEUlS6_S6_E_S6_EEDaPvRmT3_T4_T5_mT6_P12ihipStream_tbENKUlT_T0_E_clISt17integral_constantIbLb0EESY_EEDaST_SU_EUlST_E_NS1_11comp_targetILNS1_3genE8ELNS1_11target_archE1030ELNS1_3gpuE2ELNS1_3repE0EEENS1_30default_config_static_selectorELNS0_4arch9wavefront6targetE0EEEvT1_: ; @_ZN7rocprim17ROCPRIM_400000_NS6detail17trampoline_kernelINS0_14default_configENS1_20scan_config_selectorIN3c108BFloat16EEEZZNS1_9scan_implILNS1_25lookback_scan_determinismE0ELb0ELb0ES3_PKS6_PS6_S6_ZZZN2at6native31launch_logcumsumexp_cuda_kernelERKNSD_10TensorBaseESH_lENKUlvE_clEvENKUlvE4_clEvEUlS6_S6_E_S6_EEDaPvRmT3_T4_T5_mT6_P12ihipStream_tbENKUlT_T0_E_clISt17integral_constantIbLb0EESY_EEDaST_SU_EUlST_E_NS1_11comp_targetILNS1_3genE8ELNS1_11target_archE1030ELNS1_3gpuE2ELNS1_3repE0EEENS1_30default_config_static_selectorELNS0_4arch9wavefront6targetE0EEEvT1_
; %bb.0:
	.section	.rodata,"a",@progbits
	.p2align	6, 0x0
	.amdhsa_kernel _ZN7rocprim17ROCPRIM_400000_NS6detail17trampoline_kernelINS0_14default_configENS1_20scan_config_selectorIN3c108BFloat16EEEZZNS1_9scan_implILNS1_25lookback_scan_determinismE0ELb0ELb0ES3_PKS6_PS6_S6_ZZZN2at6native31launch_logcumsumexp_cuda_kernelERKNSD_10TensorBaseESH_lENKUlvE_clEvENKUlvE4_clEvEUlS6_S6_E_S6_EEDaPvRmT3_T4_T5_mT6_P12ihipStream_tbENKUlT_T0_E_clISt17integral_constantIbLb0EESY_EEDaST_SU_EUlST_E_NS1_11comp_targetILNS1_3genE8ELNS1_11target_archE1030ELNS1_3gpuE2ELNS1_3repE0EEENS1_30default_config_static_selectorELNS0_4arch9wavefront6targetE0EEEvT1_
		.amdhsa_group_segment_fixed_size 0
		.amdhsa_private_segment_fixed_size 0
		.amdhsa_kernarg_size 96
		.amdhsa_user_sgpr_count 2
		.amdhsa_user_sgpr_dispatch_ptr 0
		.amdhsa_user_sgpr_queue_ptr 0
		.amdhsa_user_sgpr_kernarg_segment_ptr 1
		.amdhsa_user_sgpr_dispatch_id 0
		.amdhsa_user_sgpr_private_segment_size 0
		.amdhsa_wavefront_size32 1
		.amdhsa_uses_dynamic_stack 0
		.amdhsa_enable_private_segment 0
		.amdhsa_system_sgpr_workgroup_id_x 1
		.amdhsa_system_sgpr_workgroup_id_y 0
		.amdhsa_system_sgpr_workgroup_id_z 0
		.amdhsa_system_sgpr_workgroup_info 0
		.amdhsa_system_vgpr_workitem_id 0
		.amdhsa_next_free_vgpr 1
		.amdhsa_next_free_sgpr 1
		.amdhsa_reserve_vcc 0
		.amdhsa_float_round_mode_32 0
		.amdhsa_float_round_mode_16_64 0
		.amdhsa_float_denorm_mode_32 3
		.amdhsa_float_denorm_mode_16_64 3
		.amdhsa_fp16_overflow 0
		.amdhsa_workgroup_processor_mode 1
		.amdhsa_memory_ordered 1
		.amdhsa_forward_progress 1
		.amdhsa_inst_pref_size 0
		.amdhsa_round_robin_scheduling 0
		.amdhsa_exception_fp_ieee_invalid_op 0
		.amdhsa_exception_fp_denorm_src 0
		.amdhsa_exception_fp_ieee_div_zero 0
		.amdhsa_exception_fp_ieee_overflow 0
		.amdhsa_exception_fp_ieee_underflow 0
		.amdhsa_exception_fp_ieee_inexact 0
		.amdhsa_exception_int_div_zero 0
	.end_amdhsa_kernel
	.section	.text._ZN7rocprim17ROCPRIM_400000_NS6detail17trampoline_kernelINS0_14default_configENS1_20scan_config_selectorIN3c108BFloat16EEEZZNS1_9scan_implILNS1_25lookback_scan_determinismE0ELb0ELb0ES3_PKS6_PS6_S6_ZZZN2at6native31launch_logcumsumexp_cuda_kernelERKNSD_10TensorBaseESH_lENKUlvE_clEvENKUlvE4_clEvEUlS6_S6_E_S6_EEDaPvRmT3_T4_T5_mT6_P12ihipStream_tbENKUlT_T0_E_clISt17integral_constantIbLb0EESY_EEDaST_SU_EUlST_E_NS1_11comp_targetILNS1_3genE8ELNS1_11target_archE1030ELNS1_3gpuE2ELNS1_3repE0EEENS1_30default_config_static_selectorELNS0_4arch9wavefront6targetE0EEEvT1_,"axG",@progbits,_ZN7rocprim17ROCPRIM_400000_NS6detail17trampoline_kernelINS0_14default_configENS1_20scan_config_selectorIN3c108BFloat16EEEZZNS1_9scan_implILNS1_25lookback_scan_determinismE0ELb0ELb0ES3_PKS6_PS6_S6_ZZZN2at6native31launch_logcumsumexp_cuda_kernelERKNSD_10TensorBaseESH_lENKUlvE_clEvENKUlvE4_clEvEUlS6_S6_E_S6_EEDaPvRmT3_T4_T5_mT6_P12ihipStream_tbENKUlT_T0_E_clISt17integral_constantIbLb0EESY_EEDaST_SU_EUlST_E_NS1_11comp_targetILNS1_3genE8ELNS1_11target_archE1030ELNS1_3gpuE2ELNS1_3repE0EEENS1_30default_config_static_selectorELNS0_4arch9wavefront6targetE0EEEvT1_,comdat
.Lfunc_end446:
	.size	_ZN7rocprim17ROCPRIM_400000_NS6detail17trampoline_kernelINS0_14default_configENS1_20scan_config_selectorIN3c108BFloat16EEEZZNS1_9scan_implILNS1_25lookback_scan_determinismE0ELb0ELb0ES3_PKS6_PS6_S6_ZZZN2at6native31launch_logcumsumexp_cuda_kernelERKNSD_10TensorBaseESH_lENKUlvE_clEvENKUlvE4_clEvEUlS6_S6_E_S6_EEDaPvRmT3_T4_T5_mT6_P12ihipStream_tbENKUlT_T0_E_clISt17integral_constantIbLb0EESY_EEDaST_SU_EUlST_E_NS1_11comp_targetILNS1_3genE8ELNS1_11target_archE1030ELNS1_3gpuE2ELNS1_3repE0EEENS1_30default_config_static_selectorELNS0_4arch9wavefront6targetE0EEEvT1_, .Lfunc_end446-_ZN7rocprim17ROCPRIM_400000_NS6detail17trampoline_kernelINS0_14default_configENS1_20scan_config_selectorIN3c108BFloat16EEEZZNS1_9scan_implILNS1_25lookback_scan_determinismE0ELb0ELb0ES3_PKS6_PS6_S6_ZZZN2at6native31launch_logcumsumexp_cuda_kernelERKNSD_10TensorBaseESH_lENKUlvE_clEvENKUlvE4_clEvEUlS6_S6_E_S6_EEDaPvRmT3_T4_T5_mT6_P12ihipStream_tbENKUlT_T0_E_clISt17integral_constantIbLb0EESY_EEDaST_SU_EUlST_E_NS1_11comp_targetILNS1_3genE8ELNS1_11target_archE1030ELNS1_3gpuE2ELNS1_3repE0EEENS1_30default_config_static_selectorELNS0_4arch9wavefront6targetE0EEEvT1_
                                        ; -- End function
	.set _ZN7rocprim17ROCPRIM_400000_NS6detail17trampoline_kernelINS0_14default_configENS1_20scan_config_selectorIN3c108BFloat16EEEZZNS1_9scan_implILNS1_25lookback_scan_determinismE0ELb0ELb0ES3_PKS6_PS6_S6_ZZZN2at6native31launch_logcumsumexp_cuda_kernelERKNSD_10TensorBaseESH_lENKUlvE_clEvENKUlvE4_clEvEUlS6_S6_E_S6_EEDaPvRmT3_T4_T5_mT6_P12ihipStream_tbENKUlT_T0_E_clISt17integral_constantIbLb0EESY_EEDaST_SU_EUlST_E_NS1_11comp_targetILNS1_3genE8ELNS1_11target_archE1030ELNS1_3gpuE2ELNS1_3repE0EEENS1_30default_config_static_selectorELNS0_4arch9wavefront6targetE0EEEvT1_.num_vgpr, 0
	.set _ZN7rocprim17ROCPRIM_400000_NS6detail17trampoline_kernelINS0_14default_configENS1_20scan_config_selectorIN3c108BFloat16EEEZZNS1_9scan_implILNS1_25lookback_scan_determinismE0ELb0ELb0ES3_PKS6_PS6_S6_ZZZN2at6native31launch_logcumsumexp_cuda_kernelERKNSD_10TensorBaseESH_lENKUlvE_clEvENKUlvE4_clEvEUlS6_S6_E_S6_EEDaPvRmT3_T4_T5_mT6_P12ihipStream_tbENKUlT_T0_E_clISt17integral_constantIbLb0EESY_EEDaST_SU_EUlST_E_NS1_11comp_targetILNS1_3genE8ELNS1_11target_archE1030ELNS1_3gpuE2ELNS1_3repE0EEENS1_30default_config_static_selectorELNS0_4arch9wavefront6targetE0EEEvT1_.num_agpr, 0
	.set _ZN7rocprim17ROCPRIM_400000_NS6detail17trampoline_kernelINS0_14default_configENS1_20scan_config_selectorIN3c108BFloat16EEEZZNS1_9scan_implILNS1_25lookback_scan_determinismE0ELb0ELb0ES3_PKS6_PS6_S6_ZZZN2at6native31launch_logcumsumexp_cuda_kernelERKNSD_10TensorBaseESH_lENKUlvE_clEvENKUlvE4_clEvEUlS6_S6_E_S6_EEDaPvRmT3_T4_T5_mT6_P12ihipStream_tbENKUlT_T0_E_clISt17integral_constantIbLb0EESY_EEDaST_SU_EUlST_E_NS1_11comp_targetILNS1_3genE8ELNS1_11target_archE1030ELNS1_3gpuE2ELNS1_3repE0EEENS1_30default_config_static_selectorELNS0_4arch9wavefront6targetE0EEEvT1_.numbered_sgpr, 0
	.set _ZN7rocprim17ROCPRIM_400000_NS6detail17trampoline_kernelINS0_14default_configENS1_20scan_config_selectorIN3c108BFloat16EEEZZNS1_9scan_implILNS1_25lookback_scan_determinismE0ELb0ELb0ES3_PKS6_PS6_S6_ZZZN2at6native31launch_logcumsumexp_cuda_kernelERKNSD_10TensorBaseESH_lENKUlvE_clEvENKUlvE4_clEvEUlS6_S6_E_S6_EEDaPvRmT3_T4_T5_mT6_P12ihipStream_tbENKUlT_T0_E_clISt17integral_constantIbLb0EESY_EEDaST_SU_EUlST_E_NS1_11comp_targetILNS1_3genE8ELNS1_11target_archE1030ELNS1_3gpuE2ELNS1_3repE0EEENS1_30default_config_static_selectorELNS0_4arch9wavefront6targetE0EEEvT1_.num_named_barrier, 0
	.set _ZN7rocprim17ROCPRIM_400000_NS6detail17trampoline_kernelINS0_14default_configENS1_20scan_config_selectorIN3c108BFloat16EEEZZNS1_9scan_implILNS1_25lookback_scan_determinismE0ELb0ELb0ES3_PKS6_PS6_S6_ZZZN2at6native31launch_logcumsumexp_cuda_kernelERKNSD_10TensorBaseESH_lENKUlvE_clEvENKUlvE4_clEvEUlS6_S6_E_S6_EEDaPvRmT3_T4_T5_mT6_P12ihipStream_tbENKUlT_T0_E_clISt17integral_constantIbLb0EESY_EEDaST_SU_EUlST_E_NS1_11comp_targetILNS1_3genE8ELNS1_11target_archE1030ELNS1_3gpuE2ELNS1_3repE0EEENS1_30default_config_static_selectorELNS0_4arch9wavefront6targetE0EEEvT1_.private_seg_size, 0
	.set _ZN7rocprim17ROCPRIM_400000_NS6detail17trampoline_kernelINS0_14default_configENS1_20scan_config_selectorIN3c108BFloat16EEEZZNS1_9scan_implILNS1_25lookback_scan_determinismE0ELb0ELb0ES3_PKS6_PS6_S6_ZZZN2at6native31launch_logcumsumexp_cuda_kernelERKNSD_10TensorBaseESH_lENKUlvE_clEvENKUlvE4_clEvEUlS6_S6_E_S6_EEDaPvRmT3_T4_T5_mT6_P12ihipStream_tbENKUlT_T0_E_clISt17integral_constantIbLb0EESY_EEDaST_SU_EUlST_E_NS1_11comp_targetILNS1_3genE8ELNS1_11target_archE1030ELNS1_3gpuE2ELNS1_3repE0EEENS1_30default_config_static_selectorELNS0_4arch9wavefront6targetE0EEEvT1_.uses_vcc, 0
	.set _ZN7rocprim17ROCPRIM_400000_NS6detail17trampoline_kernelINS0_14default_configENS1_20scan_config_selectorIN3c108BFloat16EEEZZNS1_9scan_implILNS1_25lookback_scan_determinismE0ELb0ELb0ES3_PKS6_PS6_S6_ZZZN2at6native31launch_logcumsumexp_cuda_kernelERKNSD_10TensorBaseESH_lENKUlvE_clEvENKUlvE4_clEvEUlS6_S6_E_S6_EEDaPvRmT3_T4_T5_mT6_P12ihipStream_tbENKUlT_T0_E_clISt17integral_constantIbLb0EESY_EEDaST_SU_EUlST_E_NS1_11comp_targetILNS1_3genE8ELNS1_11target_archE1030ELNS1_3gpuE2ELNS1_3repE0EEENS1_30default_config_static_selectorELNS0_4arch9wavefront6targetE0EEEvT1_.uses_flat_scratch, 0
	.set _ZN7rocprim17ROCPRIM_400000_NS6detail17trampoline_kernelINS0_14default_configENS1_20scan_config_selectorIN3c108BFloat16EEEZZNS1_9scan_implILNS1_25lookback_scan_determinismE0ELb0ELb0ES3_PKS6_PS6_S6_ZZZN2at6native31launch_logcumsumexp_cuda_kernelERKNSD_10TensorBaseESH_lENKUlvE_clEvENKUlvE4_clEvEUlS6_S6_E_S6_EEDaPvRmT3_T4_T5_mT6_P12ihipStream_tbENKUlT_T0_E_clISt17integral_constantIbLb0EESY_EEDaST_SU_EUlST_E_NS1_11comp_targetILNS1_3genE8ELNS1_11target_archE1030ELNS1_3gpuE2ELNS1_3repE0EEENS1_30default_config_static_selectorELNS0_4arch9wavefront6targetE0EEEvT1_.has_dyn_sized_stack, 0
	.set _ZN7rocprim17ROCPRIM_400000_NS6detail17trampoline_kernelINS0_14default_configENS1_20scan_config_selectorIN3c108BFloat16EEEZZNS1_9scan_implILNS1_25lookback_scan_determinismE0ELb0ELb0ES3_PKS6_PS6_S6_ZZZN2at6native31launch_logcumsumexp_cuda_kernelERKNSD_10TensorBaseESH_lENKUlvE_clEvENKUlvE4_clEvEUlS6_S6_E_S6_EEDaPvRmT3_T4_T5_mT6_P12ihipStream_tbENKUlT_T0_E_clISt17integral_constantIbLb0EESY_EEDaST_SU_EUlST_E_NS1_11comp_targetILNS1_3genE8ELNS1_11target_archE1030ELNS1_3gpuE2ELNS1_3repE0EEENS1_30default_config_static_selectorELNS0_4arch9wavefront6targetE0EEEvT1_.has_recursion, 0
	.set _ZN7rocprim17ROCPRIM_400000_NS6detail17trampoline_kernelINS0_14default_configENS1_20scan_config_selectorIN3c108BFloat16EEEZZNS1_9scan_implILNS1_25lookback_scan_determinismE0ELb0ELb0ES3_PKS6_PS6_S6_ZZZN2at6native31launch_logcumsumexp_cuda_kernelERKNSD_10TensorBaseESH_lENKUlvE_clEvENKUlvE4_clEvEUlS6_S6_E_S6_EEDaPvRmT3_T4_T5_mT6_P12ihipStream_tbENKUlT_T0_E_clISt17integral_constantIbLb0EESY_EEDaST_SU_EUlST_E_NS1_11comp_targetILNS1_3genE8ELNS1_11target_archE1030ELNS1_3gpuE2ELNS1_3repE0EEENS1_30default_config_static_selectorELNS0_4arch9wavefront6targetE0EEEvT1_.has_indirect_call, 0
	.section	.AMDGPU.csdata,"",@progbits
; Kernel info:
; codeLenInByte = 0
; TotalNumSgprs: 0
; NumVgprs: 0
; ScratchSize: 0
; MemoryBound: 0
; FloatMode: 240
; IeeeMode: 1
; LDSByteSize: 0 bytes/workgroup (compile time only)
; SGPRBlocks: 0
; VGPRBlocks: 0
; NumSGPRsForWavesPerEU: 1
; NumVGPRsForWavesPerEU: 1
; Occupancy: 16
; WaveLimiterHint : 0
; COMPUTE_PGM_RSRC2:SCRATCH_EN: 0
; COMPUTE_PGM_RSRC2:USER_SGPR: 2
; COMPUTE_PGM_RSRC2:TRAP_HANDLER: 0
; COMPUTE_PGM_RSRC2:TGID_X_EN: 1
; COMPUTE_PGM_RSRC2:TGID_Y_EN: 0
; COMPUTE_PGM_RSRC2:TGID_Z_EN: 0
; COMPUTE_PGM_RSRC2:TIDIG_COMP_CNT: 0
	.section	.text._ZN7rocprim17ROCPRIM_400000_NS6detail17trampoline_kernelINS0_14default_configENS1_25transform_config_selectorIN3c108BFloat16ELb1EEEZNS1_14transform_implILb1ES3_S7_PS6_S9_NS0_8identityIS6_EEEE10hipError_tT2_T3_mT4_P12ihipStream_tbEUlT_E_NS1_11comp_targetILNS1_3genE0ELNS1_11target_archE4294967295ELNS1_3gpuE0ELNS1_3repE0EEENS1_30default_config_static_selectorELNS0_4arch9wavefront6targetE0EEEvT1_,"axG",@progbits,_ZN7rocprim17ROCPRIM_400000_NS6detail17trampoline_kernelINS0_14default_configENS1_25transform_config_selectorIN3c108BFloat16ELb1EEEZNS1_14transform_implILb1ES3_S7_PS6_S9_NS0_8identityIS6_EEEE10hipError_tT2_T3_mT4_P12ihipStream_tbEUlT_E_NS1_11comp_targetILNS1_3genE0ELNS1_11target_archE4294967295ELNS1_3gpuE0ELNS1_3repE0EEENS1_30default_config_static_selectorELNS0_4arch9wavefront6targetE0EEEvT1_,comdat
	.protected	_ZN7rocprim17ROCPRIM_400000_NS6detail17trampoline_kernelINS0_14default_configENS1_25transform_config_selectorIN3c108BFloat16ELb1EEEZNS1_14transform_implILb1ES3_S7_PS6_S9_NS0_8identityIS6_EEEE10hipError_tT2_T3_mT4_P12ihipStream_tbEUlT_E_NS1_11comp_targetILNS1_3genE0ELNS1_11target_archE4294967295ELNS1_3gpuE0ELNS1_3repE0EEENS1_30default_config_static_selectorELNS0_4arch9wavefront6targetE0EEEvT1_ ; -- Begin function _ZN7rocprim17ROCPRIM_400000_NS6detail17trampoline_kernelINS0_14default_configENS1_25transform_config_selectorIN3c108BFloat16ELb1EEEZNS1_14transform_implILb1ES3_S7_PS6_S9_NS0_8identityIS6_EEEE10hipError_tT2_T3_mT4_P12ihipStream_tbEUlT_E_NS1_11comp_targetILNS1_3genE0ELNS1_11target_archE4294967295ELNS1_3gpuE0ELNS1_3repE0EEENS1_30default_config_static_selectorELNS0_4arch9wavefront6targetE0EEEvT1_
	.globl	_ZN7rocprim17ROCPRIM_400000_NS6detail17trampoline_kernelINS0_14default_configENS1_25transform_config_selectorIN3c108BFloat16ELb1EEEZNS1_14transform_implILb1ES3_S7_PS6_S9_NS0_8identityIS6_EEEE10hipError_tT2_T3_mT4_P12ihipStream_tbEUlT_E_NS1_11comp_targetILNS1_3genE0ELNS1_11target_archE4294967295ELNS1_3gpuE0ELNS1_3repE0EEENS1_30default_config_static_selectorELNS0_4arch9wavefront6targetE0EEEvT1_
	.p2align	8
	.type	_ZN7rocprim17ROCPRIM_400000_NS6detail17trampoline_kernelINS0_14default_configENS1_25transform_config_selectorIN3c108BFloat16ELb1EEEZNS1_14transform_implILb1ES3_S7_PS6_S9_NS0_8identityIS6_EEEE10hipError_tT2_T3_mT4_P12ihipStream_tbEUlT_E_NS1_11comp_targetILNS1_3genE0ELNS1_11target_archE4294967295ELNS1_3gpuE0ELNS1_3repE0EEENS1_30default_config_static_selectorELNS0_4arch9wavefront6targetE0EEEvT1_,@function
_ZN7rocprim17ROCPRIM_400000_NS6detail17trampoline_kernelINS0_14default_configENS1_25transform_config_selectorIN3c108BFloat16ELb1EEEZNS1_14transform_implILb1ES3_S7_PS6_S9_NS0_8identityIS6_EEEE10hipError_tT2_T3_mT4_P12ihipStream_tbEUlT_E_NS1_11comp_targetILNS1_3genE0ELNS1_11target_archE4294967295ELNS1_3gpuE0ELNS1_3repE0EEENS1_30default_config_static_selectorELNS0_4arch9wavefront6targetE0EEEvT1_: ; @_ZN7rocprim17ROCPRIM_400000_NS6detail17trampoline_kernelINS0_14default_configENS1_25transform_config_selectorIN3c108BFloat16ELb1EEEZNS1_14transform_implILb1ES3_S7_PS6_S9_NS0_8identityIS6_EEEE10hipError_tT2_T3_mT4_P12ihipStream_tbEUlT_E_NS1_11comp_targetILNS1_3genE0ELNS1_11target_archE4294967295ELNS1_3gpuE0ELNS1_3repE0EEENS1_30default_config_static_selectorELNS0_4arch9wavefront6targetE0EEEvT1_
; %bb.0:
	.section	.rodata,"a",@progbits
	.p2align	6, 0x0
	.amdhsa_kernel _ZN7rocprim17ROCPRIM_400000_NS6detail17trampoline_kernelINS0_14default_configENS1_25transform_config_selectorIN3c108BFloat16ELb1EEEZNS1_14transform_implILb1ES3_S7_PS6_S9_NS0_8identityIS6_EEEE10hipError_tT2_T3_mT4_P12ihipStream_tbEUlT_E_NS1_11comp_targetILNS1_3genE0ELNS1_11target_archE4294967295ELNS1_3gpuE0ELNS1_3repE0EEENS1_30default_config_static_selectorELNS0_4arch9wavefront6targetE0EEEvT1_
		.amdhsa_group_segment_fixed_size 0
		.amdhsa_private_segment_fixed_size 0
		.amdhsa_kernarg_size 40
		.amdhsa_user_sgpr_count 2
		.amdhsa_user_sgpr_dispatch_ptr 0
		.amdhsa_user_sgpr_queue_ptr 0
		.amdhsa_user_sgpr_kernarg_segment_ptr 1
		.amdhsa_user_sgpr_dispatch_id 0
		.amdhsa_user_sgpr_private_segment_size 0
		.amdhsa_wavefront_size32 1
		.amdhsa_uses_dynamic_stack 0
		.amdhsa_enable_private_segment 0
		.amdhsa_system_sgpr_workgroup_id_x 1
		.amdhsa_system_sgpr_workgroup_id_y 0
		.amdhsa_system_sgpr_workgroup_id_z 0
		.amdhsa_system_sgpr_workgroup_info 0
		.amdhsa_system_vgpr_workitem_id 0
		.amdhsa_next_free_vgpr 1
		.amdhsa_next_free_sgpr 1
		.amdhsa_reserve_vcc 0
		.amdhsa_float_round_mode_32 0
		.amdhsa_float_round_mode_16_64 0
		.amdhsa_float_denorm_mode_32 3
		.amdhsa_float_denorm_mode_16_64 3
		.amdhsa_fp16_overflow 0
		.amdhsa_workgroup_processor_mode 1
		.amdhsa_memory_ordered 1
		.amdhsa_forward_progress 1
		.amdhsa_inst_pref_size 0
		.amdhsa_round_robin_scheduling 0
		.amdhsa_exception_fp_ieee_invalid_op 0
		.amdhsa_exception_fp_denorm_src 0
		.amdhsa_exception_fp_ieee_div_zero 0
		.amdhsa_exception_fp_ieee_overflow 0
		.amdhsa_exception_fp_ieee_underflow 0
		.amdhsa_exception_fp_ieee_inexact 0
		.amdhsa_exception_int_div_zero 0
	.end_amdhsa_kernel
	.section	.text._ZN7rocprim17ROCPRIM_400000_NS6detail17trampoline_kernelINS0_14default_configENS1_25transform_config_selectorIN3c108BFloat16ELb1EEEZNS1_14transform_implILb1ES3_S7_PS6_S9_NS0_8identityIS6_EEEE10hipError_tT2_T3_mT4_P12ihipStream_tbEUlT_E_NS1_11comp_targetILNS1_3genE0ELNS1_11target_archE4294967295ELNS1_3gpuE0ELNS1_3repE0EEENS1_30default_config_static_selectorELNS0_4arch9wavefront6targetE0EEEvT1_,"axG",@progbits,_ZN7rocprim17ROCPRIM_400000_NS6detail17trampoline_kernelINS0_14default_configENS1_25transform_config_selectorIN3c108BFloat16ELb1EEEZNS1_14transform_implILb1ES3_S7_PS6_S9_NS0_8identityIS6_EEEE10hipError_tT2_T3_mT4_P12ihipStream_tbEUlT_E_NS1_11comp_targetILNS1_3genE0ELNS1_11target_archE4294967295ELNS1_3gpuE0ELNS1_3repE0EEENS1_30default_config_static_selectorELNS0_4arch9wavefront6targetE0EEEvT1_,comdat
.Lfunc_end447:
	.size	_ZN7rocprim17ROCPRIM_400000_NS6detail17trampoline_kernelINS0_14default_configENS1_25transform_config_selectorIN3c108BFloat16ELb1EEEZNS1_14transform_implILb1ES3_S7_PS6_S9_NS0_8identityIS6_EEEE10hipError_tT2_T3_mT4_P12ihipStream_tbEUlT_E_NS1_11comp_targetILNS1_3genE0ELNS1_11target_archE4294967295ELNS1_3gpuE0ELNS1_3repE0EEENS1_30default_config_static_selectorELNS0_4arch9wavefront6targetE0EEEvT1_, .Lfunc_end447-_ZN7rocprim17ROCPRIM_400000_NS6detail17trampoline_kernelINS0_14default_configENS1_25transform_config_selectorIN3c108BFloat16ELb1EEEZNS1_14transform_implILb1ES3_S7_PS6_S9_NS0_8identityIS6_EEEE10hipError_tT2_T3_mT4_P12ihipStream_tbEUlT_E_NS1_11comp_targetILNS1_3genE0ELNS1_11target_archE4294967295ELNS1_3gpuE0ELNS1_3repE0EEENS1_30default_config_static_selectorELNS0_4arch9wavefront6targetE0EEEvT1_
                                        ; -- End function
	.set _ZN7rocprim17ROCPRIM_400000_NS6detail17trampoline_kernelINS0_14default_configENS1_25transform_config_selectorIN3c108BFloat16ELb1EEEZNS1_14transform_implILb1ES3_S7_PS6_S9_NS0_8identityIS6_EEEE10hipError_tT2_T3_mT4_P12ihipStream_tbEUlT_E_NS1_11comp_targetILNS1_3genE0ELNS1_11target_archE4294967295ELNS1_3gpuE0ELNS1_3repE0EEENS1_30default_config_static_selectorELNS0_4arch9wavefront6targetE0EEEvT1_.num_vgpr, 0
	.set _ZN7rocprim17ROCPRIM_400000_NS6detail17trampoline_kernelINS0_14default_configENS1_25transform_config_selectorIN3c108BFloat16ELb1EEEZNS1_14transform_implILb1ES3_S7_PS6_S9_NS0_8identityIS6_EEEE10hipError_tT2_T3_mT4_P12ihipStream_tbEUlT_E_NS1_11comp_targetILNS1_3genE0ELNS1_11target_archE4294967295ELNS1_3gpuE0ELNS1_3repE0EEENS1_30default_config_static_selectorELNS0_4arch9wavefront6targetE0EEEvT1_.num_agpr, 0
	.set _ZN7rocprim17ROCPRIM_400000_NS6detail17trampoline_kernelINS0_14default_configENS1_25transform_config_selectorIN3c108BFloat16ELb1EEEZNS1_14transform_implILb1ES3_S7_PS6_S9_NS0_8identityIS6_EEEE10hipError_tT2_T3_mT4_P12ihipStream_tbEUlT_E_NS1_11comp_targetILNS1_3genE0ELNS1_11target_archE4294967295ELNS1_3gpuE0ELNS1_3repE0EEENS1_30default_config_static_selectorELNS0_4arch9wavefront6targetE0EEEvT1_.numbered_sgpr, 0
	.set _ZN7rocprim17ROCPRIM_400000_NS6detail17trampoline_kernelINS0_14default_configENS1_25transform_config_selectorIN3c108BFloat16ELb1EEEZNS1_14transform_implILb1ES3_S7_PS6_S9_NS0_8identityIS6_EEEE10hipError_tT2_T3_mT4_P12ihipStream_tbEUlT_E_NS1_11comp_targetILNS1_3genE0ELNS1_11target_archE4294967295ELNS1_3gpuE0ELNS1_3repE0EEENS1_30default_config_static_selectorELNS0_4arch9wavefront6targetE0EEEvT1_.num_named_barrier, 0
	.set _ZN7rocprim17ROCPRIM_400000_NS6detail17trampoline_kernelINS0_14default_configENS1_25transform_config_selectorIN3c108BFloat16ELb1EEEZNS1_14transform_implILb1ES3_S7_PS6_S9_NS0_8identityIS6_EEEE10hipError_tT2_T3_mT4_P12ihipStream_tbEUlT_E_NS1_11comp_targetILNS1_3genE0ELNS1_11target_archE4294967295ELNS1_3gpuE0ELNS1_3repE0EEENS1_30default_config_static_selectorELNS0_4arch9wavefront6targetE0EEEvT1_.private_seg_size, 0
	.set _ZN7rocprim17ROCPRIM_400000_NS6detail17trampoline_kernelINS0_14default_configENS1_25transform_config_selectorIN3c108BFloat16ELb1EEEZNS1_14transform_implILb1ES3_S7_PS6_S9_NS0_8identityIS6_EEEE10hipError_tT2_T3_mT4_P12ihipStream_tbEUlT_E_NS1_11comp_targetILNS1_3genE0ELNS1_11target_archE4294967295ELNS1_3gpuE0ELNS1_3repE0EEENS1_30default_config_static_selectorELNS0_4arch9wavefront6targetE0EEEvT1_.uses_vcc, 0
	.set _ZN7rocprim17ROCPRIM_400000_NS6detail17trampoline_kernelINS0_14default_configENS1_25transform_config_selectorIN3c108BFloat16ELb1EEEZNS1_14transform_implILb1ES3_S7_PS6_S9_NS0_8identityIS6_EEEE10hipError_tT2_T3_mT4_P12ihipStream_tbEUlT_E_NS1_11comp_targetILNS1_3genE0ELNS1_11target_archE4294967295ELNS1_3gpuE0ELNS1_3repE0EEENS1_30default_config_static_selectorELNS0_4arch9wavefront6targetE0EEEvT1_.uses_flat_scratch, 0
	.set _ZN7rocprim17ROCPRIM_400000_NS6detail17trampoline_kernelINS0_14default_configENS1_25transform_config_selectorIN3c108BFloat16ELb1EEEZNS1_14transform_implILb1ES3_S7_PS6_S9_NS0_8identityIS6_EEEE10hipError_tT2_T3_mT4_P12ihipStream_tbEUlT_E_NS1_11comp_targetILNS1_3genE0ELNS1_11target_archE4294967295ELNS1_3gpuE0ELNS1_3repE0EEENS1_30default_config_static_selectorELNS0_4arch9wavefront6targetE0EEEvT1_.has_dyn_sized_stack, 0
	.set _ZN7rocprim17ROCPRIM_400000_NS6detail17trampoline_kernelINS0_14default_configENS1_25transform_config_selectorIN3c108BFloat16ELb1EEEZNS1_14transform_implILb1ES3_S7_PS6_S9_NS0_8identityIS6_EEEE10hipError_tT2_T3_mT4_P12ihipStream_tbEUlT_E_NS1_11comp_targetILNS1_3genE0ELNS1_11target_archE4294967295ELNS1_3gpuE0ELNS1_3repE0EEENS1_30default_config_static_selectorELNS0_4arch9wavefront6targetE0EEEvT1_.has_recursion, 0
	.set _ZN7rocprim17ROCPRIM_400000_NS6detail17trampoline_kernelINS0_14default_configENS1_25transform_config_selectorIN3c108BFloat16ELb1EEEZNS1_14transform_implILb1ES3_S7_PS6_S9_NS0_8identityIS6_EEEE10hipError_tT2_T3_mT4_P12ihipStream_tbEUlT_E_NS1_11comp_targetILNS1_3genE0ELNS1_11target_archE4294967295ELNS1_3gpuE0ELNS1_3repE0EEENS1_30default_config_static_selectorELNS0_4arch9wavefront6targetE0EEEvT1_.has_indirect_call, 0
	.section	.AMDGPU.csdata,"",@progbits
; Kernel info:
; codeLenInByte = 0
; TotalNumSgprs: 0
; NumVgprs: 0
; ScratchSize: 0
; MemoryBound: 0
; FloatMode: 240
; IeeeMode: 1
; LDSByteSize: 0 bytes/workgroup (compile time only)
; SGPRBlocks: 0
; VGPRBlocks: 0
; NumSGPRsForWavesPerEU: 1
; NumVGPRsForWavesPerEU: 1
; Occupancy: 16
; WaveLimiterHint : 0
; COMPUTE_PGM_RSRC2:SCRATCH_EN: 0
; COMPUTE_PGM_RSRC2:USER_SGPR: 2
; COMPUTE_PGM_RSRC2:TRAP_HANDLER: 0
; COMPUTE_PGM_RSRC2:TGID_X_EN: 1
; COMPUTE_PGM_RSRC2:TGID_Y_EN: 0
; COMPUTE_PGM_RSRC2:TGID_Z_EN: 0
; COMPUTE_PGM_RSRC2:TIDIG_COMP_CNT: 0
	.section	.text._ZN7rocprim17ROCPRIM_400000_NS6detail17trampoline_kernelINS0_14default_configENS1_25transform_config_selectorIN3c108BFloat16ELb1EEEZNS1_14transform_implILb1ES3_S7_PS6_S9_NS0_8identityIS6_EEEE10hipError_tT2_T3_mT4_P12ihipStream_tbEUlT_E_NS1_11comp_targetILNS1_3genE10ELNS1_11target_archE1201ELNS1_3gpuE5ELNS1_3repE0EEENS1_30default_config_static_selectorELNS0_4arch9wavefront6targetE0EEEvT1_,"axG",@progbits,_ZN7rocprim17ROCPRIM_400000_NS6detail17trampoline_kernelINS0_14default_configENS1_25transform_config_selectorIN3c108BFloat16ELb1EEEZNS1_14transform_implILb1ES3_S7_PS6_S9_NS0_8identityIS6_EEEE10hipError_tT2_T3_mT4_P12ihipStream_tbEUlT_E_NS1_11comp_targetILNS1_3genE10ELNS1_11target_archE1201ELNS1_3gpuE5ELNS1_3repE0EEENS1_30default_config_static_selectorELNS0_4arch9wavefront6targetE0EEEvT1_,comdat
	.protected	_ZN7rocprim17ROCPRIM_400000_NS6detail17trampoline_kernelINS0_14default_configENS1_25transform_config_selectorIN3c108BFloat16ELb1EEEZNS1_14transform_implILb1ES3_S7_PS6_S9_NS0_8identityIS6_EEEE10hipError_tT2_T3_mT4_P12ihipStream_tbEUlT_E_NS1_11comp_targetILNS1_3genE10ELNS1_11target_archE1201ELNS1_3gpuE5ELNS1_3repE0EEENS1_30default_config_static_selectorELNS0_4arch9wavefront6targetE0EEEvT1_ ; -- Begin function _ZN7rocprim17ROCPRIM_400000_NS6detail17trampoline_kernelINS0_14default_configENS1_25transform_config_selectorIN3c108BFloat16ELb1EEEZNS1_14transform_implILb1ES3_S7_PS6_S9_NS0_8identityIS6_EEEE10hipError_tT2_T3_mT4_P12ihipStream_tbEUlT_E_NS1_11comp_targetILNS1_3genE10ELNS1_11target_archE1201ELNS1_3gpuE5ELNS1_3repE0EEENS1_30default_config_static_selectorELNS0_4arch9wavefront6targetE0EEEvT1_
	.globl	_ZN7rocprim17ROCPRIM_400000_NS6detail17trampoline_kernelINS0_14default_configENS1_25transform_config_selectorIN3c108BFloat16ELb1EEEZNS1_14transform_implILb1ES3_S7_PS6_S9_NS0_8identityIS6_EEEE10hipError_tT2_T3_mT4_P12ihipStream_tbEUlT_E_NS1_11comp_targetILNS1_3genE10ELNS1_11target_archE1201ELNS1_3gpuE5ELNS1_3repE0EEENS1_30default_config_static_selectorELNS0_4arch9wavefront6targetE0EEEvT1_
	.p2align	8
	.type	_ZN7rocprim17ROCPRIM_400000_NS6detail17trampoline_kernelINS0_14default_configENS1_25transform_config_selectorIN3c108BFloat16ELb1EEEZNS1_14transform_implILb1ES3_S7_PS6_S9_NS0_8identityIS6_EEEE10hipError_tT2_T3_mT4_P12ihipStream_tbEUlT_E_NS1_11comp_targetILNS1_3genE10ELNS1_11target_archE1201ELNS1_3gpuE5ELNS1_3repE0EEENS1_30default_config_static_selectorELNS0_4arch9wavefront6targetE0EEEvT1_,@function
_ZN7rocprim17ROCPRIM_400000_NS6detail17trampoline_kernelINS0_14default_configENS1_25transform_config_selectorIN3c108BFloat16ELb1EEEZNS1_14transform_implILb1ES3_S7_PS6_S9_NS0_8identityIS6_EEEE10hipError_tT2_T3_mT4_P12ihipStream_tbEUlT_E_NS1_11comp_targetILNS1_3genE10ELNS1_11target_archE1201ELNS1_3gpuE5ELNS1_3repE0EEENS1_30default_config_static_selectorELNS0_4arch9wavefront6targetE0EEEvT1_: ; @_ZN7rocprim17ROCPRIM_400000_NS6detail17trampoline_kernelINS0_14default_configENS1_25transform_config_selectorIN3c108BFloat16ELb1EEEZNS1_14transform_implILb1ES3_S7_PS6_S9_NS0_8identityIS6_EEEE10hipError_tT2_T3_mT4_P12ihipStream_tbEUlT_E_NS1_11comp_targetILNS1_3genE10ELNS1_11target_archE1201ELNS1_3gpuE5ELNS1_3repE0EEENS1_30default_config_static_selectorELNS0_4arch9wavefront6targetE0EEEvT1_
; %bb.0:
	s_clause 0x1
	s_load_b256 s[4:11], s[0:1], 0x0
	s_load_b32 s12, s[0:1], 0x28
	s_lshl_b32 s0, ttmp9, 7
	s_mov_b32 s1, 0
	s_wait_kmcnt 0x0
	s_mov_b32 s9, -1
	s_lshl_b64 s[2:3], s[6:7], 1
	s_add_co_i32 s12, s12, -1
	s_add_nc_u64 s[6:7], s[4:5], s[2:3]
	s_lshl_b64 s[4:5], s[0:1], 1
	s_add_nc_u64 s[2:3], s[10:11], s[2:3]
	s_cmp_lg_u32 ttmp9, s12
	s_add_nc_u64 s[6:7], s[6:7], s[4:5]
	s_cbranch_scc0 .LBB448_2
; %bb.1:
	v_lshlrev_b32_e32 v1, 2, v0
	s_add_nc_u64 s[10:11], s[2:3], s[4:5]
	s_mov_b32 s9, 0
	global_load_b32 v2, v1, s[6:7] th:TH_LOAD_NT
	s_wait_loadcnt 0x0
	global_store_b32 v1, v2, s[10:11]
.LBB448_2:
	s_and_not1_b32 vcc_lo, exec_lo, s9
	s_cbranch_vccnz .LBB448_11
; %bb.3:
	s_sub_co_i32 s1, s8, s0
                                        ; implicit-def: $vgpr2
	s_delay_alu instid0(SALU_CYCLE_1)
	v_cmp_gt_u32_e32 vcc_lo, s1, v0
	s_and_saveexec_b32 s0, vcc_lo
	s_cbranch_execz .LBB448_5
; %bb.4:
	v_lshlrev_b32_e32 v1, 1, v0
	global_load_u16 v2, v1, s[6:7]
.LBB448_5:
	s_wait_alu 0xfffe
	s_or_b32 exec_lo, exec_lo, s0
	v_or_b32_e32 v1, 64, v0
	s_delay_alu instid0(VALU_DEP_1) | instskip(SKIP_2) | instid1(SALU_CYCLE_1)
	v_cmp_gt_u32_e64 s0, s1, v1
	v_cmp_le_u32_e64 s1, s1, v1
	s_and_saveexec_b32 s8, s1
	s_xor_b32 s1, exec_lo, s8
	s_wait_alu 0xfffe
	s_or_saveexec_b32 s1, s1
                                        ; implicit-def: $vgpr3
	s_wait_alu 0xfffe
	s_xor_b32 exec_lo, exec_lo, s1
	s_cbranch_execz .LBB448_7
; %bb.6:
	v_lshlrev_b32_e32 v1, 1, v0
	global_load_u16 v3, v1, s[6:7] offset:128
.LBB448_7:
	s_or_b32 exec_lo, exec_lo, s1
	v_lshlrev_b32_e32 v0, 1, v0
	s_add_nc_u64 s[2:3], s[2:3], s[4:5]
	s_delay_alu instid0(VALU_DEP_1) | instid1(SALU_CYCLE_1)
	v_add_co_u32 v0, s1, s2, v0
	s_wait_alu 0xf1ff
	v_add_co_ci_u32_e64 v1, null, s3, 0, s1
	s_and_saveexec_b32 s1, vcc_lo
	s_cbranch_execz .LBB448_9
; %bb.8:
	s_wait_loadcnt 0x0
	global_store_b16 v[0:1], v2, off
.LBB448_9:
	s_wait_alu 0xfffe
	s_or_b32 exec_lo, exec_lo, s1
	s_and_saveexec_b32 s1, s0
	s_cbranch_execz .LBB448_11
; %bb.10:
	s_wait_loadcnt 0x0
	global_store_b16 v[0:1], v3, off offset:128
.LBB448_11:
	s_endpgm
	.section	.rodata,"a",@progbits
	.p2align	6, 0x0
	.amdhsa_kernel _ZN7rocprim17ROCPRIM_400000_NS6detail17trampoline_kernelINS0_14default_configENS1_25transform_config_selectorIN3c108BFloat16ELb1EEEZNS1_14transform_implILb1ES3_S7_PS6_S9_NS0_8identityIS6_EEEE10hipError_tT2_T3_mT4_P12ihipStream_tbEUlT_E_NS1_11comp_targetILNS1_3genE10ELNS1_11target_archE1201ELNS1_3gpuE5ELNS1_3repE0EEENS1_30default_config_static_selectorELNS0_4arch9wavefront6targetE0EEEvT1_
		.amdhsa_group_segment_fixed_size 0
		.amdhsa_private_segment_fixed_size 0
		.amdhsa_kernarg_size 296
		.amdhsa_user_sgpr_count 2
		.amdhsa_user_sgpr_dispatch_ptr 0
		.amdhsa_user_sgpr_queue_ptr 0
		.amdhsa_user_sgpr_kernarg_segment_ptr 1
		.amdhsa_user_sgpr_dispatch_id 0
		.amdhsa_user_sgpr_private_segment_size 0
		.amdhsa_wavefront_size32 1
		.amdhsa_uses_dynamic_stack 0
		.amdhsa_enable_private_segment 0
		.amdhsa_system_sgpr_workgroup_id_x 1
		.amdhsa_system_sgpr_workgroup_id_y 0
		.amdhsa_system_sgpr_workgroup_id_z 0
		.amdhsa_system_sgpr_workgroup_info 0
		.amdhsa_system_vgpr_workitem_id 0
		.amdhsa_next_free_vgpr 4
		.amdhsa_next_free_sgpr 13
		.amdhsa_reserve_vcc 1
		.amdhsa_float_round_mode_32 0
		.amdhsa_float_round_mode_16_64 0
		.amdhsa_float_denorm_mode_32 3
		.amdhsa_float_denorm_mode_16_64 3
		.amdhsa_fp16_overflow 0
		.amdhsa_workgroup_processor_mode 1
		.amdhsa_memory_ordered 1
		.amdhsa_forward_progress 1
		.amdhsa_inst_pref_size 3
		.amdhsa_round_robin_scheduling 0
		.amdhsa_exception_fp_ieee_invalid_op 0
		.amdhsa_exception_fp_denorm_src 0
		.amdhsa_exception_fp_ieee_div_zero 0
		.amdhsa_exception_fp_ieee_overflow 0
		.amdhsa_exception_fp_ieee_underflow 0
		.amdhsa_exception_fp_ieee_inexact 0
		.amdhsa_exception_int_div_zero 0
	.end_amdhsa_kernel
	.section	.text._ZN7rocprim17ROCPRIM_400000_NS6detail17trampoline_kernelINS0_14default_configENS1_25transform_config_selectorIN3c108BFloat16ELb1EEEZNS1_14transform_implILb1ES3_S7_PS6_S9_NS0_8identityIS6_EEEE10hipError_tT2_T3_mT4_P12ihipStream_tbEUlT_E_NS1_11comp_targetILNS1_3genE10ELNS1_11target_archE1201ELNS1_3gpuE5ELNS1_3repE0EEENS1_30default_config_static_selectorELNS0_4arch9wavefront6targetE0EEEvT1_,"axG",@progbits,_ZN7rocprim17ROCPRIM_400000_NS6detail17trampoline_kernelINS0_14default_configENS1_25transform_config_selectorIN3c108BFloat16ELb1EEEZNS1_14transform_implILb1ES3_S7_PS6_S9_NS0_8identityIS6_EEEE10hipError_tT2_T3_mT4_P12ihipStream_tbEUlT_E_NS1_11comp_targetILNS1_3genE10ELNS1_11target_archE1201ELNS1_3gpuE5ELNS1_3repE0EEENS1_30default_config_static_selectorELNS0_4arch9wavefront6targetE0EEEvT1_,comdat
.Lfunc_end448:
	.size	_ZN7rocprim17ROCPRIM_400000_NS6detail17trampoline_kernelINS0_14default_configENS1_25transform_config_selectorIN3c108BFloat16ELb1EEEZNS1_14transform_implILb1ES3_S7_PS6_S9_NS0_8identityIS6_EEEE10hipError_tT2_T3_mT4_P12ihipStream_tbEUlT_E_NS1_11comp_targetILNS1_3genE10ELNS1_11target_archE1201ELNS1_3gpuE5ELNS1_3repE0EEENS1_30default_config_static_selectorELNS0_4arch9wavefront6targetE0EEEvT1_, .Lfunc_end448-_ZN7rocprim17ROCPRIM_400000_NS6detail17trampoline_kernelINS0_14default_configENS1_25transform_config_selectorIN3c108BFloat16ELb1EEEZNS1_14transform_implILb1ES3_S7_PS6_S9_NS0_8identityIS6_EEEE10hipError_tT2_T3_mT4_P12ihipStream_tbEUlT_E_NS1_11comp_targetILNS1_3genE10ELNS1_11target_archE1201ELNS1_3gpuE5ELNS1_3repE0EEENS1_30default_config_static_selectorELNS0_4arch9wavefront6targetE0EEEvT1_
                                        ; -- End function
	.set _ZN7rocprim17ROCPRIM_400000_NS6detail17trampoline_kernelINS0_14default_configENS1_25transform_config_selectorIN3c108BFloat16ELb1EEEZNS1_14transform_implILb1ES3_S7_PS6_S9_NS0_8identityIS6_EEEE10hipError_tT2_T3_mT4_P12ihipStream_tbEUlT_E_NS1_11comp_targetILNS1_3genE10ELNS1_11target_archE1201ELNS1_3gpuE5ELNS1_3repE0EEENS1_30default_config_static_selectorELNS0_4arch9wavefront6targetE0EEEvT1_.num_vgpr, 4
	.set _ZN7rocprim17ROCPRIM_400000_NS6detail17trampoline_kernelINS0_14default_configENS1_25transform_config_selectorIN3c108BFloat16ELb1EEEZNS1_14transform_implILb1ES3_S7_PS6_S9_NS0_8identityIS6_EEEE10hipError_tT2_T3_mT4_P12ihipStream_tbEUlT_E_NS1_11comp_targetILNS1_3genE10ELNS1_11target_archE1201ELNS1_3gpuE5ELNS1_3repE0EEENS1_30default_config_static_selectorELNS0_4arch9wavefront6targetE0EEEvT1_.num_agpr, 0
	.set _ZN7rocprim17ROCPRIM_400000_NS6detail17trampoline_kernelINS0_14default_configENS1_25transform_config_selectorIN3c108BFloat16ELb1EEEZNS1_14transform_implILb1ES3_S7_PS6_S9_NS0_8identityIS6_EEEE10hipError_tT2_T3_mT4_P12ihipStream_tbEUlT_E_NS1_11comp_targetILNS1_3genE10ELNS1_11target_archE1201ELNS1_3gpuE5ELNS1_3repE0EEENS1_30default_config_static_selectorELNS0_4arch9wavefront6targetE0EEEvT1_.numbered_sgpr, 13
	.set _ZN7rocprim17ROCPRIM_400000_NS6detail17trampoline_kernelINS0_14default_configENS1_25transform_config_selectorIN3c108BFloat16ELb1EEEZNS1_14transform_implILb1ES3_S7_PS6_S9_NS0_8identityIS6_EEEE10hipError_tT2_T3_mT4_P12ihipStream_tbEUlT_E_NS1_11comp_targetILNS1_3genE10ELNS1_11target_archE1201ELNS1_3gpuE5ELNS1_3repE0EEENS1_30default_config_static_selectorELNS0_4arch9wavefront6targetE0EEEvT1_.num_named_barrier, 0
	.set _ZN7rocprim17ROCPRIM_400000_NS6detail17trampoline_kernelINS0_14default_configENS1_25transform_config_selectorIN3c108BFloat16ELb1EEEZNS1_14transform_implILb1ES3_S7_PS6_S9_NS0_8identityIS6_EEEE10hipError_tT2_T3_mT4_P12ihipStream_tbEUlT_E_NS1_11comp_targetILNS1_3genE10ELNS1_11target_archE1201ELNS1_3gpuE5ELNS1_3repE0EEENS1_30default_config_static_selectorELNS0_4arch9wavefront6targetE0EEEvT1_.private_seg_size, 0
	.set _ZN7rocprim17ROCPRIM_400000_NS6detail17trampoline_kernelINS0_14default_configENS1_25transform_config_selectorIN3c108BFloat16ELb1EEEZNS1_14transform_implILb1ES3_S7_PS6_S9_NS0_8identityIS6_EEEE10hipError_tT2_T3_mT4_P12ihipStream_tbEUlT_E_NS1_11comp_targetILNS1_3genE10ELNS1_11target_archE1201ELNS1_3gpuE5ELNS1_3repE0EEENS1_30default_config_static_selectorELNS0_4arch9wavefront6targetE0EEEvT1_.uses_vcc, 1
	.set _ZN7rocprim17ROCPRIM_400000_NS6detail17trampoline_kernelINS0_14default_configENS1_25transform_config_selectorIN3c108BFloat16ELb1EEEZNS1_14transform_implILb1ES3_S7_PS6_S9_NS0_8identityIS6_EEEE10hipError_tT2_T3_mT4_P12ihipStream_tbEUlT_E_NS1_11comp_targetILNS1_3genE10ELNS1_11target_archE1201ELNS1_3gpuE5ELNS1_3repE0EEENS1_30default_config_static_selectorELNS0_4arch9wavefront6targetE0EEEvT1_.uses_flat_scratch, 0
	.set _ZN7rocprim17ROCPRIM_400000_NS6detail17trampoline_kernelINS0_14default_configENS1_25transform_config_selectorIN3c108BFloat16ELb1EEEZNS1_14transform_implILb1ES3_S7_PS6_S9_NS0_8identityIS6_EEEE10hipError_tT2_T3_mT4_P12ihipStream_tbEUlT_E_NS1_11comp_targetILNS1_3genE10ELNS1_11target_archE1201ELNS1_3gpuE5ELNS1_3repE0EEENS1_30default_config_static_selectorELNS0_4arch9wavefront6targetE0EEEvT1_.has_dyn_sized_stack, 0
	.set _ZN7rocprim17ROCPRIM_400000_NS6detail17trampoline_kernelINS0_14default_configENS1_25transform_config_selectorIN3c108BFloat16ELb1EEEZNS1_14transform_implILb1ES3_S7_PS6_S9_NS0_8identityIS6_EEEE10hipError_tT2_T3_mT4_P12ihipStream_tbEUlT_E_NS1_11comp_targetILNS1_3genE10ELNS1_11target_archE1201ELNS1_3gpuE5ELNS1_3repE0EEENS1_30default_config_static_selectorELNS0_4arch9wavefront6targetE0EEEvT1_.has_recursion, 0
	.set _ZN7rocprim17ROCPRIM_400000_NS6detail17trampoline_kernelINS0_14default_configENS1_25transform_config_selectorIN3c108BFloat16ELb1EEEZNS1_14transform_implILb1ES3_S7_PS6_S9_NS0_8identityIS6_EEEE10hipError_tT2_T3_mT4_P12ihipStream_tbEUlT_E_NS1_11comp_targetILNS1_3genE10ELNS1_11target_archE1201ELNS1_3gpuE5ELNS1_3repE0EEENS1_30default_config_static_selectorELNS0_4arch9wavefront6targetE0EEEvT1_.has_indirect_call, 0
	.section	.AMDGPU.csdata,"",@progbits
; Kernel info:
; codeLenInByte = 324
; TotalNumSgprs: 15
; NumVgprs: 4
; ScratchSize: 0
; MemoryBound: 0
; FloatMode: 240
; IeeeMode: 1
; LDSByteSize: 0 bytes/workgroup (compile time only)
; SGPRBlocks: 0
; VGPRBlocks: 0
; NumSGPRsForWavesPerEU: 15
; NumVGPRsForWavesPerEU: 4
; Occupancy: 16
; WaveLimiterHint : 0
; COMPUTE_PGM_RSRC2:SCRATCH_EN: 0
; COMPUTE_PGM_RSRC2:USER_SGPR: 2
; COMPUTE_PGM_RSRC2:TRAP_HANDLER: 0
; COMPUTE_PGM_RSRC2:TGID_X_EN: 1
; COMPUTE_PGM_RSRC2:TGID_Y_EN: 0
; COMPUTE_PGM_RSRC2:TGID_Z_EN: 0
; COMPUTE_PGM_RSRC2:TIDIG_COMP_CNT: 0
	.section	.text._ZN7rocprim17ROCPRIM_400000_NS6detail17trampoline_kernelINS0_14default_configENS1_25transform_config_selectorIN3c108BFloat16ELb1EEEZNS1_14transform_implILb1ES3_S7_PS6_S9_NS0_8identityIS6_EEEE10hipError_tT2_T3_mT4_P12ihipStream_tbEUlT_E_NS1_11comp_targetILNS1_3genE5ELNS1_11target_archE942ELNS1_3gpuE9ELNS1_3repE0EEENS1_30default_config_static_selectorELNS0_4arch9wavefront6targetE0EEEvT1_,"axG",@progbits,_ZN7rocprim17ROCPRIM_400000_NS6detail17trampoline_kernelINS0_14default_configENS1_25transform_config_selectorIN3c108BFloat16ELb1EEEZNS1_14transform_implILb1ES3_S7_PS6_S9_NS0_8identityIS6_EEEE10hipError_tT2_T3_mT4_P12ihipStream_tbEUlT_E_NS1_11comp_targetILNS1_3genE5ELNS1_11target_archE942ELNS1_3gpuE9ELNS1_3repE0EEENS1_30default_config_static_selectorELNS0_4arch9wavefront6targetE0EEEvT1_,comdat
	.protected	_ZN7rocprim17ROCPRIM_400000_NS6detail17trampoline_kernelINS0_14default_configENS1_25transform_config_selectorIN3c108BFloat16ELb1EEEZNS1_14transform_implILb1ES3_S7_PS6_S9_NS0_8identityIS6_EEEE10hipError_tT2_T3_mT4_P12ihipStream_tbEUlT_E_NS1_11comp_targetILNS1_3genE5ELNS1_11target_archE942ELNS1_3gpuE9ELNS1_3repE0EEENS1_30default_config_static_selectorELNS0_4arch9wavefront6targetE0EEEvT1_ ; -- Begin function _ZN7rocprim17ROCPRIM_400000_NS6detail17trampoline_kernelINS0_14default_configENS1_25transform_config_selectorIN3c108BFloat16ELb1EEEZNS1_14transform_implILb1ES3_S7_PS6_S9_NS0_8identityIS6_EEEE10hipError_tT2_T3_mT4_P12ihipStream_tbEUlT_E_NS1_11comp_targetILNS1_3genE5ELNS1_11target_archE942ELNS1_3gpuE9ELNS1_3repE0EEENS1_30default_config_static_selectorELNS0_4arch9wavefront6targetE0EEEvT1_
	.globl	_ZN7rocprim17ROCPRIM_400000_NS6detail17trampoline_kernelINS0_14default_configENS1_25transform_config_selectorIN3c108BFloat16ELb1EEEZNS1_14transform_implILb1ES3_S7_PS6_S9_NS0_8identityIS6_EEEE10hipError_tT2_T3_mT4_P12ihipStream_tbEUlT_E_NS1_11comp_targetILNS1_3genE5ELNS1_11target_archE942ELNS1_3gpuE9ELNS1_3repE0EEENS1_30default_config_static_selectorELNS0_4arch9wavefront6targetE0EEEvT1_
	.p2align	8
	.type	_ZN7rocprim17ROCPRIM_400000_NS6detail17trampoline_kernelINS0_14default_configENS1_25transform_config_selectorIN3c108BFloat16ELb1EEEZNS1_14transform_implILb1ES3_S7_PS6_S9_NS0_8identityIS6_EEEE10hipError_tT2_T3_mT4_P12ihipStream_tbEUlT_E_NS1_11comp_targetILNS1_3genE5ELNS1_11target_archE942ELNS1_3gpuE9ELNS1_3repE0EEENS1_30default_config_static_selectorELNS0_4arch9wavefront6targetE0EEEvT1_,@function
_ZN7rocprim17ROCPRIM_400000_NS6detail17trampoline_kernelINS0_14default_configENS1_25transform_config_selectorIN3c108BFloat16ELb1EEEZNS1_14transform_implILb1ES3_S7_PS6_S9_NS0_8identityIS6_EEEE10hipError_tT2_T3_mT4_P12ihipStream_tbEUlT_E_NS1_11comp_targetILNS1_3genE5ELNS1_11target_archE942ELNS1_3gpuE9ELNS1_3repE0EEENS1_30default_config_static_selectorELNS0_4arch9wavefront6targetE0EEEvT1_: ; @_ZN7rocprim17ROCPRIM_400000_NS6detail17trampoline_kernelINS0_14default_configENS1_25transform_config_selectorIN3c108BFloat16ELb1EEEZNS1_14transform_implILb1ES3_S7_PS6_S9_NS0_8identityIS6_EEEE10hipError_tT2_T3_mT4_P12ihipStream_tbEUlT_E_NS1_11comp_targetILNS1_3genE5ELNS1_11target_archE942ELNS1_3gpuE9ELNS1_3repE0EEENS1_30default_config_static_selectorELNS0_4arch9wavefront6targetE0EEEvT1_
; %bb.0:
	.section	.rodata,"a",@progbits
	.p2align	6, 0x0
	.amdhsa_kernel _ZN7rocprim17ROCPRIM_400000_NS6detail17trampoline_kernelINS0_14default_configENS1_25transform_config_selectorIN3c108BFloat16ELb1EEEZNS1_14transform_implILb1ES3_S7_PS6_S9_NS0_8identityIS6_EEEE10hipError_tT2_T3_mT4_P12ihipStream_tbEUlT_E_NS1_11comp_targetILNS1_3genE5ELNS1_11target_archE942ELNS1_3gpuE9ELNS1_3repE0EEENS1_30default_config_static_selectorELNS0_4arch9wavefront6targetE0EEEvT1_
		.amdhsa_group_segment_fixed_size 0
		.amdhsa_private_segment_fixed_size 0
		.amdhsa_kernarg_size 40
		.amdhsa_user_sgpr_count 2
		.amdhsa_user_sgpr_dispatch_ptr 0
		.amdhsa_user_sgpr_queue_ptr 0
		.amdhsa_user_sgpr_kernarg_segment_ptr 1
		.amdhsa_user_sgpr_dispatch_id 0
		.amdhsa_user_sgpr_private_segment_size 0
		.amdhsa_wavefront_size32 1
		.amdhsa_uses_dynamic_stack 0
		.amdhsa_enable_private_segment 0
		.amdhsa_system_sgpr_workgroup_id_x 1
		.amdhsa_system_sgpr_workgroup_id_y 0
		.amdhsa_system_sgpr_workgroup_id_z 0
		.amdhsa_system_sgpr_workgroup_info 0
		.amdhsa_system_vgpr_workitem_id 0
		.amdhsa_next_free_vgpr 1
		.amdhsa_next_free_sgpr 1
		.amdhsa_reserve_vcc 0
		.amdhsa_float_round_mode_32 0
		.amdhsa_float_round_mode_16_64 0
		.amdhsa_float_denorm_mode_32 3
		.amdhsa_float_denorm_mode_16_64 3
		.amdhsa_fp16_overflow 0
		.amdhsa_workgroup_processor_mode 1
		.amdhsa_memory_ordered 1
		.amdhsa_forward_progress 1
		.amdhsa_inst_pref_size 0
		.amdhsa_round_robin_scheduling 0
		.amdhsa_exception_fp_ieee_invalid_op 0
		.amdhsa_exception_fp_denorm_src 0
		.amdhsa_exception_fp_ieee_div_zero 0
		.amdhsa_exception_fp_ieee_overflow 0
		.amdhsa_exception_fp_ieee_underflow 0
		.amdhsa_exception_fp_ieee_inexact 0
		.amdhsa_exception_int_div_zero 0
	.end_amdhsa_kernel
	.section	.text._ZN7rocprim17ROCPRIM_400000_NS6detail17trampoline_kernelINS0_14default_configENS1_25transform_config_selectorIN3c108BFloat16ELb1EEEZNS1_14transform_implILb1ES3_S7_PS6_S9_NS0_8identityIS6_EEEE10hipError_tT2_T3_mT4_P12ihipStream_tbEUlT_E_NS1_11comp_targetILNS1_3genE5ELNS1_11target_archE942ELNS1_3gpuE9ELNS1_3repE0EEENS1_30default_config_static_selectorELNS0_4arch9wavefront6targetE0EEEvT1_,"axG",@progbits,_ZN7rocprim17ROCPRIM_400000_NS6detail17trampoline_kernelINS0_14default_configENS1_25transform_config_selectorIN3c108BFloat16ELb1EEEZNS1_14transform_implILb1ES3_S7_PS6_S9_NS0_8identityIS6_EEEE10hipError_tT2_T3_mT4_P12ihipStream_tbEUlT_E_NS1_11comp_targetILNS1_3genE5ELNS1_11target_archE942ELNS1_3gpuE9ELNS1_3repE0EEENS1_30default_config_static_selectorELNS0_4arch9wavefront6targetE0EEEvT1_,comdat
.Lfunc_end449:
	.size	_ZN7rocprim17ROCPRIM_400000_NS6detail17trampoline_kernelINS0_14default_configENS1_25transform_config_selectorIN3c108BFloat16ELb1EEEZNS1_14transform_implILb1ES3_S7_PS6_S9_NS0_8identityIS6_EEEE10hipError_tT2_T3_mT4_P12ihipStream_tbEUlT_E_NS1_11comp_targetILNS1_3genE5ELNS1_11target_archE942ELNS1_3gpuE9ELNS1_3repE0EEENS1_30default_config_static_selectorELNS0_4arch9wavefront6targetE0EEEvT1_, .Lfunc_end449-_ZN7rocprim17ROCPRIM_400000_NS6detail17trampoline_kernelINS0_14default_configENS1_25transform_config_selectorIN3c108BFloat16ELb1EEEZNS1_14transform_implILb1ES3_S7_PS6_S9_NS0_8identityIS6_EEEE10hipError_tT2_T3_mT4_P12ihipStream_tbEUlT_E_NS1_11comp_targetILNS1_3genE5ELNS1_11target_archE942ELNS1_3gpuE9ELNS1_3repE0EEENS1_30default_config_static_selectorELNS0_4arch9wavefront6targetE0EEEvT1_
                                        ; -- End function
	.set _ZN7rocprim17ROCPRIM_400000_NS6detail17trampoline_kernelINS0_14default_configENS1_25transform_config_selectorIN3c108BFloat16ELb1EEEZNS1_14transform_implILb1ES3_S7_PS6_S9_NS0_8identityIS6_EEEE10hipError_tT2_T3_mT4_P12ihipStream_tbEUlT_E_NS1_11comp_targetILNS1_3genE5ELNS1_11target_archE942ELNS1_3gpuE9ELNS1_3repE0EEENS1_30default_config_static_selectorELNS0_4arch9wavefront6targetE0EEEvT1_.num_vgpr, 0
	.set _ZN7rocprim17ROCPRIM_400000_NS6detail17trampoline_kernelINS0_14default_configENS1_25transform_config_selectorIN3c108BFloat16ELb1EEEZNS1_14transform_implILb1ES3_S7_PS6_S9_NS0_8identityIS6_EEEE10hipError_tT2_T3_mT4_P12ihipStream_tbEUlT_E_NS1_11comp_targetILNS1_3genE5ELNS1_11target_archE942ELNS1_3gpuE9ELNS1_3repE0EEENS1_30default_config_static_selectorELNS0_4arch9wavefront6targetE0EEEvT1_.num_agpr, 0
	.set _ZN7rocprim17ROCPRIM_400000_NS6detail17trampoline_kernelINS0_14default_configENS1_25transform_config_selectorIN3c108BFloat16ELb1EEEZNS1_14transform_implILb1ES3_S7_PS6_S9_NS0_8identityIS6_EEEE10hipError_tT2_T3_mT4_P12ihipStream_tbEUlT_E_NS1_11comp_targetILNS1_3genE5ELNS1_11target_archE942ELNS1_3gpuE9ELNS1_3repE0EEENS1_30default_config_static_selectorELNS0_4arch9wavefront6targetE0EEEvT1_.numbered_sgpr, 0
	.set _ZN7rocprim17ROCPRIM_400000_NS6detail17trampoline_kernelINS0_14default_configENS1_25transform_config_selectorIN3c108BFloat16ELb1EEEZNS1_14transform_implILb1ES3_S7_PS6_S9_NS0_8identityIS6_EEEE10hipError_tT2_T3_mT4_P12ihipStream_tbEUlT_E_NS1_11comp_targetILNS1_3genE5ELNS1_11target_archE942ELNS1_3gpuE9ELNS1_3repE0EEENS1_30default_config_static_selectorELNS0_4arch9wavefront6targetE0EEEvT1_.num_named_barrier, 0
	.set _ZN7rocprim17ROCPRIM_400000_NS6detail17trampoline_kernelINS0_14default_configENS1_25transform_config_selectorIN3c108BFloat16ELb1EEEZNS1_14transform_implILb1ES3_S7_PS6_S9_NS0_8identityIS6_EEEE10hipError_tT2_T3_mT4_P12ihipStream_tbEUlT_E_NS1_11comp_targetILNS1_3genE5ELNS1_11target_archE942ELNS1_3gpuE9ELNS1_3repE0EEENS1_30default_config_static_selectorELNS0_4arch9wavefront6targetE0EEEvT1_.private_seg_size, 0
	.set _ZN7rocprim17ROCPRIM_400000_NS6detail17trampoline_kernelINS0_14default_configENS1_25transform_config_selectorIN3c108BFloat16ELb1EEEZNS1_14transform_implILb1ES3_S7_PS6_S9_NS0_8identityIS6_EEEE10hipError_tT2_T3_mT4_P12ihipStream_tbEUlT_E_NS1_11comp_targetILNS1_3genE5ELNS1_11target_archE942ELNS1_3gpuE9ELNS1_3repE0EEENS1_30default_config_static_selectorELNS0_4arch9wavefront6targetE0EEEvT1_.uses_vcc, 0
	.set _ZN7rocprim17ROCPRIM_400000_NS6detail17trampoline_kernelINS0_14default_configENS1_25transform_config_selectorIN3c108BFloat16ELb1EEEZNS1_14transform_implILb1ES3_S7_PS6_S9_NS0_8identityIS6_EEEE10hipError_tT2_T3_mT4_P12ihipStream_tbEUlT_E_NS1_11comp_targetILNS1_3genE5ELNS1_11target_archE942ELNS1_3gpuE9ELNS1_3repE0EEENS1_30default_config_static_selectorELNS0_4arch9wavefront6targetE0EEEvT1_.uses_flat_scratch, 0
	.set _ZN7rocprim17ROCPRIM_400000_NS6detail17trampoline_kernelINS0_14default_configENS1_25transform_config_selectorIN3c108BFloat16ELb1EEEZNS1_14transform_implILb1ES3_S7_PS6_S9_NS0_8identityIS6_EEEE10hipError_tT2_T3_mT4_P12ihipStream_tbEUlT_E_NS1_11comp_targetILNS1_3genE5ELNS1_11target_archE942ELNS1_3gpuE9ELNS1_3repE0EEENS1_30default_config_static_selectorELNS0_4arch9wavefront6targetE0EEEvT1_.has_dyn_sized_stack, 0
	.set _ZN7rocprim17ROCPRIM_400000_NS6detail17trampoline_kernelINS0_14default_configENS1_25transform_config_selectorIN3c108BFloat16ELb1EEEZNS1_14transform_implILb1ES3_S7_PS6_S9_NS0_8identityIS6_EEEE10hipError_tT2_T3_mT4_P12ihipStream_tbEUlT_E_NS1_11comp_targetILNS1_3genE5ELNS1_11target_archE942ELNS1_3gpuE9ELNS1_3repE0EEENS1_30default_config_static_selectorELNS0_4arch9wavefront6targetE0EEEvT1_.has_recursion, 0
	.set _ZN7rocprim17ROCPRIM_400000_NS6detail17trampoline_kernelINS0_14default_configENS1_25transform_config_selectorIN3c108BFloat16ELb1EEEZNS1_14transform_implILb1ES3_S7_PS6_S9_NS0_8identityIS6_EEEE10hipError_tT2_T3_mT4_P12ihipStream_tbEUlT_E_NS1_11comp_targetILNS1_3genE5ELNS1_11target_archE942ELNS1_3gpuE9ELNS1_3repE0EEENS1_30default_config_static_selectorELNS0_4arch9wavefront6targetE0EEEvT1_.has_indirect_call, 0
	.section	.AMDGPU.csdata,"",@progbits
; Kernel info:
; codeLenInByte = 0
; TotalNumSgprs: 0
; NumVgprs: 0
; ScratchSize: 0
; MemoryBound: 0
; FloatMode: 240
; IeeeMode: 1
; LDSByteSize: 0 bytes/workgroup (compile time only)
; SGPRBlocks: 0
; VGPRBlocks: 0
; NumSGPRsForWavesPerEU: 1
; NumVGPRsForWavesPerEU: 1
; Occupancy: 16
; WaveLimiterHint : 0
; COMPUTE_PGM_RSRC2:SCRATCH_EN: 0
; COMPUTE_PGM_RSRC2:USER_SGPR: 2
; COMPUTE_PGM_RSRC2:TRAP_HANDLER: 0
; COMPUTE_PGM_RSRC2:TGID_X_EN: 1
; COMPUTE_PGM_RSRC2:TGID_Y_EN: 0
; COMPUTE_PGM_RSRC2:TGID_Z_EN: 0
; COMPUTE_PGM_RSRC2:TIDIG_COMP_CNT: 0
	.section	.text._ZN7rocprim17ROCPRIM_400000_NS6detail17trampoline_kernelINS0_14default_configENS1_25transform_config_selectorIN3c108BFloat16ELb1EEEZNS1_14transform_implILb1ES3_S7_PS6_S9_NS0_8identityIS6_EEEE10hipError_tT2_T3_mT4_P12ihipStream_tbEUlT_E_NS1_11comp_targetILNS1_3genE4ELNS1_11target_archE910ELNS1_3gpuE8ELNS1_3repE0EEENS1_30default_config_static_selectorELNS0_4arch9wavefront6targetE0EEEvT1_,"axG",@progbits,_ZN7rocprim17ROCPRIM_400000_NS6detail17trampoline_kernelINS0_14default_configENS1_25transform_config_selectorIN3c108BFloat16ELb1EEEZNS1_14transform_implILb1ES3_S7_PS6_S9_NS0_8identityIS6_EEEE10hipError_tT2_T3_mT4_P12ihipStream_tbEUlT_E_NS1_11comp_targetILNS1_3genE4ELNS1_11target_archE910ELNS1_3gpuE8ELNS1_3repE0EEENS1_30default_config_static_selectorELNS0_4arch9wavefront6targetE0EEEvT1_,comdat
	.protected	_ZN7rocprim17ROCPRIM_400000_NS6detail17trampoline_kernelINS0_14default_configENS1_25transform_config_selectorIN3c108BFloat16ELb1EEEZNS1_14transform_implILb1ES3_S7_PS6_S9_NS0_8identityIS6_EEEE10hipError_tT2_T3_mT4_P12ihipStream_tbEUlT_E_NS1_11comp_targetILNS1_3genE4ELNS1_11target_archE910ELNS1_3gpuE8ELNS1_3repE0EEENS1_30default_config_static_selectorELNS0_4arch9wavefront6targetE0EEEvT1_ ; -- Begin function _ZN7rocprim17ROCPRIM_400000_NS6detail17trampoline_kernelINS0_14default_configENS1_25transform_config_selectorIN3c108BFloat16ELb1EEEZNS1_14transform_implILb1ES3_S7_PS6_S9_NS0_8identityIS6_EEEE10hipError_tT2_T3_mT4_P12ihipStream_tbEUlT_E_NS1_11comp_targetILNS1_3genE4ELNS1_11target_archE910ELNS1_3gpuE8ELNS1_3repE0EEENS1_30default_config_static_selectorELNS0_4arch9wavefront6targetE0EEEvT1_
	.globl	_ZN7rocprim17ROCPRIM_400000_NS6detail17trampoline_kernelINS0_14default_configENS1_25transform_config_selectorIN3c108BFloat16ELb1EEEZNS1_14transform_implILb1ES3_S7_PS6_S9_NS0_8identityIS6_EEEE10hipError_tT2_T3_mT4_P12ihipStream_tbEUlT_E_NS1_11comp_targetILNS1_3genE4ELNS1_11target_archE910ELNS1_3gpuE8ELNS1_3repE0EEENS1_30default_config_static_selectorELNS0_4arch9wavefront6targetE0EEEvT1_
	.p2align	8
	.type	_ZN7rocprim17ROCPRIM_400000_NS6detail17trampoline_kernelINS0_14default_configENS1_25transform_config_selectorIN3c108BFloat16ELb1EEEZNS1_14transform_implILb1ES3_S7_PS6_S9_NS0_8identityIS6_EEEE10hipError_tT2_T3_mT4_P12ihipStream_tbEUlT_E_NS1_11comp_targetILNS1_3genE4ELNS1_11target_archE910ELNS1_3gpuE8ELNS1_3repE0EEENS1_30default_config_static_selectorELNS0_4arch9wavefront6targetE0EEEvT1_,@function
_ZN7rocprim17ROCPRIM_400000_NS6detail17trampoline_kernelINS0_14default_configENS1_25transform_config_selectorIN3c108BFloat16ELb1EEEZNS1_14transform_implILb1ES3_S7_PS6_S9_NS0_8identityIS6_EEEE10hipError_tT2_T3_mT4_P12ihipStream_tbEUlT_E_NS1_11comp_targetILNS1_3genE4ELNS1_11target_archE910ELNS1_3gpuE8ELNS1_3repE0EEENS1_30default_config_static_selectorELNS0_4arch9wavefront6targetE0EEEvT1_: ; @_ZN7rocprim17ROCPRIM_400000_NS6detail17trampoline_kernelINS0_14default_configENS1_25transform_config_selectorIN3c108BFloat16ELb1EEEZNS1_14transform_implILb1ES3_S7_PS6_S9_NS0_8identityIS6_EEEE10hipError_tT2_T3_mT4_P12ihipStream_tbEUlT_E_NS1_11comp_targetILNS1_3genE4ELNS1_11target_archE910ELNS1_3gpuE8ELNS1_3repE0EEENS1_30default_config_static_selectorELNS0_4arch9wavefront6targetE0EEEvT1_
; %bb.0:
	.section	.rodata,"a",@progbits
	.p2align	6, 0x0
	.amdhsa_kernel _ZN7rocprim17ROCPRIM_400000_NS6detail17trampoline_kernelINS0_14default_configENS1_25transform_config_selectorIN3c108BFloat16ELb1EEEZNS1_14transform_implILb1ES3_S7_PS6_S9_NS0_8identityIS6_EEEE10hipError_tT2_T3_mT4_P12ihipStream_tbEUlT_E_NS1_11comp_targetILNS1_3genE4ELNS1_11target_archE910ELNS1_3gpuE8ELNS1_3repE0EEENS1_30default_config_static_selectorELNS0_4arch9wavefront6targetE0EEEvT1_
		.amdhsa_group_segment_fixed_size 0
		.amdhsa_private_segment_fixed_size 0
		.amdhsa_kernarg_size 40
		.amdhsa_user_sgpr_count 2
		.amdhsa_user_sgpr_dispatch_ptr 0
		.amdhsa_user_sgpr_queue_ptr 0
		.amdhsa_user_sgpr_kernarg_segment_ptr 1
		.amdhsa_user_sgpr_dispatch_id 0
		.amdhsa_user_sgpr_private_segment_size 0
		.amdhsa_wavefront_size32 1
		.amdhsa_uses_dynamic_stack 0
		.amdhsa_enable_private_segment 0
		.amdhsa_system_sgpr_workgroup_id_x 1
		.amdhsa_system_sgpr_workgroup_id_y 0
		.amdhsa_system_sgpr_workgroup_id_z 0
		.amdhsa_system_sgpr_workgroup_info 0
		.amdhsa_system_vgpr_workitem_id 0
		.amdhsa_next_free_vgpr 1
		.amdhsa_next_free_sgpr 1
		.amdhsa_reserve_vcc 0
		.amdhsa_float_round_mode_32 0
		.amdhsa_float_round_mode_16_64 0
		.amdhsa_float_denorm_mode_32 3
		.amdhsa_float_denorm_mode_16_64 3
		.amdhsa_fp16_overflow 0
		.amdhsa_workgroup_processor_mode 1
		.amdhsa_memory_ordered 1
		.amdhsa_forward_progress 1
		.amdhsa_inst_pref_size 0
		.amdhsa_round_robin_scheduling 0
		.amdhsa_exception_fp_ieee_invalid_op 0
		.amdhsa_exception_fp_denorm_src 0
		.amdhsa_exception_fp_ieee_div_zero 0
		.amdhsa_exception_fp_ieee_overflow 0
		.amdhsa_exception_fp_ieee_underflow 0
		.amdhsa_exception_fp_ieee_inexact 0
		.amdhsa_exception_int_div_zero 0
	.end_amdhsa_kernel
	.section	.text._ZN7rocprim17ROCPRIM_400000_NS6detail17trampoline_kernelINS0_14default_configENS1_25transform_config_selectorIN3c108BFloat16ELb1EEEZNS1_14transform_implILb1ES3_S7_PS6_S9_NS0_8identityIS6_EEEE10hipError_tT2_T3_mT4_P12ihipStream_tbEUlT_E_NS1_11comp_targetILNS1_3genE4ELNS1_11target_archE910ELNS1_3gpuE8ELNS1_3repE0EEENS1_30default_config_static_selectorELNS0_4arch9wavefront6targetE0EEEvT1_,"axG",@progbits,_ZN7rocprim17ROCPRIM_400000_NS6detail17trampoline_kernelINS0_14default_configENS1_25transform_config_selectorIN3c108BFloat16ELb1EEEZNS1_14transform_implILb1ES3_S7_PS6_S9_NS0_8identityIS6_EEEE10hipError_tT2_T3_mT4_P12ihipStream_tbEUlT_E_NS1_11comp_targetILNS1_3genE4ELNS1_11target_archE910ELNS1_3gpuE8ELNS1_3repE0EEENS1_30default_config_static_selectorELNS0_4arch9wavefront6targetE0EEEvT1_,comdat
.Lfunc_end450:
	.size	_ZN7rocprim17ROCPRIM_400000_NS6detail17trampoline_kernelINS0_14default_configENS1_25transform_config_selectorIN3c108BFloat16ELb1EEEZNS1_14transform_implILb1ES3_S7_PS6_S9_NS0_8identityIS6_EEEE10hipError_tT2_T3_mT4_P12ihipStream_tbEUlT_E_NS1_11comp_targetILNS1_3genE4ELNS1_11target_archE910ELNS1_3gpuE8ELNS1_3repE0EEENS1_30default_config_static_selectorELNS0_4arch9wavefront6targetE0EEEvT1_, .Lfunc_end450-_ZN7rocprim17ROCPRIM_400000_NS6detail17trampoline_kernelINS0_14default_configENS1_25transform_config_selectorIN3c108BFloat16ELb1EEEZNS1_14transform_implILb1ES3_S7_PS6_S9_NS0_8identityIS6_EEEE10hipError_tT2_T3_mT4_P12ihipStream_tbEUlT_E_NS1_11comp_targetILNS1_3genE4ELNS1_11target_archE910ELNS1_3gpuE8ELNS1_3repE0EEENS1_30default_config_static_selectorELNS0_4arch9wavefront6targetE0EEEvT1_
                                        ; -- End function
	.set _ZN7rocprim17ROCPRIM_400000_NS6detail17trampoline_kernelINS0_14default_configENS1_25transform_config_selectorIN3c108BFloat16ELb1EEEZNS1_14transform_implILb1ES3_S7_PS6_S9_NS0_8identityIS6_EEEE10hipError_tT2_T3_mT4_P12ihipStream_tbEUlT_E_NS1_11comp_targetILNS1_3genE4ELNS1_11target_archE910ELNS1_3gpuE8ELNS1_3repE0EEENS1_30default_config_static_selectorELNS0_4arch9wavefront6targetE0EEEvT1_.num_vgpr, 0
	.set _ZN7rocprim17ROCPRIM_400000_NS6detail17trampoline_kernelINS0_14default_configENS1_25transform_config_selectorIN3c108BFloat16ELb1EEEZNS1_14transform_implILb1ES3_S7_PS6_S9_NS0_8identityIS6_EEEE10hipError_tT2_T3_mT4_P12ihipStream_tbEUlT_E_NS1_11comp_targetILNS1_3genE4ELNS1_11target_archE910ELNS1_3gpuE8ELNS1_3repE0EEENS1_30default_config_static_selectorELNS0_4arch9wavefront6targetE0EEEvT1_.num_agpr, 0
	.set _ZN7rocprim17ROCPRIM_400000_NS6detail17trampoline_kernelINS0_14default_configENS1_25transform_config_selectorIN3c108BFloat16ELb1EEEZNS1_14transform_implILb1ES3_S7_PS6_S9_NS0_8identityIS6_EEEE10hipError_tT2_T3_mT4_P12ihipStream_tbEUlT_E_NS1_11comp_targetILNS1_3genE4ELNS1_11target_archE910ELNS1_3gpuE8ELNS1_3repE0EEENS1_30default_config_static_selectorELNS0_4arch9wavefront6targetE0EEEvT1_.numbered_sgpr, 0
	.set _ZN7rocprim17ROCPRIM_400000_NS6detail17trampoline_kernelINS0_14default_configENS1_25transform_config_selectorIN3c108BFloat16ELb1EEEZNS1_14transform_implILb1ES3_S7_PS6_S9_NS0_8identityIS6_EEEE10hipError_tT2_T3_mT4_P12ihipStream_tbEUlT_E_NS1_11comp_targetILNS1_3genE4ELNS1_11target_archE910ELNS1_3gpuE8ELNS1_3repE0EEENS1_30default_config_static_selectorELNS0_4arch9wavefront6targetE0EEEvT1_.num_named_barrier, 0
	.set _ZN7rocprim17ROCPRIM_400000_NS6detail17trampoline_kernelINS0_14default_configENS1_25transform_config_selectorIN3c108BFloat16ELb1EEEZNS1_14transform_implILb1ES3_S7_PS6_S9_NS0_8identityIS6_EEEE10hipError_tT2_T3_mT4_P12ihipStream_tbEUlT_E_NS1_11comp_targetILNS1_3genE4ELNS1_11target_archE910ELNS1_3gpuE8ELNS1_3repE0EEENS1_30default_config_static_selectorELNS0_4arch9wavefront6targetE0EEEvT1_.private_seg_size, 0
	.set _ZN7rocprim17ROCPRIM_400000_NS6detail17trampoline_kernelINS0_14default_configENS1_25transform_config_selectorIN3c108BFloat16ELb1EEEZNS1_14transform_implILb1ES3_S7_PS6_S9_NS0_8identityIS6_EEEE10hipError_tT2_T3_mT4_P12ihipStream_tbEUlT_E_NS1_11comp_targetILNS1_3genE4ELNS1_11target_archE910ELNS1_3gpuE8ELNS1_3repE0EEENS1_30default_config_static_selectorELNS0_4arch9wavefront6targetE0EEEvT1_.uses_vcc, 0
	.set _ZN7rocprim17ROCPRIM_400000_NS6detail17trampoline_kernelINS0_14default_configENS1_25transform_config_selectorIN3c108BFloat16ELb1EEEZNS1_14transform_implILb1ES3_S7_PS6_S9_NS0_8identityIS6_EEEE10hipError_tT2_T3_mT4_P12ihipStream_tbEUlT_E_NS1_11comp_targetILNS1_3genE4ELNS1_11target_archE910ELNS1_3gpuE8ELNS1_3repE0EEENS1_30default_config_static_selectorELNS0_4arch9wavefront6targetE0EEEvT1_.uses_flat_scratch, 0
	.set _ZN7rocprim17ROCPRIM_400000_NS6detail17trampoline_kernelINS0_14default_configENS1_25transform_config_selectorIN3c108BFloat16ELb1EEEZNS1_14transform_implILb1ES3_S7_PS6_S9_NS0_8identityIS6_EEEE10hipError_tT2_T3_mT4_P12ihipStream_tbEUlT_E_NS1_11comp_targetILNS1_3genE4ELNS1_11target_archE910ELNS1_3gpuE8ELNS1_3repE0EEENS1_30default_config_static_selectorELNS0_4arch9wavefront6targetE0EEEvT1_.has_dyn_sized_stack, 0
	.set _ZN7rocprim17ROCPRIM_400000_NS6detail17trampoline_kernelINS0_14default_configENS1_25transform_config_selectorIN3c108BFloat16ELb1EEEZNS1_14transform_implILb1ES3_S7_PS6_S9_NS0_8identityIS6_EEEE10hipError_tT2_T3_mT4_P12ihipStream_tbEUlT_E_NS1_11comp_targetILNS1_3genE4ELNS1_11target_archE910ELNS1_3gpuE8ELNS1_3repE0EEENS1_30default_config_static_selectorELNS0_4arch9wavefront6targetE0EEEvT1_.has_recursion, 0
	.set _ZN7rocprim17ROCPRIM_400000_NS6detail17trampoline_kernelINS0_14default_configENS1_25transform_config_selectorIN3c108BFloat16ELb1EEEZNS1_14transform_implILb1ES3_S7_PS6_S9_NS0_8identityIS6_EEEE10hipError_tT2_T3_mT4_P12ihipStream_tbEUlT_E_NS1_11comp_targetILNS1_3genE4ELNS1_11target_archE910ELNS1_3gpuE8ELNS1_3repE0EEENS1_30default_config_static_selectorELNS0_4arch9wavefront6targetE0EEEvT1_.has_indirect_call, 0
	.section	.AMDGPU.csdata,"",@progbits
; Kernel info:
; codeLenInByte = 0
; TotalNumSgprs: 0
; NumVgprs: 0
; ScratchSize: 0
; MemoryBound: 0
; FloatMode: 240
; IeeeMode: 1
; LDSByteSize: 0 bytes/workgroup (compile time only)
; SGPRBlocks: 0
; VGPRBlocks: 0
; NumSGPRsForWavesPerEU: 1
; NumVGPRsForWavesPerEU: 1
; Occupancy: 16
; WaveLimiterHint : 0
; COMPUTE_PGM_RSRC2:SCRATCH_EN: 0
; COMPUTE_PGM_RSRC2:USER_SGPR: 2
; COMPUTE_PGM_RSRC2:TRAP_HANDLER: 0
; COMPUTE_PGM_RSRC2:TGID_X_EN: 1
; COMPUTE_PGM_RSRC2:TGID_Y_EN: 0
; COMPUTE_PGM_RSRC2:TGID_Z_EN: 0
; COMPUTE_PGM_RSRC2:TIDIG_COMP_CNT: 0
	.section	.text._ZN7rocprim17ROCPRIM_400000_NS6detail17trampoline_kernelINS0_14default_configENS1_25transform_config_selectorIN3c108BFloat16ELb1EEEZNS1_14transform_implILb1ES3_S7_PS6_S9_NS0_8identityIS6_EEEE10hipError_tT2_T3_mT4_P12ihipStream_tbEUlT_E_NS1_11comp_targetILNS1_3genE3ELNS1_11target_archE908ELNS1_3gpuE7ELNS1_3repE0EEENS1_30default_config_static_selectorELNS0_4arch9wavefront6targetE0EEEvT1_,"axG",@progbits,_ZN7rocprim17ROCPRIM_400000_NS6detail17trampoline_kernelINS0_14default_configENS1_25transform_config_selectorIN3c108BFloat16ELb1EEEZNS1_14transform_implILb1ES3_S7_PS6_S9_NS0_8identityIS6_EEEE10hipError_tT2_T3_mT4_P12ihipStream_tbEUlT_E_NS1_11comp_targetILNS1_3genE3ELNS1_11target_archE908ELNS1_3gpuE7ELNS1_3repE0EEENS1_30default_config_static_selectorELNS0_4arch9wavefront6targetE0EEEvT1_,comdat
	.protected	_ZN7rocprim17ROCPRIM_400000_NS6detail17trampoline_kernelINS0_14default_configENS1_25transform_config_selectorIN3c108BFloat16ELb1EEEZNS1_14transform_implILb1ES3_S7_PS6_S9_NS0_8identityIS6_EEEE10hipError_tT2_T3_mT4_P12ihipStream_tbEUlT_E_NS1_11comp_targetILNS1_3genE3ELNS1_11target_archE908ELNS1_3gpuE7ELNS1_3repE0EEENS1_30default_config_static_selectorELNS0_4arch9wavefront6targetE0EEEvT1_ ; -- Begin function _ZN7rocprim17ROCPRIM_400000_NS6detail17trampoline_kernelINS0_14default_configENS1_25transform_config_selectorIN3c108BFloat16ELb1EEEZNS1_14transform_implILb1ES3_S7_PS6_S9_NS0_8identityIS6_EEEE10hipError_tT2_T3_mT4_P12ihipStream_tbEUlT_E_NS1_11comp_targetILNS1_3genE3ELNS1_11target_archE908ELNS1_3gpuE7ELNS1_3repE0EEENS1_30default_config_static_selectorELNS0_4arch9wavefront6targetE0EEEvT1_
	.globl	_ZN7rocprim17ROCPRIM_400000_NS6detail17trampoline_kernelINS0_14default_configENS1_25transform_config_selectorIN3c108BFloat16ELb1EEEZNS1_14transform_implILb1ES3_S7_PS6_S9_NS0_8identityIS6_EEEE10hipError_tT2_T3_mT4_P12ihipStream_tbEUlT_E_NS1_11comp_targetILNS1_3genE3ELNS1_11target_archE908ELNS1_3gpuE7ELNS1_3repE0EEENS1_30default_config_static_selectorELNS0_4arch9wavefront6targetE0EEEvT1_
	.p2align	8
	.type	_ZN7rocprim17ROCPRIM_400000_NS6detail17trampoline_kernelINS0_14default_configENS1_25transform_config_selectorIN3c108BFloat16ELb1EEEZNS1_14transform_implILb1ES3_S7_PS6_S9_NS0_8identityIS6_EEEE10hipError_tT2_T3_mT4_P12ihipStream_tbEUlT_E_NS1_11comp_targetILNS1_3genE3ELNS1_11target_archE908ELNS1_3gpuE7ELNS1_3repE0EEENS1_30default_config_static_selectorELNS0_4arch9wavefront6targetE0EEEvT1_,@function
_ZN7rocprim17ROCPRIM_400000_NS6detail17trampoline_kernelINS0_14default_configENS1_25transform_config_selectorIN3c108BFloat16ELb1EEEZNS1_14transform_implILb1ES3_S7_PS6_S9_NS0_8identityIS6_EEEE10hipError_tT2_T3_mT4_P12ihipStream_tbEUlT_E_NS1_11comp_targetILNS1_3genE3ELNS1_11target_archE908ELNS1_3gpuE7ELNS1_3repE0EEENS1_30default_config_static_selectorELNS0_4arch9wavefront6targetE0EEEvT1_: ; @_ZN7rocprim17ROCPRIM_400000_NS6detail17trampoline_kernelINS0_14default_configENS1_25transform_config_selectorIN3c108BFloat16ELb1EEEZNS1_14transform_implILb1ES3_S7_PS6_S9_NS0_8identityIS6_EEEE10hipError_tT2_T3_mT4_P12ihipStream_tbEUlT_E_NS1_11comp_targetILNS1_3genE3ELNS1_11target_archE908ELNS1_3gpuE7ELNS1_3repE0EEENS1_30default_config_static_selectorELNS0_4arch9wavefront6targetE0EEEvT1_
; %bb.0:
	.section	.rodata,"a",@progbits
	.p2align	6, 0x0
	.amdhsa_kernel _ZN7rocprim17ROCPRIM_400000_NS6detail17trampoline_kernelINS0_14default_configENS1_25transform_config_selectorIN3c108BFloat16ELb1EEEZNS1_14transform_implILb1ES3_S7_PS6_S9_NS0_8identityIS6_EEEE10hipError_tT2_T3_mT4_P12ihipStream_tbEUlT_E_NS1_11comp_targetILNS1_3genE3ELNS1_11target_archE908ELNS1_3gpuE7ELNS1_3repE0EEENS1_30default_config_static_selectorELNS0_4arch9wavefront6targetE0EEEvT1_
		.amdhsa_group_segment_fixed_size 0
		.amdhsa_private_segment_fixed_size 0
		.amdhsa_kernarg_size 40
		.amdhsa_user_sgpr_count 2
		.amdhsa_user_sgpr_dispatch_ptr 0
		.amdhsa_user_sgpr_queue_ptr 0
		.amdhsa_user_sgpr_kernarg_segment_ptr 1
		.amdhsa_user_sgpr_dispatch_id 0
		.amdhsa_user_sgpr_private_segment_size 0
		.amdhsa_wavefront_size32 1
		.amdhsa_uses_dynamic_stack 0
		.amdhsa_enable_private_segment 0
		.amdhsa_system_sgpr_workgroup_id_x 1
		.amdhsa_system_sgpr_workgroup_id_y 0
		.amdhsa_system_sgpr_workgroup_id_z 0
		.amdhsa_system_sgpr_workgroup_info 0
		.amdhsa_system_vgpr_workitem_id 0
		.amdhsa_next_free_vgpr 1
		.amdhsa_next_free_sgpr 1
		.amdhsa_reserve_vcc 0
		.amdhsa_float_round_mode_32 0
		.amdhsa_float_round_mode_16_64 0
		.amdhsa_float_denorm_mode_32 3
		.amdhsa_float_denorm_mode_16_64 3
		.amdhsa_fp16_overflow 0
		.amdhsa_workgroup_processor_mode 1
		.amdhsa_memory_ordered 1
		.amdhsa_forward_progress 1
		.amdhsa_inst_pref_size 0
		.amdhsa_round_robin_scheduling 0
		.amdhsa_exception_fp_ieee_invalid_op 0
		.amdhsa_exception_fp_denorm_src 0
		.amdhsa_exception_fp_ieee_div_zero 0
		.amdhsa_exception_fp_ieee_overflow 0
		.amdhsa_exception_fp_ieee_underflow 0
		.amdhsa_exception_fp_ieee_inexact 0
		.amdhsa_exception_int_div_zero 0
	.end_amdhsa_kernel
	.section	.text._ZN7rocprim17ROCPRIM_400000_NS6detail17trampoline_kernelINS0_14default_configENS1_25transform_config_selectorIN3c108BFloat16ELb1EEEZNS1_14transform_implILb1ES3_S7_PS6_S9_NS0_8identityIS6_EEEE10hipError_tT2_T3_mT4_P12ihipStream_tbEUlT_E_NS1_11comp_targetILNS1_3genE3ELNS1_11target_archE908ELNS1_3gpuE7ELNS1_3repE0EEENS1_30default_config_static_selectorELNS0_4arch9wavefront6targetE0EEEvT1_,"axG",@progbits,_ZN7rocprim17ROCPRIM_400000_NS6detail17trampoline_kernelINS0_14default_configENS1_25transform_config_selectorIN3c108BFloat16ELb1EEEZNS1_14transform_implILb1ES3_S7_PS6_S9_NS0_8identityIS6_EEEE10hipError_tT2_T3_mT4_P12ihipStream_tbEUlT_E_NS1_11comp_targetILNS1_3genE3ELNS1_11target_archE908ELNS1_3gpuE7ELNS1_3repE0EEENS1_30default_config_static_selectorELNS0_4arch9wavefront6targetE0EEEvT1_,comdat
.Lfunc_end451:
	.size	_ZN7rocprim17ROCPRIM_400000_NS6detail17trampoline_kernelINS0_14default_configENS1_25transform_config_selectorIN3c108BFloat16ELb1EEEZNS1_14transform_implILb1ES3_S7_PS6_S9_NS0_8identityIS6_EEEE10hipError_tT2_T3_mT4_P12ihipStream_tbEUlT_E_NS1_11comp_targetILNS1_3genE3ELNS1_11target_archE908ELNS1_3gpuE7ELNS1_3repE0EEENS1_30default_config_static_selectorELNS0_4arch9wavefront6targetE0EEEvT1_, .Lfunc_end451-_ZN7rocprim17ROCPRIM_400000_NS6detail17trampoline_kernelINS0_14default_configENS1_25transform_config_selectorIN3c108BFloat16ELb1EEEZNS1_14transform_implILb1ES3_S7_PS6_S9_NS0_8identityIS6_EEEE10hipError_tT2_T3_mT4_P12ihipStream_tbEUlT_E_NS1_11comp_targetILNS1_3genE3ELNS1_11target_archE908ELNS1_3gpuE7ELNS1_3repE0EEENS1_30default_config_static_selectorELNS0_4arch9wavefront6targetE0EEEvT1_
                                        ; -- End function
	.set _ZN7rocprim17ROCPRIM_400000_NS6detail17trampoline_kernelINS0_14default_configENS1_25transform_config_selectorIN3c108BFloat16ELb1EEEZNS1_14transform_implILb1ES3_S7_PS6_S9_NS0_8identityIS6_EEEE10hipError_tT2_T3_mT4_P12ihipStream_tbEUlT_E_NS1_11comp_targetILNS1_3genE3ELNS1_11target_archE908ELNS1_3gpuE7ELNS1_3repE0EEENS1_30default_config_static_selectorELNS0_4arch9wavefront6targetE0EEEvT1_.num_vgpr, 0
	.set _ZN7rocprim17ROCPRIM_400000_NS6detail17trampoline_kernelINS0_14default_configENS1_25transform_config_selectorIN3c108BFloat16ELb1EEEZNS1_14transform_implILb1ES3_S7_PS6_S9_NS0_8identityIS6_EEEE10hipError_tT2_T3_mT4_P12ihipStream_tbEUlT_E_NS1_11comp_targetILNS1_3genE3ELNS1_11target_archE908ELNS1_3gpuE7ELNS1_3repE0EEENS1_30default_config_static_selectorELNS0_4arch9wavefront6targetE0EEEvT1_.num_agpr, 0
	.set _ZN7rocprim17ROCPRIM_400000_NS6detail17trampoline_kernelINS0_14default_configENS1_25transform_config_selectorIN3c108BFloat16ELb1EEEZNS1_14transform_implILb1ES3_S7_PS6_S9_NS0_8identityIS6_EEEE10hipError_tT2_T3_mT4_P12ihipStream_tbEUlT_E_NS1_11comp_targetILNS1_3genE3ELNS1_11target_archE908ELNS1_3gpuE7ELNS1_3repE0EEENS1_30default_config_static_selectorELNS0_4arch9wavefront6targetE0EEEvT1_.numbered_sgpr, 0
	.set _ZN7rocprim17ROCPRIM_400000_NS6detail17trampoline_kernelINS0_14default_configENS1_25transform_config_selectorIN3c108BFloat16ELb1EEEZNS1_14transform_implILb1ES3_S7_PS6_S9_NS0_8identityIS6_EEEE10hipError_tT2_T3_mT4_P12ihipStream_tbEUlT_E_NS1_11comp_targetILNS1_3genE3ELNS1_11target_archE908ELNS1_3gpuE7ELNS1_3repE0EEENS1_30default_config_static_selectorELNS0_4arch9wavefront6targetE0EEEvT1_.num_named_barrier, 0
	.set _ZN7rocprim17ROCPRIM_400000_NS6detail17trampoline_kernelINS0_14default_configENS1_25transform_config_selectorIN3c108BFloat16ELb1EEEZNS1_14transform_implILb1ES3_S7_PS6_S9_NS0_8identityIS6_EEEE10hipError_tT2_T3_mT4_P12ihipStream_tbEUlT_E_NS1_11comp_targetILNS1_3genE3ELNS1_11target_archE908ELNS1_3gpuE7ELNS1_3repE0EEENS1_30default_config_static_selectorELNS0_4arch9wavefront6targetE0EEEvT1_.private_seg_size, 0
	.set _ZN7rocprim17ROCPRIM_400000_NS6detail17trampoline_kernelINS0_14default_configENS1_25transform_config_selectorIN3c108BFloat16ELb1EEEZNS1_14transform_implILb1ES3_S7_PS6_S9_NS0_8identityIS6_EEEE10hipError_tT2_T3_mT4_P12ihipStream_tbEUlT_E_NS1_11comp_targetILNS1_3genE3ELNS1_11target_archE908ELNS1_3gpuE7ELNS1_3repE0EEENS1_30default_config_static_selectorELNS0_4arch9wavefront6targetE0EEEvT1_.uses_vcc, 0
	.set _ZN7rocprim17ROCPRIM_400000_NS6detail17trampoline_kernelINS0_14default_configENS1_25transform_config_selectorIN3c108BFloat16ELb1EEEZNS1_14transform_implILb1ES3_S7_PS6_S9_NS0_8identityIS6_EEEE10hipError_tT2_T3_mT4_P12ihipStream_tbEUlT_E_NS1_11comp_targetILNS1_3genE3ELNS1_11target_archE908ELNS1_3gpuE7ELNS1_3repE0EEENS1_30default_config_static_selectorELNS0_4arch9wavefront6targetE0EEEvT1_.uses_flat_scratch, 0
	.set _ZN7rocprim17ROCPRIM_400000_NS6detail17trampoline_kernelINS0_14default_configENS1_25transform_config_selectorIN3c108BFloat16ELb1EEEZNS1_14transform_implILb1ES3_S7_PS6_S9_NS0_8identityIS6_EEEE10hipError_tT2_T3_mT4_P12ihipStream_tbEUlT_E_NS1_11comp_targetILNS1_3genE3ELNS1_11target_archE908ELNS1_3gpuE7ELNS1_3repE0EEENS1_30default_config_static_selectorELNS0_4arch9wavefront6targetE0EEEvT1_.has_dyn_sized_stack, 0
	.set _ZN7rocprim17ROCPRIM_400000_NS6detail17trampoline_kernelINS0_14default_configENS1_25transform_config_selectorIN3c108BFloat16ELb1EEEZNS1_14transform_implILb1ES3_S7_PS6_S9_NS0_8identityIS6_EEEE10hipError_tT2_T3_mT4_P12ihipStream_tbEUlT_E_NS1_11comp_targetILNS1_3genE3ELNS1_11target_archE908ELNS1_3gpuE7ELNS1_3repE0EEENS1_30default_config_static_selectorELNS0_4arch9wavefront6targetE0EEEvT1_.has_recursion, 0
	.set _ZN7rocprim17ROCPRIM_400000_NS6detail17trampoline_kernelINS0_14default_configENS1_25transform_config_selectorIN3c108BFloat16ELb1EEEZNS1_14transform_implILb1ES3_S7_PS6_S9_NS0_8identityIS6_EEEE10hipError_tT2_T3_mT4_P12ihipStream_tbEUlT_E_NS1_11comp_targetILNS1_3genE3ELNS1_11target_archE908ELNS1_3gpuE7ELNS1_3repE0EEENS1_30default_config_static_selectorELNS0_4arch9wavefront6targetE0EEEvT1_.has_indirect_call, 0
	.section	.AMDGPU.csdata,"",@progbits
; Kernel info:
; codeLenInByte = 0
; TotalNumSgprs: 0
; NumVgprs: 0
; ScratchSize: 0
; MemoryBound: 0
; FloatMode: 240
; IeeeMode: 1
; LDSByteSize: 0 bytes/workgroup (compile time only)
; SGPRBlocks: 0
; VGPRBlocks: 0
; NumSGPRsForWavesPerEU: 1
; NumVGPRsForWavesPerEU: 1
; Occupancy: 16
; WaveLimiterHint : 0
; COMPUTE_PGM_RSRC2:SCRATCH_EN: 0
; COMPUTE_PGM_RSRC2:USER_SGPR: 2
; COMPUTE_PGM_RSRC2:TRAP_HANDLER: 0
; COMPUTE_PGM_RSRC2:TGID_X_EN: 1
; COMPUTE_PGM_RSRC2:TGID_Y_EN: 0
; COMPUTE_PGM_RSRC2:TGID_Z_EN: 0
; COMPUTE_PGM_RSRC2:TIDIG_COMP_CNT: 0
	.section	.text._ZN7rocprim17ROCPRIM_400000_NS6detail17trampoline_kernelINS0_14default_configENS1_25transform_config_selectorIN3c108BFloat16ELb1EEEZNS1_14transform_implILb1ES3_S7_PS6_S9_NS0_8identityIS6_EEEE10hipError_tT2_T3_mT4_P12ihipStream_tbEUlT_E_NS1_11comp_targetILNS1_3genE2ELNS1_11target_archE906ELNS1_3gpuE6ELNS1_3repE0EEENS1_30default_config_static_selectorELNS0_4arch9wavefront6targetE0EEEvT1_,"axG",@progbits,_ZN7rocprim17ROCPRIM_400000_NS6detail17trampoline_kernelINS0_14default_configENS1_25transform_config_selectorIN3c108BFloat16ELb1EEEZNS1_14transform_implILb1ES3_S7_PS6_S9_NS0_8identityIS6_EEEE10hipError_tT2_T3_mT4_P12ihipStream_tbEUlT_E_NS1_11comp_targetILNS1_3genE2ELNS1_11target_archE906ELNS1_3gpuE6ELNS1_3repE0EEENS1_30default_config_static_selectorELNS0_4arch9wavefront6targetE0EEEvT1_,comdat
	.protected	_ZN7rocprim17ROCPRIM_400000_NS6detail17trampoline_kernelINS0_14default_configENS1_25transform_config_selectorIN3c108BFloat16ELb1EEEZNS1_14transform_implILb1ES3_S7_PS6_S9_NS0_8identityIS6_EEEE10hipError_tT2_T3_mT4_P12ihipStream_tbEUlT_E_NS1_11comp_targetILNS1_3genE2ELNS1_11target_archE906ELNS1_3gpuE6ELNS1_3repE0EEENS1_30default_config_static_selectorELNS0_4arch9wavefront6targetE0EEEvT1_ ; -- Begin function _ZN7rocprim17ROCPRIM_400000_NS6detail17trampoline_kernelINS0_14default_configENS1_25transform_config_selectorIN3c108BFloat16ELb1EEEZNS1_14transform_implILb1ES3_S7_PS6_S9_NS0_8identityIS6_EEEE10hipError_tT2_T3_mT4_P12ihipStream_tbEUlT_E_NS1_11comp_targetILNS1_3genE2ELNS1_11target_archE906ELNS1_3gpuE6ELNS1_3repE0EEENS1_30default_config_static_selectorELNS0_4arch9wavefront6targetE0EEEvT1_
	.globl	_ZN7rocprim17ROCPRIM_400000_NS6detail17trampoline_kernelINS0_14default_configENS1_25transform_config_selectorIN3c108BFloat16ELb1EEEZNS1_14transform_implILb1ES3_S7_PS6_S9_NS0_8identityIS6_EEEE10hipError_tT2_T3_mT4_P12ihipStream_tbEUlT_E_NS1_11comp_targetILNS1_3genE2ELNS1_11target_archE906ELNS1_3gpuE6ELNS1_3repE0EEENS1_30default_config_static_selectorELNS0_4arch9wavefront6targetE0EEEvT1_
	.p2align	8
	.type	_ZN7rocprim17ROCPRIM_400000_NS6detail17trampoline_kernelINS0_14default_configENS1_25transform_config_selectorIN3c108BFloat16ELb1EEEZNS1_14transform_implILb1ES3_S7_PS6_S9_NS0_8identityIS6_EEEE10hipError_tT2_T3_mT4_P12ihipStream_tbEUlT_E_NS1_11comp_targetILNS1_3genE2ELNS1_11target_archE906ELNS1_3gpuE6ELNS1_3repE0EEENS1_30default_config_static_selectorELNS0_4arch9wavefront6targetE0EEEvT1_,@function
_ZN7rocprim17ROCPRIM_400000_NS6detail17trampoline_kernelINS0_14default_configENS1_25transform_config_selectorIN3c108BFloat16ELb1EEEZNS1_14transform_implILb1ES3_S7_PS6_S9_NS0_8identityIS6_EEEE10hipError_tT2_T3_mT4_P12ihipStream_tbEUlT_E_NS1_11comp_targetILNS1_3genE2ELNS1_11target_archE906ELNS1_3gpuE6ELNS1_3repE0EEENS1_30default_config_static_selectorELNS0_4arch9wavefront6targetE0EEEvT1_: ; @_ZN7rocprim17ROCPRIM_400000_NS6detail17trampoline_kernelINS0_14default_configENS1_25transform_config_selectorIN3c108BFloat16ELb1EEEZNS1_14transform_implILb1ES3_S7_PS6_S9_NS0_8identityIS6_EEEE10hipError_tT2_T3_mT4_P12ihipStream_tbEUlT_E_NS1_11comp_targetILNS1_3genE2ELNS1_11target_archE906ELNS1_3gpuE6ELNS1_3repE0EEENS1_30default_config_static_selectorELNS0_4arch9wavefront6targetE0EEEvT1_
; %bb.0:
	.section	.rodata,"a",@progbits
	.p2align	6, 0x0
	.amdhsa_kernel _ZN7rocprim17ROCPRIM_400000_NS6detail17trampoline_kernelINS0_14default_configENS1_25transform_config_selectorIN3c108BFloat16ELb1EEEZNS1_14transform_implILb1ES3_S7_PS6_S9_NS0_8identityIS6_EEEE10hipError_tT2_T3_mT4_P12ihipStream_tbEUlT_E_NS1_11comp_targetILNS1_3genE2ELNS1_11target_archE906ELNS1_3gpuE6ELNS1_3repE0EEENS1_30default_config_static_selectorELNS0_4arch9wavefront6targetE0EEEvT1_
		.amdhsa_group_segment_fixed_size 0
		.amdhsa_private_segment_fixed_size 0
		.amdhsa_kernarg_size 40
		.amdhsa_user_sgpr_count 2
		.amdhsa_user_sgpr_dispatch_ptr 0
		.amdhsa_user_sgpr_queue_ptr 0
		.amdhsa_user_sgpr_kernarg_segment_ptr 1
		.amdhsa_user_sgpr_dispatch_id 0
		.amdhsa_user_sgpr_private_segment_size 0
		.amdhsa_wavefront_size32 1
		.amdhsa_uses_dynamic_stack 0
		.amdhsa_enable_private_segment 0
		.amdhsa_system_sgpr_workgroup_id_x 1
		.amdhsa_system_sgpr_workgroup_id_y 0
		.amdhsa_system_sgpr_workgroup_id_z 0
		.amdhsa_system_sgpr_workgroup_info 0
		.amdhsa_system_vgpr_workitem_id 0
		.amdhsa_next_free_vgpr 1
		.amdhsa_next_free_sgpr 1
		.amdhsa_reserve_vcc 0
		.amdhsa_float_round_mode_32 0
		.amdhsa_float_round_mode_16_64 0
		.amdhsa_float_denorm_mode_32 3
		.amdhsa_float_denorm_mode_16_64 3
		.amdhsa_fp16_overflow 0
		.amdhsa_workgroup_processor_mode 1
		.amdhsa_memory_ordered 1
		.amdhsa_forward_progress 1
		.amdhsa_inst_pref_size 0
		.amdhsa_round_robin_scheduling 0
		.amdhsa_exception_fp_ieee_invalid_op 0
		.amdhsa_exception_fp_denorm_src 0
		.amdhsa_exception_fp_ieee_div_zero 0
		.amdhsa_exception_fp_ieee_overflow 0
		.amdhsa_exception_fp_ieee_underflow 0
		.amdhsa_exception_fp_ieee_inexact 0
		.amdhsa_exception_int_div_zero 0
	.end_amdhsa_kernel
	.section	.text._ZN7rocprim17ROCPRIM_400000_NS6detail17trampoline_kernelINS0_14default_configENS1_25transform_config_selectorIN3c108BFloat16ELb1EEEZNS1_14transform_implILb1ES3_S7_PS6_S9_NS0_8identityIS6_EEEE10hipError_tT2_T3_mT4_P12ihipStream_tbEUlT_E_NS1_11comp_targetILNS1_3genE2ELNS1_11target_archE906ELNS1_3gpuE6ELNS1_3repE0EEENS1_30default_config_static_selectorELNS0_4arch9wavefront6targetE0EEEvT1_,"axG",@progbits,_ZN7rocprim17ROCPRIM_400000_NS6detail17trampoline_kernelINS0_14default_configENS1_25transform_config_selectorIN3c108BFloat16ELb1EEEZNS1_14transform_implILb1ES3_S7_PS6_S9_NS0_8identityIS6_EEEE10hipError_tT2_T3_mT4_P12ihipStream_tbEUlT_E_NS1_11comp_targetILNS1_3genE2ELNS1_11target_archE906ELNS1_3gpuE6ELNS1_3repE0EEENS1_30default_config_static_selectorELNS0_4arch9wavefront6targetE0EEEvT1_,comdat
.Lfunc_end452:
	.size	_ZN7rocprim17ROCPRIM_400000_NS6detail17trampoline_kernelINS0_14default_configENS1_25transform_config_selectorIN3c108BFloat16ELb1EEEZNS1_14transform_implILb1ES3_S7_PS6_S9_NS0_8identityIS6_EEEE10hipError_tT2_T3_mT4_P12ihipStream_tbEUlT_E_NS1_11comp_targetILNS1_3genE2ELNS1_11target_archE906ELNS1_3gpuE6ELNS1_3repE0EEENS1_30default_config_static_selectorELNS0_4arch9wavefront6targetE0EEEvT1_, .Lfunc_end452-_ZN7rocprim17ROCPRIM_400000_NS6detail17trampoline_kernelINS0_14default_configENS1_25transform_config_selectorIN3c108BFloat16ELb1EEEZNS1_14transform_implILb1ES3_S7_PS6_S9_NS0_8identityIS6_EEEE10hipError_tT2_T3_mT4_P12ihipStream_tbEUlT_E_NS1_11comp_targetILNS1_3genE2ELNS1_11target_archE906ELNS1_3gpuE6ELNS1_3repE0EEENS1_30default_config_static_selectorELNS0_4arch9wavefront6targetE0EEEvT1_
                                        ; -- End function
	.set _ZN7rocprim17ROCPRIM_400000_NS6detail17trampoline_kernelINS0_14default_configENS1_25transform_config_selectorIN3c108BFloat16ELb1EEEZNS1_14transform_implILb1ES3_S7_PS6_S9_NS0_8identityIS6_EEEE10hipError_tT2_T3_mT4_P12ihipStream_tbEUlT_E_NS1_11comp_targetILNS1_3genE2ELNS1_11target_archE906ELNS1_3gpuE6ELNS1_3repE0EEENS1_30default_config_static_selectorELNS0_4arch9wavefront6targetE0EEEvT1_.num_vgpr, 0
	.set _ZN7rocprim17ROCPRIM_400000_NS6detail17trampoline_kernelINS0_14default_configENS1_25transform_config_selectorIN3c108BFloat16ELb1EEEZNS1_14transform_implILb1ES3_S7_PS6_S9_NS0_8identityIS6_EEEE10hipError_tT2_T3_mT4_P12ihipStream_tbEUlT_E_NS1_11comp_targetILNS1_3genE2ELNS1_11target_archE906ELNS1_3gpuE6ELNS1_3repE0EEENS1_30default_config_static_selectorELNS0_4arch9wavefront6targetE0EEEvT1_.num_agpr, 0
	.set _ZN7rocprim17ROCPRIM_400000_NS6detail17trampoline_kernelINS0_14default_configENS1_25transform_config_selectorIN3c108BFloat16ELb1EEEZNS1_14transform_implILb1ES3_S7_PS6_S9_NS0_8identityIS6_EEEE10hipError_tT2_T3_mT4_P12ihipStream_tbEUlT_E_NS1_11comp_targetILNS1_3genE2ELNS1_11target_archE906ELNS1_3gpuE6ELNS1_3repE0EEENS1_30default_config_static_selectorELNS0_4arch9wavefront6targetE0EEEvT1_.numbered_sgpr, 0
	.set _ZN7rocprim17ROCPRIM_400000_NS6detail17trampoline_kernelINS0_14default_configENS1_25transform_config_selectorIN3c108BFloat16ELb1EEEZNS1_14transform_implILb1ES3_S7_PS6_S9_NS0_8identityIS6_EEEE10hipError_tT2_T3_mT4_P12ihipStream_tbEUlT_E_NS1_11comp_targetILNS1_3genE2ELNS1_11target_archE906ELNS1_3gpuE6ELNS1_3repE0EEENS1_30default_config_static_selectorELNS0_4arch9wavefront6targetE0EEEvT1_.num_named_barrier, 0
	.set _ZN7rocprim17ROCPRIM_400000_NS6detail17trampoline_kernelINS0_14default_configENS1_25transform_config_selectorIN3c108BFloat16ELb1EEEZNS1_14transform_implILb1ES3_S7_PS6_S9_NS0_8identityIS6_EEEE10hipError_tT2_T3_mT4_P12ihipStream_tbEUlT_E_NS1_11comp_targetILNS1_3genE2ELNS1_11target_archE906ELNS1_3gpuE6ELNS1_3repE0EEENS1_30default_config_static_selectorELNS0_4arch9wavefront6targetE0EEEvT1_.private_seg_size, 0
	.set _ZN7rocprim17ROCPRIM_400000_NS6detail17trampoline_kernelINS0_14default_configENS1_25transform_config_selectorIN3c108BFloat16ELb1EEEZNS1_14transform_implILb1ES3_S7_PS6_S9_NS0_8identityIS6_EEEE10hipError_tT2_T3_mT4_P12ihipStream_tbEUlT_E_NS1_11comp_targetILNS1_3genE2ELNS1_11target_archE906ELNS1_3gpuE6ELNS1_3repE0EEENS1_30default_config_static_selectorELNS0_4arch9wavefront6targetE0EEEvT1_.uses_vcc, 0
	.set _ZN7rocprim17ROCPRIM_400000_NS6detail17trampoline_kernelINS0_14default_configENS1_25transform_config_selectorIN3c108BFloat16ELb1EEEZNS1_14transform_implILb1ES3_S7_PS6_S9_NS0_8identityIS6_EEEE10hipError_tT2_T3_mT4_P12ihipStream_tbEUlT_E_NS1_11comp_targetILNS1_3genE2ELNS1_11target_archE906ELNS1_3gpuE6ELNS1_3repE0EEENS1_30default_config_static_selectorELNS0_4arch9wavefront6targetE0EEEvT1_.uses_flat_scratch, 0
	.set _ZN7rocprim17ROCPRIM_400000_NS6detail17trampoline_kernelINS0_14default_configENS1_25transform_config_selectorIN3c108BFloat16ELb1EEEZNS1_14transform_implILb1ES3_S7_PS6_S9_NS0_8identityIS6_EEEE10hipError_tT2_T3_mT4_P12ihipStream_tbEUlT_E_NS1_11comp_targetILNS1_3genE2ELNS1_11target_archE906ELNS1_3gpuE6ELNS1_3repE0EEENS1_30default_config_static_selectorELNS0_4arch9wavefront6targetE0EEEvT1_.has_dyn_sized_stack, 0
	.set _ZN7rocprim17ROCPRIM_400000_NS6detail17trampoline_kernelINS0_14default_configENS1_25transform_config_selectorIN3c108BFloat16ELb1EEEZNS1_14transform_implILb1ES3_S7_PS6_S9_NS0_8identityIS6_EEEE10hipError_tT2_T3_mT4_P12ihipStream_tbEUlT_E_NS1_11comp_targetILNS1_3genE2ELNS1_11target_archE906ELNS1_3gpuE6ELNS1_3repE0EEENS1_30default_config_static_selectorELNS0_4arch9wavefront6targetE0EEEvT1_.has_recursion, 0
	.set _ZN7rocprim17ROCPRIM_400000_NS6detail17trampoline_kernelINS0_14default_configENS1_25transform_config_selectorIN3c108BFloat16ELb1EEEZNS1_14transform_implILb1ES3_S7_PS6_S9_NS0_8identityIS6_EEEE10hipError_tT2_T3_mT4_P12ihipStream_tbEUlT_E_NS1_11comp_targetILNS1_3genE2ELNS1_11target_archE906ELNS1_3gpuE6ELNS1_3repE0EEENS1_30default_config_static_selectorELNS0_4arch9wavefront6targetE0EEEvT1_.has_indirect_call, 0
	.section	.AMDGPU.csdata,"",@progbits
; Kernel info:
; codeLenInByte = 0
; TotalNumSgprs: 0
; NumVgprs: 0
; ScratchSize: 0
; MemoryBound: 0
; FloatMode: 240
; IeeeMode: 1
; LDSByteSize: 0 bytes/workgroup (compile time only)
; SGPRBlocks: 0
; VGPRBlocks: 0
; NumSGPRsForWavesPerEU: 1
; NumVGPRsForWavesPerEU: 1
; Occupancy: 16
; WaveLimiterHint : 0
; COMPUTE_PGM_RSRC2:SCRATCH_EN: 0
; COMPUTE_PGM_RSRC2:USER_SGPR: 2
; COMPUTE_PGM_RSRC2:TRAP_HANDLER: 0
; COMPUTE_PGM_RSRC2:TGID_X_EN: 1
; COMPUTE_PGM_RSRC2:TGID_Y_EN: 0
; COMPUTE_PGM_RSRC2:TGID_Z_EN: 0
; COMPUTE_PGM_RSRC2:TIDIG_COMP_CNT: 0
	.section	.text._ZN7rocprim17ROCPRIM_400000_NS6detail17trampoline_kernelINS0_14default_configENS1_25transform_config_selectorIN3c108BFloat16ELb1EEEZNS1_14transform_implILb1ES3_S7_PS6_S9_NS0_8identityIS6_EEEE10hipError_tT2_T3_mT4_P12ihipStream_tbEUlT_E_NS1_11comp_targetILNS1_3genE9ELNS1_11target_archE1100ELNS1_3gpuE3ELNS1_3repE0EEENS1_30default_config_static_selectorELNS0_4arch9wavefront6targetE0EEEvT1_,"axG",@progbits,_ZN7rocprim17ROCPRIM_400000_NS6detail17trampoline_kernelINS0_14default_configENS1_25transform_config_selectorIN3c108BFloat16ELb1EEEZNS1_14transform_implILb1ES3_S7_PS6_S9_NS0_8identityIS6_EEEE10hipError_tT2_T3_mT4_P12ihipStream_tbEUlT_E_NS1_11comp_targetILNS1_3genE9ELNS1_11target_archE1100ELNS1_3gpuE3ELNS1_3repE0EEENS1_30default_config_static_selectorELNS0_4arch9wavefront6targetE0EEEvT1_,comdat
	.protected	_ZN7rocprim17ROCPRIM_400000_NS6detail17trampoline_kernelINS0_14default_configENS1_25transform_config_selectorIN3c108BFloat16ELb1EEEZNS1_14transform_implILb1ES3_S7_PS6_S9_NS0_8identityIS6_EEEE10hipError_tT2_T3_mT4_P12ihipStream_tbEUlT_E_NS1_11comp_targetILNS1_3genE9ELNS1_11target_archE1100ELNS1_3gpuE3ELNS1_3repE0EEENS1_30default_config_static_selectorELNS0_4arch9wavefront6targetE0EEEvT1_ ; -- Begin function _ZN7rocprim17ROCPRIM_400000_NS6detail17trampoline_kernelINS0_14default_configENS1_25transform_config_selectorIN3c108BFloat16ELb1EEEZNS1_14transform_implILb1ES3_S7_PS6_S9_NS0_8identityIS6_EEEE10hipError_tT2_T3_mT4_P12ihipStream_tbEUlT_E_NS1_11comp_targetILNS1_3genE9ELNS1_11target_archE1100ELNS1_3gpuE3ELNS1_3repE0EEENS1_30default_config_static_selectorELNS0_4arch9wavefront6targetE0EEEvT1_
	.globl	_ZN7rocprim17ROCPRIM_400000_NS6detail17trampoline_kernelINS0_14default_configENS1_25transform_config_selectorIN3c108BFloat16ELb1EEEZNS1_14transform_implILb1ES3_S7_PS6_S9_NS0_8identityIS6_EEEE10hipError_tT2_T3_mT4_P12ihipStream_tbEUlT_E_NS1_11comp_targetILNS1_3genE9ELNS1_11target_archE1100ELNS1_3gpuE3ELNS1_3repE0EEENS1_30default_config_static_selectorELNS0_4arch9wavefront6targetE0EEEvT1_
	.p2align	8
	.type	_ZN7rocprim17ROCPRIM_400000_NS6detail17trampoline_kernelINS0_14default_configENS1_25transform_config_selectorIN3c108BFloat16ELb1EEEZNS1_14transform_implILb1ES3_S7_PS6_S9_NS0_8identityIS6_EEEE10hipError_tT2_T3_mT4_P12ihipStream_tbEUlT_E_NS1_11comp_targetILNS1_3genE9ELNS1_11target_archE1100ELNS1_3gpuE3ELNS1_3repE0EEENS1_30default_config_static_selectorELNS0_4arch9wavefront6targetE0EEEvT1_,@function
_ZN7rocprim17ROCPRIM_400000_NS6detail17trampoline_kernelINS0_14default_configENS1_25transform_config_selectorIN3c108BFloat16ELb1EEEZNS1_14transform_implILb1ES3_S7_PS6_S9_NS0_8identityIS6_EEEE10hipError_tT2_T3_mT4_P12ihipStream_tbEUlT_E_NS1_11comp_targetILNS1_3genE9ELNS1_11target_archE1100ELNS1_3gpuE3ELNS1_3repE0EEENS1_30default_config_static_selectorELNS0_4arch9wavefront6targetE0EEEvT1_: ; @_ZN7rocprim17ROCPRIM_400000_NS6detail17trampoline_kernelINS0_14default_configENS1_25transform_config_selectorIN3c108BFloat16ELb1EEEZNS1_14transform_implILb1ES3_S7_PS6_S9_NS0_8identityIS6_EEEE10hipError_tT2_T3_mT4_P12ihipStream_tbEUlT_E_NS1_11comp_targetILNS1_3genE9ELNS1_11target_archE1100ELNS1_3gpuE3ELNS1_3repE0EEENS1_30default_config_static_selectorELNS0_4arch9wavefront6targetE0EEEvT1_
; %bb.0:
	.section	.rodata,"a",@progbits
	.p2align	6, 0x0
	.amdhsa_kernel _ZN7rocprim17ROCPRIM_400000_NS6detail17trampoline_kernelINS0_14default_configENS1_25transform_config_selectorIN3c108BFloat16ELb1EEEZNS1_14transform_implILb1ES3_S7_PS6_S9_NS0_8identityIS6_EEEE10hipError_tT2_T3_mT4_P12ihipStream_tbEUlT_E_NS1_11comp_targetILNS1_3genE9ELNS1_11target_archE1100ELNS1_3gpuE3ELNS1_3repE0EEENS1_30default_config_static_selectorELNS0_4arch9wavefront6targetE0EEEvT1_
		.amdhsa_group_segment_fixed_size 0
		.amdhsa_private_segment_fixed_size 0
		.amdhsa_kernarg_size 40
		.amdhsa_user_sgpr_count 2
		.amdhsa_user_sgpr_dispatch_ptr 0
		.amdhsa_user_sgpr_queue_ptr 0
		.amdhsa_user_sgpr_kernarg_segment_ptr 1
		.amdhsa_user_sgpr_dispatch_id 0
		.amdhsa_user_sgpr_private_segment_size 0
		.amdhsa_wavefront_size32 1
		.amdhsa_uses_dynamic_stack 0
		.amdhsa_enable_private_segment 0
		.amdhsa_system_sgpr_workgroup_id_x 1
		.amdhsa_system_sgpr_workgroup_id_y 0
		.amdhsa_system_sgpr_workgroup_id_z 0
		.amdhsa_system_sgpr_workgroup_info 0
		.amdhsa_system_vgpr_workitem_id 0
		.amdhsa_next_free_vgpr 1
		.amdhsa_next_free_sgpr 1
		.amdhsa_reserve_vcc 0
		.amdhsa_float_round_mode_32 0
		.amdhsa_float_round_mode_16_64 0
		.amdhsa_float_denorm_mode_32 3
		.amdhsa_float_denorm_mode_16_64 3
		.amdhsa_fp16_overflow 0
		.amdhsa_workgroup_processor_mode 1
		.amdhsa_memory_ordered 1
		.amdhsa_forward_progress 1
		.amdhsa_inst_pref_size 0
		.amdhsa_round_robin_scheduling 0
		.amdhsa_exception_fp_ieee_invalid_op 0
		.amdhsa_exception_fp_denorm_src 0
		.amdhsa_exception_fp_ieee_div_zero 0
		.amdhsa_exception_fp_ieee_overflow 0
		.amdhsa_exception_fp_ieee_underflow 0
		.amdhsa_exception_fp_ieee_inexact 0
		.amdhsa_exception_int_div_zero 0
	.end_amdhsa_kernel
	.section	.text._ZN7rocprim17ROCPRIM_400000_NS6detail17trampoline_kernelINS0_14default_configENS1_25transform_config_selectorIN3c108BFloat16ELb1EEEZNS1_14transform_implILb1ES3_S7_PS6_S9_NS0_8identityIS6_EEEE10hipError_tT2_T3_mT4_P12ihipStream_tbEUlT_E_NS1_11comp_targetILNS1_3genE9ELNS1_11target_archE1100ELNS1_3gpuE3ELNS1_3repE0EEENS1_30default_config_static_selectorELNS0_4arch9wavefront6targetE0EEEvT1_,"axG",@progbits,_ZN7rocprim17ROCPRIM_400000_NS6detail17trampoline_kernelINS0_14default_configENS1_25transform_config_selectorIN3c108BFloat16ELb1EEEZNS1_14transform_implILb1ES3_S7_PS6_S9_NS0_8identityIS6_EEEE10hipError_tT2_T3_mT4_P12ihipStream_tbEUlT_E_NS1_11comp_targetILNS1_3genE9ELNS1_11target_archE1100ELNS1_3gpuE3ELNS1_3repE0EEENS1_30default_config_static_selectorELNS0_4arch9wavefront6targetE0EEEvT1_,comdat
.Lfunc_end453:
	.size	_ZN7rocprim17ROCPRIM_400000_NS6detail17trampoline_kernelINS0_14default_configENS1_25transform_config_selectorIN3c108BFloat16ELb1EEEZNS1_14transform_implILb1ES3_S7_PS6_S9_NS0_8identityIS6_EEEE10hipError_tT2_T3_mT4_P12ihipStream_tbEUlT_E_NS1_11comp_targetILNS1_3genE9ELNS1_11target_archE1100ELNS1_3gpuE3ELNS1_3repE0EEENS1_30default_config_static_selectorELNS0_4arch9wavefront6targetE0EEEvT1_, .Lfunc_end453-_ZN7rocprim17ROCPRIM_400000_NS6detail17trampoline_kernelINS0_14default_configENS1_25transform_config_selectorIN3c108BFloat16ELb1EEEZNS1_14transform_implILb1ES3_S7_PS6_S9_NS0_8identityIS6_EEEE10hipError_tT2_T3_mT4_P12ihipStream_tbEUlT_E_NS1_11comp_targetILNS1_3genE9ELNS1_11target_archE1100ELNS1_3gpuE3ELNS1_3repE0EEENS1_30default_config_static_selectorELNS0_4arch9wavefront6targetE0EEEvT1_
                                        ; -- End function
	.set _ZN7rocprim17ROCPRIM_400000_NS6detail17trampoline_kernelINS0_14default_configENS1_25transform_config_selectorIN3c108BFloat16ELb1EEEZNS1_14transform_implILb1ES3_S7_PS6_S9_NS0_8identityIS6_EEEE10hipError_tT2_T3_mT4_P12ihipStream_tbEUlT_E_NS1_11comp_targetILNS1_3genE9ELNS1_11target_archE1100ELNS1_3gpuE3ELNS1_3repE0EEENS1_30default_config_static_selectorELNS0_4arch9wavefront6targetE0EEEvT1_.num_vgpr, 0
	.set _ZN7rocprim17ROCPRIM_400000_NS6detail17trampoline_kernelINS0_14default_configENS1_25transform_config_selectorIN3c108BFloat16ELb1EEEZNS1_14transform_implILb1ES3_S7_PS6_S9_NS0_8identityIS6_EEEE10hipError_tT2_T3_mT4_P12ihipStream_tbEUlT_E_NS1_11comp_targetILNS1_3genE9ELNS1_11target_archE1100ELNS1_3gpuE3ELNS1_3repE0EEENS1_30default_config_static_selectorELNS0_4arch9wavefront6targetE0EEEvT1_.num_agpr, 0
	.set _ZN7rocprim17ROCPRIM_400000_NS6detail17trampoline_kernelINS0_14default_configENS1_25transform_config_selectorIN3c108BFloat16ELb1EEEZNS1_14transform_implILb1ES3_S7_PS6_S9_NS0_8identityIS6_EEEE10hipError_tT2_T3_mT4_P12ihipStream_tbEUlT_E_NS1_11comp_targetILNS1_3genE9ELNS1_11target_archE1100ELNS1_3gpuE3ELNS1_3repE0EEENS1_30default_config_static_selectorELNS0_4arch9wavefront6targetE0EEEvT1_.numbered_sgpr, 0
	.set _ZN7rocprim17ROCPRIM_400000_NS6detail17trampoline_kernelINS0_14default_configENS1_25transform_config_selectorIN3c108BFloat16ELb1EEEZNS1_14transform_implILb1ES3_S7_PS6_S9_NS0_8identityIS6_EEEE10hipError_tT2_T3_mT4_P12ihipStream_tbEUlT_E_NS1_11comp_targetILNS1_3genE9ELNS1_11target_archE1100ELNS1_3gpuE3ELNS1_3repE0EEENS1_30default_config_static_selectorELNS0_4arch9wavefront6targetE0EEEvT1_.num_named_barrier, 0
	.set _ZN7rocprim17ROCPRIM_400000_NS6detail17trampoline_kernelINS0_14default_configENS1_25transform_config_selectorIN3c108BFloat16ELb1EEEZNS1_14transform_implILb1ES3_S7_PS6_S9_NS0_8identityIS6_EEEE10hipError_tT2_T3_mT4_P12ihipStream_tbEUlT_E_NS1_11comp_targetILNS1_3genE9ELNS1_11target_archE1100ELNS1_3gpuE3ELNS1_3repE0EEENS1_30default_config_static_selectorELNS0_4arch9wavefront6targetE0EEEvT1_.private_seg_size, 0
	.set _ZN7rocprim17ROCPRIM_400000_NS6detail17trampoline_kernelINS0_14default_configENS1_25transform_config_selectorIN3c108BFloat16ELb1EEEZNS1_14transform_implILb1ES3_S7_PS6_S9_NS0_8identityIS6_EEEE10hipError_tT2_T3_mT4_P12ihipStream_tbEUlT_E_NS1_11comp_targetILNS1_3genE9ELNS1_11target_archE1100ELNS1_3gpuE3ELNS1_3repE0EEENS1_30default_config_static_selectorELNS0_4arch9wavefront6targetE0EEEvT1_.uses_vcc, 0
	.set _ZN7rocprim17ROCPRIM_400000_NS6detail17trampoline_kernelINS0_14default_configENS1_25transform_config_selectorIN3c108BFloat16ELb1EEEZNS1_14transform_implILb1ES3_S7_PS6_S9_NS0_8identityIS6_EEEE10hipError_tT2_T3_mT4_P12ihipStream_tbEUlT_E_NS1_11comp_targetILNS1_3genE9ELNS1_11target_archE1100ELNS1_3gpuE3ELNS1_3repE0EEENS1_30default_config_static_selectorELNS0_4arch9wavefront6targetE0EEEvT1_.uses_flat_scratch, 0
	.set _ZN7rocprim17ROCPRIM_400000_NS6detail17trampoline_kernelINS0_14default_configENS1_25transform_config_selectorIN3c108BFloat16ELb1EEEZNS1_14transform_implILb1ES3_S7_PS6_S9_NS0_8identityIS6_EEEE10hipError_tT2_T3_mT4_P12ihipStream_tbEUlT_E_NS1_11comp_targetILNS1_3genE9ELNS1_11target_archE1100ELNS1_3gpuE3ELNS1_3repE0EEENS1_30default_config_static_selectorELNS0_4arch9wavefront6targetE0EEEvT1_.has_dyn_sized_stack, 0
	.set _ZN7rocprim17ROCPRIM_400000_NS6detail17trampoline_kernelINS0_14default_configENS1_25transform_config_selectorIN3c108BFloat16ELb1EEEZNS1_14transform_implILb1ES3_S7_PS6_S9_NS0_8identityIS6_EEEE10hipError_tT2_T3_mT4_P12ihipStream_tbEUlT_E_NS1_11comp_targetILNS1_3genE9ELNS1_11target_archE1100ELNS1_3gpuE3ELNS1_3repE0EEENS1_30default_config_static_selectorELNS0_4arch9wavefront6targetE0EEEvT1_.has_recursion, 0
	.set _ZN7rocprim17ROCPRIM_400000_NS6detail17trampoline_kernelINS0_14default_configENS1_25transform_config_selectorIN3c108BFloat16ELb1EEEZNS1_14transform_implILb1ES3_S7_PS6_S9_NS0_8identityIS6_EEEE10hipError_tT2_T3_mT4_P12ihipStream_tbEUlT_E_NS1_11comp_targetILNS1_3genE9ELNS1_11target_archE1100ELNS1_3gpuE3ELNS1_3repE0EEENS1_30default_config_static_selectorELNS0_4arch9wavefront6targetE0EEEvT1_.has_indirect_call, 0
	.section	.AMDGPU.csdata,"",@progbits
; Kernel info:
; codeLenInByte = 0
; TotalNumSgprs: 0
; NumVgprs: 0
; ScratchSize: 0
; MemoryBound: 0
; FloatMode: 240
; IeeeMode: 1
; LDSByteSize: 0 bytes/workgroup (compile time only)
; SGPRBlocks: 0
; VGPRBlocks: 0
; NumSGPRsForWavesPerEU: 1
; NumVGPRsForWavesPerEU: 1
; Occupancy: 16
; WaveLimiterHint : 0
; COMPUTE_PGM_RSRC2:SCRATCH_EN: 0
; COMPUTE_PGM_RSRC2:USER_SGPR: 2
; COMPUTE_PGM_RSRC2:TRAP_HANDLER: 0
; COMPUTE_PGM_RSRC2:TGID_X_EN: 1
; COMPUTE_PGM_RSRC2:TGID_Y_EN: 0
; COMPUTE_PGM_RSRC2:TGID_Z_EN: 0
; COMPUTE_PGM_RSRC2:TIDIG_COMP_CNT: 0
	.section	.text._ZN7rocprim17ROCPRIM_400000_NS6detail17trampoline_kernelINS0_14default_configENS1_25transform_config_selectorIN3c108BFloat16ELb1EEEZNS1_14transform_implILb1ES3_S7_PS6_S9_NS0_8identityIS6_EEEE10hipError_tT2_T3_mT4_P12ihipStream_tbEUlT_E_NS1_11comp_targetILNS1_3genE8ELNS1_11target_archE1030ELNS1_3gpuE2ELNS1_3repE0EEENS1_30default_config_static_selectorELNS0_4arch9wavefront6targetE0EEEvT1_,"axG",@progbits,_ZN7rocprim17ROCPRIM_400000_NS6detail17trampoline_kernelINS0_14default_configENS1_25transform_config_selectorIN3c108BFloat16ELb1EEEZNS1_14transform_implILb1ES3_S7_PS6_S9_NS0_8identityIS6_EEEE10hipError_tT2_T3_mT4_P12ihipStream_tbEUlT_E_NS1_11comp_targetILNS1_3genE8ELNS1_11target_archE1030ELNS1_3gpuE2ELNS1_3repE0EEENS1_30default_config_static_selectorELNS0_4arch9wavefront6targetE0EEEvT1_,comdat
	.protected	_ZN7rocprim17ROCPRIM_400000_NS6detail17trampoline_kernelINS0_14default_configENS1_25transform_config_selectorIN3c108BFloat16ELb1EEEZNS1_14transform_implILb1ES3_S7_PS6_S9_NS0_8identityIS6_EEEE10hipError_tT2_T3_mT4_P12ihipStream_tbEUlT_E_NS1_11comp_targetILNS1_3genE8ELNS1_11target_archE1030ELNS1_3gpuE2ELNS1_3repE0EEENS1_30default_config_static_selectorELNS0_4arch9wavefront6targetE0EEEvT1_ ; -- Begin function _ZN7rocprim17ROCPRIM_400000_NS6detail17trampoline_kernelINS0_14default_configENS1_25transform_config_selectorIN3c108BFloat16ELb1EEEZNS1_14transform_implILb1ES3_S7_PS6_S9_NS0_8identityIS6_EEEE10hipError_tT2_T3_mT4_P12ihipStream_tbEUlT_E_NS1_11comp_targetILNS1_3genE8ELNS1_11target_archE1030ELNS1_3gpuE2ELNS1_3repE0EEENS1_30default_config_static_selectorELNS0_4arch9wavefront6targetE0EEEvT1_
	.globl	_ZN7rocprim17ROCPRIM_400000_NS6detail17trampoline_kernelINS0_14default_configENS1_25transform_config_selectorIN3c108BFloat16ELb1EEEZNS1_14transform_implILb1ES3_S7_PS6_S9_NS0_8identityIS6_EEEE10hipError_tT2_T3_mT4_P12ihipStream_tbEUlT_E_NS1_11comp_targetILNS1_3genE8ELNS1_11target_archE1030ELNS1_3gpuE2ELNS1_3repE0EEENS1_30default_config_static_selectorELNS0_4arch9wavefront6targetE0EEEvT1_
	.p2align	8
	.type	_ZN7rocprim17ROCPRIM_400000_NS6detail17trampoline_kernelINS0_14default_configENS1_25transform_config_selectorIN3c108BFloat16ELb1EEEZNS1_14transform_implILb1ES3_S7_PS6_S9_NS0_8identityIS6_EEEE10hipError_tT2_T3_mT4_P12ihipStream_tbEUlT_E_NS1_11comp_targetILNS1_3genE8ELNS1_11target_archE1030ELNS1_3gpuE2ELNS1_3repE0EEENS1_30default_config_static_selectorELNS0_4arch9wavefront6targetE0EEEvT1_,@function
_ZN7rocprim17ROCPRIM_400000_NS6detail17trampoline_kernelINS0_14default_configENS1_25transform_config_selectorIN3c108BFloat16ELb1EEEZNS1_14transform_implILb1ES3_S7_PS6_S9_NS0_8identityIS6_EEEE10hipError_tT2_T3_mT4_P12ihipStream_tbEUlT_E_NS1_11comp_targetILNS1_3genE8ELNS1_11target_archE1030ELNS1_3gpuE2ELNS1_3repE0EEENS1_30default_config_static_selectorELNS0_4arch9wavefront6targetE0EEEvT1_: ; @_ZN7rocprim17ROCPRIM_400000_NS6detail17trampoline_kernelINS0_14default_configENS1_25transform_config_selectorIN3c108BFloat16ELb1EEEZNS1_14transform_implILb1ES3_S7_PS6_S9_NS0_8identityIS6_EEEE10hipError_tT2_T3_mT4_P12ihipStream_tbEUlT_E_NS1_11comp_targetILNS1_3genE8ELNS1_11target_archE1030ELNS1_3gpuE2ELNS1_3repE0EEENS1_30default_config_static_selectorELNS0_4arch9wavefront6targetE0EEEvT1_
; %bb.0:
	.section	.rodata,"a",@progbits
	.p2align	6, 0x0
	.amdhsa_kernel _ZN7rocprim17ROCPRIM_400000_NS6detail17trampoline_kernelINS0_14default_configENS1_25transform_config_selectorIN3c108BFloat16ELb1EEEZNS1_14transform_implILb1ES3_S7_PS6_S9_NS0_8identityIS6_EEEE10hipError_tT2_T3_mT4_P12ihipStream_tbEUlT_E_NS1_11comp_targetILNS1_3genE8ELNS1_11target_archE1030ELNS1_3gpuE2ELNS1_3repE0EEENS1_30default_config_static_selectorELNS0_4arch9wavefront6targetE0EEEvT1_
		.amdhsa_group_segment_fixed_size 0
		.amdhsa_private_segment_fixed_size 0
		.amdhsa_kernarg_size 40
		.amdhsa_user_sgpr_count 2
		.amdhsa_user_sgpr_dispatch_ptr 0
		.amdhsa_user_sgpr_queue_ptr 0
		.amdhsa_user_sgpr_kernarg_segment_ptr 1
		.amdhsa_user_sgpr_dispatch_id 0
		.amdhsa_user_sgpr_private_segment_size 0
		.amdhsa_wavefront_size32 1
		.amdhsa_uses_dynamic_stack 0
		.amdhsa_enable_private_segment 0
		.amdhsa_system_sgpr_workgroup_id_x 1
		.amdhsa_system_sgpr_workgroup_id_y 0
		.amdhsa_system_sgpr_workgroup_id_z 0
		.amdhsa_system_sgpr_workgroup_info 0
		.amdhsa_system_vgpr_workitem_id 0
		.amdhsa_next_free_vgpr 1
		.amdhsa_next_free_sgpr 1
		.amdhsa_reserve_vcc 0
		.amdhsa_float_round_mode_32 0
		.amdhsa_float_round_mode_16_64 0
		.amdhsa_float_denorm_mode_32 3
		.amdhsa_float_denorm_mode_16_64 3
		.amdhsa_fp16_overflow 0
		.amdhsa_workgroup_processor_mode 1
		.amdhsa_memory_ordered 1
		.amdhsa_forward_progress 1
		.amdhsa_inst_pref_size 0
		.amdhsa_round_robin_scheduling 0
		.amdhsa_exception_fp_ieee_invalid_op 0
		.amdhsa_exception_fp_denorm_src 0
		.amdhsa_exception_fp_ieee_div_zero 0
		.amdhsa_exception_fp_ieee_overflow 0
		.amdhsa_exception_fp_ieee_underflow 0
		.amdhsa_exception_fp_ieee_inexact 0
		.amdhsa_exception_int_div_zero 0
	.end_amdhsa_kernel
	.section	.text._ZN7rocprim17ROCPRIM_400000_NS6detail17trampoline_kernelINS0_14default_configENS1_25transform_config_selectorIN3c108BFloat16ELb1EEEZNS1_14transform_implILb1ES3_S7_PS6_S9_NS0_8identityIS6_EEEE10hipError_tT2_T3_mT4_P12ihipStream_tbEUlT_E_NS1_11comp_targetILNS1_3genE8ELNS1_11target_archE1030ELNS1_3gpuE2ELNS1_3repE0EEENS1_30default_config_static_selectorELNS0_4arch9wavefront6targetE0EEEvT1_,"axG",@progbits,_ZN7rocprim17ROCPRIM_400000_NS6detail17trampoline_kernelINS0_14default_configENS1_25transform_config_selectorIN3c108BFloat16ELb1EEEZNS1_14transform_implILb1ES3_S7_PS6_S9_NS0_8identityIS6_EEEE10hipError_tT2_T3_mT4_P12ihipStream_tbEUlT_E_NS1_11comp_targetILNS1_3genE8ELNS1_11target_archE1030ELNS1_3gpuE2ELNS1_3repE0EEENS1_30default_config_static_selectorELNS0_4arch9wavefront6targetE0EEEvT1_,comdat
.Lfunc_end454:
	.size	_ZN7rocprim17ROCPRIM_400000_NS6detail17trampoline_kernelINS0_14default_configENS1_25transform_config_selectorIN3c108BFloat16ELb1EEEZNS1_14transform_implILb1ES3_S7_PS6_S9_NS0_8identityIS6_EEEE10hipError_tT2_T3_mT4_P12ihipStream_tbEUlT_E_NS1_11comp_targetILNS1_3genE8ELNS1_11target_archE1030ELNS1_3gpuE2ELNS1_3repE0EEENS1_30default_config_static_selectorELNS0_4arch9wavefront6targetE0EEEvT1_, .Lfunc_end454-_ZN7rocprim17ROCPRIM_400000_NS6detail17trampoline_kernelINS0_14default_configENS1_25transform_config_selectorIN3c108BFloat16ELb1EEEZNS1_14transform_implILb1ES3_S7_PS6_S9_NS0_8identityIS6_EEEE10hipError_tT2_T3_mT4_P12ihipStream_tbEUlT_E_NS1_11comp_targetILNS1_3genE8ELNS1_11target_archE1030ELNS1_3gpuE2ELNS1_3repE0EEENS1_30default_config_static_selectorELNS0_4arch9wavefront6targetE0EEEvT1_
                                        ; -- End function
	.set _ZN7rocprim17ROCPRIM_400000_NS6detail17trampoline_kernelINS0_14default_configENS1_25transform_config_selectorIN3c108BFloat16ELb1EEEZNS1_14transform_implILb1ES3_S7_PS6_S9_NS0_8identityIS6_EEEE10hipError_tT2_T3_mT4_P12ihipStream_tbEUlT_E_NS1_11comp_targetILNS1_3genE8ELNS1_11target_archE1030ELNS1_3gpuE2ELNS1_3repE0EEENS1_30default_config_static_selectorELNS0_4arch9wavefront6targetE0EEEvT1_.num_vgpr, 0
	.set _ZN7rocprim17ROCPRIM_400000_NS6detail17trampoline_kernelINS0_14default_configENS1_25transform_config_selectorIN3c108BFloat16ELb1EEEZNS1_14transform_implILb1ES3_S7_PS6_S9_NS0_8identityIS6_EEEE10hipError_tT2_T3_mT4_P12ihipStream_tbEUlT_E_NS1_11comp_targetILNS1_3genE8ELNS1_11target_archE1030ELNS1_3gpuE2ELNS1_3repE0EEENS1_30default_config_static_selectorELNS0_4arch9wavefront6targetE0EEEvT1_.num_agpr, 0
	.set _ZN7rocprim17ROCPRIM_400000_NS6detail17trampoline_kernelINS0_14default_configENS1_25transform_config_selectorIN3c108BFloat16ELb1EEEZNS1_14transform_implILb1ES3_S7_PS6_S9_NS0_8identityIS6_EEEE10hipError_tT2_T3_mT4_P12ihipStream_tbEUlT_E_NS1_11comp_targetILNS1_3genE8ELNS1_11target_archE1030ELNS1_3gpuE2ELNS1_3repE0EEENS1_30default_config_static_selectorELNS0_4arch9wavefront6targetE0EEEvT1_.numbered_sgpr, 0
	.set _ZN7rocprim17ROCPRIM_400000_NS6detail17trampoline_kernelINS0_14default_configENS1_25transform_config_selectorIN3c108BFloat16ELb1EEEZNS1_14transform_implILb1ES3_S7_PS6_S9_NS0_8identityIS6_EEEE10hipError_tT2_T3_mT4_P12ihipStream_tbEUlT_E_NS1_11comp_targetILNS1_3genE8ELNS1_11target_archE1030ELNS1_3gpuE2ELNS1_3repE0EEENS1_30default_config_static_selectorELNS0_4arch9wavefront6targetE0EEEvT1_.num_named_barrier, 0
	.set _ZN7rocprim17ROCPRIM_400000_NS6detail17trampoline_kernelINS0_14default_configENS1_25transform_config_selectorIN3c108BFloat16ELb1EEEZNS1_14transform_implILb1ES3_S7_PS6_S9_NS0_8identityIS6_EEEE10hipError_tT2_T3_mT4_P12ihipStream_tbEUlT_E_NS1_11comp_targetILNS1_3genE8ELNS1_11target_archE1030ELNS1_3gpuE2ELNS1_3repE0EEENS1_30default_config_static_selectorELNS0_4arch9wavefront6targetE0EEEvT1_.private_seg_size, 0
	.set _ZN7rocprim17ROCPRIM_400000_NS6detail17trampoline_kernelINS0_14default_configENS1_25transform_config_selectorIN3c108BFloat16ELb1EEEZNS1_14transform_implILb1ES3_S7_PS6_S9_NS0_8identityIS6_EEEE10hipError_tT2_T3_mT4_P12ihipStream_tbEUlT_E_NS1_11comp_targetILNS1_3genE8ELNS1_11target_archE1030ELNS1_3gpuE2ELNS1_3repE0EEENS1_30default_config_static_selectorELNS0_4arch9wavefront6targetE0EEEvT1_.uses_vcc, 0
	.set _ZN7rocprim17ROCPRIM_400000_NS6detail17trampoline_kernelINS0_14default_configENS1_25transform_config_selectorIN3c108BFloat16ELb1EEEZNS1_14transform_implILb1ES3_S7_PS6_S9_NS0_8identityIS6_EEEE10hipError_tT2_T3_mT4_P12ihipStream_tbEUlT_E_NS1_11comp_targetILNS1_3genE8ELNS1_11target_archE1030ELNS1_3gpuE2ELNS1_3repE0EEENS1_30default_config_static_selectorELNS0_4arch9wavefront6targetE0EEEvT1_.uses_flat_scratch, 0
	.set _ZN7rocprim17ROCPRIM_400000_NS6detail17trampoline_kernelINS0_14default_configENS1_25transform_config_selectorIN3c108BFloat16ELb1EEEZNS1_14transform_implILb1ES3_S7_PS6_S9_NS0_8identityIS6_EEEE10hipError_tT2_T3_mT4_P12ihipStream_tbEUlT_E_NS1_11comp_targetILNS1_3genE8ELNS1_11target_archE1030ELNS1_3gpuE2ELNS1_3repE0EEENS1_30default_config_static_selectorELNS0_4arch9wavefront6targetE0EEEvT1_.has_dyn_sized_stack, 0
	.set _ZN7rocprim17ROCPRIM_400000_NS6detail17trampoline_kernelINS0_14default_configENS1_25transform_config_selectorIN3c108BFloat16ELb1EEEZNS1_14transform_implILb1ES3_S7_PS6_S9_NS0_8identityIS6_EEEE10hipError_tT2_T3_mT4_P12ihipStream_tbEUlT_E_NS1_11comp_targetILNS1_3genE8ELNS1_11target_archE1030ELNS1_3gpuE2ELNS1_3repE0EEENS1_30default_config_static_selectorELNS0_4arch9wavefront6targetE0EEEvT1_.has_recursion, 0
	.set _ZN7rocprim17ROCPRIM_400000_NS6detail17trampoline_kernelINS0_14default_configENS1_25transform_config_selectorIN3c108BFloat16ELb1EEEZNS1_14transform_implILb1ES3_S7_PS6_S9_NS0_8identityIS6_EEEE10hipError_tT2_T3_mT4_P12ihipStream_tbEUlT_E_NS1_11comp_targetILNS1_3genE8ELNS1_11target_archE1030ELNS1_3gpuE2ELNS1_3repE0EEENS1_30default_config_static_selectorELNS0_4arch9wavefront6targetE0EEEvT1_.has_indirect_call, 0
	.section	.AMDGPU.csdata,"",@progbits
; Kernel info:
; codeLenInByte = 0
; TotalNumSgprs: 0
; NumVgprs: 0
; ScratchSize: 0
; MemoryBound: 0
; FloatMode: 240
; IeeeMode: 1
; LDSByteSize: 0 bytes/workgroup (compile time only)
; SGPRBlocks: 0
; VGPRBlocks: 0
; NumSGPRsForWavesPerEU: 1
; NumVGPRsForWavesPerEU: 1
; Occupancy: 16
; WaveLimiterHint : 0
; COMPUTE_PGM_RSRC2:SCRATCH_EN: 0
; COMPUTE_PGM_RSRC2:USER_SGPR: 2
; COMPUTE_PGM_RSRC2:TRAP_HANDLER: 0
; COMPUTE_PGM_RSRC2:TGID_X_EN: 1
; COMPUTE_PGM_RSRC2:TGID_Y_EN: 0
; COMPUTE_PGM_RSRC2:TGID_Z_EN: 0
; COMPUTE_PGM_RSRC2:TIDIG_COMP_CNT: 0
	.section	.text._ZN7rocprim17ROCPRIM_400000_NS6detail17trampoline_kernelINS0_14default_configENS1_20scan_config_selectorIN3c108BFloat16EEEZZNS1_9scan_implILNS1_25lookback_scan_determinismE0ELb0ELb0ES3_PKS6_PS6_S6_ZZZN2at6native31launch_logcumsumexp_cuda_kernelERKNSD_10TensorBaseESH_lENKUlvE_clEvENKUlvE4_clEvEUlS6_S6_E_S6_EEDaPvRmT3_T4_T5_mT6_P12ihipStream_tbENKUlT_T0_E_clISt17integral_constantIbLb0EESY_EEDaST_SU_EUlST_E0_NS1_11comp_targetILNS1_3genE0ELNS1_11target_archE4294967295ELNS1_3gpuE0ELNS1_3repE0EEENS1_30default_config_static_selectorELNS0_4arch9wavefront6targetE0EEEvT1_,"axG",@progbits,_ZN7rocprim17ROCPRIM_400000_NS6detail17trampoline_kernelINS0_14default_configENS1_20scan_config_selectorIN3c108BFloat16EEEZZNS1_9scan_implILNS1_25lookback_scan_determinismE0ELb0ELb0ES3_PKS6_PS6_S6_ZZZN2at6native31launch_logcumsumexp_cuda_kernelERKNSD_10TensorBaseESH_lENKUlvE_clEvENKUlvE4_clEvEUlS6_S6_E_S6_EEDaPvRmT3_T4_T5_mT6_P12ihipStream_tbENKUlT_T0_E_clISt17integral_constantIbLb0EESY_EEDaST_SU_EUlST_E0_NS1_11comp_targetILNS1_3genE0ELNS1_11target_archE4294967295ELNS1_3gpuE0ELNS1_3repE0EEENS1_30default_config_static_selectorELNS0_4arch9wavefront6targetE0EEEvT1_,comdat
	.globl	_ZN7rocprim17ROCPRIM_400000_NS6detail17trampoline_kernelINS0_14default_configENS1_20scan_config_selectorIN3c108BFloat16EEEZZNS1_9scan_implILNS1_25lookback_scan_determinismE0ELb0ELb0ES3_PKS6_PS6_S6_ZZZN2at6native31launch_logcumsumexp_cuda_kernelERKNSD_10TensorBaseESH_lENKUlvE_clEvENKUlvE4_clEvEUlS6_S6_E_S6_EEDaPvRmT3_T4_T5_mT6_P12ihipStream_tbENKUlT_T0_E_clISt17integral_constantIbLb0EESY_EEDaST_SU_EUlST_E0_NS1_11comp_targetILNS1_3genE0ELNS1_11target_archE4294967295ELNS1_3gpuE0ELNS1_3repE0EEENS1_30default_config_static_selectorELNS0_4arch9wavefront6targetE0EEEvT1_ ; -- Begin function _ZN7rocprim17ROCPRIM_400000_NS6detail17trampoline_kernelINS0_14default_configENS1_20scan_config_selectorIN3c108BFloat16EEEZZNS1_9scan_implILNS1_25lookback_scan_determinismE0ELb0ELb0ES3_PKS6_PS6_S6_ZZZN2at6native31launch_logcumsumexp_cuda_kernelERKNSD_10TensorBaseESH_lENKUlvE_clEvENKUlvE4_clEvEUlS6_S6_E_S6_EEDaPvRmT3_T4_T5_mT6_P12ihipStream_tbENKUlT_T0_E_clISt17integral_constantIbLb0EESY_EEDaST_SU_EUlST_E0_NS1_11comp_targetILNS1_3genE0ELNS1_11target_archE4294967295ELNS1_3gpuE0ELNS1_3repE0EEENS1_30default_config_static_selectorELNS0_4arch9wavefront6targetE0EEEvT1_
	.p2align	8
	.type	_ZN7rocprim17ROCPRIM_400000_NS6detail17trampoline_kernelINS0_14default_configENS1_20scan_config_selectorIN3c108BFloat16EEEZZNS1_9scan_implILNS1_25lookback_scan_determinismE0ELb0ELb0ES3_PKS6_PS6_S6_ZZZN2at6native31launch_logcumsumexp_cuda_kernelERKNSD_10TensorBaseESH_lENKUlvE_clEvENKUlvE4_clEvEUlS6_S6_E_S6_EEDaPvRmT3_T4_T5_mT6_P12ihipStream_tbENKUlT_T0_E_clISt17integral_constantIbLb0EESY_EEDaST_SU_EUlST_E0_NS1_11comp_targetILNS1_3genE0ELNS1_11target_archE4294967295ELNS1_3gpuE0ELNS1_3repE0EEENS1_30default_config_static_selectorELNS0_4arch9wavefront6targetE0EEEvT1_,@function
_ZN7rocprim17ROCPRIM_400000_NS6detail17trampoline_kernelINS0_14default_configENS1_20scan_config_selectorIN3c108BFloat16EEEZZNS1_9scan_implILNS1_25lookback_scan_determinismE0ELb0ELb0ES3_PKS6_PS6_S6_ZZZN2at6native31launch_logcumsumexp_cuda_kernelERKNSD_10TensorBaseESH_lENKUlvE_clEvENKUlvE4_clEvEUlS6_S6_E_S6_EEDaPvRmT3_T4_T5_mT6_P12ihipStream_tbENKUlT_T0_E_clISt17integral_constantIbLb0EESY_EEDaST_SU_EUlST_E0_NS1_11comp_targetILNS1_3genE0ELNS1_11target_archE4294967295ELNS1_3gpuE0ELNS1_3repE0EEENS1_30default_config_static_selectorELNS0_4arch9wavefront6targetE0EEEvT1_: ; @_ZN7rocprim17ROCPRIM_400000_NS6detail17trampoline_kernelINS0_14default_configENS1_20scan_config_selectorIN3c108BFloat16EEEZZNS1_9scan_implILNS1_25lookback_scan_determinismE0ELb0ELb0ES3_PKS6_PS6_S6_ZZZN2at6native31launch_logcumsumexp_cuda_kernelERKNSD_10TensorBaseESH_lENKUlvE_clEvENKUlvE4_clEvEUlS6_S6_E_S6_EEDaPvRmT3_T4_T5_mT6_P12ihipStream_tbENKUlT_T0_E_clISt17integral_constantIbLb0EESY_EEDaST_SU_EUlST_E0_NS1_11comp_targetILNS1_3genE0ELNS1_11target_archE4294967295ELNS1_3gpuE0ELNS1_3repE0EEENS1_30default_config_static_selectorELNS0_4arch9wavefront6targetE0EEEvT1_
; %bb.0:
	.section	.rodata,"a",@progbits
	.p2align	6, 0x0
	.amdhsa_kernel _ZN7rocprim17ROCPRIM_400000_NS6detail17trampoline_kernelINS0_14default_configENS1_20scan_config_selectorIN3c108BFloat16EEEZZNS1_9scan_implILNS1_25lookback_scan_determinismE0ELb0ELb0ES3_PKS6_PS6_S6_ZZZN2at6native31launch_logcumsumexp_cuda_kernelERKNSD_10TensorBaseESH_lENKUlvE_clEvENKUlvE4_clEvEUlS6_S6_E_S6_EEDaPvRmT3_T4_T5_mT6_P12ihipStream_tbENKUlT_T0_E_clISt17integral_constantIbLb0EESY_EEDaST_SU_EUlST_E0_NS1_11comp_targetILNS1_3genE0ELNS1_11target_archE4294967295ELNS1_3gpuE0ELNS1_3repE0EEENS1_30default_config_static_selectorELNS0_4arch9wavefront6targetE0EEEvT1_
		.amdhsa_group_segment_fixed_size 0
		.amdhsa_private_segment_fixed_size 0
		.amdhsa_kernarg_size 32
		.amdhsa_user_sgpr_count 2
		.amdhsa_user_sgpr_dispatch_ptr 0
		.amdhsa_user_sgpr_queue_ptr 0
		.amdhsa_user_sgpr_kernarg_segment_ptr 1
		.amdhsa_user_sgpr_dispatch_id 0
		.amdhsa_user_sgpr_private_segment_size 0
		.amdhsa_wavefront_size32 1
		.amdhsa_uses_dynamic_stack 0
		.amdhsa_enable_private_segment 0
		.amdhsa_system_sgpr_workgroup_id_x 1
		.amdhsa_system_sgpr_workgroup_id_y 0
		.amdhsa_system_sgpr_workgroup_id_z 0
		.amdhsa_system_sgpr_workgroup_info 0
		.amdhsa_system_vgpr_workitem_id 0
		.amdhsa_next_free_vgpr 1
		.amdhsa_next_free_sgpr 1
		.amdhsa_reserve_vcc 0
		.amdhsa_float_round_mode_32 0
		.amdhsa_float_round_mode_16_64 0
		.amdhsa_float_denorm_mode_32 3
		.amdhsa_float_denorm_mode_16_64 3
		.amdhsa_fp16_overflow 0
		.amdhsa_workgroup_processor_mode 1
		.amdhsa_memory_ordered 1
		.amdhsa_forward_progress 1
		.amdhsa_inst_pref_size 0
		.amdhsa_round_robin_scheduling 0
		.amdhsa_exception_fp_ieee_invalid_op 0
		.amdhsa_exception_fp_denorm_src 0
		.amdhsa_exception_fp_ieee_div_zero 0
		.amdhsa_exception_fp_ieee_overflow 0
		.amdhsa_exception_fp_ieee_underflow 0
		.amdhsa_exception_fp_ieee_inexact 0
		.amdhsa_exception_int_div_zero 0
	.end_amdhsa_kernel
	.section	.text._ZN7rocprim17ROCPRIM_400000_NS6detail17trampoline_kernelINS0_14default_configENS1_20scan_config_selectorIN3c108BFloat16EEEZZNS1_9scan_implILNS1_25lookback_scan_determinismE0ELb0ELb0ES3_PKS6_PS6_S6_ZZZN2at6native31launch_logcumsumexp_cuda_kernelERKNSD_10TensorBaseESH_lENKUlvE_clEvENKUlvE4_clEvEUlS6_S6_E_S6_EEDaPvRmT3_T4_T5_mT6_P12ihipStream_tbENKUlT_T0_E_clISt17integral_constantIbLb0EESY_EEDaST_SU_EUlST_E0_NS1_11comp_targetILNS1_3genE0ELNS1_11target_archE4294967295ELNS1_3gpuE0ELNS1_3repE0EEENS1_30default_config_static_selectorELNS0_4arch9wavefront6targetE0EEEvT1_,"axG",@progbits,_ZN7rocprim17ROCPRIM_400000_NS6detail17trampoline_kernelINS0_14default_configENS1_20scan_config_selectorIN3c108BFloat16EEEZZNS1_9scan_implILNS1_25lookback_scan_determinismE0ELb0ELb0ES3_PKS6_PS6_S6_ZZZN2at6native31launch_logcumsumexp_cuda_kernelERKNSD_10TensorBaseESH_lENKUlvE_clEvENKUlvE4_clEvEUlS6_S6_E_S6_EEDaPvRmT3_T4_T5_mT6_P12ihipStream_tbENKUlT_T0_E_clISt17integral_constantIbLb0EESY_EEDaST_SU_EUlST_E0_NS1_11comp_targetILNS1_3genE0ELNS1_11target_archE4294967295ELNS1_3gpuE0ELNS1_3repE0EEENS1_30default_config_static_selectorELNS0_4arch9wavefront6targetE0EEEvT1_,comdat
.Lfunc_end455:
	.size	_ZN7rocprim17ROCPRIM_400000_NS6detail17trampoline_kernelINS0_14default_configENS1_20scan_config_selectorIN3c108BFloat16EEEZZNS1_9scan_implILNS1_25lookback_scan_determinismE0ELb0ELb0ES3_PKS6_PS6_S6_ZZZN2at6native31launch_logcumsumexp_cuda_kernelERKNSD_10TensorBaseESH_lENKUlvE_clEvENKUlvE4_clEvEUlS6_S6_E_S6_EEDaPvRmT3_T4_T5_mT6_P12ihipStream_tbENKUlT_T0_E_clISt17integral_constantIbLb0EESY_EEDaST_SU_EUlST_E0_NS1_11comp_targetILNS1_3genE0ELNS1_11target_archE4294967295ELNS1_3gpuE0ELNS1_3repE0EEENS1_30default_config_static_selectorELNS0_4arch9wavefront6targetE0EEEvT1_, .Lfunc_end455-_ZN7rocprim17ROCPRIM_400000_NS6detail17trampoline_kernelINS0_14default_configENS1_20scan_config_selectorIN3c108BFloat16EEEZZNS1_9scan_implILNS1_25lookback_scan_determinismE0ELb0ELb0ES3_PKS6_PS6_S6_ZZZN2at6native31launch_logcumsumexp_cuda_kernelERKNSD_10TensorBaseESH_lENKUlvE_clEvENKUlvE4_clEvEUlS6_S6_E_S6_EEDaPvRmT3_T4_T5_mT6_P12ihipStream_tbENKUlT_T0_E_clISt17integral_constantIbLb0EESY_EEDaST_SU_EUlST_E0_NS1_11comp_targetILNS1_3genE0ELNS1_11target_archE4294967295ELNS1_3gpuE0ELNS1_3repE0EEENS1_30default_config_static_selectorELNS0_4arch9wavefront6targetE0EEEvT1_
                                        ; -- End function
	.set _ZN7rocprim17ROCPRIM_400000_NS6detail17trampoline_kernelINS0_14default_configENS1_20scan_config_selectorIN3c108BFloat16EEEZZNS1_9scan_implILNS1_25lookback_scan_determinismE0ELb0ELb0ES3_PKS6_PS6_S6_ZZZN2at6native31launch_logcumsumexp_cuda_kernelERKNSD_10TensorBaseESH_lENKUlvE_clEvENKUlvE4_clEvEUlS6_S6_E_S6_EEDaPvRmT3_T4_T5_mT6_P12ihipStream_tbENKUlT_T0_E_clISt17integral_constantIbLb0EESY_EEDaST_SU_EUlST_E0_NS1_11comp_targetILNS1_3genE0ELNS1_11target_archE4294967295ELNS1_3gpuE0ELNS1_3repE0EEENS1_30default_config_static_selectorELNS0_4arch9wavefront6targetE0EEEvT1_.num_vgpr, 0
	.set _ZN7rocprim17ROCPRIM_400000_NS6detail17trampoline_kernelINS0_14default_configENS1_20scan_config_selectorIN3c108BFloat16EEEZZNS1_9scan_implILNS1_25lookback_scan_determinismE0ELb0ELb0ES3_PKS6_PS6_S6_ZZZN2at6native31launch_logcumsumexp_cuda_kernelERKNSD_10TensorBaseESH_lENKUlvE_clEvENKUlvE4_clEvEUlS6_S6_E_S6_EEDaPvRmT3_T4_T5_mT6_P12ihipStream_tbENKUlT_T0_E_clISt17integral_constantIbLb0EESY_EEDaST_SU_EUlST_E0_NS1_11comp_targetILNS1_3genE0ELNS1_11target_archE4294967295ELNS1_3gpuE0ELNS1_3repE0EEENS1_30default_config_static_selectorELNS0_4arch9wavefront6targetE0EEEvT1_.num_agpr, 0
	.set _ZN7rocprim17ROCPRIM_400000_NS6detail17trampoline_kernelINS0_14default_configENS1_20scan_config_selectorIN3c108BFloat16EEEZZNS1_9scan_implILNS1_25lookback_scan_determinismE0ELb0ELb0ES3_PKS6_PS6_S6_ZZZN2at6native31launch_logcumsumexp_cuda_kernelERKNSD_10TensorBaseESH_lENKUlvE_clEvENKUlvE4_clEvEUlS6_S6_E_S6_EEDaPvRmT3_T4_T5_mT6_P12ihipStream_tbENKUlT_T0_E_clISt17integral_constantIbLb0EESY_EEDaST_SU_EUlST_E0_NS1_11comp_targetILNS1_3genE0ELNS1_11target_archE4294967295ELNS1_3gpuE0ELNS1_3repE0EEENS1_30default_config_static_selectorELNS0_4arch9wavefront6targetE0EEEvT1_.numbered_sgpr, 0
	.set _ZN7rocprim17ROCPRIM_400000_NS6detail17trampoline_kernelINS0_14default_configENS1_20scan_config_selectorIN3c108BFloat16EEEZZNS1_9scan_implILNS1_25lookback_scan_determinismE0ELb0ELb0ES3_PKS6_PS6_S6_ZZZN2at6native31launch_logcumsumexp_cuda_kernelERKNSD_10TensorBaseESH_lENKUlvE_clEvENKUlvE4_clEvEUlS6_S6_E_S6_EEDaPvRmT3_T4_T5_mT6_P12ihipStream_tbENKUlT_T0_E_clISt17integral_constantIbLb0EESY_EEDaST_SU_EUlST_E0_NS1_11comp_targetILNS1_3genE0ELNS1_11target_archE4294967295ELNS1_3gpuE0ELNS1_3repE0EEENS1_30default_config_static_selectorELNS0_4arch9wavefront6targetE0EEEvT1_.num_named_barrier, 0
	.set _ZN7rocprim17ROCPRIM_400000_NS6detail17trampoline_kernelINS0_14default_configENS1_20scan_config_selectorIN3c108BFloat16EEEZZNS1_9scan_implILNS1_25lookback_scan_determinismE0ELb0ELb0ES3_PKS6_PS6_S6_ZZZN2at6native31launch_logcumsumexp_cuda_kernelERKNSD_10TensorBaseESH_lENKUlvE_clEvENKUlvE4_clEvEUlS6_S6_E_S6_EEDaPvRmT3_T4_T5_mT6_P12ihipStream_tbENKUlT_T0_E_clISt17integral_constantIbLb0EESY_EEDaST_SU_EUlST_E0_NS1_11comp_targetILNS1_3genE0ELNS1_11target_archE4294967295ELNS1_3gpuE0ELNS1_3repE0EEENS1_30default_config_static_selectorELNS0_4arch9wavefront6targetE0EEEvT1_.private_seg_size, 0
	.set _ZN7rocprim17ROCPRIM_400000_NS6detail17trampoline_kernelINS0_14default_configENS1_20scan_config_selectorIN3c108BFloat16EEEZZNS1_9scan_implILNS1_25lookback_scan_determinismE0ELb0ELb0ES3_PKS6_PS6_S6_ZZZN2at6native31launch_logcumsumexp_cuda_kernelERKNSD_10TensorBaseESH_lENKUlvE_clEvENKUlvE4_clEvEUlS6_S6_E_S6_EEDaPvRmT3_T4_T5_mT6_P12ihipStream_tbENKUlT_T0_E_clISt17integral_constantIbLb0EESY_EEDaST_SU_EUlST_E0_NS1_11comp_targetILNS1_3genE0ELNS1_11target_archE4294967295ELNS1_3gpuE0ELNS1_3repE0EEENS1_30default_config_static_selectorELNS0_4arch9wavefront6targetE0EEEvT1_.uses_vcc, 0
	.set _ZN7rocprim17ROCPRIM_400000_NS6detail17trampoline_kernelINS0_14default_configENS1_20scan_config_selectorIN3c108BFloat16EEEZZNS1_9scan_implILNS1_25lookback_scan_determinismE0ELb0ELb0ES3_PKS6_PS6_S6_ZZZN2at6native31launch_logcumsumexp_cuda_kernelERKNSD_10TensorBaseESH_lENKUlvE_clEvENKUlvE4_clEvEUlS6_S6_E_S6_EEDaPvRmT3_T4_T5_mT6_P12ihipStream_tbENKUlT_T0_E_clISt17integral_constantIbLb0EESY_EEDaST_SU_EUlST_E0_NS1_11comp_targetILNS1_3genE0ELNS1_11target_archE4294967295ELNS1_3gpuE0ELNS1_3repE0EEENS1_30default_config_static_selectorELNS0_4arch9wavefront6targetE0EEEvT1_.uses_flat_scratch, 0
	.set _ZN7rocprim17ROCPRIM_400000_NS6detail17trampoline_kernelINS0_14default_configENS1_20scan_config_selectorIN3c108BFloat16EEEZZNS1_9scan_implILNS1_25lookback_scan_determinismE0ELb0ELb0ES3_PKS6_PS6_S6_ZZZN2at6native31launch_logcumsumexp_cuda_kernelERKNSD_10TensorBaseESH_lENKUlvE_clEvENKUlvE4_clEvEUlS6_S6_E_S6_EEDaPvRmT3_T4_T5_mT6_P12ihipStream_tbENKUlT_T0_E_clISt17integral_constantIbLb0EESY_EEDaST_SU_EUlST_E0_NS1_11comp_targetILNS1_3genE0ELNS1_11target_archE4294967295ELNS1_3gpuE0ELNS1_3repE0EEENS1_30default_config_static_selectorELNS0_4arch9wavefront6targetE0EEEvT1_.has_dyn_sized_stack, 0
	.set _ZN7rocprim17ROCPRIM_400000_NS6detail17trampoline_kernelINS0_14default_configENS1_20scan_config_selectorIN3c108BFloat16EEEZZNS1_9scan_implILNS1_25lookback_scan_determinismE0ELb0ELb0ES3_PKS6_PS6_S6_ZZZN2at6native31launch_logcumsumexp_cuda_kernelERKNSD_10TensorBaseESH_lENKUlvE_clEvENKUlvE4_clEvEUlS6_S6_E_S6_EEDaPvRmT3_T4_T5_mT6_P12ihipStream_tbENKUlT_T0_E_clISt17integral_constantIbLb0EESY_EEDaST_SU_EUlST_E0_NS1_11comp_targetILNS1_3genE0ELNS1_11target_archE4294967295ELNS1_3gpuE0ELNS1_3repE0EEENS1_30default_config_static_selectorELNS0_4arch9wavefront6targetE0EEEvT1_.has_recursion, 0
	.set _ZN7rocprim17ROCPRIM_400000_NS6detail17trampoline_kernelINS0_14default_configENS1_20scan_config_selectorIN3c108BFloat16EEEZZNS1_9scan_implILNS1_25lookback_scan_determinismE0ELb0ELb0ES3_PKS6_PS6_S6_ZZZN2at6native31launch_logcumsumexp_cuda_kernelERKNSD_10TensorBaseESH_lENKUlvE_clEvENKUlvE4_clEvEUlS6_S6_E_S6_EEDaPvRmT3_T4_T5_mT6_P12ihipStream_tbENKUlT_T0_E_clISt17integral_constantIbLb0EESY_EEDaST_SU_EUlST_E0_NS1_11comp_targetILNS1_3genE0ELNS1_11target_archE4294967295ELNS1_3gpuE0ELNS1_3repE0EEENS1_30default_config_static_selectorELNS0_4arch9wavefront6targetE0EEEvT1_.has_indirect_call, 0
	.section	.AMDGPU.csdata,"",@progbits
; Kernel info:
; codeLenInByte = 0
; TotalNumSgprs: 0
; NumVgprs: 0
; ScratchSize: 0
; MemoryBound: 0
; FloatMode: 240
; IeeeMode: 1
; LDSByteSize: 0 bytes/workgroup (compile time only)
; SGPRBlocks: 0
; VGPRBlocks: 0
; NumSGPRsForWavesPerEU: 1
; NumVGPRsForWavesPerEU: 1
; Occupancy: 16
; WaveLimiterHint : 0
; COMPUTE_PGM_RSRC2:SCRATCH_EN: 0
; COMPUTE_PGM_RSRC2:USER_SGPR: 2
; COMPUTE_PGM_RSRC2:TRAP_HANDLER: 0
; COMPUTE_PGM_RSRC2:TGID_X_EN: 1
; COMPUTE_PGM_RSRC2:TGID_Y_EN: 0
; COMPUTE_PGM_RSRC2:TGID_Z_EN: 0
; COMPUTE_PGM_RSRC2:TIDIG_COMP_CNT: 0
	.section	.text._ZN7rocprim17ROCPRIM_400000_NS6detail17trampoline_kernelINS0_14default_configENS1_20scan_config_selectorIN3c108BFloat16EEEZZNS1_9scan_implILNS1_25lookback_scan_determinismE0ELb0ELb0ES3_PKS6_PS6_S6_ZZZN2at6native31launch_logcumsumexp_cuda_kernelERKNSD_10TensorBaseESH_lENKUlvE_clEvENKUlvE4_clEvEUlS6_S6_E_S6_EEDaPvRmT3_T4_T5_mT6_P12ihipStream_tbENKUlT_T0_E_clISt17integral_constantIbLb0EESY_EEDaST_SU_EUlST_E0_NS1_11comp_targetILNS1_3genE5ELNS1_11target_archE942ELNS1_3gpuE9ELNS1_3repE0EEENS1_30default_config_static_selectorELNS0_4arch9wavefront6targetE0EEEvT1_,"axG",@progbits,_ZN7rocprim17ROCPRIM_400000_NS6detail17trampoline_kernelINS0_14default_configENS1_20scan_config_selectorIN3c108BFloat16EEEZZNS1_9scan_implILNS1_25lookback_scan_determinismE0ELb0ELb0ES3_PKS6_PS6_S6_ZZZN2at6native31launch_logcumsumexp_cuda_kernelERKNSD_10TensorBaseESH_lENKUlvE_clEvENKUlvE4_clEvEUlS6_S6_E_S6_EEDaPvRmT3_T4_T5_mT6_P12ihipStream_tbENKUlT_T0_E_clISt17integral_constantIbLb0EESY_EEDaST_SU_EUlST_E0_NS1_11comp_targetILNS1_3genE5ELNS1_11target_archE942ELNS1_3gpuE9ELNS1_3repE0EEENS1_30default_config_static_selectorELNS0_4arch9wavefront6targetE0EEEvT1_,comdat
	.globl	_ZN7rocprim17ROCPRIM_400000_NS6detail17trampoline_kernelINS0_14default_configENS1_20scan_config_selectorIN3c108BFloat16EEEZZNS1_9scan_implILNS1_25lookback_scan_determinismE0ELb0ELb0ES3_PKS6_PS6_S6_ZZZN2at6native31launch_logcumsumexp_cuda_kernelERKNSD_10TensorBaseESH_lENKUlvE_clEvENKUlvE4_clEvEUlS6_S6_E_S6_EEDaPvRmT3_T4_T5_mT6_P12ihipStream_tbENKUlT_T0_E_clISt17integral_constantIbLb0EESY_EEDaST_SU_EUlST_E0_NS1_11comp_targetILNS1_3genE5ELNS1_11target_archE942ELNS1_3gpuE9ELNS1_3repE0EEENS1_30default_config_static_selectorELNS0_4arch9wavefront6targetE0EEEvT1_ ; -- Begin function _ZN7rocprim17ROCPRIM_400000_NS6detail17trampoline_kernelINS0_14default_configENS1_20scan_config_selectorIN3c108BFloat16EEEZZNS1_9scan_implILNS1_25lookback_scan_determinismE0ELb0ELb0ES3_PKS6_PS6_S6_ZZZN2at6native31launch_logcumsumexp_cuda_kernelERKNSD_10TensorBaseESH_lENKUlvE_clEvENKUlvE4_clEvEUlS6_S6_E_S6_EEDaPvRmT3_T4_T5_mT6_P12ihipStream_tbENKUlT_T0_E_clISt17integral_constantIbLb0EESY_EEDaST_SU_EUlST_E0_NS1_11comp_targetILNS1_3genE5ELNS1_11target_archE942ELNS1_3gpuE9ELNS1_3repE0EEENS1_30default_config_static_selectorELNS0_4arch9wavefront6targetE0EEEvT1_
	.p2align	8
	.type	_ZN7rocprim17ROCPRIM_400000_NS6detail17trampoline_kernelINS0_14default_configENS1_20scan_config_selectorIN3c108BFloat16EEEZZNS1_9scan_implILNS1_25lookback_scan_determinismE0ELb0ELb0ES3_PKS6_PS6_S6_ZZZN2at6native31launch_logcumsumexp_cuda_kernelERKNSD_10TensorBaseESH_lENKUlvE_clEvENKUlvE4_clEvEUlS6_S6_E_S6_EEDaPvRmT3_T4_T5_mT6_P12ihipStream_tbENKUlT_T0_E_clISt17integral_constantIbLb0EESY_EEDaST_SU_EUlST_E0_NS1_11comp_targetILNS1_3genE5ELNS1_11target_archE942ELNS1_3gpuE9ELNS1_3repE0EEENS1_30default_config_static_selectorELNS0_4arch9wavefront6targetE0EEEvT1_,@function
_ZN7rocprim17ROCPRIM_400000_NS6detail17trampoline_kernelINS0_14default_configENS1_20scan_config_selectorIN3c108BFloat16EEEZZNS1_9scan_implILNS1_25lookback_scan_determinismE0ELb0ELb0ES3_PKS6_PS6_S6_ZZZN2at6native31launch_logcumsumexp_cuda_kernelERKNSD_10TensorBaseESH_lENKUlvE_clEvENKUlvE4_clEvEUlS6_S6_E_S6_EEDaPvRmT3_T4_T5_mT6_P12ihipStream_tbENKUlT_T0_E_clISt17integral_constantIbLb0EESY_EEDaST_SU_EUlST_E0_NS1_11comp_targetILNS1_3genE5ELNS1_11target_archE942ELNS1_3gpuE9ELNS1_3repE0EEENS1_30default_config_static_selectorELNS0_4arch9wavefront6targetE0EEEvT1_: ; @_ZN7rocprim17ROCPRIM_400000_NS6detail17trampoline_kernelINS0_14default_configENS1_20scan_config_selectorIN3c108BFloat16EEEZZNS1_9scan_implILNS1_25lookback_scan_determinismE0ELb0ELb0ES3_PKS6_PS6_S6_ZZZN2at6native31launch_logcumsumexp_cuda_kernelERKNSD_10TensorBaseESH_lENKUlvE_clEvENKUlvE4_clEvEUlS6_S6_E_S6_EEDaPvRmT3_T4_T5_mT6_P12ihipStream_tbENKUlT_T0_E_clISt17integral_constantIbLb0EESY_EEDaST_SU_EUlST_E0_NS1_11comp_targetILNS1_3genE5ELNS1_11target_archE942ELNS1_3gpuE9ELNS1_3repE0EEENS1_30default_config_static_selectorELNS0_4arch9wavefront6targetE0EEEvT1_
; %bb.0:
	.section	.rodata,"a",@progbits
	.p2align	6, 0x0
	.amdhsa_kernel _ZN7rocprim17ROCPRIM_400000_NS6detail17trampoline_kernelINS0_14default_configENS1_20scan_config_selectorIN3c108BFloat16EEEZZNS1_9scan_implILNS1_25lookback_scan_determinismE0ELb0ELb0ES3_PKS6_PS6_S6_ZZZN2at6native31launch_logcumsumexp_cuda_kernelERKNSD_10TensorBaseESH_lENKUlvE_clEvENKUlvE4_clEvEUlS6_S6_E_S6_EEDaPvRmT3_T4_T5_mT6_P12ihipStream_tbENKUlT_T0_E_clISt17integral_constantIbLb0EESY_EEDaST_SU_EUlST_E0_NS1_11comp_targetILNS1_3genE5ELNS1_11target_archE942ELNS1_3gpuE9ELNS1_3repE0EEENS1_30default_config_static_selectorELNS0_4arch9wavefront6targetE0EEEvT1_
		.amdhsa_group_segment_fixed_size 0
		.amdhsa_private_segment_fixed_size 0
		.amdhsa_kernarg_size 32
		.amdhsa_user_sgpr_count 2
		.amdhsa_user_sgpr_dispatch_ptr 0
		.amdhsa_user_sgpr_queue_ptr 0
		.amdhsa_user_sgpr_kernarg_segment_ptr 1
		.amdhsa_user_sgpr_dispatch_id 0
		.amdhsa_user_sgpr_private_segment_size 0
		.amdhsa_wavefront_size32 1
		.amdhsa_uses_dynamic_stack 0
		.amdhsa_enable_private_segment 0
		.amdhsa_system_sgpr_workgroup_id_x 1
		.amdhsa_system_sgpr_workgroup_id_y 0
		.amdhsa_system_sgpr_workgroup_id_z 0
		.amdhsa_system_sgpr_workgroup_info 0
		.amdhsa_system_vgpr_workitem_id 0
		.amdhsa_next_free_vgpr 1
		.amdhsa_next_free_sgpr 1
		.amdhsa_reserve_vcc 0
		.amdhsa_float_round_mode_32 0
		.amdhsa_float_round_mode_16_64 0
		.amdhsa_float_denorm_mode_32 3
		.amdhsa_float_denorm_mode_16_64 3
		.amdhsa_fp16_overflow 0
		.amdhsa_workgroup_processor_mode 1
		.amdhsa_memory_ordered 1
		.amdhsa_forward_progress 1
		.amdhsa_inst_pref_size 0
		.amdhsa_round_robin_scheduling 0
		.amdhsa_exception_fp_ieee_invalid_op 0
		.amdhsa_exception_fp_denorm_src 0
		.amdhsa_exception_fp_ieee_div_zero 0
		.amdhsa_exception_fp_ieee_overflow 0
		.amdhsa_exception_fp_ieee_underflow 0
		.amdhsa_exception_fp_ieee_inexact 0
		.amdhsa_exception_int_div_zero 0
	.end_amdhsa_kernel
	.section	.text._ZN7rocprim17ROCPRIM_400000_NS6detail17trampoline_kernelINS0_14default_configENS1_20scan_config_selectorIN3c108BFloat16EEEZZNS1_9scan_implILNS1_25lookback_scan_determinismE0ELb0ELb0ES3_PKS6_PS6_S6_ZZZN2at6native31launch_logcumsumexp_cuda_kernelERKNSD_10TensorBaseESH_lENKUlvE_clEvENKUlvE4_clEvEUlS6_S6_E_S6_EEDaPvRmT3_T4_T5_mT6_P12ihipStream_tbENKUlT_T0_E_clISt17integral_constantIbLb0EESY_EEDaST_SU_EUlST_E0_NS1_11comp_targetILNS1_3genE5ELNS1_11target_archE942ELNS1_3gpuE9ELNS1_3repE0EEENS1_30default_config_static_selectorELNS0_4arch9wavefront6targetE0EEEvT1_,"axG",@progbits,_ZN7rocprim17ROCPRIM_400000_NS6detail17trampoline_kernelINS0_14default_configENS1_20scan_config_selectorIN3c108BFloat16EEEZZNS1_9scan_implILNS1_25lookback_scan_determinismE0ELb0ELb0ES3_PKS6_PS6_S6_ZZZN2at6native31launch_logcumsumexp_cuda_kernelERKNSD_10TensorBaseESH_lENKUlvE_clEvENKUlvE4_clEvEUlS6_S6_E_S6_EEDaPvRmT3_T4_T5_mT6_P12ihipStream_tbENKUlT_T0_E_clISt17integral_constantIbLb0EESY_EEDaST_SU_EUlST_E0_NS1_11comp_targetILNS1_3genE5ELNS1_11target_archE942ELNS1_3gpuE9ELNS1_3repE0EEENS1_30default_config_static_selectorELNS0_4arch9wavefront6targetE0EEEvT1_,comdat
.Lfunc_end456:
	.size	_ZN7rocprim17ROCPRIM_400000_NS6detail17trampoline_kernelINS0_14default_configENS1_20scan_config_selectorIN3c108BFloat16EEEZZNS1_9scan_implILNS1_25lookback_scan_determinismE0ELb0ELb0ES3_PKS6_PS6_S6_ZZZN2at6native31launch_logcumsumexp_cuda_kernelERKNSD_10TensorBaseESH_lENKUlvE_clEvENKUlvE4_clEvEUlS6_S6_E_S6_EEDaPvRmT3_T4_T5_mT6_P12ihipStream_tbENKUlT_T0_E_clISt17integral_constantIbLb0EESY_EEDaST_SU_EUlST_E0_NS1_11comp_targetILNS1_3genE5ELNS1_11target_archE942ELNS1_3gpuE9ELNS1_3repE0EEENS1_30default_config_static_selectorELNS0_4arch9wavefront6targetE0EEEvT1_, .Lfunc_end456-_ZN7rocprim17ROCPRIM_400000_NS6detail17trampoline_kernelINS0_14default_configENS1_20scan_config_selectorIN3c108BFloat16EEEZZNS1_9scan_implILNS1_25lookback_scan_determinismE0ELb0ELb0ES3_PKS6_PS6_S6_ZZZN2at6native31launch_logcumsumexp_cuda_kernelERKNSD_10TensorBaseESH_lENKUlvE_clEvENKUlvE4_clEvEUlS6_S6_E_S6_EEDaPvRmT3_T4_T5_mT6_P12ihipStream_tbENKUlT_T0_E_clISt17integral_constantIbLb0EESY_EEDaST_SU_EUlST_E0_NS1_11comp_targetILNS1_3genE5ELNS1_11target_archE942ELNS1_3gpuE9ELNS1_3repE0EEENS1_30default_config_static_selectorELNS0_4arch9wavefront6targetE0EEEvT1_
                                        ; -- End function
	.set _ZN7rocprim17ROCPRIM_400000_NS6detail17trampoline_kernelINS0_14default_configENS1_20scan_config_selectorIN3c108BFloat16EEEZZNS1_9scan_implILNS1_25lookback_scan_determinismE0ELb0ELb0ES3_PKS6_PS6_S6_ZZZN2at6native31launch_logcumsumexp_cuda_kernelERKNSD_10TensorBaseESH_lENKUlvE_clEvENKUlvE4_clEvEUlS6_S6_E_S6_EEDaPvRmT3_T4_T5_mT6_P12ihipStream_tbENKUlT_T0_E_clISt17integral_constantIbLb0EESY_EEDaST_SU_EUlST_E0_NS1_11comp_targetILNS1_3genE5ELNS1_11target_archE942ELNS1_3gpuE9ELNS1_3repE0EEENS1_30default_config_static_selectorELNS0_4arch9wavefront6targetE0EEEvT1_.num_vgpr, 0
	.set _ZN7rocprim17ROCPRIM_400000_NS6detail17trampoline_kernelINS0_14default_configENS1_20scan_config_selectorIN3c108BFloat16EEEZZNS1_9scan_implILNS1_25lookback_scan_determinismE0ELb0ELb0ES3_PKS6_PS6_S6_ZZZN2at6native31launch_logcumsumexp_cuda_kernelERKNSD_10TensorBaseESH_lENKUlvE_clEvENKUlvE4_clEvEUlS6_S6_E_S6_EEDaPvRmT3_T4_T5_mT6_P12ihipStream_tbENKUlT_T0_E_clISt17integral_constantIbLb0EESY_EEDaST_SU_EUlST_E0_NS1_11comp_targetILNS1_3genE5ELNS1_11target_archE942ELNS1_3gpuE9ELNS1_3repE0EEENS1_30default_config_static_selectorELNS0_4arch9wavefront6targetE0EEEvT1_.num_agpr, 0
	.set _ZN7rocprim17ROCPRIM_400000_NS6detail17trampoline_kernelINS0_14default_configENS1_20scan_config_selectorIN3c108BFloat16EEEZZNS1_9scan_implILNS1_25lookback_scan_determinismE0ELb0ELb0ES3_PKS6_PS6_S6_ZZZN2at6native31launch_logcumsumexp_cuda_kernelERKNSD_10TensorBaseESH_lENKUlvE_clEvENKUlvE4_clEvEUlS6_S6_E_S6_EEDaPvRmT3_T4_T5_mT6_P12ihipStream_tbENKUlT_T0_E_clISt17integral_constantIbLb0EESY_EEDaST_SU_EUlST_E0_NS1_11comp_targetILNS1_3genE5ELNS1_11target_archE942ELNS1_3gpuE9ELNS1_3repE0EEENS1_30default_config_static_selectorELNS0_4arch9wavefront6targetE0EEEvT1_.numbered_sgpr, 0
	.set _ZN7rocprim17ROCPRIM_400000_NS6detail17trampoline_kernelINS0_14default_configENS1_20scan_config_selectorIN3c108BFloat16EEEZZNS1_9scan_implILNS1_25lookback_scan_determinismE0ELb0ELb0ES3_PKS6_PS6_S6_ZZZN2at6native31launch_logcumsumexp_cuda_kernelERKNSD_10TensorBaseESH_lENKUlvE_clEvENKUlvE4_clEvEUlS6_S6_E_S6_EEDaPvRmT3_T4_T5_mT6_P12ihipStream_tbENKUlT_T0_E_clISt17integral_constantIbLb0EESY_EEDaST_SU_EUlST_E0_NS1_11comp_targetILNS1_3genE5ELNS1_11target_archE942ELNS1_3gpuE9ELNS1_3repE0EEENS1_30default_config_static_selectorELNS0_4arch9wavefront6targetE0EEEvT1_.num_named_barrier, 0
	.set _ZN7rocprim17ROCPRIM_400000_NS6detail17trampoline_kernelINS0_14default_configENS1_20scan_config_selectorIN3c108BFloat16EEEZZNS1_9scan_implILNS1_25lookback_scan_determinismE0ELb0ELb0ES3_PKS6_PS6_S6_ZZZN2at6native31launch_logcumsumexp_cuda_kernelERKNSD_10TensorBaseESH_lENKUlvE_clEvENKUlvE4_clEvEUlS6_S6_E_S6_EEDaPvRmT3_T4_T5_mT6_P12ihipStream_tbENKUlT_T0_E_clISt17integral_constantIbLb0EESY_EEDaST_SU_EUlST_E0_NS1_11comp_targetILNS1_3genE5ELNS1_11target_archE942ELNS1_3gpuE9ELNS1_3repE0EEENS1_30default_config_static_selectorELNS0_4arch9wavefront6targetE0EEEvT1_.private_seg_size, 0
	.set _ZN7rocprim17ROCPRIM_400000_NS6detail17trampoline_kernelINS0_14default_configENS1_20scan_config_selectorIN3c108BFloat16EEEZZNS1_9scan_implILNS1_25lookback_scan_determinismE0ELb0ELb0ES3_PKS6_PS6_S6_ZZZN2at6native31launch_logcumsumexp_cuda_kernelERKNSD_10TensorBaseESH_lENKUlvE_clEvENKUlvE4_clEvEUlS6_S6_E_S6_EEDaPvRmT3_T4_T5_mT6_P12ihipStream_tbENKUlT_T0_E_clISt17integral_constantIbLb0EESY_EEDaST_SU_EUlST_E0_NS1_11comp_targetILNS1_3genE5ELNS1_11target_archE942ELNS1_3gpuE9ELNS1_3repE0EEENS1_30default_config_static_selectorELNS0_4arch9wavefront6targetE0EEEvT1_.uses_vcc, 0
	.set _ZN7rocprim17ROCPRIM_400000_NS6detail17trampoline_kernelINS0_14default_configENS1_20scan_config_selectorIN3c108BFloat16EEEZZNS1_9scan_implILNS1_25lookback_scan_determinismE0ELb0ELb0ES3_PKS6_PS6_S6_ZZZN2at6native31launch_logcumsumexp_cuda_kernelERKNSD_10TensorBaseESH_lENKUlvE_clEvENKUlvE4_clEvEUlS6_S6_E_S6_EEDaPvRmT3_T4_T5_mT6_P12ihipStream_tbENKUlT_T0_E_clISt17integral_constantIbLb0EESY_EEDaST_SU_EUlST_E0_NS1_11comp_targetILNS1_3genE5ELNS1_11target_archE942ELNS1_3gpuE9ELNS1_3repE0EEENS1_30default_config_static_selectorELNS0_4arch9wavefront6targetE0EEEvT1_.uses_flat_scratch, 0
	.set _ZN7rocprim17ROCPRIM_400000_NS6detail17trampoline_kernelINS0_14default_configENS1_20scan_config_selectorIN3c108BFloat16EEEZZNS1_9scan_implILNS1_25lookback_scan_determinismE0ELb0ELb0ES3_PKS6_PS6_S6_ZZZN2at6native31launch_logcumsumexp_cuda_kernelERKNSD_10TensorBaseESH_lENKUlvE_clEvENKUlvE4_clEvEUlS6_S6_E_S6_EEDaPvRmT3_T4_T5_mT6_P12ihipStream_tbENKUlT_T0_E_clISt17integral_constantIbLb0EESY_EEDaST_SU_EUlST_E0_NS1_11comp_targetILNS1_3genE5ELNS1_11target_archE942ELNS1_3gpuE9ELNS1_3repE0EEENS1_30default_config_static_selectorELNS0_4arch9wavefront6targetE0EEEvT1_.has_dyn_sized_stack, 0
	.set _ZN7rocprim17ROCPRIM_400000_NS6detail17trampoline_kernelINS0_14default_configENS1_20scan_config_selectorIN3c108BFloat16EEEZZNS1_9scan_implILNS1_25lookback_scan_determinismE0ELb0ELb0ES3_PKS6_PS6_S6_ZZZN2at6native31launch_logcumsumexp_cuda_kernelERKNSD_10TensorBaseESH_lENKUlvE_clEvENKUlvE4_clEvEUlS6_S6_E_S6_EEDaPvRmT3_T4_T5_mT6_P12ihipStream_tbENKUlT_T0_E_clISt17integral_constantIbLb0EESY_EEDaST_SU_EUlST_E0_NS1_11comp_targetILNS1_3genE5ELNS1_11target_archE942ELNS1_3gpuE9ELNS1_3repE0EEENS1_30default_config_static_selectorELNS0_4arch9wavefront6targetE0EEEvT1_.has_recursion, 0
	.set _ZN7rocprim17ROCPRIM_400000_NS6detail17trampoline_kernelINS0_14default_configENS1_20scan_config_selectorIN3c108BFloat16EEEZZNS1_9scan_implILNS1_25lookback_scan_determinismE0ELb0ELb0ES3_PKS6_PS6_S6_ZZZN2at6native31launch_logcumsumexp_cuda_kernelERKNSD_10TensorBaseESH_lENKUlvE_clEvENKUlvE4_clEvEUlS6_S6_E_S6_EEDaPvRmT3_T4_T5_mT6_P12ihipStream_tbENKUlT_T0_E_clISt17integral_constantIbLb0EESY_EEDaST_SU_EUlST_E0_NS1_11comp_targetILNS1_3genE5ELNS1_11target_archE942ELNS1_3gpuE9ELNS1_3repE0EEENS1_30default_config_static_selectorELNS0_4arch9wavefront6targetE0EEEvT1_.has_indirect_call, 0
	.section	.AMDGPU.csdata,"",@progbits
; Kernel info:
; codeLenInByte = 0
; TotalNumSgprs: 0
; NumVgprs: 0
; ScratchSize: 0
; MemoryBound: 0
; FloatMode: 240
; IeeeMode: 1
; LDSByteSize: 0 bytes/workgroup (compile time only)
; SGPRBlocks: 0
; VGPRBlocks: 0
; NumSGPRsForWavesPerEU: 1
; NumVGPRsForWavesPerEU: 1
; Occupancy: 16
; WaveLimiterHint : 0
; COMPUTE_PGM_RSRC2:SCRATCH_EN: 0
; COMPUTE_PGM_RSRC2:USER_SGPR: 2
; COMPUTE_PGM_RSRC2:TRAP_HANDLER: 0
; COMPUTE_PGM_RSRC2:TGID_X_EN: 1
; COMPUTE_PGM_RSRC2:TGID_Y_EN: 0
; COMPUTE_PGM_RSRC2:TGID_Z_EN: 0
; COMPUTE_PGM_RSRC2:TIDIG_COMP_CNT: 0
	.section	.text._ZN7rocprim17ROCPRIM_400000_NS6detail17trampoline_kernelINS0_14default_configENS1_20scan_config_selectorIN3c108BFloat16EEEZZNS1_9scan_implILNS1_25lookback_scan_determinismE0ELb0ELb0ES3_PKS6_PS6_S6_ZZZN2at6native31launch_logcumsumexp_cuda_kernelERKNSD_10TensorBaseESH_lENKUlvE_clEvENKUlvE4_clEvEUlS6_S6_E_S6_EEDaPvRmT3_T4_T5_mT6_P12ihipStream_tbENKUlT_T0_E_clISt17integral_constantIbLb0EESY_EEDaST_SU_EUlST_E0_NS1_11comp_targetILNS1_3genE4ELNS1_11target_archE910ELNS1_3gpuE8ELNS1_3repE0EEENS1_30default_config_static_selectorELNS0_4arch9wavefront6targetE0EEEvT1_,"axG",@progbits,_ZN7rocprim17ROCPRIM_400000_NS6detail17trampoline_kernelINS0_14default_configENS1_20scan_config_selectorIN3c108BFloat16EEEZZNS1_9scan_implILNS1_25lookback_scan_determinismE0ELb0ELb0ES3_PKS6_PS6_S6_ZZZN2at6native31launch_logcumsumexp_cuda_kernelERKNSD_10TensorBaseESH_lENKUlvE_clEvENKUlvE4_clEvEUlS6_S6_E_S6_EEDaPvRmT3_T4_T5_mT6_P12ihipStream_tbENKUlT_T0_E_clISt17integral_constantIbLb0EESY_EEDaST_SU_EUlST_E0_NS1_11comp_targetILNS1_3genE4ELNS1_11target_archE910ELNS1_3gpuE8ELNS1_3repE0EEENS1_30default_config_static_selectorELNS0_4arch9wavefront6targetE0EEEvT1_,comdat
	.globl	_ZN7rocprim17ROCPRIM_400000_NS6detail17trampoline_kernelINS0_14default_configENS1_20scan_config_selectorIN3c108BFloat16EEEZZNS1_9scan_implILNS1_25lookback_scan_determinismE0ELb0ELb0ES3_PKS6_PS6_S6_ZZZN2at6native31launch_logcumsumexp_cuda_kernelERKNSD_10TensorBaseESH_lENKUlvE_clEvENKUlvE4_clEvEUlS6_S6_E_S6_EEDaPvRmT3_T4_T5_mT6_P12ihipStream_tbENKUlT_T0_E_clISt17integral_constantIbLb0EESY_EEDaST_SU_EUlST_E0_NS1_11comp_targetILNS1_3genE4ELNS1_11target_archE910ELNS1_3gpuE8ELNS1_3repE0EEENS1_30default_config_static_selectorELNS0_4arch9wavefront6targetE0EEEvT1_ ; -- Begin function _ZN7rocprim17ROCPRIM_400000_NS6detail17trampoline_kernelINS0_14default_configENS1_20scan_config_selectorIN3c108BFloat16EEEZZNS1_9scan_implILNS1_25lookback_scan_determinismE0ELb0ELb0ES3_PKS6_PS6_S6_ZZZN2at6native31launch_logcumsumexp_cuda_kernelERKNSD_10TensorBaseESH_lENKUlvE_clEvENKUlvE4_clEvEUlS6_S6_E_S6_EEDaPvRmT3_T4_T5_mT6_P12ihipStream_tbENKUlT_T0_E_clISt17integral_constantIbLb0EESY_EEDaST_SU_EUlST_E0_NS1_11comp_targetILNS1_3genE4ELNS1_11target_archE910ELNS1_3gpuE8ELNS1_3repE0EEENS1_30default_config_static_selectorELNS0_4arch9wavefront6targetE0EEEvT1_
	.p2align	8
	.type	_ZN7rocprim17ROCPRIM_400000_NS6detail17trampoline_kernelINS0_14default_configENS1_20scan_config_selectorIN3c108BFloat16EEEZZNS1_9scan_implILNS1_25lookback_scan_determinismE0ELb0ELb0ES3_PKS6_PS6_S6_ZZZN2at6native31launch_logcumsumexp_cuda_kernelERKNSD_10TensorBaseESH_lENKUlvE_clEvENKUlvE4_clEvEUlS6_S6_E_S6_EEDaPvRmT3_T4_T5_mT6_P12ihipStream_tbENKUlT_T0_E_clISt17integral_constantIbLb0EESY_EEDaST_SU_EUlST_E0_NS1_11comp_targetILNS1_3genE4ELNS1_11target_archE910ELNS1_3gpuE8ELNS1_3repE0EEENS1_30default_config_static_selectorELNS0_4arch9wavefront6targetE0EEEvT1_,@function
_ZN7rocprim17ROCPRIM_400000_NS6detail17trampoline_kernelINS0_14default_configENS1_20scan_config_selectorIN3c108BFloat16EEEZZNS1_9scan_implILNS1_25lookback_scan_determinismE0ELb0ELb0ES3_PKS6_PS6_S6_ZZZN2at6native31launch_logcumsumexp_cuda_kernelERKNSD_10TensorBaseESH_lENKUlvE_clEvENKUlvE4_clEvEUlS6_S6_E_S6_EEDaPvRmT3_T4_T5_mT6_P12ihipStream_tbENKUlT_T0_E_clISt17integral_constantIbLb0EESY_EEDaST_SU_EUlST_E0_NS1_11comp_targetILNS1_3genE4ELNS1_11target_archE910ELNS1_3gpuE8ELNS1_3repE0EEENS1_30default_config_static_selectorELNS0_4arch9wavefront6targetE0EEEvT1_: ; @_ZN7rocprim17ROCPRIM_400000_NS6detail17trampoline_kernelINS0_14default_configENS1_20scan_config_selectorIN3c108BFloat16EEEZZNS1_9scan_implILNS1_25lookback_scan_determinismE0ELb0ELb0ES3_PKS6_PS6_S6_ZZZN2at6native31launch_logcumsumexp_cuda_kernelERKNSD_10TensorBaseESH_lENKUlvE_clEvENKUlvE4_clEvEUlS6_S6_E_S6_EEDaPvRmT3_T4_T5_mT6_P12ihipStream_tbENKUlT_T0_E_clISt17integral_constantIbLb0EESY_EEDaST_SU_EUlST_E0_NS1_11comp_targetILNS1_3genE4ELNS1_11target_archE910ELNS1_3gpuE8ELNS1_3repE0EEENS1_30default_config_static_selectorELNS0_4arch9wavefront6targetE0EEEvT1_
; %bb.0:
	.section	.rodata,"a",@progbits
	.p2align	6, 0x0
	.amdhsa_kernel _ZN7rocprim17ROCPRIM_400000_NS6detail17trampoline_kernelINS0_14default_configENS1_20scan_config_selectorIN3c108BFloat16EEEZZNS1_9scan_implILNS1_25lookback_scan_determinismE0ELb0ELb0ES3_PKS6_PS6_S6_ZZZN2at6native31launch_logcumsumexp_cuda_kernelERKNSD_10TensorBaseESH_lENKUlvE_clEvENKUlvE4_clEvEUlS6_S6_E_S6_EEDaPvRmT3_T4_T5_mT6_P12ihipStream_tbENKUlT_T0_E_clISt17integral_constantIbLb0EESY_EEDaST_SU_EUlST_E0_NS1_11comp_targetILNS1_3genE4ELNS1_11target_archE910ELNS1_3gpuE8ELNS1_3repE0EEENS1_30default_config_static_selectorELNS0_4arch9wavefront6targetE0EEEvT1_
		.amdhsa_group_segment_fixed_size 0
		.amdhsa_private_segment_fixed_size 0
		.amdhsa_kernarg_size 32
		.amdhsa_user_sgpr_count 2
		.amdhsa_user_sgpr_dispatch_ptr 0
		.amdhsa_user_sgpr_queue_ptr 0
		.amdhsa_user_sgpr_kernarg_segment_ptr 1
		.amdhsa_user_sgpr_dispatch_id 0
		.amdhsa_user_sgpr_private_segment_size 0
		.amdhsa_wavefront_size32 1
		.amdhsa_uses_dynamic_stack 0
		.amdhsa_enable_private_segment 0
		.amdhsa_system_sgpr_workgroup_id_x 1
		.amdhsa_system_sgpr_workgroup_id_y 0
		.amdhsa_system_sgpr_workgroup_id_z 0
		.amdhsa_system_sgpr_workgroup_info 0
		.amdhsa_system_vgpr_workitem_id 0
		.amdhsa_next_free_vgpr 1
		.amdhsa_next_free_sgpr 1
		.amdhsa_reserve_vcc 0
		.amdhsa_float_round_mode_32 0
		.amdhsa_float_round_mode_16_64 0
		.amdhsa_float_denorm_mode_32 3
		.amdhsa_float_denorm_mode_16_64 3
		.amdhsa_fp16_overflow 0
		.amdhsa_workgroup_processor_mode 1
		.amdhsa_memory_ordered 1
		.amdhsa_forward_progress 1
		.amdhsa_inst_pref_size 0
		.amdhsa_round_robin_scheduling 0
		.amdhsa_exception_fp_ieee_invalid_op 0
		.amdhsa_exception_fp_denorm_src 0
		.amdhsa_exception_fp_ieee_div_zero 0
		.amdhsa_exception_fp_ieee_overflow 0
		.amdhsa_exception_fp_ieee_underflow 0
		.amdhsa_exception_fp_ieee_inexact 0
		.amdhsa_exception_int_div_zero 0
	.end_amdhsa_kernel
	.section	.text._ZN7rocprim17ROCPRIM_400000_NS6detail17trampoline_kernelINS0_14default_configENS1_20scan_config_selectorIN3c108BFloat16EEEZZNS1_9scan_implILNS1_25lookback_scan_determinismE0ELb0ELb0ES3_PKS6_PS6_S6_ZZZN2at6native31launch_logcumsumexp_cuda_kernelERKNSD_10TensorBaseESH_lENKUlvE_clEvENKUlvE4_clEvEUlS6_S6_E_S6_EEDaPvRmT3_T4_T5_mT6_P12ihipStream_tbENKUlT_T0_E_clISt17integral_constantIbLb0EESY_EEDaST_SU_EUlST_E0_NS1_11comp_targetILNS1_3genE4ELNS1_11target_archE910ELNS1_3gpuE8ELNS1_3repE0EEENS1_30default_config_static_selectorELNS0_4arch9wavefront6targetE0EEEvT1_,"axG",@progbits,_ZN7rocprim17ROCPRIM_400000_NS6detail17trampoline_kernelINS0_14default_configENS1_20scan_config_selectorIN3c108BFloat16EEEZZNS1_9scan_implILNS1_25lookback_scan_determinismE0ELb0ELb0ES3_PKS6_PS6_S6_ZZZN2at6native31launch_logcumsumexp_cuda_kernelERKNSD_10TensorBaseESH_lENKUlvE_clEvENKUlvE4_clEvEUlS6_S6_E_S6_EEDaPvRmT3_T4_T5_mT6_P12ihipStream_tbENKUlT_T0_E_clISt17integral_constantIbLb0EESY_EEDaST_SU_EUlST_E0_NS1_11comp_targetILNS1_3genE4ELNS1_11target_archE910ELNS1_3gpuE8ELNS1_3repE0EEENS1_30default_config_static_selectorELNS0_4arch9wavefront6targetE0EEEvT1_,comdat
.Lfunc_end457:
	.size	_ZN7rocprim17ROCPRIM_400000_NS6detail17trampoline_kernelINS0_14default_configENS1_20scan_config_selectorIN3c108BFloat16EEEZZNS1_9scan_implILNS1_25lookback_scan_determinismE0ELb0ELb0ES3_PKS6_PS6_S6_ZZZN2at6native31launch_logcumsumexp_cuda_kernelERKNSD_10TensorBaseESH_lENKUlvE_clEvENKUlvE4_clEvEUlS6_S6_E_S6_EEDaPvRmT3_T4_T5_mT6_P12ihipStream_tbENKUlT_T0_E_clISt17integral_constantIbLb0EESY_EEDaST_SU_EUlST_E0_NS1_11comp_targetILNS1_3genE4ELNS1_11target_archE910ELNS1_3gpuE8ELNS1_3repE0EEENS1_30default_config_static_selectorELNS0_4arch9wavefront6targetE0EEEvT1_, .Lfunc_end457-_ZN7rocprim17ROCPRIM_400000_NS6detail17trampoline_kernelINS0_14default_configENS1_20scan_config_selectorIN3c108BFloat16EEEZZNS1_9scan_implILNS1_25lookback_scan_determinismE0ELb0ELb0ES3_PKS6_PS6_S6_ZZZN2at6native31launch_logcumsumexp_cuda_kernelERKNSD_10TensorBaseESH_lENKUlvE_clEvENKUlvE4_clEvEUlS6_S6_E_S6_EEDaPvRmT3_T4_T5_mT6_P12ihipStream_tbENKUlT_T0_E_clISt17integral_constantIbLb0EESY_EEDaST_SU_EUlST_E0_NS1_11comp_targetILNS1_3genE4ELNS1_11target_archE910ELNS1_3gpuE8ELNS1_3repE0EEENS1_30default_config_static_selectorELNS0_4arch9wavefront6targetE0EEEvT1_
                                        ; -- End function
	.set _ZN7rocprim17ROCPRIM_400000_NS6detail17trampoline_kernelINS0_14default_configENS1_20scan_config_selectorIN3c108BFloat16EEEZZNS1_9scan_implILNS1_25lookback_scan_determinismE0ELb0ELb0ES3_PKS6_PS6_S6_ZZZN2at6native31launch_logcumsumexp_cuda_kernelERKNSD_10TensorBaseESH_lENKUlvE_clEvENKUlvE4_clEvEUlS6_S6_E_S6_EEDaPvRmT3_T4_T5_mT6_P12ihipStream_tbENKUlT_T0_E_clISt17integral_constantIbLb0EESY_EEDaST_SU_EUlST_E0_NS1_11comp_targetILNS1_3genE4ELNS1_11target_archE910ELNS1_3gpuE8ELNS1_3repE0EEENS1_30default_config_static_selectorELNS0_4arch9wavefront6targetE0EEEvT1_.num_vgpr, 0
	.set _ZN7rocprim17ROCPRIM_400000_NS6detail17trampoline_kernelINS0_14default_configENS1_20scan_config_selectorIN3c108BFloat16EEEZZNS1_9scan_implILNS1_25lookback_scan_determinismE0ELb0ELb0ES3_PKS6_PS6_S6_ZZZN2at6native31launch_logcumsumexp_cuda_kernelERKNSD_10TensorBaseESH_lENKUlvE_clEvENKUlvE4_clEvEUlS6_S6_E_S6_EEDaPvRmT3_T4_T5_mT6_P12ihipStream_tbENKUlT_T0_E_clISt17integral_constantIbLb0EESY_EEDaST_SU_EUlST_E0_NS1_11comp_targetILNS1_3genE4ELNS1_11target_archE910ELNS1_3gpuE8ELNS1_3repE0EEENS1_30default_config_static_selectorELNS0_4arch9wavefront6targetE0EEEvT1_.num_agpr, 0
	.set _ZN7rocprim17ROCPRIM_400000_NS6detail17trampoline_kernelINS0_14default_configENS1_20scan_config_selectorIN3c108BFloat16EEEZZNS1_9scan_implILNS1_25lookback_scan_determinismE0ELb0ELb0ES3_PKS6_PS6_S6_ZZZN2at6native31launch_logcumsumexp_cuda_kernelERKNSD_10TensorBaseESH_lENKUlvE_clEvENKUlvE4_clEvEUlS6_S6_E_S6_EEDaPvRmT3_T4_T5_mT6_P12ihipStream_tbENKUlT_T0_E_clISt17integral_constantIbLb0EESY_EEDaST_SU_EUlST_E0_NS1_11comp_targetILNS1_3genE4ELNS1_11target_archE910ELNS1_3gpuE8ELNS1_3repE0EEENS1_30default_config_static_selectorELNS0_4arch9wavefront6targetE0EEEvT1_.numbered_sgpr, 0
	.set _ZN7rocprim17ROCPRIM_400000_NS6detail17trampoline_kernelINS0_14default_configENS1_20scan_config_selectorIN3c108BFloat16EEEZZNS1_9scan_implILNS1_25lookback_scan_determinismE0ELb0ELb0ES3_PKS6_PS6_S6_ZZZN2at6native31launch_logcumsumexp_cuda_kernelERKNSD_10TensorBaseESH_lENKUlvE_clEvENKUlvE4_clEvEUlS6_S6_E_S6_EEDaPvRmT3_T4_T5_mT6_P12ihipStream_tbENKUlT_T0_E_clISt17integral_constantIbLb0EESY_EEDaST_SU_EUlST_E0_NS1_11comp_targetILNS1_3genE4ELNS1_11target_archE910ELNS1_3gpuE8ELNS1_3repE0EEENS1_30default_config_static_selectorELNS0_4arch9wavefront6targetE0EEEvT1_.num_named_barrier, 0
	.set _ZN7rocprim17ROCPRIM_400000_NS6detail17trampoline_kernelINS0_14default_configENS1_20scan_config_selectorIN3c108BFloat16EEEZZNS1_9scan_implILNS1_25lookback_scan_determinismE0ELb0ELb0ES3_PKS6_PS6_S6_ZZZN2at6native31launch_logcumsumexp_cuda_kernelERKNSD_10TensorBaseESH_lENKUlvE_clEvENKUlvE4_clEvEUlS6_S6_E_S6_EEDaPvRmT3_T4_T5_mT6_P12ihipStream_tbENKUlT_T0_E_clISt17integral_constantIbLb0EESY_EEDaST_SU_EUlST_E0_NS1_11comp_targetILNS1_3genE4ELNS1_11target_archE910ELNS1_3gpuE8ELNS1_3repE0EEENS1_30default_config_static_selectorELNS0_4arch9wavefront6targetE0EEEvT1_.private_seg_size, 0
	.set _ZN7rocprim17ROCPRIM_400000_NS6detail17trampoline_kernelINS0_14default_configENS1_20scan_config_selectorIN3c108BFloat16EEEZZNS1_9scan_implILNS1_25lookback_scan_determinismE0ELb0ELb0ES3_PKS6_PS6_S6_ZZZN2at6native31launch_logcumsumexp_cuda_kernelERKNSD_10TensorBaseESH_lENKUlvE_clEvENKUlvE4_clEvEUlS6_S6_E_S6_EEDaPvRmT3_T4_T5_mT6_P12ihipStream_tbENKUlT_T0_E_clISt17integral_constantIbLb0EESY_EEDaST_SU_EUlST_E0_NS1_11comp_targetILNS1_3genE4ELNS1_11target_archE910ELNS1_3gpuE8ELNS1_3repE0EEENS1_30default_config_static_selectorELNS0_4arch9wavefront6targetE0EEEvT1_.uses_vcc, 0
	.set _ZN7rocprim17ROCPRIM_400000_NS6detail17trampoline_kernelINS0_14default_configENS1_20scan_config_selectorIN3c108BFloat16EEEZZNS1_9scan_implILNS1_25lookback_scan_determinismE0ELb0ELb0ES3_PKS6_PS6_S6_ZZZN2at6native31launch_logcumsumexp_cuda_kernelERKNSD_10TensorBaseESH_lENKUlvE_clEvENKUlvE4_clEvEUlS6_S6_E_S6_EEDaPvRmT3_T4_T5_mT6_P12ihipStream_tbENKUlT_T0_E_clISt17integral_constantIbLb0EESY_EEDaST_SU_EUlST_E0_NS1_11comp_targetILNS1_3genE4ELNS1_11target_archE910ELNS1_3gpuE8ELNS1_3repE0EEENS1_30default_config_static_selectorELNS0_4arch9wavefront6targetE0EEEvT1_.uses_flat_scratch, 0
	.set _ZN7rocprim17ROCPRIM_400000_NS6detail17trampoline_kernelINS0_14default_configENS1_20scan_config_selectorIN3c108BFloat16EEEZZNS1_9scan_implILNS1_25lookback_scan_determinismE0ELb0ELb0ES3_PKS6_PS6_S6_ZZZN2at6native31launch_logcumsumexp_cuda_kernelERKNSD_10TensorBaseESH_lENKUlvE_clEvENKUlvE4_clEvEUlS6_S6_E_S6_EEDaPvRmT3_T4_T5_mT6_P12ihipStream_tbENKUlT_T0_E_clISt17integral_constantIbLb0EESY_EEDaST_SU_EUlST_E0_NS1_11comp_targetILNS1_3genE4ELNS1_11target_archE910ELNS1_3gpuE8ELNS1_3repE0EEENS1_30default_config_static_selectorELNS0_4arch9wavefront6targetE0EEEvT1_.has_dyn_sized_stack, 0
	.set _ZN7rocprim17ROCPRIM_400000_NS6detail17trampoline_kernelINS0_14default_configENS1_20scan_config_selectorIN3c108BFloat16EEEZZNS1_9scan_implILNS1_25lookback_scan_determinismE0ELb0ELb0ES3_PKS6_PS6_S6_ZZZN2at6native31launch_logcumsumexp_cuda_kernelERKNSD_10TensorBaseESH_lENKUlvE_clEvENKUlvE4_clEvEUlS6_S6_E_S6_EEDaPvRmT3_T4_T5_mT6_P12ihipStream_tbENKUlT_T0_E_clISt17integral_constantIbLb0EESY_EEDaST_SU_EUlST_E0_NS1_11comp_targetILNS1_3genE4ELNS1_11target_archE910ELNS1_3gpuE8ELNS1_3repE0EEENS1_30default_config_static_selectorELNS0_4arch9wavefront6targetE0EEEvT1_.has_recursion, 0
	.set _ZN7rocprim17ROCPRIM_400000_NS6detail17trampoline_kernelINS0_14default_configENS1_20scan_config_selectorIN3c108BFloat16EEEZZNS1_9scan_implILNS1_25lookback_scan_determinismE0ELb0ELb0ES3_PKS6_PS6_S6_ZZZN2at6native31launch_logcumsumexp_cuda_kernelERKNSD_10TensorBaseESH_lENKUlvE_clEvENKUlvE4_clEvEUlS6_S6_E_S6_EEDaPvRmT3_T4_T5_mT6_P12ihipStream_tbENKUlT_T0_E_clISt17integral_constantIbLb0EESY_EEDaST_SU_EUlST_E0_NS1_11comp_targetILNS1_3genE4ELNS1_11target_archE910ELNS1_3gpuE8ELNS1_3repE0EEENS1_30default_config_static_selectorELNS0_4arch9wavefront6targetE0EEEvT1_.has_indirect_call, 0
	.section	.AMDGPU.csdata,"",@progbits
; Kernel info:
; codeLenInByte = 0
; TotalNumSgprs: 0
; NumVgprs: 0
; ScratchSize: 0
; MemoryBound: 0
; FloatMode: 240
; IeeeMode: 1
; LDSByteSize: 0 bytes/workgroup (compile time only)
; SGPRBlocks: 0
; VGPRBlocks: 0
; NumSGPRsForWavesPerEU: 1
; NumVGPRsForWavesPerEU: 1
; Occupancy: 16
; WaveLimiterHint : 0
; COMPUTE_PGM_RSRC2:SCRATCH_EN: 0
; COMPUTE_PGM_RSRC2:USER_SGPR: 2
; COMPUTE_PGM_RSRC2:TRAP_HANDLER: 0
; COMPUTE_PGM_RSRC2:TGID_X_EN: 1
; COMPUTE_PGM_RSRC2:TGID_Y_EN: 0
; COMPUTE_PGM_RSRC2:TGID_Z_EN: 0
; COMPUTE_PGM_RSRC2:TIDIG_COMP_CNT: 0
	.section	.text._ZN7rocprim17ROCPRIM_400000_NS6detail17trampoline_kernelINS0_14default_configENS1_20scan_config_selectorIN3c108BFloat16EEEZZNS1_9scan_implILNS1_25lookback_scan_determinismE0ELb0ELb0ES3_PKS6_PS6_S6_ZZZN2at6native31launch_logcumsumexp_cuda_kernelERKNSD_10TensorBaseESH_lENKUlvE_clEvENKUlvE4_clEvEUlS6_S6_E_S6_EEDaPvRmT3_T4_T5_mT6_P12ihipStream_tbENKUlT_T0_E_clISt17integral_constantIbLb0EESY_EEDaST_SU_EUlST_E0_NS1_11comp_targetILNS1_3genE3ELNS1_11target_archE908ELNS1_3gpuE7ELNS1_3repE0EEENS1_30default_config_static_selectorELNS0_4arch9wavefront6targetE0EEEvT1_,"axG",@progbits,_ZN7rocprim17ROCPRIM_400000_NS6detail17trampoline_kernelINS0_14default_configENS1_20scan_config_selectorIN3c108BFloat16EEEZZNS1_9scan_implILNS1_25lookback_scan_determinismE0ELb0ELb0ES3_PKS6_PS6_S6_ZZZN2at6native31launch_logcumsumexp_cuda_kernelERKNSD_10TensorBaseESH_lENKUlvE_clEvENKUlvE4_clEvEUlS6_S6_E_S6_EEDaPvRmT3_T4_T5_mT6_P12ihipStream_tbENKUlT_T0_E_clISt17integral_constantIbLb0EESY_EEDaST_SU_EUlST_E0_NS1_11comp_targetILNS1_3genE3ELNS1_11target_archE908ELNS1_3gpuE7ELNS1_3repE0EEENS1_30default_config_static_selectorELNS0_4arch9wavefront6targetE0EEEvT1_,comdat
	.globl	_ZN7rocprim17ROCPRIM_400000_NS6detail17trampoline_kernelINS0_14default_configENS1_20scan_config_selectorIN3c108BFloat16EEEZZNS1_9scan_implILNS1_25lookback_scan_determinismE0ELb0ELb0ES3_PKS6_PS6_S6_ZZZN2at6native31launch_logcumsumexp_cuda_kernelERKNSD_10TensorBaseESH_lENKUlvE_clEvENKUlvE4_clEvEUlS6_S6_E_S6_EEDaPvRmT3_T4_T5_mT6_P12ihipStream_tbENKUlT_T0_E_clISt17integral_constantIbLb0EESY_EEDaST_SU_EUlST_E0_NS1_11comp_targetILNS1_3genE3ELNS1_11target_archE908ELNS1_3gpuE7ELNS1_3repE0EEENS1_30default_config_static_selectorELNS0_4arch9wavefront6targetE0EEEvT1_ ; -- Begin function _ZN7rocprim17ROCPRIM_400000_NS6detail17trampoline_kernelINS0_14default_configENS1_20scan_config_selectorIN3c108BFloat16EEEZZNS1_9scan_implILNS1_25lookback_scan_determinismE0ELb0ELb0ES3_PKS6_PS6_S6_ZZZN2at6native31launch_logcumsumexp_cuda_kernelERKNSD_10TensorBaseESH_lENKUlvE_clEvENKUlvE4_clEvEUlS6_S6_E_S6_EEDaPvRmT3_T4_T5_mT6_P12ihipStream_tbENKUlT_T0_E_clISt17integral_constantIbLb0EESY_EEDaST_SU_EUlST_E0_NS1_11comp_targetILNS1_3genE3ELNS1_11target_archE908ELNS1_3gpuE7ELNS1_3repE0EEENS1_30default_config_static_selectorELNS0_4arch9wavefront6targetE0EEEvT1_
	.p2align	8
	.type	_ZN7rocprim17ROCPRIM_400000_NS6detail17trampoline_kernelINS0_14default_configENS1_20scan_config_selectorIN3c108BFloat16EEEZZNS1_9scan_implILNS1_25lookback_scan_determinismE0ELb0ELb0ES3_PKS6_PS6_S6_ZZZN2at6native31launch_logcumsumexp_cuda_kernelERKNSD_10TensorBaseESH_lENKUlvE_clEvENKUlvE4_clEvEUlS6_S6_E_S6_EEDaPvRmT3_T4_T5_mT6_P12ihipStream_tbENKUlT_T0_E_clISt17integral_constantIbLb0EESY_EEDaST_SU_EUlST_E0_NS1_11comp_targetILNS1_3genE3ELNS1_11target_archE908ELNS1_3gpuE7ELNS1_3repE0EEENS1_30default_config_static_selectorELNS0_4arch9wavefront6targetE0EEEvT1_,@function
_ZN7rocprim17ROCPRIM_400000_NS6detail17trampoline_kernelINS0_14default_configENS1_20scan_config_selectorIN3c108BFloat16EEEZZNS1_9scan_implILNS1_25lookback_scan_determinismE0ELb0ELb0ES3_PKS6_PS6_S6_ZZZN2at6native31launch_logcumsumexp_cuda_kernelERKNSD_10TensorBaseESH_lENKUlvE_clEvENKUlvE4_clEvEUlS6_S6_E_S6_EEDaPvRmT3_T4_T5_mT6_P12ihipStream_tbENKUlT_T0_E_clISt17integral_constantIbLb0EESY_EEDaST_SU_EUlST_E0_NS1_11comp_targetILNS1_3genE3ELNS1_11target_archE908ELNS1_3gpuE7ELNS1_3repE0EEENS1_30default_config_static_selectorELNS0_4arch9wavefront6targetE0EEEvT1_: ; @_ZN7rocprim17ROCPRIM_400000_NS6detail17trampoline_kernelINS0_14default_configENS1_20scan_config_selectorIN3c108BFloat16EEEZZNS1_9scan_implILNS1_25lookback_scan_determinismE0ELb0ELb0ES3_PKS6_PS6_S6_ZZZN2at6native31launch_logcumsumexp_cuda_kernelERKNSD_10TensorBaseESH_lENKUlvE_clEvENKUlvE4_clEvEUlS6_S6_E_S6_EEDaPvRmT3_T4_T5_mT6_P12ihipStream_tbENKUlT_T0_E_clISt17integral_constantIbLb0EESY_EEDaST_SU_EUlST_E0_NS1_11comp_targetILNS1_3genE3ELNS1_11target_archE908ELNS1_3gpuE7ELNS1_3repE0EEENS1_30default_config_static_selectorELNS0_4arch9wavefront6targetE0EEEvT1_
; %bb.0:
	.section	.rodata,"a",@progbits
	.p2align	6, 0x0
	.amdhsa_kernel _ZN7rocprim17ROCPRIM_400000_NS6detail17trampoline_kernelINS0_14default_configENS1_20scan_config_selectorIN3c108BFloat16EEEZZNS1_9scan_implILNS1_25lookback_scan_determinismE0ELb0ELb0ES3_PKS6_PS6_S6_ZZZN2at6native31launch_logcumsumexp_cuda_kernelERKNSD_10TensorBaseESH_lENKUlvE_clEvENKUlvE4_clEvEUlS6_S6_E_S6_EEDaPvRmT3_T4_T5_mT6_P12ihipStream_tbENKUlT_T0_E_clISt17integral_constantIbLb0EESY_EEDaST_SU_EUlST_E0_NS1_11comp_targetILNS1_3genE3ELNS1_11target_archE908ELNS1_3gpuE7ELNS1_3repE0EEENS1_30default_config_static_selectorELNS0_4arch9wavefront6targetE0EEEvT1_
		.amdhsa_group_segment_fixed_size 0
		.amdhsa_private_segment_fixed_size 0
		.amdhsa_kernarg_size 32
		.amdhsa_user_sgpr_count 2
		.amdhsa_user_sgpr_dispatch_ptr 0
		.amdhsa_user_sgpr_queue_ptr 0
		.amdhsa_user_sgpr_kernarg_segment_ptr 1
		.amdhsa_user_sgpr_dispatch_id 0
		.amdhsa_user_sgpr_private_segment_size 0
		.amdhsa_wavefront_size32 1
		.amdhsa_uses_dynamic_stack 0
		.amdhsa_enable_private_segment 0
		.amdhsa_system_sgpr_workgroup_id_x 1
		.amdhsa_system_sgpr_workgroup_id_y 0
		.amdhsa_system_sgpr_workgroup_id_z 0
		.amdhsa_system_sgpr_workgroup_info 0
		.amdhsa_system_vgpr_workitem_id 0
		.amdhsa_next_free_vgpr 1
		.amdhsa_next_free_sgpr 1
		.amdhsa_reserve_vcc 0
		.amdhsa_float_round_mode_32 0
		.amdhsa_float_round_mode_16_64 0
		.amdhsa_float_denorm_mode_32 3
		.amdhsa_float_denorm_mode_16_64 3
		.amdhsa_fp16_overflow 0
		.amdhsa_workgroup_processor_mode 1
		.amdhsa_memory_ordered 1
		.amdhsa_forward_progress 1
		.amdhsa_inst_pref_size 0
		.amdhsa_round_robin_scheduling 0
		.amdhsa_exception_fp_ieee_invalid_op 0
		.amdhsa_exception_fp_denorm_src 0
		.amdhsa_exception_fp_ieee_div_zero 0
		.amdhsa_exception_fp_ieee_overflow 0
		.amdhsa_exception_fp_ieee_underflow 0
		.amdhsa_exception_fp_ieee_inexact 0
		.amdhsa_exception_int_div_zero 0
	.end_amdhsa_kernel
	.section	.text._ZN7rocprim17ROCPRIM_400000_NS6detail17trampoline_kernelINS0_14default_configENS1_20scan_config_selectorIN3c108BFloat16EEEZZNS1_9scan_implILNS1_25lookback_scan_determinismE0ELb0ELb0ES3_PKS6_PS6_S6_ZZZN2at6native31launch_logcumsumexp_cuda_kernelERKNSD_10TensorBaseESH_lENKUlvE_clEvENKUlvE4_clEvEUlS6_S6_E_S6_EEDaPvRmT3_T4_T5_mT6_P12ihipStream_tbENKUlT_T0_E_clISt17integral_constantIbLb0EESY_EEDaST_SU_EUlST_E0_NS1_11comp_targetILNS1_3genE3ELNS1_11target_archE908ELNS1_3gpuE7ELNS1_3repE0EEENS1_30default_config_static_selectorELNS0_4arch9wavefront6targetE0EEEvT1_,"axG",@progbits,_ZN7rocprim17ROCPRIM_400000_NS6detail17trampoline_kernelINS0_14default_configENS1_20scan_config_selectorIN3c108BFloat16EEEZZNS1_9scan_implILNS1_25lookback_scan_determinismE0ELb0ELb0ES3_PKS6_PS6_S6_ZZZN2at6native31launch_logcumsumexp_cuda_kernelERKNSD_10TensorBaseESH_lENKUlvE_clEvENKUlvE4_clEvEUlS6_S6_E_S6_EEDaPvRmT3_T4_T5_mT6_P12ihipStream_tbENKUlT_T0_E_clISt17integral_constantIbLb0EESY_EEDaST_SU_EUlST_E0_NS1_11comp_targetILNS1_3genE3ELNS1_11target_archE908ELNS1_3gpuE7ELNS1_3repE0EEENS1_30default_config_static_selectorELNS0_4arch9wavefront6targetE0EEEvT1_,comdat
.Lfunc_end458:
	.size	_ZN7rocprim17ROCPRIM_400000_NS6detail17trampoline_kernelINS0_14default_configENS1_20scan_config_selectorIN3c108BFloat16EEEZZNS1_9scan_implILNS1_25lookback_scan_determinismE0ELb0ELb0ES3_PKS6_PS6_S6_ZZZN2at6native31launch_logcumsumexp_cuda_kernelERKNSD_10TensorBaseESH_lENKUlvE_clEvENKUlvE4_clEvEUlS6_S6_E_S6_EEDaPvRmT3_T4_T5_mT6_P12ihipStream_tbENKUlT_T0_E_clISt17integral_constantIbLb0EESY_EEDaST_SU_EUlST_E0_NS1_11comp_targetILNS1_3genE3ELNS1_11target_archE908ELNS1_3gpuE7ELNS1_3repE0EEENS1_30default_config_static_selectorELNS0_4arch9wavefront6targetE0EEEvT1_, .Lfunc_end458-_ZN7rocprim17ROCPRIM_400000_NS6detail17trampoline_kernelINS0_14default_configENS1_20scan_config_selectorIN3c108BFloat16EEEZZNS1_9scan_implILNS1_25lookback_scan_determinismE0ELb0ELb0ES3_PKS6_PS6_S6_ZZZN2at6native31launch_logcumsumexp_cuda_kernelERKNSD_10TensorBaseESH_lENKUlvE_clEvENKUlvE4_clEvEUlS6_S6_E_S6_EEDaPvRmT3_T4_T5_mT6_P12ihipStream_tbENKUlT_T0_E_clISt17integral_constantIbLb0EESY_EEDaST_SU_EUlST_E0_NS1_11comp_targetILNS1_3genE3ELNS1_11target_archE908ELNS1_3gpuE7ELNS1_3repE0EEENS1_30default_config_static_selectorELNS0_4arch9wavefront6targetE0EEEvT1_
                                        ; -- End function
	.set _ZN7rocprim17ROCPRIM_400000_NS6detail17trampoline_kernelINS0_14default_configENS1_20scan_config_selectorIN3c108BFloat16EEEZZNS1_9scan_implILNS1_25lookback_scan_determinismE0ELb0ELb0ES3_PKS6_PS6_S6_ZZZN2at6native31launch_logcumsumexp_cuda_kernelERKNSD_10TensorBaseESH_lENKUlvE_clEvENKUlvE4_clEvEUlS6_S6_E_S6_EEDaPvRmT3_T4_T5_mT6_P12ihipStream_tbENKUlT_T0_E_clISt17integral_constantIbLb0EESY_EEDaST_SU_EUlST_E0_NS1_11comp_targetILNS1_3genE3ELNS1_11target_archE908ELNS1_3gpuE7ELNS1_3repE0EEENS1_30default_config_static_selectorELNS0_4arch9wavefront6targetE0EEEvT1_.num_vgpr, 0
	.set _ZN7rocprim17ROCPRIM_400000_NS6detail17trampoline_kernelINS0_14default_configENS1_20scan_config_selectorIN3c108BFloat16EEEZZNS1_9scan_implILNS1_25lookback_scan_determinismE0ELb0ELb0ES3_PKS6_PS6_S6_ZZZN2at6native31launch_logcumsumexp_cuda_kernelERKNSD_10TensorBaseESH_lENKUlvE_clEvENKUlvE4_clEvEUlS6_S6_E_S6_EEDaPvRmT3_T4_T5_mT6_P12ihipStream_tbENKUlT_T0_E_clISt17integral_constantIbLb0EESY_EEDaST_SU_EUlST_E0_NS1_11comp_targetILNS1_3genE3ELNS1_11target_archE908ELNS1_3gpuE7ELNS1_3repE0EEENS1_30default_config_static_selectorELNS0_4arch9wavefront6targetE0EEEvT1_.num_agpr, 0
	.set _ZN7rocprim17ROCPRIM_400000_NS6detail17trampoline_kernelINS0_14default_configENS1_20scan_config_selectorIN3c108BFloat16EEEZZNS1_9scan_implILNS1_25lookback_scan_determinismE0ELb0ELb0ES3_PKS6_PS6_S6_ZZZN2at6native31launch_logcumsumexp_cuda_kernelERKNSD_10TensorBaseESH_lENKUlvE_clEvENKUlvE4_clEvEUlS6_S6_E_S6_EEDaPvRmT3_T4_T5_mT6_P12ihipStream_tbENKUlT_T0_E_clISt17integral_constantIbLb0EESY_EEDaST_SU_EUlST_E0_NS1_11comp_targetILNS1_3genE3ELNS1_11target_archE908ELNS1_3gpuE7ELNS1_3repE0EEENS1_30default_config_static_selectorELNS0_4arch9wavefront6targetE0EEEvT1_.numbered_sgpr, 0
	.set _ZN7rocprim17ROCPRIM_400000_NS6detail17trampoline_kernelINS0_14default_configENS1_20scan_config_selectorIN3c108BFloat16EEEZZNS1_9scan_implILNS1_25lookback_scan_determinismE0ELb0ELb0ES3_PKS6_PS6_S6_ZZZN2at6native31launch_logcumsumexp_cuda_kernelERKNSD_10TensorBaseESH_lENKUlvE_clEvENKUlvE4_clEvEUlS6_S6_E_S6_EEDaPvRmT3_T4_T5_mT6_P12ihipStream_tbENKUlT_T0_E_clISt17integral_constantIbLb0EESY_EEDaST_SU_EUlST_E0_NS1_11comp_targetILNS1_3genE3ELNS1_11target_archE908ELNS1_3gpuE7ELNS1_3repE0EEENS1_30default_config_static_selectorELNS0_4arch9wavefront6targetE0EEEvT1_.num_named_barrier, 0
	.set _ZN7rocprim17ROCPRIM_400000_NS6detail17trampoline_kernelINS0_14default_configENS1_20scan_config_selectorIN3c108BFloat16EEEZZNS1_9scan_implILNS1_25lookback_scan_determinismE0ELb0ELb0ES3_PKS6_PS6_S6_ZZZN2at6native31launch_logcumsumexp_cuda_kernelERKNSD_10TensorBaseESH_lENKUlvE_clEvENKUlvE4_clEvEUlS6_S6_E_S6_EEDaPvRmT3_T4_T5_mT6_P12ihipStream_tbENKUlT_T0_E_clISt17integral_constantIbLb0EESY_EEDaST_SU_EUlST_E0_NS1_11comp_targetILNS1_3genE3ELNS1_11target_archE908ELNS1_3gpuE7ELNS1_3repE0EEENS1_30default_config_static_selectorELNS0_4arch9wavefront6targetE0EEEvT1_.private_seg_size, 0
	.set _ZN7rocprim17ROCPRIM_400000_NS6detail17trampoline_kernelINS0_14default_configENS1_20scan_config_selectorIN3c108BFloat16EEEZZNS1_9scan_implILNS1_25lookback_scan_determinismE0ELb0ELb0ES3_PKS6_PS6_S6_ZZZN2at6native31launch_logcumsumexp_cuda_kernelERKNSD_10TensorBaseESH_lENKUlvE_clEvENKUlvE4_clEvEUlS6_S6_E_S6_EEDaPvRmT3_T4_T5_mT6_P12ihipStream_tbENKUlT_T0_E_clISt17integral_constantIbLb0EESY_EEDaST_SU_EUlST_E0_NS1_11comp_targetILNS1_3genE3ELNS1_11target_archE908ELNS1_3gpuE7ELNS1_3repE0EEENS1_30default_config_static_selectorELNS0_4arch9wavefront6targetE0EEEvT1_.uses_vcc, 0
	.set _ZN7rocprim17ROCPRIM_400000_NS6detail17trampoline_kernelINS0_14default_configENS1_20scan_config_selectorIN3c108BFloat16EEEZZNS1_9scan_implILNS1_25lookback_scan_determinismE0ELb0ELb0ES3_PKS6_PS6_S6_ZZZN2at6native31launch_logcumsumexp_cuda_kernelERKNSD_10TensorBaseESH_lENKUlvE_clEvENKUlvE4_clEvEUlS6_S6_E_S6_EEDaPvRmT3_T4_T5_mT6_P12ihipStream_tbENKUlT_T0_E_clISt17integral_constantIbLb0EESY_EEDaST_SU_EUlST_E0_NS1_11comp_targetILNS1_3genE3ELNS1_11target_archE908ELNS1_3gpuE7ELNS1_3repE0EEENS1_30default_config_static_selectorELNS0_4arch9wavefront6targetE0EEEvT1_.uses_flat_scratch, 0
	.set _ZN7rocprim17ROCPRIM_400000_NS6detail17trampoline_kernelINS0_14default_configENS1_20scan_config_selectorIN3c108BFloat16EEEZZNS1_9scan_implILNS1_25lookback_scan_determinismE0ELb0ELb0ES3_PKS6_PS6_S6_ZZZN2at6native31launch_logcumsumexp_cuda_kernelERKNSD_10TensorBaseESH_lENKUlvE_clEvENKUlvE4_clEvEUlS6_S6_E_S6_EEDaPvRmT3_T4_T5_mT6_P12ihipStream_tbENKUlT_T0_E_clISt17integral_constantIbLb0EESY_EEDaST_SU_EUlST_E0_NS1_11comp_targetILNS1_3genE3ELNS1_11target_archE908ELNS1_3gpuE7ELNS1_3repE0EEENS1_30default_config_static_selectorELNS0_4arch9wavefront6targetE0EEEvT1_.has_dyn_sized_stack, 0
	.set _ZN7rocprim17ROCPRIM_400000_NS6detail17trampoline_kernelINS0_14default_configENS1_20scan_config_selectorIN3c108BFloat16EEEZZNS1_9scan_implILNS1_25lookback_scan_determinismE0ELb0ELb0ES3_PKS6_PS6_S6_ZZZN2at6native31launch_logcumsumexp_cuda_kernelERKNSD_10TensorBaseESH_lENKUlvE_clEvENKUlvE4_clEvEUlS6_S6_E_S6_EEDaPvRmT3_T4_T5_mT6_P12ihipStream_tbENKUlT_T0_E_clISt17integral_constantIbLb0EESY_EEDaST_SU_EUlST_E0_NS1_11comp_targetILNS1_3genE3ELNS1_11target_archE908ELNS1_3gpuE7ELNS1_3repE0EEENS1_30default_config_static_selectorELNS0_4arch9wavefront6targetE0EEEvT1_.has_recursion, 0
	.set _ZN7rocprim17ROCPRIM_400000_NS6detail17trampoline_kernelINS0_14default_configENS1_20scan_config_selectorIN3c108BFloat16EEEZZNS1_9scan_implILNS1_25lookback_scan_determinismE0ELb0ELb0ES3_PKS6_PS6_S6_ZZZN2at6native31launch_logcumsumexp_cuda_kernelERKNSD_10TensorBaseESH_lENKUlvE_clEvENKUlvE4_clEvEUlS6_S6_E_S6_EEDaPvRmT3_T4_T5_mT6_P12ihipStream_tbENKUlT_T0_E_clISt17integral_constantIbLb0EESY_EEDaST_SU_EUlST_E0_NS1_11comp_targetILNS1_3genE3ELNS1_11target_archE908ELNS1_3gpuE7ELNS1_3repE0EEENS1_30default_config_static_selectorELNS0_4arch9wavefront6targetE0EEEvT1_.has_indirect_call, 0
	.section	.AMDGPU.csdata,"",@progbits
; Kernel info:
; codeLenInByte = 0
; TotalNumSgprs: 0
; NumVgprs: 0
; ScratchSize: 0
; MemoryBound: 0
; FloatMode: 240
; IeeeMode: 1
; LDSByteSize: 0 bytes/workgroup (compile time only)
; SGPRBlocks: 0
; VGPRBlocks: 0
; NumSGPRsForWavesPerEU: 1
; NumVGPRsForWavesPerEU: 1
; Occupancy: 16
; WaveLimiterHint : 0
; COMPUTE_PGM_RSRC2:SCRATCH_EN: 0
; COMPUTE_PGM_RSRC2:USER_SGPR: 2
; COMPUTE_PGM_RSRC2:TRAP_HANDLER: 0
; COMPUTE_PGM_RSRC2:TGID_X_EN: 1
; COMPUTE_PGM_RSRC2:TGID_Y_EN: 0
; COMPUTE_PGM_RSRC2:TGID_Z_EN: 0
; COMPUTE_PGM_RSRC2:TIDIG_COMP_CNT: 0
	.section	.text._ZN7rocprim17ROCPRIM_400000_NS6detail17trampoline_kernelINS0_14default_configENS1_20scan_config_selectorIN3c108BFloat16EEEZZNS1_9scan_implILNS1_25lookback_scan_determinismE0ELb0ELb0ES3_PKS6_PS6_S6_ZZZN2at6native31launch_logcumsumexp_cuda_kernelERKNSD_10TensorBaseESH_lENKUlvE_clEvENKUlvE4_clEvEUlS6_S6_E_S6_EEDaPvRmT3_T4_T5_mT6_P12ihipStream_tbENKUlT_T0_E_clISt17integral_constantIbLb0EESY_EEDaST_SU_EUlST_E0_NS1_11comp_targetILNS1_3genE2ELNS1_11target_archE906ELNS1_3gpuE6ELNS1_3repE0EEENS1_30default_config_static_selectorELNS0_4arch9wavefront6targetE0EEEvT1_,"axG",@progbits,_ZN7rocprim17ROCPRIM_400000_NS6detail17trampoline_kernelINS0_14default_configENS1_20scan_config_selectorIN3c108BFloat16EEEZZNS1_9scan_implILNS1_25lookback_scan_determinismE0ELb0ELb0ES3_PKS6_PS6_S6_ZZZN2at6native31launch_logcumsumexp_cuda_kernelERKNSD_10TensorBaseESH_lENKUlvE_clEvENKUlvE4_clEvEUlS6_S6_E_S6_EEDaPvRmT3_T4_T5_mT6_P12ihipStream_tbENKUlT_T0_E_clISt17integral_constantIbLb0EESY_EEDaST_SU_EUlST_E0_NS1_11comp_targetILNS1_3genE2ELNS1_11target_archE906ELNS1_3gpuE6ELNS1_3repE0EEENS1_30default_config_static_selectorELNS0_4arch9wavefront6targetE0EEEvT1_,comdat
	.globl	_ZN7rocprim17ROCPRIM_400000_NS6detail17trampoline_kernelINS0_14default_configENS1_20scan_config_selectorIN3c108BFloat16EEEZZNS1_9scan_implILNS1_25lookback_scan_determinismE0ELb0ELb0ES3_PKS6_PS6_S6_ZZZN2at6native31launch_logcumsumexp_cuda_kernelERKNSD_10TensorBaseESH_lENKUlvE_clEvENKUlvE4_clEvEUlS6_S6_E_S6_EEDaPvRmT3_T4_T5_mT6_P12ihipStream_tbENKUlT_T0_E_clISt17integral_constantIbLb0EESY_EEDaST_SU_EUlST_E0_NS1_11comp_targetILNS1_3genE2ELNS1_11target_archE906ELNS1_3gpuE6ELNS1_3repE0EEENS1_30default_config_static_selectorELNS0_4arch9wavefront6targetE0EEEvT1_ ; -- Begin function _ZN7rocprim17ROCPRIM_400000_NS6detail17trampoline_kernelINS0_14default_configENS1_20scan_config_selectorIN3c108BFloat16EEEZZNS1_9scan_implILNS1_25lookback_scan_determinismE0ELb0ELb0ES3_PKS6_PS6_S6_ZZZN2at6native31launch_logcumsumexp_cuda_kernelERKNSD_10TensorBaseESH_lENKUlvE_clEvENKUlvE4_clEvEUlS6_S6_E_S6_EEDaPvRmT3_T4_T5_mT6_P12ihipStream_tbENKUlT_T0_E_clISt17integral_constantIbLb0EESY_EEDaST_SU_EUlST_E0_NS1_11comp_targetILNS1_3genE2ELNS1_11target_archE906ELNS1_3gpuE6ELNS1_3repE0EEENS1_30default_config_static_selectorELNS0_4arch9wavefront6targetE0EEEvT1_
	.p2align	8
	.type	_ZN7rocprim17ROCPRIM_400000_NS6detail17trampoline_kernelINS0_14default_configENS1_20scan_config_selectorIN3c108BFloat16EEEZZNS1_9scan_implILNS1_25lookback_scan_determinismE0ELb0ELb0ES3_PKS6_PS6_S6_ZZZN2at6native31launch_logcumsumexp_cuda_kernelERKNSD_10TensorBaseESH_lENKUlvE_clEvENKUlvE4_clEvEUlS6_S6_E_S6_EEDaPvRmT3_T4_T5_mT6_P12ihipStream_tbENKUlT_T0_E_clISt17integral_constantIbLb0EESY_EEDaST_SU_EUlST_E0_NS1_11comp_targetILNS1_3genE2ELNS1_11target_archE906ELNS1_3gpuE6ELNS1_3repE0EEENS1_30default_config_static_selectorELNS0_4arch9wavefront6targetE0EEEvT1_,@function
_ZN7rocprim17ROCPRIM_400000_NS6detail17trampoline_kernelINS0_14default_configENS1_20scan_config_selectorIN3c108BFloat16EEEZZNS1_9scan_implILNS1_25lookback_scan_determinismE0ELb0ELb0ES3_PKS6_PS6_S6_ZZZN2at6native31launch_logcumsumexp_cuda_kernelERKNSD_10TensorBaseESH_lENKUlvE_clEvENKUlvE4_clEvEUlS6_S6_E_S6_EEDaPvRmT3_T4_T5_mT6_P12ihipStream_tbENKUlT_T0_E_clISt17integral_constantIbLb0EESY_EEDaST_SU_EUlST_E0_NS1_11comp_targetILNS1_3genE2ELNS1_11target_archE906ELNS1_3gpuE6ELNS1_3repE0EEENS1_30default_config_static_selectorELNS0_4arch9wavefront6targetE0EEEvT1_: ; @_ZN7rocprim17ROCPRIM_400000_NS6detail17trampoline_kernelINS0_14default_configENS1_20scan_config_selectorIN3c108BFloat16EEEZZNS1_9scan_implILNS1_25lookback_scan_determinismE0ELb0ELb0ES3_PKS6_PS6_S6_ZZZN2at6native31launch_logcumsumexp_cuda_kernelERKNSD_10TensorBaseESH_lENKUlvE_clEvENKUlvE4_clEvEUlS6_S6_E_S6_EEDaPvRmT3_T4_T5_mT6_P12ihipStream_tbENKUlT_T0_E_clISt17integral_constantIbLb0EESY_EEDaST_SU_EUlST_E0_NS1_11comp_targetILNS1_3genE2ELNS1_11target_archE906ELNS1_3gpuE6ELNS1_3repE0EEENS1_30default_config_static_selectorELNS0_4arch9wavefront6targetE0EEEvT1_
; %bb.0:
	.section	.rodata,"a",@progbits
	.p2align	6, 0x0
	.amdhsa_kernel _ZN7rocprim17ROCPRIM_400000_NS6detail17trampoline_kernelINS0_14default_configENS1_20scan_config_selectorIN3c108BFloat16EEEZZNS1_9scan_implILNS1_25lookback_scan_determinismE0ELb0ELb0ES3_PKS6_PS6_S6_ZZZN2at6native31launch_logcumsumexp_cuda_kernelERKNSD_10TensorBaseESH_lENKUlvE_clEvENKUlvE4_clEvEUlS6_S6_E_S6_EEDaPvRmT3_T4_T5_mT6_P12ihipStream_tbENKUlT_T0_E_clISt17integral_constantIbLb0EESY_EEDaST_SU_EUlST_E0_NS1_11comp_targetILNS1_3genE2ELNS1_11target_archE906ELNS1_3gpuE6ELNS1_3repE0EEENS1_30default_config_static_selectorELNS0_4arch9wavefront6targetE0EEEvT1_
		.amdhsa_group_segment_fixed_size 0
		.amdhsa_private_segment_fixed_size 0
		.amdhsa_kernarg_size 32
		.amdhsa_user_sgpr_count 2
		.amdhsa_user_sgpr_dispatch_ptr 0
		.amdhsa_user_sgpr_queue_ptr 0
		.amdhsa_user_sgpr_kernarg_segment_ptr 1
		.amdhsa_user_sgpr_dispatch_id 0
		.amdhsa_user_sgpr_private_segment_size 0
		.amdhsa_wavefront_size32 1
		.amdhsa_uses_dynamic_stack 0
		.amdhsa_enable_private_segment 0
		.amdhsa_system_sgpr_workgroup_id_x 1
		.amdhsa_system_sgpr_workgroup_id_y 0
		.amdhsa_system_sgpr_workgroup_id_z 0
		.amdhsa_system_sgpr_workgroup_info 0
		.amdhsa_system_vgpr_workitem_id 0
		.amdhsa_next_free_vgpr 1
		.amdhsa_next_free_sgpr 1
		.amdhsa_reserve_vcc 0
		.amdhsa_float_round_mode_32 0
		.amdhsa_float_round_mode_16_64 0
		.amdhsa_float_denorm_mode_32 3
		.amdhsa_float_denorm_mode_16_64 3
		.amdhsa_fp16_overflow 0
		.amdhsa_workgroup_processor_mode 1
		.amdhsa_memory_ordered 1
		.amdhsa_forward_progress 1
		.amdhsa_inst_pref_size 0
		.amdhsa_round_robin_scheduling 0
		.amdhsa_exception_fp_ieee_invalid_op 0
		.amdhsa_exception_fp_denorm_src 0
		.amdhsa_exception_fp_ieee_div_zero 0
		.amdhsa_exception_fp_ieee_overflow 0
		.amdhsa_exception_fp_ieee_underflow 0
		.amdhsa_exception_fp_ieee_inexact 0
		.amdhsa_exception_int_div_zero 0
	.end_amdhsa_kernel
	.section	.text._ZN7rocprim17ROCPRIM_400000_NS6detail17trampoline_kernelINS0_14default_configENS1_20scan_config_selectorIN3c108BFloat16EEEZZNS1_9scan_implILNS1_25lookback_scan_determinismE0ELb0ELb0ES3_PKS6_PS6_S6_ZZZN2at6native31launch_logcumsumexp_cuda_kernelERKNSD_10TensorBaseESH_lENKUlvE_clEvENKUlvE4_clEvEUlS6_S6_E_S6_EEDaPvRmT3_T4_T5_mT6_P12ihipStream_tbENKUlT_T0_E_clISt17integral_constantIbLb0EESY_EEDaST_SU_EUlST_E0_NS1_11comp_targetILNS1_3genE2ELNS1_11target_archE906ELNS1_3gpuE6ELNS1_3repE0EEENS1_30default_config_static_selectorELNS0_4arch9wavefront6targetE0EEEvT1_,"axG",@progbits,_ZN7rocprim17ROCPRIM_400000_NS6detail17trampoline_kernelINS0_14default_configENS1_20scan_config_selectorIN3c108BFloat16EEEZZNS1_9scan_implILNS1_25lookback_scan_determinismE0ELb0ELb0ES3_PKS6_PS6_S6_ZZZN2at6native31launch_logcumsumexp_cuda_kernelERKNSD_10TensorBaseESH_lENKUlvE_clEvENKUlvE4_clEvEUlS6_S6_E_S6_EEDaPvRmT3_T4_T5_mT6_P12ihipStream_tbENKUlT_T0_E_clISt17integral_constantIbLb0EESY_EEDaST_SU_EUlST_E0_NS1_11comp_targetILNS1_3genE2ELNS1_11target_archE906ELNS1_3gpuE6ELNS1_3repE0EEENS1_30default_config_static_selectorELNS0_4arch9wavefront6targetE0EEEvT1_,comdat
.Lfunc_end459:
	.size	_ZN7rocprim17ROCPRIM_400000_NS6detail17trampoline_kernelINS0_14default_configENS1_20scan_config_selectorIN3c108BFloat16EEEZZNS1_9scan_implILNS1_25lookback_scan_determinismE0ELb0ELb0ES3_PKS6_PS6_S6_ZZZN2at6native31launch_logcumsumexp_cuda_kernelERKNSD_10TensorBaseESH_lENKUlvE_clEvENKUlvE4_clEvEUlS6_S6_E_S6_EEDaPvRmT3_T4_T5_mT6_P12ihipStream_tbENKUlT_T0_E_clISt17integral_constantIbLb0EESY_EEDaST_SU_EUlST_E0_NS1_11comp_targetILNS1_3genE2ELNS1_11target_archE906ELNS1_3gpuE6ELNS1_3repE0EEENS1_30default_config_static_selectorELNS0_4arch9wavefront6targetE0EEEvT1_, .Lfunc_end459-_ZN7rocprim17ROCPRIM_400000_NS6detail17trampoline_kernelINS0_14default_configENS1_20scan_config_selectorIN3c108BFloat16EEEZZNS1_9scan_implILNS1_25lookback_scan_determinismE0ELb0ELb0ES3_PKS6_PS6_S6_ZZZN2at6native31launch_logcumsumexp_cuda_kernelERKNSD_10TensorBaseESH_lENKUlvE_clEvENKUlvE4_clEvEUlS6_S6_E_S6_EEDaPvRmT3_T4_T5_mT6_P12ihipStream_tbENKUlT_T0_E_clISt17integral_constantIbLb0EESY_EEDaST_SU_EUlST_E0_NS1_11comp_targetILNS1_3genE2ELNS1_11target_archE906ELNS1_3gpuE6ELNS1_3repE0EEENS1_30default_config_static_selectorELNS0_4arch9wavefront6targetE0EEEvT1_
                                        ; -- End function
	.set _ZN7rocprim17ROCPRIM_400000_NS6detail17trampoline_kernelINS0_14default_configENS1_20scan_config_selectorIN3c108BFloat16EEEZZNS1_9scan_implILNS1_25lookback_scan_determinismE0ELb0ELb0ES3_PKS6_PS6_S6_ZZZN2at6native31launch_logcumsumexp_cuda_kernelERKNSD_10TensorBaseESH_lENKUlvE_clEvENKUlvE4_clEvEUlS6_S6_E_S6_EEDaPvRmT3_T4_T5_mT6_P12ihipStream_tbENKUlT_T0_E_clISt17integral_constantIbLb0EESY_EEDaST_SU_EUlST_E0_NS1_11comp_targetILNS1_3genE2ELNS1_11target_archE906ELNS1_3gpuE6ELNS1_3repE0EEENS1_30default_config_static_selectorELNS0_4arch9wavefront6targetE0EEEvT1_.num_vgpr, 0
	.set _ZN7rocprim17ROCPRIM_400000_NS6detail17trampoline_kernelINS0_14default_configENS1_20scan_config_selectorIN3c108BFloat16EEEZZNS1_9scan_implILNS1_25lookback_scan_determinismE0ELb0ELb0ES3_PKS6_PS6_S6_ZZZN2at6native31launch_logcumsumexp_cuda_kernelERKNSD_10TensorBaseESH_lENKUlvE_clEvENKUlvE4_clEvEUlS6_S6_E_S6_EEDaPvRmT3_T4_T5_mT6_P12ihipStream_tbENKUlT_T0_E_clISt17integral_constantIbLb0EESY_EEDaST_SU_EUlST_E0_NS1_11comp_targetILNS1_3genE2ELNS1_11target_archE906ELNS1_3gpuE6ELNS1_3repE0EEENS1_30default_config_static_selectorELNS0_4arch9wavefront6targetE0EEEvT1_.num_agpr, 0
	.set _ZN7rocprim17ROCPRIM_400000_NS6detail17trampoline_kernelINS0_14default_configENS1_20scan_config_selectorIN3c108BFloat16EEEZZNS1_9scan_implILNS1_25lookback_scan_determinismE0ELb0ELb0ES3_PKS6_PS6_S6_ZZZN2at6native31launch_logcumsumexp_cuda_kernelERKNSD_10TensorBaseESH_lENKUlvE_clEvENKUlvE4_clEvEUlS6_S6_E_S6_EEDaPvRmT3_T4_T5_mT6_P12ihipStream_tbENKUlT_T0_E_clISt17integral_constantIbLb0EESY_EEDaST_SU_EUlST_E0_NS1_11comp_targetILNS1_3genE2ELNS1_11target_archE906ELNS1_3gpuE6ELNS1_3repE0EEENS1_30default_config_static_selectorELNS0_4arch9wavefront6targetE0EEEvT1_.numbered_sgpr, 0
	.set _ZN7rocprim17ROCPRIM_400000_NS6detail17trampoline_kernelINS0_14default_configENS1_20scan_config_selectorIN3c108BFloat16EEEZZNS1_9scan_implILNS1_25lookback_scan_determinismE0ELb0ELb0ES3_PKS6_PS6_S6_ZZZN2at6native31launch_logcumsumexp_cuda_kernelERKNSD_10TensorBaseESH_lENKUlvE_clEvENKUlvE4_clEvEUlS6_S6_E_S6_EEDaPvRmT3_T4_T5_mT6_P12ihipStream_tbENKUlT_T0_E_clISt17integral_constantIbLb0EESY_EEDaST_SU_EUlST_E0_NS1_11comp_targetILNS1_3genE2ELNS1_11target_archE906ELNS1_3gpuE6ELNS1_3repE0EEENS1_30default_config_static_selectorELNS0_4arch9wavefront6targetE0EEEvT1_.num_named_barrier, 0
	.set _ZN7rocprim17ROCPRIM_400000_NS6detail17trampoline_kernelINS0_14default_configENS1_20scan_config_selectorIN3c108BFloat16EEEZZNS1_9scan_implILNS1_25lookback_scan_determinismE0ELb0ELb0ES3_PKS6_PS6_S6_ZZZN2at6native31launch_logcumsumexp_cuda_kernelERKNSD_10TensorBaseESH_lENKUlvE_clEvENKUlvE4_clEvEUlS6_S6_E_S6_EEDaPvRmT3_T4_T5_mT6_P12ihipStream_tbENKUlT_T0_E_clISt17integral_constantIbLb0EESY_EEDaST_SU_EUlST_E0_NS1_11comp_targetILNS1_3genE2ELNS1_11target_archE906ELNS1_3gpuE6ELNS1_3repE0EEENS1_30default_config_static_selectorELNS0_4arch9wavefront6targetE0EEEvT1_.private_seg_size, 0
	.set _ZN7rocprim17ROCPRIM_400000_NS6detail17trampoline_kernelINS0_14default_configENS1_20scan_config_selectorIN3c108BFloat16EEEZZNS1_9scan_implILNS1_25lookback_scan_determinismE0ELb0ELb0ES3_PKS6_PS6_S6_ZZZN2at6native31launch_logcumsumexp_cuda_kernelERKNSD_10TensorBaseESH_lENKUlvE_clEvENKUlvE4_clEvEUlS6_S6_E_S6_EEDaPvRmT3_T4_T5_mT6_P12ihipStream_tbENKUlT_T0_E_clISt17integral_constantIbLb0EESY_EEDaST_SU_EUlST_E0_NS1_11comp_targetILNS1_3genE2ELNS1_11target_archE906ELNS1_3gpuE6ELNS1_3repE0EEENS1_30default_config_static_selectorELNS0_4arch9wavefront6targetE0EEEvT1_.uses_vcc, 0
	.set _ZN7rocprim17ROCPRIM_400000_NS6detail17trampoline_kernelINS0_14default_configENS1_20scan_config_selectorIN3c108BFloat16EEEZZNS1_9scan_implILNS1_25lookback_scan_determinismE0ELb0ELb0ES3_PKS6_PS6_S6_ZZZN2at6native31launch_logcumsumexp_cuda_kernelERKNSD_10TensorBaseESH_lENKUlvE_clEvENKUlvE4_clEvEUlS6_S6_E_S6_EEDaPvRmT3_T4_T5_mT6_P12ihipStream_tbENKUlT_T0_E_clISt17integral_constantIbLb0EESY_EEDaST_SU_EUlST_E0_NS1_11comp_targetILNS1_3genE2ELNS1_11target_archE906ELNS1_3gpuE6ELNS1_3repE0EEENS1_30default_config_static_selectorELNS0_4arch9wavefront6targetE0EEEvT1_.uses_flat_scratch, 0
	.set _ZN7rocprim17ROCPRIM_400000_NS6detail17trampoline_kernelINS0_14default_configENS1_20scan_config_selectorIN3c108BFloat16EEEZZNS1_9scan_implILNS1_25lookback_scan_determinismE0ELb0ELb0ES3_PKS6_PS6_S6_ZZZN2at6native31launch_logcumsumexp_cuda_kernelERKNSD_10TensorBaseESH_lENKUlvE_clEvENKUlvE4_clEvEUlS6_S6_E_S6_EEDaPvRmT3_T4_T5_mT6_P12ihipStream_tbENKUlT_T0_E_clISt17integral_constantIbLb0EESY_EEDaST_SU_EUlST_E0_NS1_11comp_targetILNS1_3genE2ELNS1_11target_archE906ELNS1_3gpuE6ELNS1_3repE0EEENS1_30default_config_static_selectorELNS0_4arch9wavefront6targetE0EEEvT1_.has_dyn_sized_stack, 0
	.set _ZN7rocprim17ROCPRIM_400000_NS6detail17trampoline_kernelINS0_14default_configENS1_20scan_config_selectorIN3c108BFloat16EEEZZNS1_9scan_implILNS1_25lookback_scan_determinismE0ELb0ELb0ES3_PKS6_PS6_S6_ZZZN2at6native31launch_logcumsumexp_cuda_kernelERKNSD_10TensorBaseESH_lENKUlvE_clEvENKUlvE4_clEvEUlS6_S6_E_S6_EEDaPvRmT3_T4_T5_mT6_P12ihipStream_tbENKUlT_T0_E_clISt17integral_constantIbLb0EESY_EEDaST_SU_EUlST_E0_NS1_11comp_targetILNS1_3genE2ELNS1_11target_archE906ELNS1_3gpuE6ELNS1_3repE0EEENS1_30default_config_static_selectorELNS0_4arch9wavefront6targetE0EEEvT1_.has_recursion, 0
	.set _ZN7rocprim17ROCPRIM_400000_NS6detail17trampoline_kernelINS0_14default_configENS1_20scan_config_selectorIN3c108BFloat16EEEZZNS1_9scan_implILNS1_25lookback_scan_determinismE0ELb0ELb0ES3_PKS6_PS6_S6_ZZZN2at6native31launch_logcumsumexp_cuda_kernelERKNSD_10TensorBaseESH_lENKUlvE_clEvENKUlvE4_clEvEUlS6_S6_E_S6_EEDaPvRmT3_T4_T5_mT6_P12ihipStream_tbENKUlT_T0_E_clISt17integral_constantIbLb0EESY_EEDaST_SU_EUlST_E0_NS1_11comp_targetILNS1_3genE2ELNS1_11target_archE906ELNS1_3gpuE6ELNS1_3repE0EEENS1_30default_config_static_selectorELNS0_4arch9wavefront6targetE0EEEvT1_.has_indirect_call, 0
	.section	.AMDGPU.csdata,"",@progbits
; Kernel info:
; codeLenInByte = 0
; TotalNumSgprs: 0
; NumVgprs: 0
; ScratchSize: 0
; MemoryBound: 0
; FloatMode: 240
; IeeeMode: 1
; LDSByteSize: 0 bytes/workgroup (compile time only)
; SGPRBlocks: 0
; VGPRBlocks: 0
; NumSGPRsForWavesPerEU: 1
; NumVGPRsForWavesPerEU: 1
; Occupancy: 16
; WaveLimiterHint : 0
; COMPUTE_PGM_RSRC2:SCRATCH_EN: 0
; COMPUTE_PGM_RSRC2:USER_SGPR: 2
; COMPUTE_PGM_RSRC2:TRAP_HANDLER: 0
; COMPUTE_PGM_RSRC2:TGID_X_EN: 1
; COMPUTE_PGM_RSRC2:TGID_Y_EN: 0
; COMPUTE_PGM_RSRC2:TGID_Z_EN: 0
; COMPUTE_PGM_RSRC2:TIDIG_COMP_CNT: 0
	.section	.text._ZN7rocprim17ROCPRIM_400000_NS6detail17trampoline_kernelINS0_14default_configENS1_20scan_config_selectorIN3c108BFloat16EEEZZNS1_9scan_implILNS1_25lookback_scan_determinismE0ELb0ELb0ES3_PKS6_PS6_S6_ZZZN2at6native31launch_logcumsumexp_cuda_kernelERKNSD_10TensorBaseESH_lENKUlvE_clEvENKUlvE4_clEvEUlS6_S6_E_S6_EEDaPvRmT3_T4_T5_mT6_P12ihipStream_tbENKUlT_T0_E_clISt17integral_constantIbLb0EESY_EEDaST_SU_EUlST_E0_NS1_11comp_targetILNS1_3genE10ELNS1_11target_archE1201ELNS1_3gpuE5ELNS1_3repE0EEENS1_30default_config_static_selectorELNS0_4arch9wavefront6targetE0EEEvT1_,"axG",@progbits,_ZN7rocprim17ROCPRIM_400000_NS6detail17trampoline_kernelINS0_14default_configENS1_20scan_config_selectorIN3c108BFloat16EEEZZNS1_9scan_implILNS1_25lookback_scan_determinismE0ELb0ELb0ES3_PKS6_PS6_S6_ZZZN2at6native31launch_logcumsumexp_cuda_kernelERKNSD_10TensorBaseESH_lENKUlvE_clEvENKUlvE4_clEvEUlS6_S6_E_S6_EEDaPvRmT3_T4_T5_mT6_P12ihipStream_tbENKUlT_T0_E_clISt17integral_constantIbLb0EESY_EEDaST_SU_EUlST_E0_NS1_11comp_targetILNS1_3genE10ELNS1_11target_archE1201ELNS1_3gpuE5ELNS1_3repE0EEENS1_30default_config_static_selectorELNS0_4arch9wavefront6targetE0EEEvT1_,comdat
	.globl	_ZN7rocprim17ROCPRIM_400000_NS6detail17trampoline_kernelINS0_14default_configENS1_20scan_config_selectorIN3c108BFloat16EEEZZNS1_9scan_implILNS1_25lookback_scan_determinismE0ELb0ELb0ES3_PKS6_PS6_S6_ZZZN2at6native31launch_logcumsumexp_cuda_kernelERKNSD_10TensorBaseESH_lENKUlvE_clEvENKUlvE4_clEvEUlS6_S6_E_S6_EEDaPvRmT3_T4_T5_mT6_P12ihipStream_tbENKUlT_T0_E_clISt17integral_constantIbLb0EESY_EEDaST_SU_EUlST_E0_NS1_11comp_targetILNS1_3genE10ELNS1_11target_archE1201ELNS1_3gpuE5ELNS1_3repE0EEENS1_30default_config_static_selectorELNS0_4arch9wavefront6targetE0EEEvT1_ ; -- Begin function _ZN7rocprim17ROCPRIM_400000_NS6detail17trampoline_kernelINS0_14default_configENS1_20scan_config_selectorIN3c108BFloat16EEEZZNS1_9scan_implILNS1_25lookback_scan_determinismE0ELb0ELb0ES3_PKS6_PS6_S6_ZZZN2at6native31launch_logcumsumexp_cuda_kernelERKNSD_10TensorBaseESH_lENKUlvE_clEvENKUlvE4_clEvEUlS6_S6_E_S6_EEDaPvRmT3_T4_T5_mT6_P12ihipStream_tbENKUlT_T0_E_clISt17integral_constantIbLb0EESY_EEDaST_SU_EUlST_E0_NS1_11comp_targetILNS1_3genE10ELNS1_11target_archE1201ELNS1_3gpuE5ELNS1_3repE0EEENS1_30default_config_static_selectorELNS0_4arch9wavefront6targetE0EEEvT1_
	.p2align	8
	.type	_ZN7rocprim17ROCPRIM_400000_NS6detail17trampoline_kernelINS0_14default_configENS1_20scan_config_selectorIN3c108BFloat16EEEZZNS1_9scan_implILNS1_25lookback_scan_determinismE0ELb0ELb0ES3_PKS6_PS6_S6_ZZZN2at6native31launch_logcumsumexp_cuda_kernelERKNSD_10TensorBaseESH_lENKUlvE_clEvENKUlvE4_clEvEUlS6_S6_E_S6_EEDaPvRmT3_T4_T5_mT6_P12ihipStream_tbENKUlT_T0_E_clISt17integral_constantIbLb0EESY_EEDaST_SU_EUlST_E0_NS1_11comp_targetILNS1_3genE10ELNS1_11target_archE1201ELNS1_3gpuE5ELNS1_3repE0EEENS1_30default_config_static_selectorELNS0_4arch9wavefront6targetE0EEEvT1_,@function
_ZN7rocprim17ROCPRIM_400000_NS6detail17trampoline_kernelINS0_14default_configENS1_20scan_config_selectorIN3c108BFloat16EEEZZNS1_9scan_implILNS1_25lookback_scan_determinismE0ELb0ELb0ES3_PKS6_PS6_S6_ZZZN2at6native31launch_logcumsumexp_cuda_kernelERKNSD_10TensorBaseESH_lENKUlvE_clEvENKUlvE4_clEvEUlS6_S6_E_S6_EEDaPvRmT3_T4_T5_mT6_P12ihipStream_tbENKUlT_T0_E_clISt17integral_constantIbLb0EESY_EEDaST_SU_EUlST_E0_NS1_11comp_targetILNS1_3genE10ELNS1_11target_archE1201ELNS1_3gpuE5ELNS1_3repE0EEENS1_30default_config_static_selectorELNS0_4arch9wavefront6targetE0EEEvT1_: ; @_ZN7rocprim17ROCPRIM_400000_NS6detail17trampoline_kernelINS0_14default_configENS1_20scan_config_selectorIN3c108BFloat16EEEZZNS1_9scan_implILNS1_25lookback_scan_determinismE0ELb0ELb0ES3_PKS6_PS6_S6_ZZZN2at6native31launch_logcumsumexp_cuda_kernelERKNSD_10TensorBaseESH_lENKUlvE_clEvENKUlvE4_clEvEUlS6_S6_E_S6_EEDaPvRmT3_T4_T5_mT6_P12ihipStream_tbENKUlT_T0_E_clISt17integral_constantIbLb0EESY_EEDaST_SU_EUlST_E0_NS1_11comp_targetILNS1_3genE10ELNS1_11target_archE1201ELNS1_3gpuE5ELNS1_3repE0EEENS1_30default_config_static_selectorELNS0_4arch9wavefront6targetE0EEEvT1_
; %bb.0:
	s_load_b128 s[16:19], s[0:1], 0x0
	v_mov_b32_e32 v1, 0
	s_wait_kmcnt 0x0
	global_load_u16 v1, v1, s[16:17]
	v_cmp_gt_u32_e32 vcc_lo, s18, v0
	s_wait_loadcnt 0x0
	v_dual_mov_b32 v2, v1 :: v_dual_lshlrev_b32 v7, 1, v0
	s_and_saveexec_b32 s2, vcc_lo
	s_cbranch_execz .LBB460_2
; %bb.1:
	global_load_u16 v2, v7, s[16:17]
.LBB460_2:
	s_or_b32 exec_lo, exec_lo, s2
	v_or_b32_e32 v3, 0x100, v0
	s_delay_alu instid0(VALU_DEP_1)
	v_cmp_gt_u32_e64 s2, s18, v3
	v_mov_b32_e32 v3, v1
	s_and_saveexec_b32 s3, s2
	s_cbranch_execz .LBB460_4
; %bb.3:
	global_load_u16 v3, v7, s[16:17] offset:512
.LBB460_4:
	s_or_b32 exec_lo, exec_lo, s3
	v_or_b32_e32 v4, 0x200, v0
	s_delay_alu instid0(VALU_DEP_1)
	v_cmp_gt_u32_e64 s3, s18, v4
	v_mov_b32_e32 v4, v1
	s_and_saveexec_b32 s4, s3
	s_cbranch_execz .LBB460_6
; %bb.5:
	global_load_u16 v4, v7, s[16:17] offset:1024
.LBB460_6:
	;; [unrolled: 10-line block ×10, first 2 shown]
	s_or_b32 exec_lo, exec_lo, s12
	v_or_b32_e32 v14, 0xb00, v0
	s_delay_alu instid0(VALU_DEP_1) | instskip(SKIP_2) | instid1(SALU_CYCLE_1)
	v_cmp_gt_u32_e64 s12, s18, v14
	v_cmp_le_u32_e64 s13, s18, v14
	s_and_saveexec_b32 s14, s13
	s_xor_b32 s13, exec_lo, s14
	s_delay_alu instid0(SALU_CYCLE_1)
	s_and_not1_saveexec_b32 s13, s13
	s_cbranch_execz .LBB460_24
; %bb.23:
	v_lshlrev_b32_e32 v1, 1, v0
	global_load_u16 v1, v1, s[16:17] offset:5632
.LBB460_24:
	s_or_b32 exec_lo, exec_lo, s13
	s_wait_loadcnt 0x0
	ds_store_b16 v7, v2
	ds_store_b16 v7, v3 offset:512
	ds_store_b16 v7, v4 offset:1024
	;; [unrolled: 1-line block ×11, first 2 shown]
	v_mad_u32_u24 v5, v0, 22, v7
	s_wait_dscnt 0x0
	s_barrier_signal -1
	s_barrier_wait -1
	global_inv scope:SCOPE_SE
	ds_load_2addr_b64 v[1:4], v5 offset1:1
	ds_load_b64 v[5:6], v5 offset:16
	s_wait_loadcnt_dscnt 0x0
	s_barrier_signal -1
	s_barrier_wait -1
	global_inv scope:SCOPE_SE
	v_lshlrev_b32_e32 v25, 16, v1
	s_delay_alu instid0(VALU_DEP_1) | instskip(SKIP_1) | instid1(VALU_DEP_1)
	v_max_num_f32_e32 v28, v25, v25
	v_and_b32_e32 v8, 0xffff0000, v1
	v_max_num_f32_e32 v12, v8, v8
	v_cmp_u_f32_e64 s24, v25, v25
	s_delay_alu instid0(VALU_DEP_2) | instskip(SKIP_2) | instid1(VALU_DEP_3)
	v_min_num_f32_e32 v26, v28, v12
	v_max_num_f32_e32 v27, v28, v12
	v_cmp_u_f32_e64 s13, v8, v8
	v_cndmask_b32_e64 v9, v26, v25, s24
	s_delay_alu instid0(VALU_DEP_3) | instskip(NEXT) | instid1(VALU_DEP_2)
	v_cndmask_b32_e64 v10, v27, v25, s24
	v_cndmask_b32_e64 v11, v9, v8, s13
	s_delay_alu instid0(VALU_DEP_2) | instskip(SKIP_1) | instid1(VALU_DEP_3)
	v_cndmask_b32_e64 v9, v10, v8, s13
	v_mov_b32_e32 v10, v25
	v_cmp_class_f32_e64 s15, v11, 0x1f8
	s_delay_alu instid0(VALU_DEP_3) | instskip(SKIP_1) | instid1(SALU_CYCLE_1)
	v_cmp_neq_f32_e64 s14, v11, v9
	s_or_b32 s14, s14, s15
	s_and_saveexec_b32 s15, s14
	s_cbranch_execz .LBB460_26
; %bb.25:
	v_sub_f32_e32 v10, v11, v9
	s_delay_alu instid0(VALU_DEP_1) | instskip(SKIP_1) | instid1(VALU_DEP_2)
	v_mul_f32_e32 v11, 0x3fb8aa3b, v10
	v_cmp_ngt_f32_e64 s14, 0xc2ce8ed0, v10
	v_fma_f32 v13, 0x3fb8aa3b, v10, -v11
	v_rndne_f32_e32 v14, v11
	s_delay_alu instid0(VALU_DEP_2) | instskip(NEXT) | instid1(VALU_DEP_2)
	v_fmamk_f32 v13, v10, 0x32a5705f, v13
	v_sub_f32_e32 v11, v11, v14
	s_delay_alu instid0(VALU_DEP_1) | instskip(SKIP_1) | instid1(VALU_DEP_2)
	v_add_f32_e32 v11, v11, v13
	v_cvt_i32_f32_e32 v13, v14
	v_exp_f32_e32 v11, v11
	s_delay_alu instid0(TRANS32_DEP_1) | instskip(NEXT) | instid1(VALU_DEP_1)
	v_ldexp_f32 v11, v11, v13
	v_cndmask_b32_e64 v11, 0, v11, s14
	v_cmp_nlt_f32_e64 s14, 0x42b17218, v10
	s_wait_alu 0xf1ff
	s_delay_alu instid0(VALU_DEP_1) | instskip(NEXT) | instid1(VALU_DEP_1)
	v_cndmask_b32_e64 v13, 0x7f800000, v11, s14
	v_add_f32_e32 v14, 1.0, v13
	s_delay_alu instid0(VALU_DEP_1) | instskip(NEXT) | instid1(VALU_DEP_1)
	v_cvt_f64_f32_e32 v[10:11], v14
	v_frexp_exp_i32_f64_e32 v10, v[10:11]
	v_frexp_mant_f32_e32 v11, v14
	s_delay_alu instid0(VALU_DEP_1) | instskip(SKIP_1) | instid1(VALU_DEP_1)
	v_cmp_gt_f32_e64 s14, 0x3f2aaaab, v11
	v_add_f32_e32 v11, -1.0, v14
	v_sub_f32_e32 v16, v11, v14
	s_delay_alu instid0(VALU_DEP_1)
	v_add_f32_e32 v16, 1.0, v16
	s_wait_alu 0xf1ff
	v_subrev_co_ci_u32_e64 v10, null, 0, v10, s14
	s_mov_b32 s14, 0x3e9b6dac
	v_sub_nc_u32_e32 v15, 0, v10
	v_cvt_f32_i32_e32 v10, v10
	s_delay_alu instid0(VALU_DEP_2) | instskip(NEXT) | instid1(VALU_DEP_1)
	v_ldexp_f32 v14, v14, v15
	v_add_f32_e32 v17, 1.0, v14
	v_sub_f32_e32 v11, v13, v11
	s_delay_alu instid0(VALU_DEP_1) | instskip(NEXT) | instid1(VALU_DEP_1)
	v_add_f32_e32 v11, v11, v16
	v_ldexp_f32 v11, v11, v15
	v_add_f32_e32 v15, -1.0, v14
	s_delay_alu instid0(VALU_DEP_1) | instskip(SKIP_1) | instid1(VALU_DEP_1)
	v_add_f32_e32 v18, 1.0, v15
	v_add_f32_e32 v16, -1.0, v17
	v_sub_f32_e32 v16, v14, v16
	s_delay_alu instid0(VALU_DEP_3) | instskip(NEXT) | instid1(VALU_DEP_2)
	v_sub_f32_e32 v14, v14, v18
	v_add_f32_e32 v16, v11, v16
	s_delay_alu instid0(VALU_DEP_1) | instskip(NEXT) | instid1(VALU_DEP_1)
	v_dual_add_f32 v11, v11, v14 :: v_dual_add_f32 v18, v17, v16
	v_rcp_f32_e32 v14, v18
	v_sub_f32_e32 v17, v17, v18
	s_delay_alu instid0(VALU_DEP_1) | instskip(NEXT) | instid1(VALU_DEP_1)
	v_dual_add_f32 v19, v15, v11 :: v_dual_add_f32 v16, v16, v17
	v_sub_f32_e32 v15, v15, v19
	s_delay_alu instid0(TRANS32_DEP_1) | instskip(NEXT) | instid1(VALU_DEP_2)
	v_mul_f32_e32 v20, v19, v14
	v_add_f32_e32 v11, v11, v15
	s_delay_alu instid0(VALU_DEP_2) | instskip(NEXT) | instid1(VALU_DEP_1)
	v_mul_f32_e32 v21, v18, v20
	v_fma_f32 v17, v20, v18, -v21
	s_delay_alu instid0(VALU_DEP_1) | instskip(NEXT) | instid1(VALU_DEP_1)
	v_fmac_f32_e32 v17, v20, v16
	v_add_f32_e32 v22, v21, v17
	s_delay_alu instid0(VALU_DEP_1) | instskip(SKIP_1) | instid1(VALU_DEP_2)
	v_sub_f32_e32 v23, v19, v22
	v_sub_f32_e32 v15, v22, v21
	;; [unrolled: 1-line block ×3, first 2 shown]
	s_delay_alu instid0(VALU_DEP_2) | instskip(NEXT) | instid1(VALU_DEP_2)
	v_sub_f32_e32 v15, v15, v17
	v_sub_f32_e32 v19, v19, v22
	s_delay_alu instid0(VALU_DEP_1) | instskip(NEXT) | instid1(VALU_DEP_1)
	v_add_f32_e32 v11, v11, v19
	v_add_f32_e32 v11, v15, v11
	s_delay_alu instid0(VALU_DEP_1) | instskip(NEXT) | instid1(VALU_DEP_1)
	v_add_f32_e32 v15, v23, v11
	v_mul_f32_e32 v17, v14, v15
	s_delay_alu instid0(VALU_DEP_1) | instskip(NEXT) | instid1(VALU_DEP_1)
	v_mul_f32_e32 v19, v18, v17
	v_fma_f32 v18, v17, v18, -v19
	s_delay_alu instid0(VALU_DEP_1) | instskip(SKIP_1) | instid1(VALU_DEP_2)
	v_fmac_f32_e32 v18, v17, v16
	v_sub_f32_e32 v22, v23, v15
	v_add_f32_e32 v16, v19, v18
	s_delay_alu instid0(VALU_DEP_2) | instskip(NEXT) | instid1(VALU_DEP_2)
	v_add_f32_e32 v11, v11, v22
	v_sub_f32_e32 v21, v15, v16
	v_sub_f32_e32 v19, v16, v19
	s_delay_alu instid0(VALU_DEP_2) | instskip(NEXT) | instid1(VALU_DEP_1)
	v_sub_f32_e32 v15, v15, v21
	v_sub_f32_e32 v15, v15, v16
	s_delay_alu instid0(VALU_DEP_3) | instskip(NEXT) | instid1(VALU_DEP_2)
	v_sub_f32_e32 v16, v19, v18
	v_add_f32_e32 v11, v11, v15
	v_add_f32_e32 v15, v20, v17
	s_delay_alu instid0(VALU_DEP_1) | instskip(NEXT) | instid1(VALU_DEP_1)
	v_dual_add_f32 v11, v16, v11 :: v_dual_sub_f32 v16, v15, v20
	v_add_f32_e32 v11, v21, v11
	s_delay_alu instid0(VALU_DEP_1) | instskip(NEXT) | instid1(VALU_DEP_1)
	v_dual_sub_f32 v16, v17, v16 :: v_dual_mul_f32 v11, v14, v11
	v_add_f32_e32 v11, v16, v11
	s_delay_alu instid0(VALU_DEP_1) | instskip(NEXT) | instid1(VALU_DEP_1)
	v_add_f32_e32 v14, v15, v11
	v_mul_f32_e32 v16, v14, v14
	s_wait_alu 0xfffe
	s_delay_alu instid0(VALU_DEP_1) | instskip(SKIP_2) | instid1(VALU_DEP_3)
	v_fmaak_f32 v17, s14, v16, 0x3ecc95a3
	v_mul_f32_e32 v18, v14, v16
	v_cmp_neq_f32_e64 s14, 0x7f800000, v13
	v_fmaak_f32 v16, v16, v17, 0x3f2aaada
	v_ldexp_f32 v17, v14, 1
	v_sub_f32_e32 v14, v14, v15
	s_delay_alu instid0(VALU_DEP_3) | instskip(SKIP_1) | instid1(VALU_DEP_3)
	v_mul_f32_e32 v16, v18, v16
	v_mul_f32_e32 v18, 0x3f317218, v10
	v_sub_f32_e32 v11, v11, v14
	s_delay_alu instid0(VALU_DEP_3) | instskip(NEXT) | instid1(VALU_DEP_2)
	v_add_f32_e32 v15, v17, v16
	v_ldexp_f32 v11, v11, 1
	s_delay_alu instid0(VALU_DEP_2) | instskip(SKIP_1) | instid1(VALU_DEP_2)
	v_sub_f32_e32 v14, v15, v17
	v_fma_f32 v17, 0x3f317218, v10, -v18
	v_sub_f32_e32 v14, v16, v14
	s_delay_alu instid0(VALU_DEP_1) | instskip(NEXT) | instid1(VALU_DEP_1)
	v_dual_fmamk_f32 v10, v10, 0xb102e308, v17 :: v_dual_add_f32 v11, v11, v14
	v_add_f32_e32 v14, v18, v10
	s_delay_alu instid0(VALU_DEP_2) | instskip(NEXT) | instid1(VALU_DEP_2)
	v_add_f32_e32 v16, v15, v11
	v_sub_f32_e32 v18, v14, v18
	s_delay_alu instid0(VALU_DEP_2) | instskip(NEXT) | instid1(VALU_DEP_2)
	v_add_f32_e32 v17, v14, v16
	v_dual_sub_f32 v15, v16, v15 :: v_dual_sub_f32 v10, v10, v18
	s_delay_alu instid0(VALU_DEP_2) | instskip(NEXT) | instid1(VALU_DEP_2)
	v_sub_f32_e32 v19, v17, v14
	v_sub_f32_e32 v11, v11, v15
	s_delay_alu instid0(VALU_DEP_2) | instskip(SKIP_1) | instid1(VALU_DEP_3)
	v_sub_f32_e32 v20, v17, v19
	v_sub_f32_e32 v15, v16, v19
	v_add_f32_e32 v16, v10, v11
	s_delay_alu instid0(VALU_DEP_3) | instskip(NEXT) | instid1(VALU_DEP_1)
	v_sub_f32_e32 v14, v14, v20
	v_add_f32_e32 v14, v15, v14
	s_delay_alu instid0(VALU_DEP_3) | instskip(NEXT) | instid1(VALU_DEP_2)
	v_sub_f32_e32 v15, v16, v10
	v_add_f32_e32 v14, v16, v14
	s_delay_alu instid0(VALU_DEP_2) | instskip(NEXT) | instid1(VALU_DEP_1)
	v_sub_f32_e32 v16, v16, v15
	v_dual_sub_f32 v11, v11, v15 :: v_dual_sub_f32 v10, v10, v16
	s_delay_alu instid0(VALU_DEP_1) | instskip(NEXT) | instid1(VALU_DEP_4)
	v_add_f32_e32 v10, v11, v10
	v_add_f32_e32 v18, v17, v14
	s_delay_alu instid0(VALU_DEP_1) | instskip(NEXT) | instid1(VALU_DEP_1)
	v_sub_f32_e32 v15, v18, v17
	v_sub_f32_e32 v11, v14, v15
	s_delay_alu instid0(VALU_DEP_1) | instskip(NEXT) | instid1(VALU_DEP_1)
	v_add_f32_e32 v10, v10, v11
	v_add_f32_e32 v10, v18, v10
	s_wait_alu 0xf1ff
	s_delay_alu instid0(VALU_DEP_1) | instskip(SKIP_2) | instid1(VALU_DEP_1)
	v_cndmask_b32_e64 v10, 0x7f800000, v10, s14
	v_cmp_gt_f32_e64 s14, 0x33800000, |v13|
	s_wait_alu 0xf1ff
	v_cndmask_b32_e64 v10, v10, v13, s14
	s_delay_alu instid0(VALU_DEP_1)
	v_add_f32_e32 v10, v9, v10
.LBB460_26:
	s_or_b32 exec_lo, exec_lo, s15
	s_delay_alu instid0(VALU_DEP_1) | instskip(SKIP_1) | instid1(VALU_DEP_2)
	v_bfe_u32 v9, v10, 16, 1
	v_cmp_o_f32_e64 s14, v10, v10
	v_add3_u32 v9, v10, v9, 0x7fff
	s_delay_alu instid0(VALU_DEP_1) | instskip(SKIP_1) | instid1(VALU_DEP_1)
	v_and_b32_e32 v11, 0xffff0000, v9
	s_wait_alu 0xf1ff
	v_cndmask_b32_e64 v13, 0x7fc00000, v11, s14
	s_delay_alu instid0(VALU_DEP_1) | instskip(NEXT) | instid1(VALU_DEP_1)
	v_dual_max_num_f32 v10, v13, v13 :: v_dual_lshlrev_b32 v9, 16, v2
	v_max_num_f32_e32 v11, v9, v9
	v_cmp_u_f32_e64 s14, v13, v13
	s_delay_alu instid0(VALU_DEP_2) | instskip(SKIP_2) | instid1(VALU_DEP_2)
	v_min_num_f32_e32 v14, v10, v11
	v_max_num_f32_e32 v10, v10, v11
	s_wait_alu 0xf1ff
	v_cndmask_b32_e64 v14, v14, v13, s14
	s_delay_alu instid0(VALU_DEP_2) | instskip(SKIP_2) | instid1(VALU_DEP_1)
	v_cndmask_b32_e64 v10, v10, v13, s14
	v_cmp_u_f32_e64 s14, v9, v9
	s_wait_alu 0xf1ff
	v_cndmask_b32_e64 v14, v14, v9, s14
	s_delay_alu instid0(VALU_DEP_3) | instskip(NEXT) | instid1(VALU_DEP_2)
	v_cndmask_b32_e64 v10, v10, v9, s14
	v_cmp_class_f32_e64 s16, v14, 0x1f8
	s_delay_alu instid0(VALU_DEP_2)
	v_cmp_neq_f32_e64 s15, v14, v10
	s_or_b32 s15, s15, s16
	s_wait_alu 0xfffe
	s_and_saveexec_b32 s16, s15
	s_cbranch_execz .LBB460_28
; %bb.27:
	v_sub_f32_e32 v13, v14, v10
	s_delay_alu instid0(VALU_DEP_1) | instskip(SKIP_1) | instid1(VALU_DEP_2)
	v_mul_f32_e32 v14, 0x3fb8aa3b, v13
	v_cmp_ngt_f32_e64 s15, 0xc2ce8ed0, v13
	v_fma_f32 v15, 0x3fb8aa3b, v13, -v14
	v_rndne_f32_e32 v16, v14
	s_delay_alu instid0(VALU_DEP_1) | instskip(NEXT) | instid1(VALU_DEP_1)
	v_dual_fmamk_f32 v15, v13, 0x32a5705f, v15 :: v_dual_sub_f32 v14, v14, v16
	v_add_f32_e32 v14, v14, v15
	v_cvt_i32_f32_e32 v15, v16
	s_delay_alu instid0(VALU_DEP_2) | instskip(NEXT) | instid1(TRANS32_DEP_1)
	v_exp_f32_e32 v14, v14
	v_ldexp_f32 v14, v14, v15
	s_wait_alu 0xf1ff
	s_delay_alu instid0(VALU_DEP_1) | instskip(SKIP_2) | instid1(VALU_DEP_1)
	v_cndmask_b32_e64 v14, 0, v14, s15
	v_cmp_nlt_f32_e64 s15, 0x42b17218, v13
	s_wait_alu 0xf1ff
	v_cndmask_b32_e64 v15, 0x7f800000, v14, s15
	s_delay_alu instid0(VALU_DEP_1) | instskip(NEXT) | instid1(VALU_DEP_1)
	v_add_f32_e32 v16, 1.0, v15
	v_cvt_f64_f32_e32 v[13:14], v16
	s_delay_alu instid0(VALU_DEP_1) | instskip(SKIP_1) | instid1(VALU_DEP_1)
	v_frexp_exp_i32_f64_e32 v13, v[13:14]
	v_frexp_mant_f32_e32 v14, v16
	v_cmp_gt_f32_e64 s15, 0x3f2aaaab, v14
	v_add_f32_e32 v14, -1.0, v16
	s_delay_alu instid0(VALU_DEP_1)
	v_sub_f32_e32 v18, v14, v16
	v_sub_f32_e32 v14, v15, v14
	s_wait_alu 0xf1ff
	v_subrev_co_ci_u32_e64 v13, null, 0, v13, s15
	s_mov_b32 s15, 0x3e9b6dac
	v_sub_nc_u32_e32 v17, 0, v13
	v_cvt_f32_i32_e32 v13, v13
	s_delay_alu instid0(VALU_DEP_2) | instskip(NEXT) | instid1(VALU_DEP_1)
	v_ldexp_f32 v16, v16, v17
	v_dual_add_f32 v19, 1.0, v16 :: v_dual_add_f32 v18, 1.0, v18
	s_delay_alu instid0(VALU_DEP_1) | instskip(NEXT) | instid1(VALU_DEP_2)
	v_add_f32_e32 v14, v14, v18
	v_add_f32_e32 v18, -1.0, v19
	s_delay_alu instid0(VALU_DEP_2) | instskip(NEXT) | instid1(VALU_DEP_2)
	v_ldexp_f32 v14, v14, v17
	v_dual_add_f32 v17, -1.0, v16 :: v_dual_sub_f32 v18, v16, v18
	s_delay_alu instid0(VALU_DEP_1) | instskip(NEXT) | instid1(VALU_DEP_2)
	v_add_f32_e32 v20, 1.0, v17
	v_add_f32_e32 v18, v14, v18
	s_delay_alu instid0(VALU_DEP_2) | instskip(NEXT) | instid1(VALU_DEP_2)
	v_sub_f32_e32 v16, v16, v20
	v_add_f32_e32 v20, v19, v18
	s_delay_alu instid0(VALU_DEP_2) | instskip(NEXT) | instid1(VALU_DEP_2)
	v_add_f32_e32 v14, v14, v16
	v_rcp_f32_e32 v16, v20
	v_sub_f32_e32 v19, v19, v20
	s_delay_alu instid0(VALU_DEP_1) | instskip(NEXT) | instid1(VALU_DEP_1)
	v_dual_add_f32 v21, v17, v14 :: v_dual_add_f32 v18, v18, v19
	v_sub_f32_e32 v17, v17, v21
	s_delay_alu instid0(TRANS32_DEP_1) | instskip(NEXT) | instid1(VALU_DEP_1)
	v_mul_f32_e32 v22, v21, v16
	v_dual_add_f32 v14, v14, v17 :: v_dual_mul_f32 v23, v20, v22
	s_delay_alu instid0(VALU_DEP_1) | instskip(NEXT) | instid1(VALU_DEP_1)
	v_fma_f32 v19, v22, v20, -v23
	v_fmac_f32_e32 v19, v22, v18
	s_delay_alu instid0(VALU_DEP_1) | instskip(NEXT) | instid1(VALU_DEP_1)
	v_add_f32_e32 v24, v23, v19
	v_sub_f32_e32 v29, v21, v24
	v_sub_f32_e32 v17, v24, v23
	s_delay_alu instid0(VALU_DEP_2) | instskip(NEXT) | instid1(VALU_DEP_2)
	v_sub_f32_e32 v21, v21, v29
	v_sub_f32_e32 v17, v17, v19
	s_delay_alu instid0(VALU_DEP_2) | instskip(NEXT) | instid1(VALU_DEP_1)
	v_sub_f32_e32 v21, v21, v24
	v_add_f32_e32 v14, v14, v21
	s_delay_alu instid0(VALU_DEP_1) | instskip(NEXT) | instid1(VALU_DEP_1)
	v_add_f32_e32 v14, v17, v14
	v_add_f32_e32 v17, v29, v14
	s_delay_alu instid0(VALU_DEP_1) | instskip(NEXT) | instid1(VALU_DEP_1)
	v_mul_f32_e32 v19, v16, v17
	v_dual_sub_f32 v24, v29, v17 :: v_dual_mul_f32 v21, v20, v19
	s_delay_alu instid0(VALU_DEP_1) | instskip(NEXT) | instid1(VALU_DEP_2)
	v_add_f32_e32 v14, v14, v24
	v_fma_f32 v20, v19, v20, -v21
	s_delay_alu instid0(VALU_DEP_1) | instskip(NEXT) | instid1(VALU_DEP_1)
	v_fmac_f32_e32 v20, v19, v18
	v_add_f32_e32 v18, v21, v20
	s_delay_alu instid0(VALU_DEP_1) | instskip(SKIP_1) | instid1(VALU_DEP_2)
	v_sub_f32_e32 v23, v17, v18
	v_sub_f32_e32 v21, v18, v21
	;; [unrolled: 1-line block ×3, first 2 shown]
	s_delay_alu instid0(VALU_DEP_1) | instskip(NEXT) | instid1(VALU_DEP_3)
	v_sub_f32_e32 v17, v17, v18
	v_sub_f32_e32 v18, v21, v20
	s_delay_alu instid0(VALU_DEP_2) | instskip(SKIP_1) | instid1(VALU_DEP_2)
	v_add_f32_e32 v14, v14, v17
	v_add_f32_e32 v17, v22, v19
	;; [unrolled: 1-line block ×3, first 2 shown]
	s_delay_alu instid0(VALU_DEP_2) | instskip(NEXT) | instid1(VALU_DEP_2)
	v_sub_f32_e32 v18, v17, v22
	v_add_f32_e32 v14, v23, v14
	s_delay_alu instid0(VALU_DEP_2) | instskip(NEXT) | instid1(VALU_DEP_2)
	v_sub_f32_e32 v18, v19, v18
	v_mul_f32_e32 v14, v16, v14
	s_delay_alu instid0(VALU_DEP_1) | instskip(NEXT) | instid1(VALU_DEP_1)
	v_add_f32_e32 v14, v18, v14
	v_add_f32_e32 v16, v17, v14
	s_delay_alu instid0(VALU_DEP_1) | instskip(SKIP_1) | instid1(VALU_DEP_1)
	v_mul_f32_e32 v18, v16, v16
	s_wait_alu 0xfffe
	v_fmaak_f32 v19, s15, v18, 0x3ecc95a3
	v_mul_f32_e32 v20, v16, v18
	v_cmp_neq_f32_e64 s15, 0x7f800000, v15
	s_delay_alu instid0(VALU_DEP_3) | instskip(SKIP_2) | instid1(VALU_DEP_3)
	v_fmaak_f32 v18, v18, v19, 0x3f2aaada
	v_ldexp_f32 v19, v16, 1
	v_sub_f32_e32 v16, v16, v17
	v_mul_f32_e32 v18, v20, v18
	v_mul_f32_e32 v20, 0x3f317218, v13
	s_delay_alu instid0(VALU_DEP_2) | instskip(NEXT) | instid1(VALU_DEP_1)
	v_dual_sub_f32 v14, v14, v16 :: v_dual_add_f32 v17, v19, v18
	v_ldexp_f32 v14, v14, 1
	s_delay_alu instid0(VALU_DEP_2) | instskip(NEXT) | instid1(VALU_DEP_4)
	v_sub_f32_e32 v16, v17, v19
	v_fma_f32 v19, 0x3f317218, v13, -v20
	s_delay_alu instid0(VALU_DEP_1) | instskip(NEXT) | instid1(VALU_DEP_1)
	v_dual_sub_f32 v16, v18, v16 :: v_dual_fmamk_f32 v13, v13, 0xb102e308, v19
	v_add_f32_e32 v14, v14, v16
	s_delay_alu instid0(VALU_DEP_2) | instskip(NEXT) | instid1(VALU_DEP_2)
	v_add_f32_e32 v16, v20, v13
	v_add_f32_e32 v18, v17, v14
	s_delay_alu instid0(VALU_DEP_2) | instskip(NEXT) | instid1(VALU_DEP_2)
	v_sub_f32_e32 v20, v16, v20
	v_add_f32_e32 v19, v16, v18
	v_sub_f32_e32 v17, v18, v17
	s_delay_alu instid0(VALU_DEP_3) | instskip(NEXT) | instid1(VALU_DEP_2)
	v_sub_f32_e32 v13, v13, v20
	v_dual_sub_f32 v21, v19, v16 :: v_dual_sub_f32 v14, v14, v17
	s_delay_alu instid0(VALU_DEP_1) | instskip(NEXT) | instid1(VALU_DEP_2)
	v_sub_f32_e32 v22, v19, v21
	v_dual_sub_f32 v17, v18, v21 :: v_dual_add_f32 v18, v13, v14
	s_delay_alu instid0(VALU_DEP_2) | instskip(NEXT) | instid1(VALU_DEP_1)
	v_sub_f32_e32 v16, v16, v22
	v_dual_add_f32 v16, v17, v16 :: v_dual_sub_f32 v17, v18, v13
	s_delay_alu instid0(VALU_DEP_1) | instskip(NEXT) | instid1(VALU_DEP_2)
	v_add_f32_e32 v16, v18, v16
	v_sub_f32_e32 v18, v18, v17
	v_sub_f32_e32 v14, v14, v17
	s_delay_alu instid0(VALU_DEP_2) | instskip(NEXT) | instid1(VALU_DEP_1)
	v_dual_add_f32 v20, v19, v16 :: v_dual_sub_f32 v13, v13, v18
	v_sub_f32_e32 v17, v20, v19
	s_delay_alu instid0(VALU_DEP_2) | instskip(NEXT) | instid1(VALU_DEP_2)
	v_add_f32_e32 v13, v14, v13
	v_sub_f32_e32 v14, v16, v17
	s_delay_alu instid0(VALU_DEP_1) | instskip(NEXT) | instid1(VALU_DEP_1)
	v_add_f32_e32 v13, v13, v14
	v_add_f32_e32 v13, v20, v13
	s_wait_alu 0xf1ff
	s_delay_alu instid0(VALU_DEP_1) | instskip(SKIP_2) | instid1(VALU_DEP_1)
	v_cndmask_b32_e64 v13, 0x7f800000, v13, s15
	v_cmp_gt_f32_e64 s15, 0x33800000, |v15|
	s_wait_alu 0xf1ff
	v_cndmask_b32_e64 v13, v13, v15, s15
	s_delay_alu instid0(VALU_DEP_1)
	v_add_f32_e32 v13, v10, v13
.LBB460_28:
	s_or_b32 exec_lo, exec_lo, s16
	s_delay_alu instid0(VALU_DEP_1) | instskip(SKIP_1) | instid1(VALU_DEP_2)
	v_bfe_u32 v10, v13, 16, 1
	v_cmp_o_f32_e64 s15, v13, v13
	v_add3_u32 v10, v13, v10, 0x7fff
	s_delay_alu instid0(VALU_DEP_1) | instskip(SKIP_1) | instid1(VALU_DEP_1)
	v_and_b32_e32 v10, 0xffff0000, v10
	s_wait_alu 0xf1ff
	v_cndmask_b32_e64 v14, 0x7fc00000, v10, s15
	s_delay_alu instid0(VALU_DEP_1) | instskip(SKIP_2) | instid1(VALU_DEP_2)
	v_max_num_f32_e32 v10, v14, v14
	v_and_b32_e32 v2, 0xffff0000, v2
	v_cmp_u_f32_e64 s15, v14, v14
	v_max_num_f32_e32 v13, v2, v2
	s_delay_alu instid0(VALU_DEP_1) | instskip(SKIP_2) | instid1(VALU_DEP_2)
	v_min_num_f32_e32 v15, v10, v13
	v_max_num_f32_e32 v10, v10, v13
	s_wait_alu 0xf1ff
	v_cndmask_b32_e64 v15, v15, v14, s15
	s_delay_alu instid0(VALU_DEP_2) | instskip(SKIP_2) | instid1(VALU_DEP_1)
	v_cndmask_b32_e64 v10, v10, v14, s15
	v_cmp_u_f32_e64 s15, v2, v2
	s_wait_alu 0xf1ff
	v_cndmask_b32_e64 v15, v15, v2, s15
	s_delay_alu instid0(VALU_DEP_3) | instskip(NEXT) | instid1(VALU_DEP_2)
	v_cndmask_b32_e64 v10, v10, v2, s15
	v_cmp_class_f32_e64 s17, v15, 0x1f8
	s_delay_alu instid0(VALU_DEP_2) | instskip(SKIP_1) | instid1(SALU_CYCLE_1)
	v_cmp_neq_f32_e64 s16, v15, v10
	s_or_b32 s16, s16, s17
	s_and_saveexec_b32 s17, s16
	s_cbranch_execz .LBB460_30
; %bb.29:
	v_sub_f32_e32 v14, v15, v10
	s_delay_alu instid0(VALU_DEP_1) | instskip(SKIP_1) | instid1(VALU_DEP_2)
	v_mul_f32_e32 v15, 0x3fb8aa3b, v14
	v_cmp_ngt_f32_e64 s16, 0xc2ce8ed0, v14
	v_fma_f32 v16, 0x3fb8aa3b, v14, -v15
	v_rndne_f32_e32 v17, v15
	s_delay_alu instid0(VALU_DEP_1) | instskip(NEXT) | instid1(VALU_DEP_1)
	v_dual_fmamk_f32 v16, v14, 0x32a5705f, v16 :: v_dual_sub_f32 v15, v15, v17
	v_add_f32_e32 v15, v15, v16
	v_cvt_i32_f32_e32 v16, v17
	s_delay_alu instid0(VALU_DEP_2) | instskip(NEXT) | instid1(TRANS32_DEP_1)
	v_exp_f32_e32 v15, v15
	v_ldexp_f32 v15, v15, v16
	s_delay_alu instid0(VALU_DEP_1) | instskip(SKIP_2) | instid1(VALU_DEP_1)
	v_cndmask_b32_e64 v15, 0, v15, s16
	v_cmp_nlt_f32_e64 s16, 0x42b17218, v14
	s_wait_alu 0xf1ff
	v_cndmask_b32_e64 v16, 0x7f800000, v15, s16
	s_delay_alu instid0(VALU_DEP_1) | instskip(NEXT) | instid1(VALU_DEP_1)
	v_add_f32_e32 v17, 1.0, v16
	v_cvt_f64_f32_e32 v[14:15], v17
	s_delay_alu instid0(VALU_DEP_1) | instskip(SKIP_1) | instid1(VALU_DEP_1)
	v_frexp_exp_i32_f64_e32 v14, v[14:15]
	v_frexp_mant_f32_e32 v15, v17
	v_cmp_gt_f32_e64 s16, 0x3f2aaaab, v15
	v_add_f32_e32 v15, -1.0, v17
	s_delay_alu instid0(VALU_DEP_1)
	v_sub_f32_e32 v19, v15, v17
	v_sub_f32_e32 v15, v16, v15
	s_wait_alu 0xf1ff
	v_subrev_co_ci_u32_e64 v14, null, 0, v14, s16
	s_mov_b32 s16, 0x3e9b6dac
	v_sub_nc_u32_e32 v18, 0, v14
	v_cvt_f32_i32_e32 v14, v14
	s_delay_alu instid0(VALU_DEP_2) | instskip(NEXT) | instid1(VALU_DEP_1)
	v_ldexp_f32 v17, v17, v18
	v_dual_add_f32 v20, 1.0, v17 :: v_dual_add_f32 v19, 1.0, v19
	s_delay_alu instid0(VALU_DEP_1) | instskip(NEXT) | instid1(VALU_DEP_2)
	v_add_f32_e32 v15, v15, v19
	v_add_f32_e32 v19, -1.0, v20
	s_delay_alu instid0(VALU_DEP_2) | instskip(NEXT) | instid1(VALU_DEP_2)
	v_ldexp_f32 v15, v15, v18
	v_dual_add_f32 v18, -1.0, v17 :: v_dual_sub_f32 v19, v17, v19
	s_delay_alu instid0(VALU_DEP_1) | instskip(NEXT) | instid1(VALU_DEP_2)
	v_add_f32_e32 v21, 1.0, v18
	v_add_f32_e32 v19, v15, v19
	s_delay_alu instid0(VALU_DEP_2) | instskip(NEXT) | instid1(VALU_DEP_2)
	v_sub_f32_e32 v17, v17, v21
	v_add_f32_e32 v21, v20, v19
	s_delay_alu instid0(VALU_DEP_2) | instskip(NEXT) | instid1(VALU_DEP_2)
	v_add_f32_e32 v15, v15, v17
	v_rcp_f32_e32 v17, v21
	v_sub_f32_e32 v20, v20, v21
	s_delay_alu instid0(VALU_DEP_1) | instskip(NEXT) | instid1(VALU_DEP_1)
	v_dual_add_f32 v22, v18, v15 :: v_dual_add_f32 v19, v19, v20
	v_sub_f32_e32 v18, v18, v22
	s_delay_alu instid0(TRANS32_DEP_1) | instskip(NEXT) | instid1(VALU_DEP_1)
	v_mul_f32_e32 v23, v22, v17
	v_dual_add_f32 v15, v15, v18 :: v_dual_mul_f32 v24, v21, v23
	s_delay_alu instid0(VALU_DEP_1) | instskip(NEXT) | instid1(VALU_DEP_1)
	v_fma_f32 v20, v23, v21, -v24
	v_fmac_f32_e32 v20, v23, v19
	s_delay_alu instid0(VALU_DEP_1) | instskip(NEXT) | instid1(VALU_DEP_1)
	v_add_f32_e32 v29, v24, v20
	v_sub_f32_e32 v30, v22, v29
	v_sub_f32_e32 v18, v29, v24
	s_delay_alu instid0(VALU_DEP_2) | instskip(NEXT) | instid1(VALU_DEP_2)
	v_sub_f32_e32 v22, v22, v30
	v_sub_f32_e32 v18, v18, v20
	s_delay_alu instid0(VALU_DEP_2) | instskip(NEXT) | instid1(VALU_DEP_1)
	v_sub_f32_e32 v22, v22, v29
	v_add_f32_e32 v15, v15, v22
	s_delay_alu instid0(VALU_DEP_1) | instskip(NEXT) | instid1(VALU_DEP_1)
	v_add_f32_e32 v15, v18, v15
	v_add_f32_e32 v18, v30, v15
	s_delay_alu instid0(VALU_DEP_1) | instskip(NEXT) | instid1(VALU_DEP_1)
	v_mul_f32_e32 v20, v17, v18
	v_dual_sub_f32 v29, v30, v18 :: v_dual_mul_f32 v22, v21, v20
	s_delay_alu instid0(VALU_DEP_1) | instskip(NEXT) | instid1(VALU_DEP_2)
	v_add_f32_e32 v15, v15, v29
	v_fma_f32 v21, v20, v21, -v22
	s_delay_alu instid0(VALU_DEP_1) | instskip(NEXT) | instid1(VALU_DEP_1)
	v_fmac_f32_e32 v21, v20, v19
	v_add_f32_e32 v19, v22, v21
	s_delay_alu instid0(VALU_DEP_1) | instskip(SKIP_1) | instid1(VALU_DEP_2)
	v_sub_f32_e32 v24, v18, v19
	v_sub_f32_e32 v22, v19, v22
	;; [unrolled: 1-line block ×3, first 2 shown]
	s_delay_alu instid0(VALU_DEP_1) | instskip(NEXT) | instid1(VALU_DEP_3)
	v_sub_f32_e32 v18, v18, v19
	v_sub_f32_e32 v19, v22, v21
	s_delay_alu instid0(VALU_DEP_2) | instskip(SKIP_1) | instid1(VALU_DEP_2)
	v_add_f32_e32 v15, v15, v18
	v_add_f32_e32 v18, v23, v20
	v_add_f32_e32 v15, v19, v15
	s_delay_alu instid0(VALU_DEP_2) | instskip(NEXT) | instid1(VALU_DEP_2)
	v_sub_f32_e32 v19, v18, v23
	v_add_f32_e32 v15, v24, v15
	s_delay_alu instid0(VALU_DEP_2) | instskip(NEXT) | instid1(VALU_DEP_2)
	v_sub_f32_e32 v19, v20, v19
	v_mul_f32_e32 v15, v17, v15
	s_delay_alu instid0(VALU_DEP_1) | instskip(NEXT) | instid1(VALU_DEP_1)
	v_add_f32_e32 v15, v19, v15
	v_add_f32_e32 v17, v18, v15
	s_delay_alu instid0(VALU_DEP_1) | instskip(SKIP_1) | instid1(VALU_DEP_1)
	v_mul_f32_e32 v19, v17, v17
	s_wait_alu 0xfffe
	v_fmaak_f32 v20, s16, v19, 0x3ecc95a3
	v_mul_f32_e32 v21, v17, v19
	v_cmp_neq_f32_e64 s16, 0x7f800000, v16
	s_delay_alu instid0(VALU_DEP_3) | instskip(SKIP_2) | instid1(VALU_DEP_3)
	v_fmaak_f32 v19, v19, v20, 0x3f2aaada
	v_ldexp_f32 v20, v17, 1
	v_sub_f32_e32 v17, v17, v18
	v_mul_f32_e32 v19, v21, v19
	v_mul_f32_e32 v21, 0x3f317218, v14
	s_delay_alu instid0(VALU_DEP_2) | instskip(NEXT) | instid1(VALU_DEP_1)
	v_dual_sub_f32 v15, v15, v17 :: v_dual_add_f32 v18, v20, v19
	v_ldexp_f32 v15, v15, 1
	s_delay_alu instid0(VALU_DEP_2) | instskip(NEXT) | instid1(VALU_DEP_4)
	v_sub_f32_e32 v17, v18, v20
	v_fma_f32 v20, 0x3f317218, v14, -v21
	s_delay_alu instid0(VALU_DEP_1) | instskip(NEXT) | instid1(VALU_DEP_1)
	v_dual_sub_f32 v17, v19, v17 :: v_dual_fmamk_f32 v14, v14, 0xb102e308, v20
	v_add_f32_e32 v15, v15, v17
	s_delay_alu instid0(VALU_DEP_2) | instskip(NEXT) | instid1(VALU_DEP_2)
	v_add_f32_e32 v17, v21, v14
	v_add_f32_e32 v19, v18, v15
	s_delay_alu instid0(VALU_DEP_2) | instskip(NEXT) | instid1(VALU_DEP_2)
	v_sub_f32_e32 v21, v17, v21
	v_add_f32_e32 v20, v17, v19
	v_sub_f32_e32 v18, v19, v18
	s_delay_alu instid0(VALU_DEP_3) | instskip(NEXT) | instid1(VALU_DEP_2)
	v_sub_f32_e32 v14, v14, v21
	v_dual_sub_f32 v22, v20, v17 :: v_dual_sub_f32 v15, v15, v18
	s_delay_alu instid0(VALU_DEP_1) | instskip(NEXT) | instid1(VALU_DEP_2)
	v_sub_f32_e32 v23, v20, v22
	v_dual_sub_f32 v18, v19, v22 :: v_dual_add_f32 v19, v14, v15
	s_delay_alu instid0(VALU_DEP_2) | instskip(NEXT) | instid1(VALU_DEP_1)
	v_sub_f32_e32 v17, v17, v23
	v_dual_add_f32 v17, v18, v17 :: v_dual_sub_f32 v18, v19, v14
	s_delay_alu instid0(VALU_DEP_1) | instskip(NEXT) | instid1(VALU_DEP_2)
	v_add_f32_e32 v17, v19, v17
	v_sub_f32_e32 v19, v19, v18
	v_sub_f32_e32 v15, v15, v18
	s_delay_alu instid0(VALU_DEP_2) | instskip(NEXT) | instid1(VALU_DEP_1)
	v_dual_add_f32 v21, v20, v17 :: v_dual_sub_f32 v14, v14, v19
	v_sub_f32_e32 v18, v21, v20
	s_delay_alu instid0(VALU_DEP_2) | instskip(NEXT) | instid1(VALU_DEP_2)
	v_add_f32_e32 v14, v15, v14
	v_sub_f32_e32 v15, v17, v18
	s_delay_alu instid0(VALU_DEP_1) | instskip(NEXT) | instid1(VALU_DEP_1)
	v_add_f32_e32 v14, v14, v15
	v_add_f32_e32 v14, v21, v14
	s_wait_alu 0xf1ff
	s_delay_alu instid0(VALU_DEP_1) | instskip(SKIP_2) | instid1(VALU_DEP_1)
	v_cndmask_b32_e64 v14, 0x7f800000, v14, s16
	v_cmp_gt_f32_e64 s16, 0x33800000, |v16|
	s_wait_alu 0xf1ff
	v_cndmask_b32_e64 v14, v14, v16, s16
	s_delay_alu instid0(VALU_DEP_1)
	v_add_f32_e32 v14, v10, v14
.LBB460_30:
	s_or_b32 exec_lo, exec_lo, s17
	s_delay_alu instid0(VALU_DEP_1) | instskip(SKIP_1) | instid1(VALU_DEP_2)
	v_bfe_u32 v10, v14, 16, 1
	v_cmp_o_f32_e64 s16, v14, v14
	v_add3_u32 v10, v14, v10, 0x7fff
	s_delay_alu instid0(VALU_DEP_1) | instskip(SKIP_2) | instid1(VALU_DEP_2)
	v_and_b32_e32 v15, 0xffff0000, v10
	v_lshlrev_b32_e32 v10, 16, v3
	s_wait_alu 0xf1ff
	v_cndmask_b32_e64 v16, 0x7fc00000, v15, s16
	s_delay_alu instid0(VALU_DEP_1) | instskip(SKIP_1) | instid1(VALU_DEP_2)
	v_dual_max_num_f32 v15, v10, v10 :: v_dual_max_num_f32 v14, v16, v16
	v_cmp_u_f32_e64 s16, v16, v16
	v_min_num_f32_e32 v17, v14, v15
	v_max_num_f32_e32 v14, v14, v15
	s_wait_alu 0xf1ff
	s_delay_alu instid0(VALU_DEP_2) | instskip(NEXT) | instid1(VALU_DEP_2)
	v_cndmask_b32_e64 v17, v17, v16, s16
	v_cndmask_b32_e64 v14, v14, v16, s16
	v_cmp_u_f32_e64 s16, v10, v10
	s_wait_alu 0xf1ff
	s_delay_alu instid0(VALU_DEP_1) | instskip(NEXT) | instid1(VALU_DEP_3)
	v_cndmask_b32_e64 v17, v17, v10, s16
	v_cndmask_b32_e64 v14, v14, v10, s16
	s_delay_alu instid0(VALU_DEP_2) | instskip(NEXT) | instid1(VALU_DEP_2)
	v_cmp_class_f32_e64 s18, v17, 0x1f8
	v_cmp_neq_f32_e64 s17, v17, v14
	s_or_b32 s17, s17, s18
	s_wait_alu 0xfffe
	s_and_saveexec_b32 s18, s17
	s_cbranch_execz .LBB460_32
; %bb.31:
	v_sub_f32_e32 v16, v17, v14
	s_delay_alu instid0(VALU_DEP_1) | instskip(SKIP_1) | instid1(VALU_DEP_2)
	v_mul_f32_e32 v17, 0x3fb8aa3b, v16
	v_cmp_ngt_f32_e64 s17, 0xc2ce8ed0, v16
	v_fma_f32 v18, 0x3fb8aa3b, v16, -v17
	v_rndne_f32_e32 v19, v17
	s_delay_alu instid0(VALU_DEP_1) | instskip(NEXT) | instid1(VALU_DEP_1)
	v_dual_fmamk_f32 v18, v16, 0x32a5705f, v18 :: v_dual_sub_f32 v17, v17, v19
	v_add_f32_e32 v17, v17, v18
	v_cvt_i32_f32_e32 v18, v19
	s_delay_alu instid0(VALU_DEP_2) | instskip(NEXT) | instid1(TRANS32_DEP_1)
	v_exp_f32_e32 v17, v17
	v_ldexp_f32 v17, v17, v18
	s_wait_alu 0xf1ff
	s_delay_alu instid0(VALU_DEP_1) | instskip(SKIP_2) | instid1(VALU_DEP_1)
	v_cndmask_b32_e64 v17, 0, v17, s17
	v_cmp_nlt_f32_e64 s17, 0x42b17218, v16
	s_wait_alu 0xf1ff
	v_cndmask_b32_e64 v18, 0x7f800000, v17, s17
	s_delay_alu instid0(VALU_DEP_1) | instskip(NEXT) | instid1(VALU_DEP_1)
	v_add_f32_e32 v19, 1.0, v18
	v_cvt_f64_f32_e32 v[16:17], v19
	s_delay_alu instid0(VALU_DEP_1) | instskip(SKIP_1) | instid1(VALU_DEP_1)
	v_frexp_exp_i32_f64_e32 v16, v[16:17]
	v_frexp_mant_f32_e32 v17, v19
	v_cmp_gt_f32_e64 s17, 0x3f2aaaab, v17
	v_add_f32_e32 v17, -1.0, v19
	s_delay_alu instid0(VALU_DEP_1)
	v_sub_f32_e32 v21, v17, v19
	v_sub_f32_e32 v17, v18, v17
	s_wait_alu 0xf1ff
	v_subrev_co_ci_u32_e64 v16, null, 0, v16, s17
	s_mov_b32 s17, 0x3e9b6dac
	v_sub_nc_u32_e32 v20, 0, v16
	v_cvt_f32_i32_e32 v16, v16
	s_delay_alu instid0(VALU_DEP_2) | instskip(NEXT) | instid1(VALU_DEP_1)
	v_ldexp_f32 v19, v19, v20
	v_dual_add_f32 v22, 1.0, v19 :: v_dual_add_f32 v21, 1.0, v21
	s_delay_alu instid0(VALU_DEP_1) | instskip(NEXT) | instid1(VALU_DEP_2)
	v_add_f32_e32 v17, v17, v21
	v_add_f32_e32 v21, -1.0, v22
	s_delay_alu instid0(VALU_DEP_2) | instskip(NEXT) | instid1(VALU_DEP_2)
	v_ldexp_f32 v17, v17, v20
	v_dual_add_f32 v20, -1.0, v19 :: v_dual_sub_f32 v21, v19, v21
	s_delay_alu instid0(VALU_DEP_1) | instskip(NEXT) | instid1(VALU_DEP_2)
	v_add_f32_e32 v23, 1.0, v20
	v_add_f32_e32 v21, v17, v21
	s_delay_alu instid0(VALU_DEP_2) | instskip(NEXT) | instid1(VALU_DEP_2)
	v_sub_f32_e32 v19, v19, v23
	v_add_f32_e32 v23, v22, v21
	s_delay_alu instid0(VALU_DEP_2) | instskip(NEXT) | instid1(VALU_DEP_2)
	v_add_f32_e32 v17, v17, v19
	v_rcp_f32_e32 v19, v23
	v_sub_f32_e32 v22, v22, v23
	s_delay_alu instid0(VALU_DEP_1) | instskip(NEXT) | instid1(VALU_DEP_1)
	v_dual_add_f32 v24, v20, v17 :: v_dual_add_f32 v21, v21, v22
	v_sub_f32_e32 v20, v20, v24
	s_delay_alu instid0(TRANS32_DEP_1) | instskip(NEXT) | instid1(VALU_DEP_1)
	v_mul_f32_e32 v29, v24, v19
	v_dual_add_f32 v17, v17, v20 :: v_dual_mul_f32 v30, v23, v29
	s_delay_alu instid0(VALU_DEP_1) | instskip(NEXT) | instid1(VALU_DEP_1)
	v_fma_f32 v22, v29, v23, -v30
	v_fmac_f32_e32 v22, v29, v21
	s_delay_alu instid0(VALU_DEP_1) | instskip(NEXT) | instid1(VALU_DEP_1)
	v_add_f32_e32 v31, v30, v22
	v_sub_f32_e32 v32, v24, v31
	v_sub_f32_e32 v20, v31, v30
	s_delay_alu instid0(VALU_DEP_2) | instskip(NEXT) | instid1(VALU_DEP_2)
	v_sub_f32_e32 v24, v24, v32
	v_sub_f32_e32 v20, v20, v22
	s_delay_alu instid0(VALU_DEP_2) | instskip(NEXT) | instid1(VALU_DEP_1)
	v_sub_f32_e32 v24, v24, v31
	v_add_f32_e32 v17, v17, v24
	s_delay_alu instid0(VALU_DEP_1) | instskip(NEXT) | instid1(VALU_DEP_1)
	v_add_f32_e32 v17, v20, v17
	v_add_f32_e32 v20, v32, v17
	s_delay_alu instid0(VALU_DEP_1) | instskip(NEXT) | instid1(VALU_DEP_1)
	v_mul_f32_e32 v22, v19, v20
	v_dual_sub_f32 v31, v32, v20 :: v_dual_mul_f32 v24, v23, v22
	s_delay_alu instid0(VALU_DEP_1) | instskip(NEXT) | instid1(VALU_DEP_2)
	v_add_f32_e32 v17, v17, v31
	v_fma_f32 v23, v22, v23, -v24
	s_delay_alu instid0(VALU_DEP_1) | instskip(NEXT) | instid1(VALU_DEP_1)
	v_fmac_f32_e32 v23, v22, v21
	v_add_f32_e32 v21, v24, v23
	s_delay_alu instid0(VALU_DEP_1) | instskip(SKIP_1) | instid1(VALU_DEP_2)
	v_sub_f32_e32 v30, v20, v21
	v_sub_f32_e32 v24, v21, v24
	;; [unrolled: 1-line block ×3, first 2 shown]
	s_delay_alu instid0(VALU_DEP_1) | instskip(NEXT) | instid1(VALU_DEP_3)
	v_sub_f32_e32 v20, v20, v21
	v_sub_f32_e32 v21, v24, v23
	s_delay_alu instid0(VALU_DEP_2) | instskip(SKIP_1) | instid1(VALU_DEP_2)
	v_add_f32_e32 v17, v17, v20
	v_add_f32_e32 v20, v29, v22
	;; [unrolled: 1-line block ×3, first 2 shown]
	s_delay_alu instid0(VALU_DEP_2) | instskip(NEXT) | instid1(VALU_DEP_2)
	v_sub_f32_e32 v21, v20, v29
	v_add_f32_e32 v17, v30, v17
	s_delay_alu instid0(VALU_DEP_2) | instskip(NEXT) | instid1(VALU_DEP_2)
	v_sub_f32_e32 v21, v22, v21
	v_mul_f32_e32 v17, v19, v17
	s_delay_alu instid0(VALU_DEP_1) | instskip(NEXT) | instid1(VALU_DEP_1)
	v_add_f32_e32 v17, v21, v17
	v_add_f32_e32 v19, v20, v17
	s_delay_alu instid0(VALU_DEP_1) | instskip(SKIP_1) | instid1(VALU_DEP_1)
	v_mul_f32_e32 v21, v19, v19
	s_wait_alu 0xfffe
	v_fmaak_f32 v22, s17, v21, 0x3ecc95a3
	v_mul_f32_e32 v23, v19, v21
	v_cmp_neq_f32_e64 s17, 0x7f800000, v18
	s_delay_alu instid0(VALU_DEP_3) | instskip(SKIP_2) | instid1(VALU_DEP_3)
	v_fmaak_f32 v21, v21, v22, 0x3f2aaada
	v_ldexp_f32 v22, v19, 1
	v_sub_f32_e32 v19, v19, v20
	v_mul_f32_e32 v21, v23, v21
	v_mul_f32_e32 v23, 0x3f317218, v16
	s_delay_alu instid0(VALU_DEP_2) | instskip(NEXT) | instid1(VALU_DEP_1)
	v_dual_sub_f32 v17, v17, v19 :: v_dual_add_f32 v20, v22, v21
	v_ldexp_f32 v17, v17, 1
	s_delay_alu instid0(VALU_DEP_2) | instskip(NEXT) | instid1(VALU_DEP_4)
	v_sub_f32_e32 v19, v20, v22
	v_fma_f32 v22, 0x3f317218, v16, -v23
	s_delay_alu instid0(VALU_DEP_1) | instskip(NEXT) | instid1(VALU_DEP_1)
	v_dual_sub_f32 v19, v21, v19 :: v_dual_fmamk_f32 v16, v16, 0xb102e308, v22
	v_add_f32_e32 v17, v17, v19
	s_delay_alu instid0(VALU_DEP_2) | instskip(NEXT) | instid1(VALU_DEP_2)
	v_add_f32_e32 v19, v23, v16
	v_add_f32_e32 v21, v20, v17
	s_delay_alu instid0(VALU_DEP_2) | instskip(NEXT) | instid1(VALU_DEP_2)
	v_sub_f32_e32 v23, v19, v23
	v_add_f32_e32 v22, v19, v21
	v_sub_f32_e32 v20, v21, v20
	s_delay_alu instid0(VALU_DEP_3) | instskip(NEXT) | instid1(VALU_DEP_2)
	v_sub_f32_e32 v16, v16, v23
	v_dual_sub_f32 v24, v22, v19 :: v_dual_sub_f32 v17, v17, v20
	s_delay_alu instid0(VALU_DEP_1) | instskip(NEXT) | instid1(VALU_DEP_2)
	v_sub_f32_e32 v29, v22, v24
	v_dual_sub_f32 v20, v21, v24 :: v_dual_add_f32 v21, v16, v17
	s_delay_alu instid0(VALU_DEP_2) | instskip(NEXT) | instid1(VALU_DEP_1)
	v_sub_f32_e32 v19, v19, v29
	v_dual_add_f32 v19, v20, v19 :: v_dual_sub_f32 v20, v21, v16
	s_delay_alu instid0(VALU_DEP_1) | instskip(NEXT) | instid1(VALU_DEP_2)
	v_add_f32_e32 v19, v21, v19
	v_sub_f32_e32 v21, v21, v20
	v_sub_f32_e32 v17, v17, v20
	s_delay_alu instid0(VALU_DEP_2) | instskip(NEXT) | instid1(VALU_DEP_1)
	v_dual_add_f32 v23, v22, v19 :: v_dual_sub_f32 v16, v16, v21
	v_sub_f32_e32 v20, v23, v22
	s_delay_alu instid0(VALU_DEP_2) | instskip(NEXT) | instid1(VALU_DEP_2)
	v_add_f32_e32 v16, v17, v16
	v_sub_f32_e32 v17, v19, v20
	s_delay_alu instid0(VALU_DEP_1) | instskip(NEXT) | instid1(VALU_DEP_1)
	v_add_f32_e32 v16, v16, v17
	v_add_f32_e32 v16, v23, v16
	s_wait_alu 0xf1ff
	s_delay_alu instid0(VALU_DEP_1) | instskip(SKIP_2) | instid1(VALU_DEP_1)
	v_cndmask_b32_e64 v16, 0x7f800000, v16, s17
	v_cmp_gt_f32_e64 s17, 0x33800000, |v18|
	s_wait_alu 0xf1ff
	v_cndmask_b32_e64 v16, v16, v18, s17
	s_delay_alu instid0(VALU_DEP_1)
	v_add_f32_e32 v16, v14, v16
.LBB460_32:
	s_wait_alu 0xfffe
	s_or_b32 exec_lo, exec_lo, s18
	s_delay_alu instid0(VALU_DEP_1) | instskip(SKIP_1) | instid1(VALU_DEP_2)
	v_bfe_u32 v14, v16, 16, 1
	v_cmp_o_f32_e64 s17, v16, v16
	v_add3_u32 v14, v16, v14, 0x7fff
	s_delay_alu instid0(VALU_DEP_1) | instskip(SKIP_1) | instid1(VALU_DEP_1)
	v_and_b32_e32 v14, 0xffff0000, v14
	s_wait_alu 0xf1ff
	v_cndmask_b32_e64 v17, 0x7fc00000, v14, s17
	s_delay_alu instid0(VALU_DEP_1) | instskip(NEXT) | instid1(VALU_DEP_1)
	v_dual_max_num_f32 v14, v17, v17 :: v_dual_and_b32 v3, 0xffff0000, v3
	v_max_num_f32_e32 v16, v3, v3
	v_cmp_u_f32_e64 s17, v17, v17
	s_delay_alu instid0(VALU_DEP_2) | instskip(SKIP_2) | instid1(VALU_DEP_2)
	v_min_num_f32_e32 v18, v14, v16
	v_max_num_f32_e32 v14, v14, v16
	s_wait_alu 0xf1ff
	v_cndmask_b32_e64 v18, v18, v17, s17
	s_delay_alu instid0(VALU_DEP_2) | instskip(SKIP_2) | instid1(VALU_DEP_1)
	v_cndmask_b32_e64 v14, v14, v17, s17
	v_cmp_u_f32_e64 s17, v3, v3
	s_wait_alu 0xf1ff
	v_cndmask_b32_e64 v18, v18, v3, s17
	s_delay_alu instid0(VALU_DEP_3) | instskip(NEXT) | instid1(VALU_DEP_2)
	v_cndmask_b32_e64 v14, v14, v3, s17
	v_cmp_class_f32_e64 s19, v18, 0x1f8
	s_delay_alu instid0(VALU_DEP_2)
	v_cmp_neq_f32_e64 s18, v18, v14
	s_or_b32 s18, s18, s19
	s_wait_alu 0xfffe
	s_and_saveexec_b32 s19, s18
	s_cbranch_execz .LBB460_34
; %bb.33:
	v_sub_f32_e32 v17, v18, v14
	s_delay_alu instid0(VALU_DEP_1) | instskip(SKIP_1) | instid1(VALU_DEP_2)
	v_mul_f32_e32 v18, 0x3fb8aa3b, v17
	v_cmp_ngt_f32_e64 s18, 0xc2ce8ed0, v17
	v_fma_f32 v19, 0x3fb8aa3b, v17, -v18
	v_rndne_f32_e32 v20, v18
	s_delay_alu instid0(VALU_DEP_1) | instskip(NEXT) | instid1(VALU_DEP_1)
	v_dual_fmamk_f32 v19, v17, 0x32a5705f, v19 :: v_dual_sub_f32 v18, v18, v20
	v_add_f32_e32 v18, v18, v19
	v_cvt_i32_f32_e32 v19, v20
	s_delay_alu instid0(VALU_DEP_2) | instskip(NEXT) | instid1(TRANS32_DEP_1)
	v_exp_f32_e32 v18, v18
	v_ldexp_f32 v18, v18, v19
	s_wait_alu 0xf1ff
	s_delay_alu instid0(VALU_DEP_1) | instskip(SKIP_2) | instid1(VALU_DEP_1)
	v_cndmask_b32_e64 v18, 0, v18, s18
	v_cmp_nlt_f32_e64 s18, 0x42b17218, v17
	s_wait_alu 0xf1ff
	v_cndmask_b32_e64 v19, 0x7f800000, v18, s18
	s_delay_alu instid0(VALU_DEP_1) | instskip(NEXT) | instid1(VALU_DEP_1)
	v_add_f32_e32 v20, 1.0, v19
	v_cvt_f64_f32_e32 v[17:18], v20
	s_delay_alu instid0(VALU_DEP_1) | instskip(SKIP_1) | instid1(VALU_DEP_1)
	v_frexp_exp_i32_f64_e32 v17, v[17:18]
	v_frexp_mant_f32_e32 v18, v20
	v_cmp_gt_f32_e64 s18, 0x3f2aaaab, v18
	v_add_f32_e32 v18, -1.0, v20
	s_delay_alu instid0(VALU_DEP_1)
	v_sub_f32_e32 v22, v18, v20
	v_sub_f32_e32 v18, v19, v18
	s_wait_alu 0xf1ff
	v_subrev_co_ci_u32_e64 v17, null, 0, v17, s18
	s_mov_b32 s18, 0x3e9b6dac
	v_sub_nc_u32_e32 v21, 0, v17
	v_cvt_f32_i32_e32 v17, v17
	s_delay_alu instid0(VALU_DEP_2) | instskip(NEXT) | instid1(VALU_DEP_1)
	v_ldexp_f32 v20, v20, v21
	v_dual_add_f32 v23, 1.0, v20 :: v_dual_add_f32 v22, 1.0, v22
	s_delay_alu instid0(VALU_DEP_1) | instskip(NEXT) | instid1(VALU_DEP_2)
	v_add_f32_e32 v18, v18, v22
	v_add_f32_e32 v22, -1.0, v23
	s_delay_alu instid0(VALU_DEP_2) | instskip(NEXT) | instid1(VALU_DEP_2)
	v_ldexp_f32 v18, v18, v21
	v_dual_add_f32 v21, -1.0, v20 :: v_dual_sub_f32 v22, v20, v22
	s_delay_alu instid0(VALU_DEP_1) | instskip(NEXT) | instid1(VALU_DEP_2)
	v_add_f32_e32 v24, 1.0, v21
	v_add_f32_e32 v22, v18, v22
	s_delay_alu instid0(VALU_DEP_2) | instskip(NEXT) | instid1(VALU_DEP_2)
	v_sub_f32_e32 v20, v20, v24
	v_add_f32_e32 v24, v23, v22
	s_delay_alu instid0(VALU_DEP_2) | instskip(NEXT) | instid1(VALU_DEP_2)
	v_add_f32_e32 v18, v18, v20
	v_rcp_f32_e32 v20, v24
	v_sub_f32_e32 v23, v23, v24
	s_delay_alu instid0(VALU_DEP_1) | instskip(NEXT) | instid1(VALU_DEP_1)
	v_dual_add_f32 v29, v21, v18 :: v_dual_add_f32 v22, v22, v23
	v_sub_f32_e32 v21, v21, v29
	s_delay_alu instid0(TRANS32_DEP_1) | instskip(NEXT) | instid1(VALU_DEP_1)
	v_mul_f32_e32 v30, v29, v20
	v_dual_add_f32 v18, v18, v21 :: v_dual_mul_f32 v31, v24, v30
	s_delay_alu instid0(VALU_DEP_1) | instskip(NEXT) | instid1(VALU_DEP_1)
	v_fma_f32 v23, v30, v24, -v31
	v_fmac_f32_e32 v23, v30, v22
	s_delay_alu instid0(VALU_DEP_1) | instskip(NEXT) | instid1(VALU_DEP_1)
	v_add_f32_e32 v32, v31, v23
	v_sub_f32_e32 v33, v29, v32
	v_sub_f32_e32 v21, v32, v31
	s_delay_alu instid0(VALU_DEP_2) | instskip(NEXT) | instid1(VALU_DEP_2)
	v_sub_f32_e32 v29, v29, v33
	v_sub_f32_e32 v21, v21, v23
	s_delay_alu instid0(VALU_DEP_2) | instskip(NEXT) | instid1(VALU_DEP_1)
	v_sub_f32_e32 v29, v29, v32
	v_add_f32_e32 v18, v18, v29
	s_delay_alu instid0(VALU_DEP_1) | instskip(NEXT) | instid1(VALU_DEP_1)
	v_add_f32_e32 v18, v21, v18
	v_add_f32_e32 v21, v33, v18
	s_delay_alu instid0(VALU_DEP_1) | instskip(NEXT) | instid1(VALU_DEP_1)
	v_mul_f32_e32 v23, v20, v21
	v_dual_sub_f32 v32, v33, v21 :: v_dual_mul_f32 v29, v24, v23
	s_delay_alu instid0(VALU_DEP_1) | instskip(NEXT) | instid1(VALU_DEP_2)
	v_add_f32_e32 v18, v18, v32
	v_fma_f32 v24, v23, v24, -v29
	s_delay_alu instid0(VALU_DEP_1) | instskip(NEXT) | instid1(VALU_DEP_1)
	v_fmac_f32_e32 v24, v23, v22
	v_add_f32_e32 v22, v29, v24
	s_delay_alu instid0(VALU_DEP_1) | instskip(SKIP_1) | instid1(VALU_DEP_2)
	v_sub_f32_e32 v31, v21, v22
	v_sub_f32_e32 v29, v22, v29
	;; [unrolled: 1-line block ×3, first 2 shown]
	s_delay_alu instid0(VALU_DEP_1) | instskip(NEXT) | instid1(VALU_DEP_3)
	v_sub_f32_e32 v21, v21, v22
	v_sub_f32_e32 v22, v29, v24
	s_delay_alu instid0(VALU_DEP_2) | instskip(SKIP_1) | instid1(VALU_DEP_2)
	v_add_f32_e32 v18, v18, v21
	v_add_f32_e32 v21, v30, v23
	;; [unrolled: 1-line block ×3, first 2 shown]
	s_delay_alu instid0(VALU_DEP_2) | instskip(NEXT) | instid1(VALU_DEP_2)
	v_sub_f32_e32 v22, v21, v30
	v_add_f32_e32 v18, v31, v18
	s_delay_alu instid0(VALU_DEP_2) | instskip(NEXT) | instid1(VALU_DEP_2)
	v_sub_f32_e32 v22, v23, v22
	v_mul_f32_e32 v18, v20, v18
	s_delay_alu instid0(VALU_DEP_1) | instskip(NEXT) | instid1(VALU_DEP_1)
	v_add_f32_e32 v18, v22, v18
	v_add_f32_e32 v20, v21, v18
	s_delay_alu instid0(VALU_DEP_1) | instskip(SKIP_1) | instid1(VALU_DEP_1)
	v_mul_f32_e32 v22, v20, v20
	s_wait_alu 0xfffe
	v_fmaak_f32 v23, s18, v22, 0x3ecc95a3
	v_mul_f32_e32 v24, v20, v22
	v_cmp_neq_f32_e64 s18, 0x7f800000, v19
	s_delay_alu instid0(VALU_DEP_3) | instskip(SKIP_2) | instid1(VALU_DEP_3)
	v_fmaak_f32 v22, v22, v23, 0x3f2aaada
	v_ldexp_f32 v23, v20, 1
	v_sub_f32_e32 v20, v20, v21
	v_mul_f32_e32 v22, v24, v22
	v_mul_f32_e32 v24, 0x3f317218, v17
	s_delay_alu instid0(VALU_DEP_2) | instskip(NEXT) | instid1(VALU_DEP_1)
	v_dual_sub_f32 v18, v18, v20 :: v_dual_add_f32 v21, v23, v22
	v_ldexp_f32 v18, v18, 1
	s_delay_alu instid0(VALU_DEP_2) | instskip(NEXT) | instid1(VALU_DEP_4)
	v_sub_f32_e32 v20, v21, v23
	v_fma_f32 v23, 0x3f317218, v17, -v24
	s_delay_alu instid0(VALU_DEP_1) | instskip(NEXT) | instid1(VALU_DEP_1)
	v_dual_sub_f32 v20, v22, v20 :: v_dual_fmamk_f32 v17, v17, 0xb102e308, v23
	v_add_f32_e32 v18, v18, v20
	s_delay_alu instid0(VALU_DEP_2) | instskip(NEXT) | instid1(VALU_DEP_2)
	v_add_f32_e32 v20, v24, v17
	v_add_f32_e32 v22, v21, v18
	s_delay_alu instid0(VALU_DEP_2) | instskip(NEXT) | instid1(VALU_DEP_2)
	v_sub_f32_e32 v24, v20, v24
	v_add_f32_e32 v23, v20, v22
	v_sub_f32_e32 v21, v22, v21
	s_delay_alu instid0(VALU_DEP_3) | instskip(NEXT) | instid1(VALU_DEP_2)
	v_sub_f32_e32 v17, v17, v24
	v_dual_sub_f32 v29, v23, v20 :: v_dual_sub_f32 v18, v18, v21
	s_delay_alu instid0(VALU_DEP_1) | instskip(NEXT) | instid1(VALU_DEP_2)
	v_sub_f32_e32 v30, v23, v29
	v_dual_sub_f32 v21, v22, v29 :: v_dual_add_f32 v22, v17, v18
	s_delay_alu instid0(VALU_DEP_2) | instskip(NEXT) | instid1(VALU_DEP_1)
	v_sub_f32_e32 v20, v20, v30
	v_dual_add_f32 v20, v21, v20 :: v_dual_sub_f32 v21, v22, v17
	s_delay_alu instid0(VALU_DEP_1) | instskip(NEXT) | instid1(VALU_DEP_2)
	v_add_f32_e32 v20, v22, v20
	v_sub_f32_e32 v22, v22, v21
	v_sub_f32_e32 v18, v18, v21
	s_delay_alu instid0(VALU_DEP_2) | instskip(NEXT) | instid1(VALU_DEP_1)
	v_dual_add_f32 v24, v23, v20 :: v_dual_sub_f32 v17, v17, v22
	v_sub_f32_e32 v21, v24, v23
	s_delay_alu instid0(VALU_DEP_2) | instskip(NEXT) | instid1(VALU_DEP_2)
	v_add_f32_e32 v17, v18, v17
	v_sub_f32_e32 v18, v20, v21
	s_delay_alu instid0(VALU_DEP_1) | instskip(NEXT) | instid1(VALU_DEP_1)
	v_add_f32_e32 v17, v17, v18
	v_add_f32_e32 v17, v24, v17
	s_wait_alu 0xf1ff
	s_delay_alu instid0(VALU_DEP_1) | instskip(SKIP_2) | instid1(VALU_DEP_1)
	v_cndmask_b32_e64 v17, 0x7f800000, v17, s18
	v_cmp_gt_f32_e64 s18, 0x33800000, |v19|
	s_wait_alu 0xf1ff
	v_cndmask_b32_e64 v17, v17, v19, s18
	s_delay_alu instid0(VALU_DEP_1)
	v_add_f32_e32 v17, v14, v17
.LBB460_34:
	s_wait_alu 0xfffe
	s_or_b32 exec_lo, exec_lo, s19
	s_delay_alu instid0(VALU_DEP_1) | instskip(SKIP_1) | instid1(VALU_DEP_2)
	v_bfe_u32 v14, v17, 16, 1
	v_cmp_o_f32_e64 s18, v17, v17
	v_add3_u32 v14, v17, v14, 0x7fff
	s_delay_alu instid0(VALU_DEP_1) | instskip(SKIP_1) | instid1(VALU_DEP_1)
	v_and_b32_e32 v18, 0xffff0000, v14
	s_wait_alu 0xf1ff
	v_cndmask_b32_e64 v19, 0x7fc00000, v18, s18
	s_delay_alu instid0(VALU_DEP_1) | instskip(SKIP_1) | instid1(VALU_DEP_2)
	v_dual_max_num_f32 v17, v19, v19 :: v_dual_lshlrev_b32 v14, 16, v4
	v_cmp_u_f32_e64 s18, v19, v19
	v_max_num_f32_e32 v18, v14, v14
	s_delay_alu instid0(VALU_DEP_1) | instskip(SKIP_2) | instid1(VALU_DEP_2)
	v_min_num_f32_e32 v20, v17, v18
	v_max_num_f32_e32 v17, v17, v18
	s_wait_alu 0xf1ff
	v_cndmask_b32_e64 v20, v20, v19, s18
	s_delay_alu instid0(VALU_DEP_2) | instskip(SKIP_2) | instid1(VALU_DEP_1)
	v_cndmask_b32_e64 v17, v17, v19, s18
	v_cmp_u_f32_e64 s18, v14, v14
	s_wait_alu 0xf1ff
	v_cndmask_b32_e64 v20, v20, v14, s18
	s_delay_alu instid0(VALU_DEP_3) | instskip(NEXT) | instid1(VALU_DEP_2)
	v_cndmask_b32_e64 v17, v17, v14, s18
	v_cmp_class_f32_e64 s20, v20, 0x1f8
	s_delay_alu instid0(VALU_DEP_2)
	v_cmp_neq_f32_e64 s19, v20, v17
	s_or_b32 s19, s19, s20
	s_wait_alu 0xfffe
	s_and_saveexec_b32 s20, s19
	s_cbranch_execz .LBB460_36
; %bb.35:
	v_sub_f32_e32 v19, v20, v17
	s_delay_alu instid0(VALU_DEP_1) | instskip(SKIP_1) | instid1(VALU_DEP_2)
	v_mul_f32_e32 v20, 0x3fb8aa3b, v19
	v_cmp_ngt_f32_e64 s19, 0xc2ce8ed0, v19
	v_fma_f32 v21, 0x3fb8aa3b, v19, -v20
	v_rndne_f32_e32 v22, v20
	s_delay_alu instid0(VALU_DEP_1) | instskip(NEXT) | instid1(VALU_DEP_1)
	v_dual_fmamk_f32 v21, v19, 0x32a5705f, v21 :: v_dual_sub_f32 v20, v20, v22
	v_add_f32_e32 v20, v20, v21
	v_cvt_i32_f32_e32 v21, v22
	s_delay_alu instid0(VALU_DEP_2) | instskip(NEXT) | instid1(TRANS32_DEP_1)
	v_exp_f32_e32 v20, v20
	v_ldexp_f32 v20, v20, v21
	s_wait_alu 0xf1ff
	s_delay_alu instid0(VALU_DEP_1) | instskip(SKIP_2) | instid1(VALU_DEP_1)
	v_cndmask_b32_e64 v20, 0, v20, s19
	v_cmp_nlt_f32_e64 s19, 0x42b17218, v19
	s_wait_alu 0xf1ff
	v_cndmask_b32_e64 v21, 0x7f800000, v20, s19
	s_delay_alu instid0(VALU_DEP_1) | instskip(NEXT) | instid1(VALU_DEP_1)
	v_add_f32_e32 v22, 1.0, v21
	v_cvt_f64_f32_e32 v[19:20], v22
	s_delay_alu instid0(VALU_DEP_1) | instskip(SKIP_1) | instid1(VALU_DEP_1)
	v_frexp_exp_i32_f64_e32 v19, v[19:20]
	v_frexp_mant_f32_e32 v20, v22
	v_cmp_gt_f32_e64 s19, 0x3f2aaaab, v20
	v_add_f32_e32 v20, -1.0, v22
	s_delay_alu instid0(VALU_DEP_1)
	v_sub_f32_e32 v24, v20, v22
	v_sub_f32_e32 v20, v21, v20
	s_wait_alu 0xf1ff
	v_subrev_co_ci_u32_e64 v19, null, 0, v19, s19
	s_mov_b32 s19, 0x3e9b6dac
	v_sub_nc_u32_e32 v23, 0, v19
	v_cvt_f32_i32_e32 v19, v19
	s_delay_alu instid0(VALU_DEP_2) | instskip(NEXT) | instid1(VALU_DEP_1)
	v_ldexp_f32 v22, v22, v23
	v_dual_add_f32 v29, 1.0, v22 :: v_dual_add_f32 v24, 1.0, v24
	s_delay_alu instid0(VALU_DEP_1) | instskip(NEXT) | instid1(VALU_DEP_2)
	v_add_f32_e32 v20, v20, v24
	v_add_f32_e32 v24, -1.0, v29
	s_delay_alu instid0(VALU_DEP_2) | instskip(NEXT) | instid1(VALU_DEP_2)
	v_ldexp_f32 v20, v20, v23
	v_dual_add_f32 v23, -1.0, v22 :: v_dual_sub_f32 v24, v22, v24
	s_delay_alu instid0(VALU_DEP_1) | instskip(NEXT) | instid1(VALU_DEP_2)
	v_add_f32_e32 v30, 1.0, v23
	v_add_f32_e32 v24, v20, v24
	s_delay_alu instid0(VALU_DEP_2) | instskip(NEXT) | instid1(VALU_DEP_2)
	v_sub_f32_e32 v22, v22, v30
	v_add_f32_e32 v30, v29, v24
	s_delay_alu instid0(VALU_DEP_2) | instskip(NEXT) | instid1(VALU_DEP_2)
	v_add_f32_e32 v20, v20, v22
	v_rcp_f32_e32 v22, v30
	v_sub_f32_e32 v29, v29, v30
	s_delay_alu instid0(VALU_DEP_1) | instskip(NEXT) | instid1(VALU_DEP_1)
	v_dual_add_f32 v31, v23, v20 :: v_dual_add_f32 v24, v24, v29
	v_sub_f32_e32 v23, v23, v31
	s_delay_alu instid0(TRANS32_DEP_1) | instskip(NEXT) | instid1(VALU_DEP_1)
	v_mul_f32_e32 v32, v31, v22
	v_dual_add_f32 v20, v20, v23 :: v_dual_mul_f32 v33, v30, v32
	s_delay_alu instid0(VALU_DEP_1) | instskip(NEXT) | instid1(VALU_DEP_1)
	v_fma_f32 v29, v32, v30, -v33
	v_fmac_f32_e32 v29, v32, v24
	s_delay_alu instid0(VALU_DEP_1) | instskip(NEXT) | instid1(VALU_DEP_1)
	v_add_f32_e32 v34, v33, v29
	v_sub_f32_e32 v35, v31, v34
	v_sub_f32_e32 v23, v34, v33
	s_delay_alu instid0(VALU_DEP_2) | instskip(NEXT) | instid1(VALU_DEP_2)
	v_sub_f32_e32 v31, v31, v35
	v_sub_f32_e32 v23, v23, v29
	s_delay_alu instid0(VALU_DEP_2) | instskip(NEXT) | instid1(VALU_DEP_1)
	v_sub_f32_e32 v31, v31, v34
	v_add_f32_e32 v20, v20, v31
	s_delay_alu instid0(VALU_DEP_1) | instskip(NEXT) | instid1(VALU_DEP_1)
	v_add_f32_e32 v20, v23, v20
	v_add_f32_e32 v23, v35, v20
	s_delay_alu instid0(VALU_DEP_1) | instskip(NEXT) | instid1(VALU_DEP_1)
	v_mul_f32_e32 v29, v22, v23
	v_dual_sub_f32 v34, v35, v23 :: v_dual_mul_f32 v31, v30, v29
	s_delay_alu instid0(VALU_DEP_1) | instskip(NEXT) | instid1(VALU_DEP_2)
	v_add_f32_e32 v20, v20, v34
	v_fma_f32 v30, v29, v30, -v31
	s_delay_alu instid0(VALU_DEP_1) | instskip(NEXT) | instid1(VALU_DEP_1)
	v_fmac_f32_e32 v30, v29, v24
	v_add_f32_e32 v24, v31, v30
	s_delay_alu instid0(VALU_DEP_1) | instskip(SKIP_1) | instid1(VALU_DEP_2)
	v_sub_f32_e32 v33, v23, v24
	v_sub_f32_e32 v31, v24, v31
	;; [unrolled: 1-line block ×3, first 2 shown]
	s_delay_alu instid0(VALU_DEP_1) | instskip(NEXT) | instid1(VALU_DEP_3)
	v_sub_f32_e32 v23, v23, v24
	v_sub_f32_e32 v24, v31, v30
	s_delay_alu instid0(VALU_DEP_2) | instskip(SKIP_1) | instid1(VALU_DEP_2)
	v_add_f32_e32 v20, v20, v23
	v_add_f32_e32 v23, v32, v29
	;; [unrolled: 1-line block ×3, first 2 shown]
	s_delay_alu instid0(VALU_DEP_2) | instskip(NEXT) | instid1(VALU_DEP_2)
	v_sub_f32_e32 v24, v23, v32
	v_add_f32_e32 v20, v33, v20
	s_delay_alu instid0(VALU_DEP_2) | instskip(NEXT) | instid1(VALU_DEP_2)
	v_sub_f32_e32 v24, v29, v24
	v_mul_f32_e32 v20, v22, v20
	s_delay_alu instid0(VALU_DEP_1) | instskip(NEXT) | instid1(VALU_DEP_1)
	v_add_f32_e32 v20, v24, v20
	v_add_f32_e32 v22, v23, v20
	s_delay_alu instid0(VALU_DEP_1) | instskip(SKIP_1) | instid1(VALU_DEP_1)
	v_mul_f32_e32 v24, v22, v22
	s_wait_alu 0xfffe
	v_fmaak_f32 v29, s19, v24, 0x3ecc95a3
	v_mul_f32_e32 v30, v22, v24
	v_cmp_neq_f32_e64 s19, 0x7f800000, v21
	s_delay_alu instid0(VALU_DEP_3) | instskip(SKIP_2) | instid1(VALU_DEP_3)
	v_fmaak_f32 v24, v24, v29, 0x3f2aaada
	v_ldexp_f32 v29, v22, 1
	v_sub_f32_e32 v22, v22, v23
	v_mul_f32_e32 v24, v30, v24
	v_mul_f32_e32 v30, 0x3f317218, v19
	s_delay_alu instid0(VALU_DEP_2) | instskip(NEXT) | instid1(VALU_DEP_1)
	v_dual_sub_f32 v20, v20, v22 :: v_dual_add_f32 v23, v29, v24
	v_ldexp_f32 v20, v20, 1
	s_delay_alu instid0(VALU_DEP_2) | instskip(NEXT) | instid1(VALU_DEP_4)
	v_sub_f32_e32 v22, v23, v29
	v_fma_f32 v29, 0x3f317218, v19, -v30
	s_delay_alu instid0(VALU_DEP_1) | instskip(NEXT) | instid1(VALU_DEP_1)
	v_dual_sub_f32 v22, v24, v22 :: v_dual_fmamk_f32 v19, v19, 0xb102e308, v29
	v_add_f32_e32 v20, v20, v22
	s_delay_alu instid0(VALU_DEP_2) | instskip(NEXT) | instid1(VALU_DEP_2)
	v_add_f32_e32 v22, v30, v19
	v_add_f32_e32 v24, v23, v20
	s_delay_alu instid0(VALU_DEP_2) | instskip(NEXT) | instid1(VALU_DEP_2)
	v_sub_f32_e32 v30, v22, v30
	v_add_f32_e32 v29, v22, v24
	v_sub_f32_e32 v23, v24, v23
	s_delay_alu instid0(VALU_DEP_3) | instskip(NEXT) | instid1(VALU_DEP_2)
	v_sub_f32_e32 v19, v19, v30
	v_dual_sub_f32 v31, v29, v22 :: v_dual_sub_f32 v20, v20, v23
	s_delay_alu instid0(VALU_DEP_1) | instskip(NEXT) | instid1(VALU_DEP_2)
	v_sub_f32_e32 v32, v29, v31
	v_dual_sub_f32 v23, v24, v31 :: v_dual_add_f32 v24, v19, v20
	s_delay_alu instid0(VALU_DEP_2) | instskip(NEXT) | instid1(VALU_DEP_1)
	v_sub_f32_e32 v22, v22, v32
	v_dual_add_f32 v22, v23, v22 :: v_dual_sub_f32 v23, v24, v19
	s_delay_alu instid0(VALU_DEP_1) | instskip(NEXT) | instid1(VALU_DEP_2)
	v_add_f32_e32 v22, v24, v22
	v_sub_f32_e32 v24, v24, v23
	v_sub_f32_e32 v20, v20, v23
	s_delay_alu instid0(VALU_DEP_2) | instskip(NEXT) | instid1(VALU_DEP_1)
	v_dual_add_f32 v30, v29, v22 :: v_dual_sub_f32 v19, v19, v24
	v_sub_f32_e32 v23, v30, v29
	s_delay_alu instid0(VALU_DEP_2) | instskip(NEXT) | instid1(VALU_DEP_2)
	v_add_f32_e32 v19, v20, v19
	v_sub_f32_e32 v20, v22, v23
	s_delay_alu instid0(VALU_DEP_1) | instskip(NEXT) | instid1(VALU_DEP_1)
	v_add_f32_e32 v19, v19, v20
	v_add_f32_e32 v19, v30, v19
	s_wait_alu 0xf1ff
	s_delay_alu instid0(VALU_DEP_1) | instskip(SKIP_2) | instid1(VALU_DEP_1)
	v_cndmask_b32_e64 v19, 0x7f800000, v19, s19
	v_cmp_gt_f32_e64 s19, 0x33800000, |v21|
	s_wait_alu 0xf1ff
	v_cndmask_b32_e64 v19, v19, v21, s19
	s_delay_alu instid0(VALU_DEP_1)
	v_add_f32_e32 v19, v17, v19
.LBB460_36:
	s_or_b32 exec_lo, exec_lo, s20
	s_delay_alu instid0(VALU_DEP_1) | instskip(SKIP_1) | instid1(VALU_DEP_2)
	v_bfe_u32 v17, v19, 16, 1
	v_cmp_o_f32_e64 s19, v19, v19
	v_add3_u32 v17, v19, v17, 0x7fff
	s_delay_alu instid0(VALU_DEP_1) | instskip(SKIP_1) | instid1(VALU_DEP_1)
	v_and_b32_e32 v17, 0xffff0000, v17
	s_wait_alu 0xf1ff
	v_cndmask_b32_e64 v20, 0x7fc00000, v17, s19
	s_delay_alu instid0(VALU_DEP_1) | instskip(SKIP_2) | instid1(VALU_DEP_2)
	v_max_num_f32_e32 v17, v20, v20
	v_and_b32_e32 v4, 0xffff0000, v4
	v_cmp_u_f32_e64 s19, v20, v20
	v_max_num_f32_e32 v19, v4, v4
	s_delay_alu instid0(VALU_DEP_1) | instskip(SKIP_2) | instid1(VALU_DEP_2)
	v_min_num_f32_e32 v21, v17, v19
	v_max_num_f32_e32 v17, v17, v19
	s_wait_alu 0xf1ff
	v_cndmask_b32_e64 v21, v21, v20, s19
	s_delay_alu instid0(VALU_DEP_2) | instskip(SKIP_2) | instid1(VALU_DEP_1)
	v_cndmask_b32_e64 v17, v17, v20, s19
	v_cmp_u_f32_e64 s19, v4, v4
	s_wait_alu 0xf1ff
	v_cndmask_b32_e64 v21, v21, v4, s19
	s_delay_alu instid0(VALU_DEP_3) | instskip(NEXT) | instid1(VALU_DEP_2)
	v_cndmask_b32_e64 v17, v17, v4, s19
	v_cmp_class_f32_e64 s21, v21, 0x1f8
	s_delay_alu instid0(VALU_DEP_2) | instskip(SKIP_1) | instid1(SALU_CYCLE_1)
	v_cmp_neq_f32_e64 s20, v21, v17
	s_or_b32 s20, s20, s21
	s_and_saveexec_b32 s21, s20
	s_cbranch_execz .LBB460_38
; %bb.37:
	v_sub_f32_e32 v20, v21, v17
	s_delay_alu instid0(VALU_DEP_1) | instskip(SKIP_1) | instid1(VALU_DEP_2)
	v_mul_f32_e32 v21, 0x3fb8aa3b, v20
	v_cmp_ngt_f32_e64 s20, 0xc2ce8ed0, v20
	v_fma_f32 v22, 0x3fb8aa3b, v20, -v21
	v_rndne_f32_e32 v23, v21
	s_delay_alu instid0(VALU_DEP_1) | instskip(NEXT) | instid1(VALU_DEP_1)
	v_dual_fmamk_f32 v22, v20, 0x32a5705f, v22 :: v_dual_sub_f32 v21, v21, v23
	v_add_f32_e32 v21, v21, v22
	v_cvt_i32_f32_e32 v22, v23
	s_delay_alu instid0(VALU_DEP_2) | instskip(NEXT) | instid1(TRANS32_DEP_1)
	v_exp_f32_e32 v21, v21
	v_ldexp_f32 v21, v21, v22
	s_delay_alu instid0(VALU_DEP_1) | instskip(SKIP_2) | instid1(VALU_DEP_1)
	v_cndmask_b32_e64 v21, 0, v21, s20
	v_cmp_nlt_f32_e64 s20, 0x42b17218, v20
	s_wait_alu 0xf1ff
	v_cndmask_b32_e64 v22, 0x7f800000, v21, s20
	s_delay_alu instid0(VALU_DEP_1) | instskip(NEXT) | instid1(VALU_DEP_1)
	v_add_f32_e32 v23, 1.0, v22
	v_cvt_f64_f32_e32 v[20:21], v23
	s_delay_alu instid0(VALU_DEP_1) | instskip(SKIP_1) | instid1(VALU_DEP_1)
	v_frexp_exp_i32_f64_e32 v20, v[20:21]
	v_frexp_mant_f32_e32 v21, v23
	v_cmp_gt_f32_e64 s20, 0x3f2aaaab, v21
	v_add_f32_e32 v21, -1.0, v23
	s_delay_alu instid0(VALU_DEP_1)
	v_sub_f32_e32 v29, v21, v23
	v_sub_f32_e32 v21, v22, v21
	s_wait_alu 0xf1ff
	v_subrev_co_ci_u32_e64 v20, null, 0, v20, s20
	s_mov_b32 s20, 0x3e9b6dac
	v_sub_nc_u32_e32 v24, 0, v20
	v_cvt_f32_i32_e32 v20, v20
	s_delay_alu instid0(VALU_DEP_2) | instskip(NEXT) | instid1(VALU_DEP_1)
	v_ldexp_f32 v23, v23, v24
	v_dual_add_f32 v30, 1.0, v23 :: v_dual_add_f32 v29, 1.0, v29
	s_delay_alu instid0(VALU_DEP_1) | instskip(NEXT) | instid1(VALU_DEP_2)
	v_add_f32_e32 v21, v21, v29
	v_add_f32_e32 v29, -1.0, v30
	s_delay_alu instid0(VALU_DEP_2) | instskip(NEXT) | instid1(VALU_DEP_2)
	v_ldexp_f32 v21, v21, v24
	v_dual_add_f32 v24, -1.0, v23 :: v_dual_sub_f32 v29, v23, v29
	s_delay_alu instid0(VALU_DEP_1) | instskip(NEXT) | instid1(VALU_DEP_2)
	v_add_f32_e32 v31, 1.0, v24
	v_add_f32_e32 v29, v21, v29
	s_delay_alu instid0(VALU_DEP_2) | instskip(NEXT) | instid1(VALU_DEP_2)
	v_sub_f32_e32 v23, v23, v31
	v_add_f32_e32 v31, v30, v29
	s_delay_alu instid0(VALU_DEP_2) | instskip(NEXT) | instid1(VALU_DEP_2)
	v_add_f32_e32 v21, v21, v23
	v_rcp_f32_e32 v23, v31
	v_sub_f32_e32 v30, v30, v31
	s_delay_alu instid0(VALU_DEP_1) | instskip(NEXT) | instid1(VALU_DEP_1)
	v_dual_add_f32 v32, v24, v21 :: v_dual_add_f32 v29, v29, v30
	v_sub_f32_e32 v24, v24, v32
	s_delay_alu instid0(TRANS32_DEP_1) | instskip(NEXT) | instid1(VALU_DEP_1)
	v_mul_f32_e32 v33, v32, v23
	v_dual_add_f32 v21, v21, v24 :: v_dual_mul_f32 v34, v31, v33
	s_delay_alu instid0(VALU_DEP_1) | instskip(NEXT) | instid1(VALU_DEP_1)
	v_fma_f32 v30, v33, v31, -v34
	v_fmac_f32_e32 v30, v33, v29
	s_delay_alu instid0(VALU_DEP_1) | instskip(NEXT) | instid1(VALU_DEP_1)
	v_add_f32_e32 v35, v34, v30
	v_sub_f32_e32 v36, v32, v35
	v_sub_f32_e32 v24, v35, v34
	s_delay_alu instid0(VALU_DEP_2) | instskip(NEXT) | instid1(VALU_DEP_2)
	v_sub_f32_e32 v32, v32, v36
	v_sub_f32_e32 v24, v24, v30
	s_delay_alu instid0(VALU_DEP_2) | instskip(NEXT) | instid1(VALU_DEP_1)
	v_sub_f32_e32 v32, v32, v35
	v_add_f32_e32 v21, v21, v32
	s_delay_alu instid0(VALU_DEP_1) | instskip(NEXT) | instid1(VALU_DEP_1)
	v_add_f32_e32 v21, v24, v21
	v_add_f32_e32 v24, v36, v21
	s_delay_alu instid0(VALU_DEP_1) | instskip(NEXT) | instid1(VALU_DEP_1)
	v_mul_f32_e32 v30, v23, v24
	v_dual_sub_f32 v35, v36, v24 :: v_dual_mul_f32 v32, v31, v30
	s_delay_alu instid0(VALU_DEP_1) | instskip(NEXT) | instid1(VALU_DEP_2)
	v_add_f32_e32 v21, v21, v35
	v_fma_f32 v31, v30, v31, -v32
	s_delay_alu instid0(VALU_DEP_1) | instskip(NEXT) | instid1(VALU_DEP_1)
	v_fmac_f32_e32 v31, v30, v29
	v_add_f32_e32 v29, v32, v31
	s_delay_alu instid0(VALU_DEP_1) | instskip(SKIP_1) | instid1(VALU_DEP_2)
	v_sub_f32_e32 v34, v24, v29
	v_sub_f32_e32 v32, v29, v32
	;; [unrolled: 1-line block ×3, first 2 shown]
	s_delay_alu instid0(VALU_DEP_1) | instskip(NEXT) | instid1(VALU_DEP_3)
	v_sub_f32_e32 v24, v24, v29
	v_sub_f32_e32 v29, v32, v31
	s_delay_alu instid0(VALU_DEP_2) | instskip(SKIP_1) | instid1(VALU_DEP_2)
	v_add_f32_e32 v21, v21, v24
	v_add_f32_e32 v24, v33, v30
	;; [unrolled: 1-line block ×3, first 2 shown]
	s_delay_alu instid0(VALU_DEP_2) | instskip(NEXT) | instid1(VALU_DEP_2)
	v_sub_f32_e32 v29, v24, v33
	v_add_f32_e32 v21, v34, v21
	s_delay_alu instid0(VALU_DEP_2) | instskip(NEXT) | instid1(VALU_DEP_2)
	v_sub_f32_e32 v29, v30, v29
	v_mul_f32_e32 v21, v23, v21
	s_delay_alu instid0(VALU_DEP_1) | instskip(NEXT) | instid1(VALU_DEP_1)
	v_add_f32_e32 v21, v29, v21
	v_add_f32_e32 v23, v24, v21
	s_delay_alu instid0(VALU_DEP_1) | instskip(SKIP_1) | instid1(VALU_DEP_1)
	v_mul_f32_e32 v29, v23, v23
	s_wait_alu 0xfffe
	v_fmaak_f32 v30, s20, v29, 0x3ecc95a3
	v_mul_f32_e32 v31, v23, v29
	v_cmp_neq_f32_e64 s20, 0x7f800000, v22
	s_delay_alu instid0(VALU_DEP_3) | instskip(SKIP_2) | instid1(VALU_DEP_3)
	v_fmaak_f32 v29, v29, v30, 0x3f2aaada
	v_ldexp_f32 v30, v23, 1
	v_sub_f32_e32 v23, v23, v24
	v_mul_f32_e32 v29, v31, v29
	v_mul_f32_e32 v31, 0x3f317218, v20
	s_delay_alu instid0(VALU_DEP_2) | instskip(NEXT) | instid1(VALU_DEP_1)
	v_dual_sub_f32 v21, v21, v23 :: v_dual_add_f32 v24, v30, v29
	v_ldexp_f32 v21, v21, 1
	s_delay_alu instid0(VALU_DEP_2) | instskip(NEXT) | instid1(VALU_DEP_4)
	v_sub_f32_e32 v23, v24, v30
	v_fma_f32 v30, 0x3f317218, v20, -v31
	s_delay_alu instid0(VALU_DEP_1) | instskip(NEXT) | instid1(VALU_DEP_1)
	v_dual_sub_f32 v23, v29, v23 :: v_dual_fmamk_f32 v20, v20, 0xb102e308, v30
	v_add_f32_e32 v21, v21, v23
	s_delay_alu instid0(VALU_DEP_2) | instskip(NEXT) | instid1(VALU_DEP_2)
	v_add_f32_e32 v23, v31, v20
	v_add_f32_e32 v29, v24, v21
	s_delay_alu instid0(VALU_DEP_2) | instskip(NEXT) | instid1(VALU_DEP_2)
	v_sub_f32_e32 v31, v23, v31
	v_add_f32_e32 v30, v23, v29
	v_sub_f32_e32 v24, v29, v24
	s_delay_alu instid0(VALU_DEP_3) | instskip(NEXT) | instid1(VALU_DEP_2)
	v_sub_f32_e32 v20, v20, v31
	v_dual_sub_f32 v32, v30, v23 :: v_dual_sub_f32 v21, v21, v24
	s_delay_alu instid0(VALU_DEP_1) | instskip(NEXT) | instid1(VALU_DEP_2)
	v_sub_f32_e32 v33, v30, v32
	v_dual_sub_f32 v24, v29, v32 :: v_dual_add_f32 v29, v20, v21
	s_delay_alu instid0(VALU_DEP_2) | instskip(NEXT) | instid1(VALU_DEP_1)
	v_sub_f32_e32 v23, v23, v33
	v_dual_add_f32 v23, v24, v23 :: v_dual_sub_f32 v24, v29, v20
	s_delay_alu instid0(VALU_DEP_1) | instskip(NEXT) | instid1(VALU_DEP_2)
	v_add_f32_e32 v23, v29, v23
	v_sub_f32_e32 v29, v29, v24
	v_sub_f32_e32 v21, v21, v24
	s_delay_alu instid0(VALU_DEP_2) | instskip(NEXT) | instid1(VALU_DEP_1)
	v_dual_add_f32 v31, v30, v23 :: v_dual_sub_f32 v20, v20, v29
	v_sub_f32_e32 v24, v31, v30
	s_delay_alu instid0(VALU_DEP_2) | instskip(NEXT) | instid1(VALU_DEP_2)
	v_add_f32_e32 v20, v21, v20
	v_sub_f32_e32 v21, v23, v24
	s_delay_alu instid0(VALU_DEP_1) | instskip(NEXT) | instid1(VALU_DEP_1)
	v_add_f32_e32 v20, v20, v21
	v_add_f32_e32 v20, v31, v20
	s_wait_alu 0xf1ff
	s_delay_alu instid0(VALU_DEP_1) | instskip(SKIP_2) | instid1(VALU_DEP_1)
	v_cndmask_b32_e64 v20, 0x7f800000, v20, s20
	v_cmp_gt_f32_e64 s20, 0x33800000, |v22|
	s_wait_alu 0xf1ff
	v_cndmask_b32_e64 v20, v20, v22, s20
	s_delay_alu instid0(VALU_DEP_1)
	v_add_f32_e32 v20, v17, v20
.LBB460_38:
	s_or_b32 exec_lo, exec_lo, s21
	s_delay_alu instid0(VALU_DEP_1) | instskip(SKIP_1) | instid1(VALU_DEP_2)
	v_bfe_u32 v17, v20, 16, 1
	v_cmp_o_f32_e64 s20, v20, v20
	v_add3_u32 v17, v20, v17, 0x7fff
	s_delay_alu instid0(VALU_DEP_1) | instskip(SKIP_2) | instid1(VALU_DEP_2)
	v_and_b32_e32 v21, 0xffff0000, v17
	v_lshlrev_b32_e32 v17, 16, v5
	s_wait_alu 0xf1ff
	v_cndmask_b32_e64 v22, 0x7fc00000, v21, s20
	s_delay_alu instid0(VALU_DEP_1) | instskip(SKIP_1) | instid1(VALU_DEP_2)
	v_dual_max_num_f32 v21, v17, v17 :: v_dual_max_num_f32 v20, v22, v22
	v_cmp_u_f32_e64 s20, v22, v22
	v_min_num_f32_e32 v23, v20, v21
	v_max_num_f32_e32 v20, v20, v21
	s_wait_alu 0xf1ff
	s_delay_alu instid0(VALU_DEP_2) | instskip(NEXT) | instid1(VALU_DEP_2)
	v_cndmask_b32_e64 v23, v23, v22, s20
	v_cndmask_b32_e64 v20, v20, v22, s20
	v_cmp_u_f32_e64 s20, v17, v17
	s_wait_alu 0xf1ff
	s_delay_alu instid0(VALU_DEP_1) | instskip(NEXT) | instid1(VALU_DEP_3)
	v_cndmask_b32_e64 v23, v23, v17, s20
	v_cndmask_b32_e64 v20, v20, v17, s20
	s_delay_alu instid0(VALU_DEP_2) | instskip(NEXT) | instid1(VALU_DEP_2)
	v_cmp_class_f32_e64 s22, v23, 0x1f8
	v_cmp_neq_f32_e64 s21, v23, v20
	s_or_b32 s21, s21, s22
	s_wait_alu 0xfffe
	s_and_saveexec_b32 s22, s21
	s_cbranch_execz .LBB460_40
; %bb.39:
	v_sub_f32_e32 v22, v23, v20
	s_delay_alu instid0(VALU_DEP_1) | instskip(SKIP_1) | instid1(VALU_DEP_2)
	v_mul_f32_e32 v23, 0x3fb8aa3b, v22
	v_cmp_ngt_f32_e64 s21, 0xc2ce8ed0, v22
	v_fma_f32 v24, 0x3fb8aa3b, v22, -v23
	v_rndne_f32_e32 v29, v23
	s_delay_alu instid0(VALU_DEP_1) | instskip(NEXT) | instid1(VALU_DEP_1)
	v_dual_fmamk_f32 v24, v22, 0x32a5705f, v24 :: v_dual_sub_f32 v23, v23, v29
	v_add_f32_e32 v23, v23, v24
	v_cvt_i32_f32_e32 v24, v29
	s_delay_alu instid0(VALU_DEP_2) | instskip(NEXT) | instid1(TRANS32_DEP_1)
	v_exp_f32_e32 v23, v23
	v_ldexp_f32 v23, v23, v24
	s_wait_alu 0xf1ff
	s_delay_alu instid0(VALU_DEP_1) | instskip(SKIP_2) | instid1(VALU_DEP_1)
	v_cndmask_b32_e64 v23, 0, v23, s21
	v_cmp_nlt_f32_e64 s21, 0x42b17218, v22
	s_wait_alu 0xf1ff
	v_cndmask_b32_e64 v24, 0x7f800000, v23, s21
	s_delay_alu instid0(VALU_DEP_1) | instskip(NEXT) | instid1(VALU_DEP_1)
	v_add_f32_e32 v29, 1.0, v24
	v_cvt_f64_f32_e32 v[22:23], v29
	s_delay_alu instid0(VALU_DEP_1) | instskip(SKIP_1) | instid1(VALU_DEP_1)
	v_frexp_exp_i32_f64_e32 v22, v[22:23]
	v_frexp_mant_f32_e32 v23, v29
	v_cmp_gt_f32_e64 s21, 0x3f2aaaab, v23
	v_add_f32_e32 v23, -1.0, v29
	s_delay_alu instid0(VALU_DEP_1)
	v_sub_f32_e32 v31, v23, v29
	v_sub_f32_e32 v23, v24, v23
	s_wait_alu 0xf1ff
	v_subrev_co_ci_u32_e64 v22, null, 0, v22, s21
	s_mov_b32 s21, 0x3e9b6dac
	v_sub_nc_u32_e32 v30, 0, v22
	v_cvt_f32_i32_e32 v22, v22
	s_delay_alu instid0(VALU_DEP_2) | instskip(NEXT) | instid1(VALU_DEP_1)
	v_ldexp_f32 v29, v29, v30
	v_dual_add_f32 v32, 1.0, v29 :: v_dual_add_f32 v31, 1.0, v31
	s_delay_alu instid0(VALU_DEP_1) | instskip(NEXT) | instid1(VALU_DEP_2)
	v_add_f32_e32 v23, v23, v31
	v_add_f32_e32 v31, -1.0, v32
	s_delay_alu instid0(VALU_DEP_2) | instskip(NEXT) | instid1(VALU_DEP_2)
	v_ldexp_f32 v23, v23, v30
	v_dual_add_f32 v30, -1.0, v29 :: v_dual_sub_f32 v31, v29, v31
	s_delay_alu instid0(VALU_DEP_1) | instskip(NEXT) | instid1(VALU_DEP_2)
	v_add_f32_e32 v33, 1.0, v30
	v_add_f32_e32 v31, v23, v31
	s_delay_alu instid0(VALU_DEP_2) | instskip(NEXT) | instid1(VALU_DEP_2)
	v_sub_f32_e32 v29, v29, v33
	v_add_f32_e32 v33, v32, v31
	s_delay_alu instid0(VALU_DEP_2) | instskip(NEXT) | instid1(VALU_DEP_2)
	v_add_f32_e32 v23, v23, v29
	v_rcp_f32_e32 v29, v33
	v_sub_f32_e32 v32, v32, v33
	s_delay_alu instid0(VALU_DEP_1) | instskip(NEXT) | instid1(VALU_DEP_1)
	v_dual_add_f32 v34, v30, v23 :: v_dual_add_f32 v31, v31, v32
	v_sub_f32_e32 v30, v30, v34
	s_delay_alu instid0(TRANS32_DEP_1) | instskip(NEXT) | instid1(VALU_DEP_1)
	v_mul_f32_e32 v35, v34, v29
	v_dual_add_f32 v23, v23, v30 :: v_dual_mul_f32 v36, v33, v35
	s_delay_alu instid0(VALU_DEP_1) | instskip(NEXT) | instid1(VALU_DEP_1)
	v_fma_f32 v32, v35, v33, -v36
	v_fmac_f32_e32 v32, v35, v31
	s_delay_alu instid0(VALU_DEP_1) | instskip(NEXT) | instid1(VALU_DEP_1)
	v_add_f32_e32 v37, v36, v32
	v_sub_f32_e32 v38, v34, v37
	v_sub_f32_e32 v30, v37, v36
	s_delay_alu instid0(VALU_DEP_2) | instskip(NEXT) | instid1(VALU_DEP_2)
	v_sub_f32_e32 v34, v34, v38
	v_sub_f32_e32 v30, v30, v32
	s_delay_alu instid0(VALU_DEP_2) | instskip(NEXT) | instid1(VALU_DEP_1)
	v_sub_f32_e32 v34, v34, v37
	v_add_f32_e32 v23, v23, v34
	s_delay_alu instid0(VALU_DEP_1) | instskip(NEXT) | instid1(VALU_DEP_1)
	v_add_f32_e32 v23, v30, v23
	v_add_f32_e32 v30, v38, v23
	s_delay_alu instid0(VALU_DEP_1) | instskip(NEXT) | instid1(VALU_DEP_1)
	v_mul_f32_e32 v32, v29, v30
	v_dual_sub_f32 v37, v38, v30 :: v_dual_mul_f32 v34, v33, v32
	s_delay_alu instid0(VALU_DEP_1) | instskip(NEXT) | instid1(VALU_DEP_2)
	v_add_f32_e32 v23, v23, v37
	v_fma_f32 v33, v32, v33, -v34
	s_delay_alu instid0(VALU_DEP_1) | instskip(NEXT) | instid1(VALU_DEP_1)
	v_fmac_f32_e32 v33, v32, v31
	v_add_f32_e32 v31, v34, v33
	s_delay_alu instid0(VALU_DEP_1) | instskip(SKIP_1) | instid1(VALU_DEP_2)
	v_sub_f32_e32 v36, v30, v31
	v_sub_f32_e32 v34, v31, v34
	;; [unrolled: 1-line block ×3, first 2 shown]
	s_delay_alu instid0(VALU_DEP_1) | instskip(NEXT) | instid1(VALU_DEP_3)
	v_sub_f32_e32 v30, v30, v31
	v_sub_f32_e32 v31, v34, v33
	s_delay_alu instid0(VALU_DEP_2) | instskip(SKIP_1) | instid1(VALU_DEP_2)
	v_add_f32_e32 v23, v23, v30
	v_add_f32_e32 v30, v35, v32
	v_add_f32_e32 v23, v31, v23
	s_delay_alu instid0(VALU_DEP_2) | instskip(NEXT) | instid1(VALU_DEP_2)
	v_sub_f32_e32 v31, v30, v35
	v_add_f32_e32 v23, v36, v23
	s_delay_alu instid0(VALU_DEP_2) | instskip(NEXT) | instid1(VALU_DEP_2)
	v_sub_f32_e32 v31, v32, v31
	v_mul_f32_e32 v23, v29, v23
	s_delay_alu instid0(VALU_DEP_1) | instskip(NEXT) | instid1(VALU_DEP_1)
	v_add_f32_e32 v23, v31, v23
	v_add_f32_e32 v29, v30, v23
	s_delay_alu instid0(VALU_DEP_1) | instskip(SKIP_1) | instid1(VALU_DEP_1)
	v_mul_f32_e32 v31, v29, v29
	s_wait_alu 0xfffe
	v_fmaak_f32 v32, s21, v31, 0x3ecc95a3
	v_mul_f32_e32 v33, v29, v31
	v_cmp_neq_f32_e64 s21, 0x7f800000, v24
	s_delay_alu instid0(VALU_DEP_3) | instskip(SKIP_2) | instid1(VALU_DEP_3)
	v_fmaak_f32 v31, v31, v32, 0x3f2aaada
	v_ldexp_f32 v32, v29, 1
	v_sub_f32_e32 v29, v29, v30
	v_mul_f32_e32 v31, v33, v31
	v_mul_f32_e32 v33, 0x3f317218, v22
	s_delay_alu instid0(VALU_DEP_2) | instskip(NEXT) | instid1(VALU_DEP_1)
	v_dual_sub_f32 v23, v23, v29 :: v_dual_add_f32 v30, v32, v31
	v_ldexp_f32 v23, v23, 1
	s_delay_alu instid0(VALU_DEP_2) | instskip(NEXT) | instid1(VALU_DEP_4)
	v_sub_f32_e32 v29, v30, v32
	v_fma_f32 v32, 0x3f317218, v22, -v33
	s_delay_alu instid0(VALU_DEP_1) | instskip(NEXT) | instid1(VALU_DEP_1)
	v_dual_sub_f32 v29, v31, v29 :: v_dual_fmamk_f32 v22, v22, 0xb102e308, v32
	v_add_f32_e32 v23, v23, v29
	s_delay_alu instid0(VALU_DEP_2) | instskip(NEXT) | instid1(VALU_DEP_2)
	v_add_f32_e32 v29, v33, v22
	v_add_f32_e32 v31, v30, v23
	s_delay_alu instid0(VALU_DEP_2) | instskip(NEXT) | instid1(VALU_DEP_2)
	v_sub_f32_e32 v33, v29, v33
	v_add_f32_e32 v32, v29, v31
	v_sub_f32_e32 v30, v31, v30
	s_delay_alu instid0(VALU_DEP_3) | instskip(NEXT) | instid1(VALU_DEP_2)
	v_sub_f32_e32 v22, v22, v33
	v_dual_sub_f32 v34, v32, v29 :: v_dual_sub_f32 v23, v23, v30
	s_delay_alu instid0(VALU_DEP_1) | instskip(NEXT) | instid1(VALU_DEP_2)
	v_sub_f32_e32 v35, v32, v34
	v_dual_sub_f32 v30, v31, v34 :: v_dual_add_f32 v31, v22, v23
	s_delay_alu instid0(VALU_DEP_2) | instskip(NEXT) | instid1(VALU_DEP_1)
	v_sub_f32_e32 v29, v29, v35
	v_dual_add_f32 v29, v30, v29 :: v_dual_sub_f32 v30, v31, v22
	s_delay_alu instid0(VALU_DEP_1) | instskip(NEXT) | instid1(VALU_DEP_2)
	v_add_f32_e32 v29, v31, v29
	v_sub_f32_e32 v31, v31, v30
	v_sub_f32_e32 v23, v23, v30
	s_delay_alu instid0(VALU_DEP_2) | instskip(NEXT) | instid1(VALU_DEP_1)
	v_dual_add_f32 v33, v32, v29 :: v_dual_sub_f32 v22, v22, v31
	v_sub_f32_e32 v30, v33, v32
	s_delay_alu instid0(VALU_DEP_2) | instskip(NEXT) | instid1(VALU_DEP_2)
	v_add_f32_e32 v22, v23, v22
	v_sub_f32_e32 v23, v29, v30
	s_delay_alu instid0(VALU_DEP_1) | instskip(NEXT) | instid1(VALU_DEP_1)
	v_add_f32_e32 v22, v22, v23
	v_add_f32_e32 v22, v33, v22
	s_wait_alu 0xf1ff
	s_delay_alu instid0(VALU_DEP_1) | instskip(SKIP_2) | instid1(VALU_DEP_1)
	v_cndmask_b32_e64 v22, 0x7f800000, v22, s21
	v_cmp_gt_f32_e64 s21, 0x33800000, |v24|
	s_wait_alu 0xf1ff
	v_cndmask_b32_e64 v22, v22, v24, s21
	s_delay_alu instid0(VALU_DEP_1)
	v_add_f32_e32 v22, v20, v22
.LBB460_40:
	s_or_b32 exec_lo, exec_lo, s22
	s_delay_alu instid0(VALU_DEP_1) | instskip(SKIP_1) | instid1(VALU_DEP_2)
	v_bfe_u32 v20, v22, 16, 1
	v_cmp_o_f32_e64 s21, v22, v22
	v_add3_u32 v20, v22, v20, 0x7fff
	s_delay_alu instid0(VALU_DEP_1) | instskip(SKIP_1) | instid1(VALU_DEP_1)
	v_and_b32_e32 v20, 0xffff0000, v20
	s_wait_alu 0xf1ff
	v_cndmask_b32_e64 v23, 0x7fc00000, v20, s21
	s_delay_alu instid0(VALU_DEP_1) | instskip(NEXT) | instid1(VALU_DEP_1)
	v_dual_max_num_f32 v20, v23, v23 :: v_dual_and_b32 v5, 0xffff0000, v5
	v_max_num_f32_e32 v22, v5, v5
	v_cmp_u_f32_e64 s21, v23, v23
	s_delay_alu instid0(VALU_DEP_2) | instskip(SKIP_2) | instid1(VALU_DEP_2)
	v_min_num_f32_e32 v24, v20, v22
	v_max_num_f32_e32 v20, v20, v22
	s_wait_alu 0xf1ff
	v_cndmask_b32_e64 v24, v24, v23, s21
	s_delay_alu instid0(VALU_DEP_2) | instskip(SKIP_2) | instid1(VALU_DEP_1)
	v_cndmask_b32_e64 v20, v20, v23, s21
	v_cmp_u_f32_e64 s21, v5, v5
	s_wait_alu 0xf1ff
	v_cndmask_b32_e64 v24, v24, v5, s21
	s_delay_alu instid0(VALU_DEP_3) | instskip(NEXT) | instid1(VALU_DEP_2)
	v_cndmask_b32_e64 v20, v20, v5, s21
	v_cmp_class_f32_e64 s23, v24, 0x1f8
	s_delay_alu instid0(VALU_DEP_2) | instskip(SKIP_1) | instid1(SALU_CYCLE_1)
	v_cmp_neq_f32_e64 s22, v24, v20
	s_or_b32 s22, s22, s23
	s_and_saveexec_b32 s23, s22
	s_cbranch_execz .LBB460_42
; %bb.41:
	v_sub_f32_e32 v23, v24, v20
	s_delay_alu instid0(VALU_DEP_1) | instskip(SKIP_1) | instid1(VALU_DEP_2)
	v_mul_f32_e32 v24, 0x3fb8aa3b, v23
	v_cmp_ngt_f32_e64 s22, 0xc2ce8ed0, v23
	v_fma_f32 v29, 0x3fb8aa3b, v23, -v24
	v_rndne_f32_e32 v30, v24
	s_delay_alu instid0(VALU_DEP_1) | instskip(NEXT) | instid1(VALU_DEP_1)
	v_dual_fmamk_f32 v29, v23, 0x32a5705f, v29 :: v_dual_sub_f32 v24, v24, v30
	v_add_f32_e32 v24, v24, v29
	v_cvt_i32_f32_e32 v29, v30
	s_delay_alu instid0(VALU_DEP_2) | instskip(NEXT) | instid1(TRANS32_DEP_1)
	v_exp_f32_e32 v24, v24
	v_ldexp_f32 v24, v24, v29
	s_delay_alu instid0(VALU_DEP_1) | instskip(SKIP_2) | instid1(VALU_DEP_1)
	v_cndmask_b32_e64 v24, 0, v24, s22
	v_cmp_nlt_f32_e64 s22, 0x42b17218, v23
	s_wait_alu 0xf1ff
	v_cndmask_b32_e64 v29, 0x7f800000, v24, s22
	s_delay_alu instid0(VALU_DEP_1) | instskip(NEXT) | instid1(VALU_DEP_1)
	v_add_f32_e32 v30, 1.0, v29
	v_cvt_f64_f32_e32 v[23:24], v30
	s_delay_alu instid0(VALU_DEP_1) | instskip(SKIP_1) | instid1(VALU_DEP_1)
	v_frexp_exp_i32_f64_e32 v23, v[23:24]
	v_frexp_mant_f32_e32 v24, v30
	v_cmp_gt_f32_e64 s22, 0x3f2aaaab, v24
	v_add_f32_e32 v24, -1.0, v30
	s_delay_alu instid0(VALU_DEP_1)
	v_sub_f32_e32 v32, v24, v30
	v_sub_f32_e32 v24, v29, v24
	s_wait_alu 0xf1ff
	v_subrev_co_ci_u32_e64 v23, null, 0, v23, s22
	s_mov_b32 s22, 0x3e9b6dac
	v_sub_nc_u32_e32 v31, 0, v23
	v_cvt_f32_i32_e32 v23, v23
	s_delay_alu instid0(VALU_DEP_2) | instskip(NEXT) | instid1(VALU_DEP_1)
	v_ldexp_f32 v30, v30, v31
	v_dual_add_f32 v33, 1.0, v30 :: v_dual_add_f32 v32, 1.0, v32
	s_delay_alu instid0(VALU_DEP_1) | instskip(NEXT) | instid1(VALU_DEP_2)
	v_add_f32_e32 v24, v24, v32
	v_add_f32_e32 v32, -1.0, v33
	s_delay_alu instid0(VALU_DEP_2) | instskip(NEXT) | instid1(VALU_DEP_2)
	v_ldexp_f32 v24, v24, v31
	v_dual_add_f32 v31, -1.0, v30 :: v_dual_sub_f32 v32, v30, v32
	s_delay_alu instid0(VALU_DEP_1) | instskip(NEXT) | instid1(VALU_DEP_2)
	v_add_f32_e32 v34, 1.0, v31
	v_add_f32_e32 v32, v24, v32
	s_delay_alu instid0(VALU_DEP_2) | instskip(NEXT) | instid1(VALU_DEP_2)
	v_sub_f32_e32 v30, v30, v34
	v_add_f32_e32 v34, v33, v32
	s_delay_alu instid0(VALU_DEP_2) | instskip(NEXT) | instid1(VALU_DEP_2)
	v_add_f32_e32 v24, v24, v30
	v_rcp_f32_e32 v30, v34
	v_sub_f32_e32 v33, v33, v34
	s_delay_alu instid0(VALU_DEP_1) | instskip(NEXT) | instid1(VALU_DEP_1)
	v_dual_add_f32 v35, v31, v24 :: v_dual_add_f32 v32, v32, v33
	v_sub_f32_e32 v31, v31, v35
	s_delay_alu instid0(TRANS32_DEP_1) | instskip(NEXT) | instid1(VALU_DEP_1)
	v_mul_f32_e32 v36, v35, v30
	v_dual_add_f32 v24, v24, v31 :: v_dual_mul_f32 v37, v34, v36
	s_delay_alu instid0(VALU_DEP_1) | instskip(NEXT) | instid1(VALU_DEP_1)
	v_fma_f32 v33, v36, v34, -v37
	v_fmac_f32_e32 v33, v36, v32
	s_delay_alu instid0(VALU_DEP_1) | instskip(NEXT) | instid1(VALU_DEP_1)
	v_add_f32_e32 v38, v37, v33
	v_sub_f32_e32 v39, v35, v38
	v_sub_f32_e32 v31, v38, v37
	s_delay_alu instid0(VALU_DEP_2) | instskip(NEXT) | instid1(VALU_DEP_2)
	v_sub_f32_e32 v35, v35, v39
	v_sub_f32_e32 v31, v31, v33
	s_delay_alu instid0(VALU_DEP_2) | instskip(NEXT) | instid1(VALU_DEP_1)
	v_sub_f32_e32 v35, v35, v38
	v_add_f32_e32 v24, v24, v35
	s_delay_alu instid0(VALU_DEP_1) | instskip(NEXT) | instid1(VALU_DEP_1)
	v_add_f32_e32 v24, v31, v24
	v_add_f32_e32 v31, v39, v24
	s_delay_alu instid0(VALU_DEP_1) | instskip(NEXT) | instid1(VALU_DEP_1)
	v_mul_f32_e32 v33, v30, v31
	v_dual_sub_f32 v38, v39, v31 :: v_dual_mul_f32 v35, v34, v33
	s_delay_alu instid0(VALU_DEP_1) | instskip(NEXT) | instid1(VALU_DEP_2)
	v_add_f32_e32 v24, v24, v38
	v_fma_f32 v34, v33, v34, -v35
	s_delay_alu instid0(VALU_DEP_1) | instskip(NEXT) | instid1(VALU_DEP_1)
	v_fmac_f32_e32 v34, v33, v32
	v_add_f32_e32 v32, v35, v34
	s_delay_alu instid0(VALU_DEP_1) | instskip(SKIP_1) | instid1(VALU_DEP_2)
	v_sub_f32_e32 v37, v31, v32
	v_sub_f32_e32 v35, v32, v35
	;; [unrolled: 1-line block ×3, first 2 shown]
	s_delay_alu instid0(VALU_DEP_1) | instskip(NEXT) | instid1(VALU_DEP_3)
	v_sub_f32_e32 v31, v31, v32
	v_sub_f32_e32 v32, v35, v34
	s_delay_alu instid0(VALU_DEP_2) | instskip(SKIP_1) | instid1(VALU_DEP_2)
	v_add_f32_e32 v24, v24, v31
	v_add_f32_e32 v31, v36, v33
	v_add_f32_e32 v24, v32, v24
	s_delay_alu instid0(VALU_DEP_2) | instskip(NEXT) | instid1(VALU_DEP_2)
	v_sub_f32_e32 v32, v31, v36
	v_add_f32_e32 v24, v37, v24
	s_delay_alu instid0(VALU_DEP_2) | instskip(NEXT) | instid1(VALU_DEP_2)
	v_sub_f32_e32 v32, v33, v32
	v_mul_f32_e32 v24, v30, v24
	s_delay_alu instid0(VALU_DEP_1) | instskip(NEXT) | instid1(VALU_DEP_1)
	v_add_f32_e32 v24, v32, v24
	v_add_f32_e32 v30, v31, v24
	s_delay_alu instid0(VALU_DEP_1) | instskip(SKIP_1) | instid1(VALU_DEP_1)
	v_mul_f32_e32 v32, v30, v30
	s_wait_alu 0xfffe
	v_fmaak_f32 v33, s22, v32, 0x3ecc95a3
	v_mul_f32_e32 v34, v30, v32
	v_cmp_neq_f32_e64 s22, 0x7f800000, v29
	s_delay_alu instid0(VALU_DEP_3) | instskip(SKIP_2) | instid1(VALU_DEP_3)
	v_fmaak_f32 v32, v32, v33, 0x3f2aaada
	v_ldexp_f32 v33, v30, 1
	v_sub_f32_e32 v30, v30, v31
	v_mul_f32_e32 v32, v34, v32
	v_mul_f32_e32 v34, 0x3f317218, v23
	s_delay_alu instid0(VALU_DEP_2) | instskip(NEXT) | instid1(VALU_DEP_1)
	v_dual_sub_f32 v24, v24, v30 :: v_dual_add_f32 v31, v33, v32
	v_ldexp_f32 v24, v24, 1
	s_delay_alu instid0(VALU_DEP_2) | instskip(NEXT) | instid1(VALU_DEP_4)
	v_sub_f32_e32 v30, v31, v33
	v_fma_f32 v33, 0x3f317218, v23, -v34
	s_delay_alu instid0(VALU_DEP_1) | instskip(NEXT) | instid1(VALU_DEP_1)
	v_dual_sub_f32 v30, v32, v30 :: v_dual_fmamk_f32 v23, v23, 0xb102e308, v33
	v_add_f32_e32 v24, v24, v30
	s_delay_alu instid0(VALU_DEP_2) | instskip(NEXT) | instid1(VALU_DEP_2)
	v_add_f32_e32 v30, v34, v23
	v_add_f32_e32 v32, v31, v24
	s_delay_alu instid0(VALU_DEP_2) | instskip(NEXT) | instid1(VALU_DEP_2)
	v_sub_f32_e32 v34, v30, v34
	v_add_f32_e32 v33, v30, v32
	v_sub_f32_e32 v31, v32, v31
	s_delay_alu instid0(VALU_DEP_3) | instskip(NEXT) | instid1(VALU_DEP_2)
	v_sub_f32_e32 v23, v23, v34
	v_dual_sub_f32 v35, v33, v30 :: v_dual_sub_f32 v24, v24, v31
	s_delay_alu instid0(VALU_DEP_1) | instskip(NEXT) | instid1(VALU_DEP_2)
	v_sub_f32_e32 v36, v33, v35
	v_dual_sub_f32 v31, v32, v35 :: v_dual_add_f32 v32, v23, v24
	s_delay_alu instid0(VALU_DEP_2) | instskip(NEXT) | instid1(VALU_DEP_1)
	v_sub_f32_e32 v30, v30, v36
	v_dual_add_f32 v30, v31, v30 :: v_dual_sub_f32 v31, v32, v23
	s_delay_alu instid0(VALU_DEP_1) | instskip(NEXT) | instid1(VALU_DEP_2)
	v_add_f32_e32 v30, v32, v30
	v_sub_f32_e32 v32, v32, v31
	v_sub_f32_e32 v24, v24, v31
	s_delay_alu instid0(VALU_DEP_2) | instskip(NEXT) | instid1(VALU_DEP_1)
	v_dual_add_f32 v34, v33, v30 :: v_dual_sub_f32 v23, v23, v32
	v_sub_f32_e32 v31, v34, v33
	s_delay_alu instid0(VALU_DEP_2) | instskip(NEXT) | instid1(VALU_DEP_2)
	v_add_f32_e32 v23, v24, v23
	v_sub_f32_e32 v24, v30, v31
	s_delay_alu instid0(VALU_DEP_1) | instskip(NEXT) | instid1(VALU_DEP_1)
	v_add_f32_e32 v23, v23, v24
	v_add_f32_e32 v23, v34, v23
	s_wait_alu 0xf1ff
	s_delay_alu instid0(VALU_DEP_1) | instskip(SKIP_2) | instid1(VALU_DEP_1)
	v_cndmask_b32_e64 v23, 0x7f800000, v23, s22
	v_cmp_gt_f32_e64 s22, 0x33800000, |v29|
	s_wait_alu 0xf1ff
	v_cndmask_b32_e64 v23, v23, v29, s22
	s_delay_alu instid0(VALU_DEP_1)
	v_add_f32_e32 v23, v20, v23
.LBB460_42:
	s_or_b32 exec_lo, exec_lo, s23
	s_delay_alu instid0(VALU_DEP_1) | instskip(SKIP_1) | instid1(VALU_DEP_2)
	v_bfe_u32 v20, v23, 16, 1
	v_cmp_o_f32_e64 s22, v23, v23
	v_add3_u32 v20, v23, v20, 0x7fff
	s_delay_alu instid0(VALU_DEP_1) | instskip(SKIP_2) | instid1(VALU_DEP_2)
	v_and_b32_e32 v24, 0xffff0000, v20
	v_lshlrev_b32_e32 v20, 16, v6
	s_wait_alu 0xf1ff
	v_cndmask_b32_e64 v29, 0x7fc00000, v24, s22
	s_delay_alu instid0(VALU_DEP_1) | instskip(SKIP_1) | instid1(VALU_DEP_2)
	v_dual_max_num_f32 v23, v20, v20 :: v_dual_max_num_f32 v24, v29, v29
	v_cmp_u_f32_e64 s22, v29, v29
	v_min_num_f32_e32 v30, v24, v23
	v_max_num_f32_e32 v24, v24, v23
	s_wait_alu 0xf1ff
	s_delay_alu instid0(VALU_DEP_2) | instskip(NEXT) | instid1(VALU_DEP_2)
	v_cndmask_b32_e64 v30, v30, v29, s22
	v_cndmask_b32_e64 v24, v24, v29, s22
	v_cmp_u_f32_e64 s22, v20, v20
	s_wait_alu 0xf1ff
	s_delay_alu instid0(VALU_DEP_1) | instskip(NEXT) | instid1(VALU_DEP_3)
	v_cndmask_b32_e64 v30, v30, v20, s22
	v_cndmask_b32_e64 v24, v24, v20, s22
	s_delay_alu instid0(VALU_DEP_2) | instskip(NEXT) | instid1(VALU_DEP_2)
	v_cmp_class_f32_e64 s25, v30, 0x1f8
	v_cmp_neq_f32_e64 s23, v30, v24
	s_or_b32 s23, s23, s25
	s_wait_alu 0xfffe
	s_and_saveexec_b32 s25, s23
	s_cbranch_execz .LBB460_44
; %bb.43:
	v_sub_f32_e32 v29, v30, v24
	s_delay_alu instid0(VALU_DEP_1) | instskip(SKIP_1) | instid1(VALU_DEP_2)
	v_mul_f32_e32 v30, 0x3fb8aa3b, v29
	v_cmp_ngt_f32_e64 s23, 0xc2ce8ed0, v29
	v_fma_f32 v31, 0x3fb8aa3b, v29, -v30
	v_rndne_f32_e32 v32, v30
	s_delay_alu instid0(VALU_DEP_1) | instskip(NEXT) | instid1(VALU_DEP_1)
	v_dual_fmamk_f32 v31, v29, 0x32a5705f, v31 :: v_dual_sub_f32 v30, v30, v32
	v_add_f32_e32 v30, v30, v31
	v_cvt_i32_f32_e32 v31, v32
	s_delay_alu instid0(VALU_DEP_2) | instskip(NEXT) | instid1(TRANS32_DEP_1)
	v_exp_f32_e32 v30, v30
	v_ldexp_f32 v30, v30, v31
	s_wait_alu 0xf1ff
	s_delay_alu instid0(VALU_DEP_1) | instskip(SKIP_2) | instid1(VALU_DEP_1)
	v_cndmask_b32_e64 v30, 0, v30, s23
	v_cmp_nlt_f32_e64 s23, 0x42b17218, v29
	s_wait_alu 0xf1ff
	v_cndmask_b32_e64 v31, 0x7f800000, v30, s23
	s_delay_alu instid0(VALU_DEP_1) | instskip(NEXT) | instid1(VALU_DEP_1)
	v_add_f32_e32 v32, 1.0, v31
	v_cvt_f64_f32_e32 v[29:30], v32
	s_delay_alu instid0(VALU_DEP_1) | instskip(SKIP_1) | instid1(VALU_DEP_1)
	v_frexp_exp_i32_f64_e32 v29, v[29:30]
	v_frexp_mant_f32_e32 v30, v32
	v_cmp_gt_f32_e64 s23, 0x3f2aaaab, v30
	v_add_f32_e32 v30, -1.0, v32
	s_delay_alu instid0(VALU_DEP_1)
	v_sub_f32_e32 v34, v30, v32
	v_sub_f32_e32 v30, v31, v30
	s_wait_alu 0xf1ff
	v_subrev_co_ci_u32_e64 v29, null, 0, v29, s23
	s_mov_b32 s23, 0x3e9b6dac
	v_sub_nc_u32_e32 v33, 0, v29
	v_cvt_f32_i32_e32 v29, v29
	s_delay_alu instid0(VALU_DEP_2) | instskip(NEXT) | instid1(VALU_DEP_1)
	v_ldexp_f32 v32, v32, v33
	v_dual_add_f32 v35, 1.0, v32 :: v_dual_add_f32 v34, 1.0, v34
	s_delay_alu instid0(VALU_DEP_1) | instskip(NEXT) | instid1(VALU_DEP_2)
	v_add_f32_e32 v30, v30, v34
	v_add_f32_e32 v34, -1.0, v35
	s_delay_alu instid0(VALU_DEP_2) | instskip(NEXT) | instid1(VALU_DEP_2)
	v_ldexp_f32 v30, v30, v33
	v_dual_add_f32 v33, -1.0, v32 :: v_dual_sub_f32 v34, v32, v34
	s_delay_alu instid0(VALU_DEP_1) | instskip(NEXT) | instid1(VALU_DEP_2)
	v_add_f32_e32 v36, 1.0, v33
	v_add_f32_e32 v34, v30, v34
	s_delay_alu instid0(VALU_DEP_2) | instskip(NEXT) | instid1(VALU_DEP_2)
	v_sub_f32_e32 v32, v32, v36
	v_add_f32_e32 v36, v35, v34
	s_delay_alu instid0(VALU_DEP_2) | instskip(NEXT) | instid1(VALU_DEP_2)
	v_add_f32_e32 v30, v30, v32
	v_rcp_f32_e32 v32, v36
	v_sub_f32_e32 v35, v35, v36
	s_delay_alu instid0(VALU_DEP_1) | instskip(NEXT) | instid1(VALU_DEP_1)
	v_dual_add_f32 v37, v33, v30 :: v_dual_add_f32 v34, v34, v35
	v_sub_f32_e32 v33, v33, v37
	s_delay_alu instid0(TRANS32_DEP_1) | instskip(NEXT) | instid1(VALU_DEP_1)
	v_mul_f32_e32 v38, v37, v32
	v_dual_add_f32 v30, v30, v33 :: v_dual_mul_f32 v39, v36, v38
	s_delay_alu instid0(VALU_DEP_1) | instskip(NEXT) | instid1(VALU_DEP_1)
	v_fma_f32 v35, v38, v36, -v39
	v_fmac_f32_e32 v35, v38, v34
	s_delay_alu instid0(VALU_DEP_1) | instskip(NEXT) | instid1(VALU_DEP_1)
	v_add_f32_e32 v40, v39, v35
	v_sub_f32_e32 v41, v37, v40
	v_sub_f32_e32 v33, v40, v39
	s_delay_alu instid0(VALU_DEP_2) | instskip(NEXT) | instid1(VALU_DEP_2)
	v_sub_f32_e32 v37, v37, v41
	v_sub_f32_e32 v33, v33, v35
	s_delay_alu instid0(VALU_DEP_2) | instskip(NEXT) | instid1(VALU_DEP_1)
	v_sub_f32_e32 v37, v37, v40
	v_add_f32_e32 v30, v30, v37
	s_delay_alu instid0(VALU_DEP_1) | instskip(NEXT) | instid1(VALU_DEP_1)
	v_add_f32_e32 v30, v33, v30
	v_add_f32_e32 v33, v41, v30
	s_delay_alu instid0(VALU_DEP_1) | instskip(NEXT) | instid1(VALU_DEP_1)
	v_mul_f32_e32 v35, v32, v33
	v_dual_sub_f32 v40, v41, v33 :: v_dual_mul_f32 v37, v36, v35
	s_delay_alu instid0(VALU_DEP_1) | instskip(NEXT) | instid1(VALU_DEP_2)
	v_add_f32_e32 v30, v30, v40
	v_fma_f32 v36, v35, v36, -v37
	s_delay_alu instid0(VALU_DEP_1) | instskip(NEXT) | instid1(VALU_DEP_1)
	v_fmac_f32_e32 v36, v35, v34
	v_add_f32_e32 v34, v37, v36
	s_delay_alu instid0(VALU_DEP_1) | instskip(SKIP_1) | instid1(VALU_DEP_2)
	v_sub_f32_e32 v39, v33, v34
	v_sub_f32_e32 v37, v34, v37
	;; [unrolled: 1-line block ×3, first 2 shown]
	s_delay_alu instid0(VALU_DEP_1) | instskip(NEXT) | instid1(VALU_DEP_3)
	v_sub_f32_e32 v33, v33, v34
	v_sub_f32_e32 v34, v37, v36
	s_delay_alu instid0(VALU_DEP_2) | instskip(SKIP_1) | instid1(VALU_DEP_2)
	v_add_f32_e32 v30, v30, v33
	v_add_f32_e32 v33, v38, v35
	;; [unrolled: 1-line block ×3, first 2 shown]
	s_delay_alu instid0(VALU_DEP_2) | instskip(NEXT) | instid1(VALU_DEP_2)
	v_sub_f32_e32 v34, v33, v38
	v_add_f32_e32 v30, v39, v30
	s_delay_alu instid0(VALU_DEP_2) | instskip(NEXT) | instid1(VALU_DEP_2)
	v_sub_f32_e32 v34, v35, v34
	v_mul_f32_e32 v30, v32, v30
	s_delay_alu instid0(VALU_DEP_1) | instskip(NEXT) | instid1(VALU_DEP_1)
	v_add_f32_e32 v30, v34, v30
	v_add_f32_e32 v32, v33, v30
	s_delay_alu instid0(VALU_DEP_1) | instskip(SKIP_1) | instid1(VALU_DEP_1)
	v_mul_f32_e32 v34, v32, v32
	s_wait_alu 0xfffe
	v_fmaak_f32 v35, s23, v34, 0x3ecc95a3
	v_mul_f32_e32 v36, v32, v34
	v_cmp_neq_f32_e64 s23, 0x7f800000, v31
	s_delay_alu instid0(VALU_DEP_3) | instskip(SKIP_2) | instid1(VALU_DEP_3)
	v_fmaak_f32 v34, v34, v35, 0x3f2aaada
	v_ldexp_f32 v35, v32, 1
	v_sub_f32_e32 v32, v32, v33
	v_mul_f32_e32 v34, v36, v34
	v_mul_f32_e32 v36, 0x3f317218, v29
	s_delay_alu instid0(VALU_DEP_2) | instskip(NEXT) | instid1(VALU_DEP_1)
	v_dual_sub_f32 v30, v30, v32 :: v_dual_add_f32 v33, v35, v34
	v_ldexp_f32 v30, v30, 1
	s_delay_alu instid0(VALU_DEP_2) | instskip(NEXT) | instid1(VALU_DEP_4)
	v_sub_f32_e32 v32, v33, v35
	v_fma_f32 v35, 0x3f317218, v29, -v36
	s_delay_alu instid0(VALU_DEP_1) | instskip(NEXT) | instid1(VALU_DEP_1)
	v_dual_sub_f32 v32, v34, v32 :: v_dual_fmamk_f32 v29, v29, 0xb102e308, v35
	v_add_f32_e32 v30, v30, v32
	s_delay_alu instid0(VALU_DEP_2) | instskip(NEXT) | instid1(VALU_DEP_2)
	v_add_f32_e32 v32, v36, v29
	v_add_f32_e32 v34, v33, v30
	s_delay_alu instid0(VALU_DEP_2) | instskip(NEXT) | instid1(VALU_DEP_2)
	v_sub_f32_e32 v36, v32, v36
	v_add_f32_e32 v35, v32, v34
	v_sub_f32_e32 v33, v34, v33
	s_delay_alu instid0(VALU_DEP_3) | instskip(NEXT) | instid1(VALU_DEP_2)
	v_sub_f32_e32 v29, v29, v36
	v_dual_sub_f32 v37, v35, v32 :: v_dual_sub_f32 v30, v30, v33
	s_delay_alu instid0(VALU_DEP_1) | instskip(NEXT) | instid1(VALU_DEP_2)
	v_sub_f32_e32 v38, v35, v37
	v_dual_sub_f32 v33, v34, v37 :: v_dual_add_f32 v34, v29, v30
	s_delay_alu instid0(VALU_DEP_2) | instskip(NEXT) | instid1(VALU_DEP_1)
	v_sub_f32_e32 v32, v32, v38
	v_dual_add_f32 v32, v33, v32 :: v_dual_sub_f32 v33, v34, v29
	s_delay_alu instid0(VALU_DEP_1) | instskip(NEXT) | instid1(VALU_DEP_2)
	v_add_f32_e32 v32, v34, v32
	v_sub_f32_e32 v34, v34, v33
	v_sub_f32_e32 v30, v30, v33
	s_delay_alu instid0(VALU_DEP_2) | instskip(NEXT) | instid1(VALU_DEP_1)
	v_dual_add_f32 v36, v35, v32 :: v_dual_sub_f32 v29, v29, v34
	v_sub_f32_e32 v33, v36, v35
	s_delay_alu instid0(VALU_DEP_2) | instskip(NEXT) | instid1(VALU_DEP_2)
	v_add_f32_e32 v29, v30, v29
	v_sub_f32_e32 v30, v32, v33
	s_delay_alu instid0(VALU_DEP_1) | instskip(NEXT) | instid1(VALU_DEP_1)
	v_add_f32_e32 v29, v29, v30
	v_add_f32_e32 v29, v36, v29
	s_wait_alu 0xf1ff
	s_delay_alu instid0(VALU_DEP_1) | instskip(SKIP_2) | instid1(VALU_DEP_1)
	v_cndmask_b32_e64 v29, 0x7f800000, v29, s23
	v_cmp_gt_f32_e64 s23, 0x33800000, |v31|
	s_wait_alu 0xf1ff
	v_cndmask_b32_e64 v29, v29, v31, s23
	s_delay_alu instid0(VALU_DEP_1)
	v_add_f32_e32 v29, v24, v29
.LBB460_44:
	s_wait_alu 0xfffe
	s_or_b32 exec_lo, exec_lo, s25
	s_delay_alu instid0(VALU_DEP_1) | instskip(SKIP_1) | instid1(VALU_DEP_2)
	v_bfe_u32 v24, v29, 16, 1
	v_cmp_o_f32_e64 s23, v29, v29
	v_add3_u32 v24, v29, v24, 0x7fff
	s_delay_alu instid0(VALU_DEP_1) | instskip(SKIP_1) | instid1(VALU_DEP_1)
	v_and_b32_e32 v24, 0xffff0000, v24
	s_wait_alu 0xf1ff
	v_cndmask_b32_e64 v30, 0x7fc00000, v24, s23
	s_delay_alu instid0(VALU_DEP_1) | instskip(SKIP_2) | instid1(VALU_DEP_2)
	v_max_num_f32_e32 v29, v30, v30
	v_and_b32_e32 v6, 0xffff0000, v6
	v_cmp_u_f32_e64 s23, v30, v30
	v_max_num_f32_e32 v24, v6, v6
	s_delay_alu instid0(VALU_DEP_1) | instskip(SKIP_2) | instid1(VALU_DEP_2)
	v_min_num_f32_e32 v31, v29, v24
	v_max_num_f32_e32 v29, v29, v24
	s_wait_alu 0xf1ff
	v_cndmask_b32_e64 v31, v31, v30, s23
	s_delay_alu instid0(VALU_DEP_2) | instskip(SKIP_2) | instid1(VALU_DEP_1)
	v_cndmask_b32_e64 v29, v29, v30, s23
	v_cmp_u_f32_e64 s23, v6, v6
	s_wait_alu 0xf1ff
	v_cndmask_b32_e64 v31, v31, v6, s23
	s_delay_alu instid0(VALU_DEP_3) | instskip(NEXT) | instid1(VALU_DEP_2)
	v_cndmask_b32_e64 v29, v29, v6, s23
	v_cmp_class_f32_e64 s26, v31, 0x1f8
	s_delay_alu instid0(VALU_DEP_2)
	v_cmp_neq_f32_e64 s25, v31, v29
	s_or_b32 s25, s25, s26
	s_wait_alu 0xfffe
	s_and_saveexec_b32 s26, s25
	s_cbranch_execz .LBB460_46
; %bb.45:
	v_sub_f32_e32 v30, v31, v29
	s_delay_alu instid0(VALU_DEP_1) | instskip(SKIP_1) | instid1(VALU_DEP_2)
	v_mul_f32_e32 v31, 0x3fb8aa3b, v30
	v_cmp_ngt_f32_e64 s25, 0xc2ce8ed0, v30
	v_fma_f32 v32, 0x3fb8aa3b, v30, -v31
	v_rndne_f32_e32 v33, v31
	s_delay_alu instid0(VALU_DEP_1) | instskip(NEXT) | instid1(VALU_DEP_1)
	v_dual_fmamk_f32 v32, v30, 0x32a5705f, v32 :: v_dual_sub_f32 v31, v31, v33
	v_add_f32_e32 v31, v31, v32
	v_cvt_i32_f32_e32 v32, v33
	s_delay_alu instid0(VALU_DEP_2) | instskip(NEXT) | instid1(TRANS32_DEP_1)
	v_exp_f32_e32 v31, v31
	v_ldexp_f32 v31, v31, v32
	s_wait_alu 0xf1ff
	s_delay_alu instid0(VALU_DEP_1) | instskip(SKIP_2) | instid1(VALU_DEP_1)
	v_cndmask_b32_e64 v31, 0, v31, s25
	v_cmp_nlt_f32_e64 s25, 0x42b17218, v30
	s_wait_alu 0xf1ff
	v_cndmask_b32_e64 v32, 0x7f800000, v31, s25
	s_delay_alu instid0(VALU_DEP_1) | instskip(NEXT) | instid1(VALU_DEP_1)
	v_add_f32_e32 v33, 1.0, v32
	v_cvt_f64_f32_e32 v[30:31], v33
	s_delay_alu instid0(VALU_DEP_1) | instskip(SKIP_1) | instid1(VALU_DEP_1)
	v_frexp_exp_i32_f64_e32 v30, v[30:31]
	v_frexp_mant_f32_e32 v31, v33
	v_cmp_gt_f32_e64 s25, 0x3f2aaaab, v31
	v_add_f32_e32 v31, -1.0, v33
	s_delay_alu instid0(VALU_DEP_1)
	v_sub_f32_e32 v35, v31, v33
	v_sub_f32_e32 v31, v32, v31
	s_wait_alu 0xf1ff
	v_subrev_co_ci_u32_e64 v30, null, 0, v30, s25
	s_mov_b32 s25, 0x3e9b6dac
	v_sub_nc_u32_e32 v34, 0, v30
	v_cvt_f32_i32_e32 v30, v30
	s_delay_alu instid0(VALU_DEP_2) | instskip(NEXT) | instid1(VALU_DEP_1)
	v_ldexp_f32 v33, v33, v34
	v_dual_add_f32 v36, 1.0, v33 :: v_dual_add_f32 v35, 1.0, v35
	s_delay_alu instid0(VALU_DEP_1) | instskip(NEXT) | instid1(VALU_DEP_2)
	v_add_f32_e32 v31, v31, v35
	v_add_f32_e32 v35, -1.0, v36
	s_delay_alu instid0(VALU_DEP_2) | instskip(NEXT) | instid1(VALU_DEP_2)
	v_ldexp_f32 v31, v31, v34
	v_dual_add_f32 v34, -1.0, v33 :: v_dual_sub_f32 v35, v33, v35
	s_delay_alu instid0(VALU_DEP_1) | instskip(NEXT) | instid1(VALU_DEP_2)
	v_add_f32_e32 v37, 1.0, v34
	v_add_f32_e32 v35, v31, v35
	s_delay_alu instid0(VALU_DEP_2) | instskip(NEXT) | instid1(VALU_DEP_2)
	v_sub_f32_e32 v33, v33, v37
	v_add_f32_e32 v37, v36, v35
	s_delay_alu instid0(VALU_DEP_2) | instskip(NEXT) | instid1(VALU_DEP_2)
	v_add_f32_e32 v31, v31, v33
	v_rcp_f32_e32 v33, v37
	v_sub_f32_e32 v36, v36, v37
	s_delay_alu instid0(VALU_DEP_1) | instskip(NEXT) | instid1(VALU_DEP_1)
	v_dual_add_f32 v38, v34, v31 :: v_dual_add_f32 v35, v35, v36
	v_sub_f32_e32 v34, v34, v38
	s_delay_alu instid0(TRANS32_DEP_1) | instskip(NEXT) | instid1(VALU_DEP_1)
	v_mul_f32_e32 v39, v38, v33
	v_dual_add_f32 v31, v31, v34 :: v_dual_mul_f32 v40, v37, v39
	s_delay_alu instid0(VALU_DEP_1) | instskip(NEXT) | instid1(VALU_DEP_1)
	v_fma_f32 v36, v39, v37, -v40
	v_fmac_f32_e32 v36, v39, v35
	s_delay_alu instid0(VALU_DEP_1) | instskip(NEXT) | instid1(VALU_DEP_1)
	v_add_f32_e32 v41, v40, v36
	v_sub_f32_e32 v42, v38, v41
	v_sub_f32_e32 v34, v41, v40
	s_delay_alu instid0(VALU_DEP_2) | instskip(NEXT) | instid1(VALU_DEP_2)
	v_sub_f32_e32 v38, v38, v42
	v_sub_f32_e32 v34, v34, v36
	s_delay_alu instid0(VALU_DEP_2) | instskip(NEXT) | instid1(VALU_DEP_1)
	v_sub_f32_e32 v38, v38, v41
	v_add_f32_e32 v31, v31, v38
	s_delay_alu instid0(VALU_DEP_1) | instskip(NEXT) | instid1(VALU_DEP_1)
	v_add_f32_e32 v31, v34, v31
	v_add_f32_e32 v34, v42, v31
	s_delay_alu instid0(VALU_DEP_1) | instskip(NEXT) | instid1(VALU_DEP_1)
	v_mul_f32_e32 v36, v33, v34
	v_dual_sub_f32 v41, v42, v34 :: v_dual_mul_f32 v38, v37, v36
	s_delay_alu instid0(VALU_DEP_1) | instskip(NEXT) | instid1(VALU_DEP_2)
	v_add_f32_e32 v31, v31, v41
	v_fma_f32 v37, v36, v37, -v38
	s_delay_alu instid0(VALU_DEP_1) | instskip(NEXT) | instid1(VALU_DEP_1)
	v_fmac_f32_e32 v37, v36, v35
	v_add_f32_e32 v35, v38, v37
	s_delay_alu instid0(VALU_DEP_1) | instskip(SKIP_1) | instid1(VALU_DEP_2)
	v_sub_f32_e32 v40, v34, v35
	v_sub_f32_e32 v38, v35, v38
	;; [unrolled: 1-line block ×3, first 2 shown]
	s_delay_alu instid0(VALU_DEP_1) | instskip(NEXT) | instid1(VALU_DEP_3)
	v_sub_f32_e32 v34, v34, v35
	v_sub_f32_e32 v35, v38, v37
	s_delay_alu instid0(VALU_DEP_2) | instskip(SKIP_1) | instid1(VALU_DEP_2)
	v_add_f32_e32 v31, v31, v34
	v_add_f32_e32 v34, v39, v36
	v_add_f32_e32 v31, v35, v31
	s_delay_alu instid0(VALU_DEP_2) | instskip(NEXT) | instid1(VALU_DEP_2)
	v_sub_f32_e32 v35, v34, v39
	v_add_f32_e32 v31, v40, v31
	s_delay_alu instid0(VALU_DEP_2) | instskip(NEXT) | instid1(VALU_DEP_2)
	v_sub_f32_e32 v35, v36, v35
	v_mul_f32_e32 v31, v33, v31
	s_delay_alu instid0(VALU_DEP_1) | instskip(NEXT) | instid1(VALU_DEP_1)
	v_add_f32_e32 v31, v35, v31
	v_add_f32_e32 v33, v34, v31
	s_delay_alu instid0(VALU_DEP_1) | instskip(SKIP_1) | instid1(VALU_DEP_1)
	v_mul_f32_e32 v35, v33, v33
	s_wait_alu 0xfffe
	v_fmaak_f32 v36, s25, v35, 0x3ecc95a3
	v_mul_f32_e32 v37, v33, v35
	v_cmp_neq_f32_e64 s25, 0x7f800000, v32
	s_delay_alu instid0(VALU_DEP_3) | instskip(SKIP_2) | instid1(VALU_DEP_3)
	v_fmaak_f32 v35, v35, v36, 0x3f2aaada
	v_ldexp_f32 v36, v33, 1
	v_sub_f32_e32 v33, v33, v34
	v_mul_f32_e32 v35, v37, v35
	v_mul_f32_e32 v37, 0x3f317218, v30
	s_delay_alu instid0(VALU_DEP_2) | instskip(NEXT) | instid1(VALU_DEP_1)
	v_dual_sub_f32 v31, v31, v33 :: v_dual_add_f32 v34, v36, v35
	v_ldexp_f32 v31, v31, 1
	s_delay_alu instid0(VALU_DEP_2) | instskip(NEXT) | instid1(VALU_DEP_4)
	v_sub_f32_e32 v33, v34, v36
	v_fma_f32 v36, 0x3f317218, v30, -v37
	s_delay_alu instid0(VALU_DEP_1) | instskip(NEXT) | instid1(VALU_DEP_1)
	v_dual_sub_f32 v33, v35, v33 :: v_dual_fmamk_f32 v30, v30, 0xb102e308, v36
	v_add_f32_e32 v31, v31, v33
	s_delay_alu instid0(VALU_DEP_2) | instskip(NEXT) | instid1(VALU_DEP_2)
	v_add_f32_e32 v33, v37, v30
	v_add_f32_e32 v35, v34, v31
	s_delay_alu instid0(VALU_DEP_2) | instskip(NEXT) | instid1(VALU_DEP_2)
	v_sub_f32_e32 v37, v33, v37
	v_add_f32_e32 v36, v33, v35
	v_sub_f32_e32 v34, v35, v34
	s_delay_alu instid0(VALU_DEP_3) | instskip(NEXT) | instid1(VALU_DEP_2)
	v_sub_f32_e32 v30, v30, v37
	v_dual_sub_f32 v38, v36, v33 :: v_dual_sub_f32 v31, v31, v34
	s_delay_alu instid0(VALU_DEP_1) | instskip(NEXT) | instid1(VALU_DEP_2)
	v_sub_f32_e32 v39, v36, v38
	v_dual_sub_f32 v34, v35, v38 :: v_dual_add_f32 v35, v30, v31
	s_delay_alu instid0(VALU_DEP_2) | instskip(NEXT) | instid1(VALU_DEP_1)
	v_sub_f32_e32 v33, v33, v39
	v_dual_add_f32 v33, v34, v33 :: v_dual_sub_f32 v34, v35, v30
	s_delay_alu instid0(VALU_DEP_1) | instskip(NEXT) | instid1(VALU_DEP_2)
	v_add_f32_e32 v33, v35, v33
	v_sub_f32_e32 v35, v35, v34
	v_sub_f32_e32 v31, v31, v34
	s_delay_alu instid0(VALU_DEP_2) | instskip(NEXT) | instid1(VALU_DEP_1)
	v_dual_add_f32 v37, v36, v33 :: v_dual_sub_f32 v30, v30, v35
	v_sub_f32_e32 v34, v37, v36
	s_delay_alu instid0(VALU_DEP_2) | instskip(NEXT) | instid1(VALU_DEP_2)
	v_add_f32_e32 v30, v31, v30
	v_sub_f32_e32 v31, v33, v34
	s_delay_alu instid0(VALU_DEP_1) | instskip(NEXT) | instid1(VALU_DEP_1)
	v_add_f32_e32 v30, v30, v31
	v_add_f32_e32 v30, v37, v30
	s_wait_alu 0xf1ff
	s_delay_alu instid0(VALU_DEP_1) | instskip(SKIP_2) | instid1(VALU_DEP_1)
	v_cndmask_b32_e64 v30, 0x7f800000, v30, s25
	v_cmp_gt_f32_e64 s25, 0x33800000, |v32|
	s_wait_alu 0xf1ff
	v_cndmask_b32_e64 v30, v30, v32, s25
	s_delay_alu instid0(VALU_DEP_1)
	v_add_f32_e32 v30, v29, v30
.LBB460_46:
	s_or_b32 exec_lo, exec_lo, s26
	s_delay_alu instid0(VALU_DEP_1)
	v_bfe_u32 v29, v30, 16, 1
	s_load_b64 s[26:27], s[0:1], 0x18
	v_lshrrev_b32_e32 v31, 4, v0
	v_cmp_o_f32_e64 s0, v30, v30
	s_mov_b32 s25, exec_lo
	v_add3_u32 v29, v30, v29, 0x7fff
	v_and_b32_e32 v31, 14, v31
	s_delay_alu instid0(VALU_DEP_2) | instskip(NEXT) | instid1(VALU_DEP_2)
	v_lshrrev_b32_e32 v29, 16, v29
	v_lshl_add_u32 v31, v0, 1, v31
	s_delay_alu instid0(VALU_DEP_2)
	v_cndmask_b32_e64 v30, 0x7fc0, v29, s0
	ds_store_b16 v31, v30
	s_wait_loadcnt_dscnt 0x0
	s_barrier_signal -1
	s_barrier_wait -1
	global_inv scope:SCOPE_SE
	v_cmpx_gt_u32_e32 32, v0
	s_cbranch_execz .LBB460_98
; %bb.47:
	v_lshrrev_b32_e32 v29, 1, v0
	v_lshlrev_b32_e32 v31, 4, v0
	s_delay_alu instid0(VALU_DEP_2) | instskip(NEXT) | instid1(VALU_DEP_1)
	v_and_b32_e32 v29, 0x7e, v29
	v_add_nc_u32_e32 v29, v29, v31
	ds_load_u16 v31, v29 offset:2
	ds_load_u16 v32, v29
	s_wait_dscnt 0x1
	v_lshlrev_b32_e32 v33, 16, v31
	s_wait_dscnt 0x0
	s_delay_alu instid0(VALU_DEP_1) | instskip(NEXT) | instid1(VALU_DEP_1)
	v_dual_max_num_f32 v34, v33, v33 :: v_dual_lshlrev_b32 v31, 16, v32
	v_max_num_f32_e32 v32, v31, v31
	v_cmp_u_f32_e64 s0, v31, v31
	v_cmp_u_f32_e64 s1, v33, v33
	s_delay_alu instid0(VALU_DEP_3) | instskip(SKIP_2) | instid1(VALU_DEP_2)
	v_min_num_f32_e32 v35, v32, v34
	v_max_num_f32_e32 v34, v32, v34
	s_wait_alu 0xf1ff
	v_cndmask_b32_e64 v35, v35, v31, s0
	s_delay_alu instid0(VALU_DEP_2) | instskip(NEXT) | instid1(VALU_DEP_2)
	v_cndmask_b32_e64 v34, v34, v31, s0
	v_cndmask_b32_e64 v35, v35, v33, s1
	s_delay_alu instid0(VALU_DEP_2) | instskip(SKIP_1) | instid1(VALU_DEP_3)
	v_cndmask_b32_e64 v33, v34, v33, s1
	v_mov_b32_e32 v34, v31
	v_cmp_class_f32_e64 s28, v35, 0x1f8
	s_delay_alu instid0(VALU_DEP_3)
	v_cmp_neq_f32_e64 s1, v35, v33
	s_or_b32 s1, s1, s28
	s_wait_alu 0xfffe
	s_and_saveexec_b32 s28, s1
	s_cbranch_execz .LBB460_49
; %bb.48:
	v_sub_f32_e32 v34, v35, v33
	s_delay_alu instid0(VALU_DEP_1) | instskip(SKIP_1) | instid1(VALU_DEP_2)
	v_mul_f32_e32 v35, 0x3fb8aa3b, v34
	v_cmp_ngt_f32_e64 s1, 0xc2ce8ed0, v34
	v_fma_f32 v36, 0x3fb8aa3b, v34, -v35
	v_rndne_f32_e32 v37, v35
	s_delay_alu instid0(VALU_DEP_1) | instskip(NEXT) | instid1(VALU_DEP_1)
	v_dual_fmamk_f32 v36, v34, 0x32a5705f, v36 :: v_dual_sub_f32 v35, v35, v37
	v_add_f32_e32 v35, v35, v36
	v_cvt_i32_f32_e32 v36, v37
	s_delay_alu instid0(VALU_DEP_2) | instskip(NEXT) | instid1(TRANS32_DEP_1)
	v_exp_f32_e32 v35, v35
	v_ldexp_f32 v35, v35, v36
	s_wait_alu 0xf1ff
	s_delay_alu instid0(VALU_DEP_1) | instskip(SKIP_2) | instid1(VALU_DEP_1)
	v_cndmask_b32_e64 v35, 0, v35, s1
	v_cmp_nlt_f32_e64 s1, 0x42b17218, v34
	s_wait_alu 0xf1ff
	v_cndmask_b32_e64 v36, 0x7f800000, v35, s1
	s_delay_alu instid0(VALU_DEP_1) | instskip(NEXT) | instid1(VALU_DEP_1)
	v_add_f32_e32 v37, 1.0, v36
	v_cvt_f64_f32_e32 v[34:35], v37
	s_delay_alu instid0(VALU_DEP_1) | instskip(SKIP_1) | instid1(VALU_DEP_1)
	v_frexp_exp_i32_f64_e32 v34, v[34:35]
	v_frexp_mant_f32_e32 v35, v37
	v_cmp_gt_f32_e64 s1, 0x3f2aaaab, v35
	v_add_f32_e32 v35, -1.0, v37
	s_delay_alu instid0(VALU_DEP_1)
	v_sub_f32_e32 v39, v35, v37
	v_sub_f32_e32 v35, v36, v35
	s_wait_alu 0xf1ff
	v_subrev_co_ci_u32_e64 v34, null, 0, v34, s1
	s_mov_b32 s1, 0x3e9b6dac
	v_sub_nc_u32_e32 v38, 0, v34
	v_cvt_f32_i32_e32 v34, v34
	s_delay_alu instid0(VALU_DEP_2) | instskip(NEXT) | instid1(VALU_DEP_1)
	v_ldexp_f32 v37, v37, v38
	v_dual_add_f32 v40, 1.0, v37 :: v_dual_add_f32 v39, 1.0, v39
	s_delay_alu instid0(VALU_DEP_1) | instskip(NEXT) | instid1(VALU_DEP_2)
	v_add_f32_e32 v35, v35, v39
	v_add_f32_e32 v39, -1.0, v40
	s_delay_alu instid0(VALU_DEP_2) | instskip(NEXT) | instid1(VALU_DEP_2)
	v_ldexp_f32 v35, v35, v38
	v_dual_add_f32 v38, -1.0, v37 :: v_dual_sub_f32 v39, v37, v39
	s_delay_alu instid0(VALU_DEP_1) | instskip(NEXT) | instid1(VALU_DEP_2)
	v_add_f32_e32 v41, 1.0, v38
	v_add_f32_e32 v39, v35, v39
	s_delay_alu instid0(VALU_DEP_2) | instskip(NEXT) | instid1(VALU_DEP_2)
	v_sub_f32_e32 v37, v37, v41
	v_add_f32_e32 v41, v40, v39
	s_delay_alu instid0(VALU_DEP_2) | instskip(NEXT) | instid1(VALU_DEP_2)
	v_add_f32_e32 v35, v35, v37
	v_rcp_f32_e32 v37, v41
	v_sub_f32_e32 v40, v40, v41
	s_delay_alu instid0(VALU_DEP_1) | instskip(NEXT) | instid1(VALU_DEP_1)
	v_dual_add_f32 v42, v38, v35 :: v_dual_add_f32 v39, v39, v40
	v_sub_f32_e32 v38, v38, v42
	s_delay_alu instid0(TRANS32_DEP_1) | instskip(NEXT) | instid1(VALU_DEP_1)
	v_mul_f32_e32 v43, v42, v37
	v_dual_add_f32 v35, v35, v38 :: v_dual_mul_f32 v44, v41, v43
	s_delay_alu instid0(VALU_DEP_1) | instskip(NEXT) | instid1(VALU_DEP_1)
	v_fma_f32 v40, v43, v41, -v44
	v_fmac_f32_e32 v40, v43, v39
	s_delay_alu instid0(VALU_DEP_1) | instskip(NEXT) | instid1(VALU_DEP_1)
	v_add_f32_e32 v45, v44, v40
	v_sub_f32_e32 v46, v42, v45
	v_sub_f32_e32 v38, v45, v44
	s_delay_alu instid0(VALU_DEP_2) | instskip(NEXT) | instid1(VALU_DEP_2)
	v_sub_f32_e32 v42, v42, v46
	v_sub_f32_e32 v38, v38, v40
	s_delay_alu instid0(VALU_DEP_2) | instskip(NEXT) | instid1(VALU_DEP_1)
	v_sub_f32_e32 v42, v42, v45
	v_add_f32_e32 v35, v35, v42
	s_delay_alu instid0(VALU_DEP_1) | instskip(NEXT) | instid1(VALU_DEP_1)
	v_add_f32_e32 v35, v38, v35
	v_add_f32_e32 v38, v46, v35
	s_delay_alu instid0(VALU_DEP_1) | instskip(NEXT) | instid1(VALU_DEP_1)
	v_mul_f32_e32 v40, v37, v38
	v_dual_sub_f32 v45, v46, v38 :: v_dual_mul_f32 v42, v41, v40
	s_delay_alu instid0(VALU_DEP_1) | instskip(NEXT) | instid1(VALU_DEP_2)
	v_add_f32_e32 v35, v35, v45
	v_fma_f32 v41, v40, v41, -v42
	s_delay_alu instid0(VALU_DEP_1) | instskip(NEXT) | instid1(VALU_DEP_1)
	v_fmac_f32_e32 v41, v40, v39
	v_add_f32_e32 v39, v42, v41
	s_delay_alu instid0(VALU_DEP_1) | instskip(SKIP_1) | instid1(VALU_DEP_2)
	v_sub_f32_e32 v44, v38, v39
	v_sub_f32_e32 v42, v39, v42
	;; [unrolled: 1-line block ×3, first 2 shown]
	s_delay_alu instid0(VALU_DEP_1) | instskip(NEXT) | instid1(VALU_DEP_3)
	v_sub_f32_e32 v38, v38, v39
	v_sub_f32_e32 v39, v42, v41
	s_delay_alu instid0(VALU_DEP_2) | instskip(SKIP_1) | instid1(VALU_DEP_2)
	v_add_f32_e32 v35, v35, v38
	v_add_f32_e32 v38, v43, v40
	;; [unrolled: 1-line block ×3, first 2 shown]
	s_delay_alu instid0(VALU_DEP_2) | instskip(NEXT) | instid1(VALU_DEP_2)
	v_sub_f32_e32 v39, v38, v43
	v_add_f32_e32 v35, v44, v35
	s_delay_alu instid0(VALU_DEP_2) | instskip(NEXT) | instid1(VALU_DEP_2)
	v_sub_f32_e32 v39, v40, v39
	v_mul_f32_e32 v35, v37, v35
	s_delay_alu instid0(VALU_DEP_1) | instskip(NEXT) | instid1(VALU_DEP_1)
	v_add_f32_e32 v35, v39, v35
	v_add_f32_e32 v37, v38, v35
	s_delay_alu instid0(VALU_DEP_1) | instskip(SKIP_1) | instid1(VALU_DEP_1)
	v_mul_f32_e32 v39, v37, v37
	s_wait_alu 0xfffe
	v_fmaak_f32 v40, s1, v39, 0x3ecc95a3
	v_mul_f32_e32 v41, v37, v39
	v_cmp_neq_f32_e64 s1, 0x7f800000, v36
	s_delay_alu instid0(VALU_DEP_3) | instskip(SKIP_2) | instid1(VALU_DEP_3)
	v_fmaak_f32 v39, v39, v40, 0x3f2aaada
	v_ldexp_f32 v40, v37, 1
	v_sub_f32_e32 v37, v37, v38
	v_mul_f32_e32 v39, v41, v39
	v_mul_f32_e32 v41, 0x3f317218, v34
	s_delay_alu instid0(VALU_DEP_2) | instskip(NEXT) | instid1(VALU_DEP_1)
	v_dual_sub_f32 v35, v35, v37 :: v_dual_add_f32 v38, v40, v39
	v_ldexp_f32 v35, v35, 1
	s_delay_alu instid0(VALU_DEP_2) | instskip(NEXT) | instid1(VALU_DEP_4)
	v_sub_f32_e32 v37, v38, v40
	v_fma_f32 v40, 0x3f317218, v34, -v41
	s_delay_alu instid0(VALU_DEP_1) | instskip(NEXT) | instid1(VALU_DEP_1)
	v_dual_sub_f32 v37, v39, v37 :: v_dual_fmamk_f32 v34, v34, 0xb102e308, v40
	v_add_f32_e32 v35, v35, v37
	s_delay_alu instid0(VALU_DEP_2) | instskip(NEXT) | instid1(VALU_DEP_2)
	v_add_f32_e32 v37, v41, v34
	v_add_f32_e32 v39, v38, v35
	s_delay_alu instid0(VALU_DEP_2) | instskip(NEXT) | instid1(VALU_DEP_2)
	v_sub_f32_e32 v41, v37, v41
	v_add_f32_e32 v40, v37, v39
	v_sub_f32_e32 v38, v39, v38
	s_delay_alu instid0(VALU_DEP_3) | instskip(NEXT) | instid1(VALU_DEP_2)
	v_sub_f32_e32 v34, v34, v41
	v_dual_sub_f32 v42, v40, v37 :: v_dual_sub_f32 v35, v35, v38
	s_delay_alu instid0(VALU_DEP_1) | instskip(NEXT) | instid1(VALU_DEP_2)
	v_sub_f32_e32 v43, v40, v42
	v_dual_sub_f32 v38, v39, v42 :: v_dual_add_f32 v39, v34, v35
	s_delay_alu instid0(VALU_DEP_2) | instskip(NEXT) | instid1(VALU_DEP_1)
	v_sub_f32_e32 v37, v37, v43
	v_dual_add_f32 v37, v38, v37 :: v_dual_sub_f32 v38, v39, v34
	s_delay_alu instid0(VALU_DEP_1) | instskip(NEXT) | instid1(VALU_DEP_2)
	v_add_f32_e32 v37, v39, v37
	v_sub_f32_e32 v39, v39, v38
	v_sub_f32_e32 v35, v35, v38
	s_delay_alu instid0(VALU_DEP_2) | instskip(NEXT) | instid1(VALU_DEP_1)
	v_dual_add_f32 v41, v40, v37 :: v_dual_sub_f32 v34, v34, v39
	v_sub_f32_e32 v38, v41, v40
	s_delay_alu instid0(VALU_DEP_2) | instskip(NEXT) | instid1(VALU_DEP_2)
	v_add_f32_e32 v34, v35, v34
	v_sub_f32_e32 v35, v37, v38
	s_delay_alu instid0(VALU_DEP_1) | instskip(NEXT) | instid1(VALU_DEP_1)
	v_add_f32_e32 v34, v34, v35
	v_add_f32_e32 v34, v41, v34
	s_wait_alu 0xf1ff
	s_delay_alu instid0(VALU_DEP_1) | instskip(SKIP_2) | instid1(VALU_DEP_1)
	v_cndmask_b32_e64 v34, 0x7f800000, v34, s1
	v_cmp_gt_f32_e64 s1, 0x33800000, |v36|
	s_wait_alu 0xf1ff
	v_cndmask_b32_e64 v34, v34, v36, s1
	s_delay_alu instid0(VALU_DEP_1)
	v_add_f32_e32 v34, v33, v34
.LBB460_49:
	s_or_b32 exec_lo, exec_lo, s28
	ds_load_u16 v33, v29 offset:4
	v_bfe_u32 v35, v34, 16, 1
	v_cmp_o_f32_e64 s1, v34, v34
	s_delay_alu instid0(VALU_DEP_2) | instskip(SKIP_2) | instid1(VALU_DEP_1)
	v_add3_u32 v35, v34, v35, 0x7fff
	s_wait_dscnt 0x0
	v_lshlrev_b32_e32 v33, 16, v33
	v_dual_max_num_f32 v36, v33, v33 :: v_dual_and_b32 v35, 0xffff0000, v35
	s_wait_alu 0xf1ff
	s_delay_alu instid0(VALU_DEP_1) | instskip(NEXT) | instid1(VALU_DEP_1)
	v_cndmask_b32_e64 v34, 0x7fc00000, v35, s1
	v_max_num_f32_e32 v35, v34, v34
	v_cmp_u_f32_e64 s1, v34, v34
	s_delay_alu instid0(VALU_DEP_2) | instskip(SKIP_2) | instid1(VALU_DEP_2)
	v_min_num_f32_e32 v37, v35, v36
	v_max_num_f32_e32 v35, v35, v36
	s_wait_alu 0xf1ff
	v_cndmask_b32_e64 v36, v37, v34, s1
	s_delay_alu instid0(VALU_DEP_2) | instskip(SKIP_2) | instid1(VALU_DEP_1)
	v_cndmask_b32_e64 v37, v35, v34, s1
	v_cmp_u_f32_e64 s1, v33, v33
	s_wait_alu 0xf1ff
	v_cndmask_b32_e64 v35, v36, v33, s1
	s_delay_alu instid0(VALU_DEP_3) | instskip(NEXT) | instid1(VALU_DEP_2)
	v_cndmask_b32_e64 v33, v37, v33, s1
	v_cmp_class_f32_e64 s28, v35, 0x1f8
	s_delay_alu instid0(VALU_DEP_2)
	v_cmp_neq_f32_e64 s1, v35, v33
	s_or_b32 s1, s1, s28
	s_wait_alu 0xfffe
	s_and_saveexec_b32 s28, s1
	s_cbranch_execz .LBB460_51
; %bb.50:
	v_sub_f32_e32 v34, v35, v33
	s_delay_alu instid0(VALU_DEP_1) | instskip(SKIP_1) | instid1(VALU_DEP_2)
	v_mul_f32_e32 v35, 0x3fb8aa3b, v34
	v_cmp_ngt_f32_e64 s1, 0xc2ce8ed0, v34
	v_fma_f32 v36, 0x3fb8aa3b, v34, -v35
	v_rndne_f32_e32 v37, v35
	s_delay_alu instid0(VALU_DEP_1) | instskip(NEXT) | instid1(VALU_DEP_1)
	v_dual_fmamk_f32 v36, v34, 0x32a5705f, v36 :: v_dual_sub_f32 v35, v35, v37
	v_add_f32_e32 v35, v35, v36
	v_cvt_i32_f32_e32 v36, v37
	s_delay_alu instid0(VALU_DEP_2) | instskip(NEXT) | instid1(TRANS32_DEP_1)
	v_exp_f32_e32 v35, v35
	v_ldexp_f32 v35, v35, v36
	s_wait_alu 0xf1ff
	s_delay_alu instid0(VALU_DEP_1) | instskip(SKIP_2) | instid1(VALU_DEP_1)
	v_cndmask_b32_e64 v35, 0, v35, s1
	v_cmp_nlt_f32_e64 s1, 0x42b17218, v34
	s_wait_alu 0xf1ff
	v_cndmask_b32_e64 v36, 0x7f800000, v35, s1
	s_delay_alu instid0(VALU_DEP_1) | instskip(NEXT) | instid1(VALU_DEP_1)
	v_add_f32_e32 v37, 1.0, v36
	v_cvt_f64_f32_e32 v[34:35], v37
	s_delay_alu instid0(VALU_DEP_1) | instskip(SKIP_1) | instid1(VALU_DEP_1)
	v_frexp_exp_i32_f64_e32 v34, v[34:35]
	v_frexp_mant_f32_e32 v35, v37
	v_cmp_gt_f32_e64 s1, 0x3f2aaaab, v35
	v_add_f32_e32 v35, -1.0, v37
	s_delay_alu instid0(VALU_DEP_1)
	v_sub_f32_e32 v39, v35, v37
	v_sub_f32_e32 v35, v36, v35
	s_wait_alu 0xf1ff
	v_subrev_co_ci_u32_e64 v34, null, 0, v34, s1
	s_mov_b32 s1, 0x3e9b6dac
	v_sub_nc_u32_e32 v38, 0, v34
	v_cvt_f32_i32_e32 v34, v34
	s_delay_alu instid0(VALU_DEP_2) | instskip(NEXT) | instid1(VALU_DEP_1)
	v_ldexp_f32 v37, v37, v38
	v_dual_add_f32 v40, 1.0, v37 :: v_dual_add_f32 v39, 1.0, v39
	s_delay_alu instid0(VALU_DEP_1) | instskip(NEXT) | instid1(VALU_DEP_2)
	v_add_f32_e32 v35, v35, v39
	v_add_f32_e32 v39, -1.0, v40
	s_delay_alu instid0(VALU_DEP_2) | instskip(NEXT) | instid1(VALU_DEP_2)
	v_ldexp_f32 v35, v35, v38
	v_dual_add_f32 v38, -1.0, v37 :: v_dual_sub_f32 v39, v37, v39
	s_delay_alu instid0(VALU_DEP_1) | instskip(NEXT) | instid1(VALU_DEP_2)
	v_add_f32_e32 v41, 1.0, v38
	v_add_f32_e32 v39, v35, v39
	s_delay_alu instid0(VALU_DEP_2) | instskip(NEXT) | instid1(VALU_DEP_2)
	v_sub_f32_e32 v37, v37, v41
	v_add_f32_e32 v41, v40, v39
	s_delay_alu instid0(VALU_DEP_2) | instskip(NEXT) | instid1(VALU_DEP_2)
	v_add_f32_e32 v35, v35, v37
	v_rcp_f32_e32 v37, v41
	v_sub_f32_e32 v40, v40, v41
	s_delay_alu instid0(VALU_DEP_1) | instskip(NEXT) | instid1(VALU_DEP_1)
	v_dual_add_f32 v42, v38, v35 :: v_dual_add_f32 v39, v39, v40
	v_sub_f32_e32 v38, v38, v42
	s_delay_alu instid0(TRANS32_DEP_1) | instskip(NEXT) | instid1(VALU_DEP_1)
	v_mul_f32_e32 v43, v42, v37
	v_dual_add_f32 v35, v35, v38 :: v_dual_mul_f32 v44, v41, v43
	s_delay_alu instid0(VALU_DEP_1) | instskip(NEXT) | instid1(VALU_DEP_1)
	v_fma_f32 v40, v43, v41, -v44
	v_fmac_f32_e32 v40, v43, v39
	s_delay_alu instid0(VALU_DEP_1) | instskip(NEXT) | instid1(VALU_DEP_1)
	v_add_f32_e32 v45, v44, v40
	v_sub_f32_e32 v46, v42, v45
	v_sub_f32_e32 v38, v45, v44
	s_delay_alu instid0(VALU_DEP_2) | instskip(NEXT) | instid1(VALU_DEP_2)
	v_sub_f32_e32 v42, v42, v46
	v_sub_f32_e32 v38, v38, v40
	s_delay_alu instid0(VALU_DEP_2) | instskip(NEXT) | instid1(VALU_DEP_1)
	v_sub_f32_e32 v42, v42, v45
	v_add_f32_e32 v35, v35, v42
	s_delay_alu instid0(VALU_DEP_1) | instskip(NEXT) | instid1(VALU_DEP_1)
	v_add_f32_e32 v35, v38, v35
	v_add_f32_e32 v38, v46, v35
	s_delay_alu instid0(VALU_DEP_1) | instskip(NEXT) | instid1(VALU_DEP_1)
	v_mul_f32_e32 v40, v37, v38
	v_dual_sub_f32 v45, v46, v38 :: v_dual_mul_f32 v42, v41, v40
	s_delay_alu instid0(VALU_DEP_1) | instskip(NEXT) | instid1(VALU_DEP_2)
	v_add_f32_e32 v35, v35, v45
	v_fma_f32 v41, v40, v41, -v42
	s_delay_alu instid0(VALU_DEP_1) | instskip(NEXT) | instid1(VALU_DEP_1)
	v_fmac_f32_e32 v41, v40, v39
	v_add_f32_e32 v39, v42, v41
	s_delay_alu instid0(VALU_DEP_1) | instskip(SKIP_1) | instid1(VALU_DEP_2)
	v_sub_f32_e32 v44, v38, v39
	v_sub_f32_e32 v42, v39, v42
	;; [unrolled: 1-line block ×3, first 2 shown]
	s_delay_alu instid0(VALU_DEP_1) | instskip(NEXT) | instid1(VALU_DEP_3)
	v_sub_f32_e32 v38, v38, v39
	v_sub_f32_e32 v39, v42, v41
	s_delay_alu instid0(VALU_DEP_2) | instskip(SKIP_1) | instid1(VALU_DEP_2)
	v_add_f32_e32 v35, v35, v38
	v_add_f32_e32 v38, v43, v40
	;; [unrolled: 1-line block ×3, first 2 shown]
	s_delay_alu instid0(VALU_DEP_2) | instskip(NEXT) | instid1(VALU_DEP_2)
	v_sub_f32_e32 v39, v38, v43
	v_add_f32_e32 v35, v44, v35
	s_delay_alu instid0(VALU_DEP_2) | instskip(NEXT) | instid1(VALU_DEP_2)
	v_sub_f32_e32 v39, v40, v39
	v_mul_f32_e32 v35, v37, v35
	s_delay_alu instid0(VALU_DEP_1) | instskip(NEXT) | instid1(VALU_DEP_1)
	v_add_f32_e32 v35, v39, v35
	v_add_f32_e32 v37, v38, v35
	s_delay_alu instid0(VALU_DEP_1) | instskip(SKIP_1) | instid1(VALU_DEP_1)
	v_mul_f32_e32 v39, v37, v37
	s_wait_alu 0xfffe
	v_fmaak_f32 v40, s1, v39, 0x3ecc95a3
	v_mul_f32_e32 v41, v37, v39
	v_cmp_neq_f32_e64 s1, 0x7f800000, v36
	s_delay_alu instid0(VALU_DEP_3) | instskip(SKIP_2) | instid1(VALU_DEP_3)
	v_fmaak_f32 v39, v39, v40, 0x3f2aaada
	v_ldexp_f32 v40, v37, 1
	v_sub_f32_e32 v37, v37, v38
	v_mul_f32_e32 v39, v41, v39
	v_mul_f32_e32 v41, 0x3f317218, v34
	s_delay_alu instid0(VALU_DEP_2) | instskip(NEXT) | instid1(VALU_DEP_1)
	v_dual_sub_f32 v35, v35, v37 :: v_dual_add_f32 v38, v40, v39
	v_ldexp_f32 v35, v35, 1
	s_delay_alu instid0(VALU_DEP_2) | instskip(NEXT) | instid1(VALU_DEP_4)
	v_sub_f32_e32 v37, v38, v40
	v_fma_f32 v40, 0x3f317218, v34, -v41
	s_delay_alu instid0(VALU_DEP_1) | instskip(NEXT) | instid1(VALU_DEP_1)
	v_dual_sub_f32 v37, v39, v37 :: v_dual_fmamk_f32 v34, v34, 0xb102e308, v40
	v_add_f32_e32 v35, v35, v37
	s_delay_alu instid0(VALU_DEP_2) | instskip(NEXT) | instid1(VALU_DEP_2)
	v_add_f32_e32 v37, v41, v34
	v_add_f32_e32 v39, v38, v35
	s_delay_alu instid0(VALU_DEP_2) | instskip(NEXT) | instid1(VALU_DEP_2)
	v_sub_f32_e32 v41, v37, v41
	v_add_f32_e32 v40, v37, v39
	v_sub_f32_e32 v38, v39, v38
	s_delay_alu instid0(VALU_DEP_3) | instskip(NEXT) | instid1(VALU_DEP_2)
	v_sub_f32_e32 v34, v34, v41
	v_dual_sub_f32 v42, v40, v37 :: v_dual_sub_f32 v35, v35, v38
	s_delay_alu instid0(VALU_DEP_1) | instskip(NEXT) | instid1(VALU_DEP_2)
	v_sub_f32_e32 v43, v40, v42
	v_dual_sub_f32 v38, v39, v42 :: v_dual_add_f32 v39, v34, v35
	s_delay_alu instid0(VALU_DEP_2) | instskip(NEXT) | instid1(VALU_DEP_1)
	v_sub_f32_e32 v37, v37, v43
	v_dual_add_f32 v37, v38, v37 :: v_dual_sub_f32 v38, v39, v34
	s_delay_alu instid0(VALU_DEP_1) | instskip(NEXT) | instid1(VALU_DEP_2)
	v_add_f32_e32 v37, v39, v37
	v_sub_f32_e32 v39, v39, v38
	v_sub_f32_e32 v35, v35, v38
	s_delay_alu instid0(VALU_DEP_2) | instskip(NEXT) | instid1(VALU_DEP_1)
	v_dual_add_f32 v41, v40, v37 :: v_dual_sub_f32 v34, v34, v39
	v_sub_f32_e32 v38, v41, v40
	s_delay_alu instid0(VALU_DEP_2) | instskip(NEXT) | instid1(VALU_DEP_2)
	v_add_f32_e32 v34, v35, v34
	v_sub_f32_e32 v35, v37, v38
	s_delay_alu instid0(VALU_DEP_1) | instskip(NEXT) | instid1(VALU_DEP_1)
	v_add_f32_e32 v34, v34, v35
	v_add_f32_e32 v34, v41, v34
	s_wait_alu 0xf1ff
	s_delay_alu instid0(VALU_DEP_1) | instskip(SKIP_2) | instid1(VALU_DEP_1)
	v_cndmask_b32_e64 v34, 0x7f800000, v34, s1
	v_cmp_gt_f32_e64 s1, 0x33800000, |v36|
	s_wait_alu 0xf1ff
	v_cndmask_b32_e64 v34, v34, v36, s1
	s_delay_alu instid0(VALU_DEP_1)
	v_add_f32_e32 v34, v33, v34
.LBB460_51:
	s_or_b32 exec_lo, exec_lo, s28
	ds_load_u16 v33, v29 offset:6
	v_bfe_u32 v35, v34, 16, 1
	v_cmp_o_f32_e64 s1, v34, v34
	s_delay_alu instid0(VALU_DEP_2) | instskip(SKIP_2) | instid1(VALU_DEP_1)
	v_add3_u32 v35, v34, v35, 0x7fff
	s_wait_dscnt 0x0
	v_lshlrev_b32_e32 v33, 16, v33
	v_dual_max_num_f32 v36, v33, v33 :: v_dual_and_b32 v35, 0xffff0000, v35
	s_wait_alu 0xf1ff
	s_delay_alu instid0(VALU_DEP_1) | instskip(NEXT) | instid1(VALU_DEP_1)
	v_cndmask_b32_e64 v34, 0x7fc00000, v35, s1
	v_max_num_f32_e32 v35, v34, v34
	v_cmp_u_f32_e64 s1, v34, v34
	s_delay_alu instid0(VALU_DEP_2) | instskip(SKIP_2) | instid1(VALU_DEP_2)
	v_min_num_f32_e32 v37, v35, v36
	v_max_num_f32_e32 v35, v35, v36
	s_wait_alu 0xf1ff
	v_cndmask_b32_e64 v36, v37, v34, s1
	s_delay_alu instid0(VALU_DEP_2) | instskip(SKIP_2) | instid1(VALU_DEP_1)
	v_cndmask_b32_e64 v37, v35, v34, s1
	v_cmp_u_f32_e64 s1, v33, v33
	s_wait_alu 0xf1ff
	v_cndmask_b32_e64 v35, v36, v33, s1
	s_delay_alu instid0(VALU_DEP_3) | instskip(NEXT) | instid1(VALU_DEP_2)
	v_cndmask_b32_e64 v33, v37, v33, s1
	v_cmp_class_f32_e64 s28, v35, 0x1f8
	s_delay_alu instid0(VALU_DEP_2)
	v_cmp_neq_f32_e64 s1, v35, v33
	s_or_b32 s1, s1, s28
	s_wait_alu 0xfffe
	s_and_saveexec_b32 s28, s1
	s_cbranch_execz .LBB460_53
; %bb.52:
	v_sub_f32_e32 v34, v35, v33
	s_delay_alu instid0(VALU_DEP_1) | instskip(SKIP_1) | instid1(VALU_DEP_2)
	v_mul_f32_e32 v35, 0x3fb8aa3b, v34
	v_cmp_ngt_f32_e64 s1, 0xc2ce8ed0, v34
	v_fma_f32 v36, 0x3fb8aa3b, v34, -v35
	v_rndne_f32_e32 v37, v35
	s_delay_alu instid0(VALU_DEP_1) | instskip(NEXT) | instid1(VALU_DEP_1)
	v_dual_fmamk_f32 v36, v34, 0x32a5705f, v36 :: v_dual_sub_f32 v35, v35, v37
	v_add_f32_e32 v35, v35, v36
	v_cvt_i32_f32_e32 v36, v37
	s_delay_alu instid0(VALU_DEP_2) | instskip(NEXT) | instid1(TRANS32_DEP_1)
	v_exp_f32_e32 v35, v35
	v_ldexp_f32 v35, v35, v36
	s_wait_alu 0xf1ff
	s_delay_alu instid0(VALU_DEP_1) | instskip(SKIP_2) | instid1(VALU_DEP_1)
	v_cndmask_b32_e64 v35, 0, v35, s1
	v_cmp_nlt_f32_e64 s1, 0x42b17218, v34
	s_wait_alu 0xf1ff
	v_cndmask_b32_e64 v36, 0x7f800000, v35, s1
	s_delay_alu instid0(VALU_DEP_1) | instskip(NEXT) | instid1(VALU_DEP_1)
	v_add_f32_e32 v37, 1.0, v36
	v_cvt_f64_f32_e32 v[34:35], v37
	s_delay_alu instid0(VALU_DEP_1) | instskip(SKIP_1) | instid1(VALU_DEP_1)
	v_frexp_exp_i32_f64_e32 v34, v[34:35]
	v_frexp_mant_f32_e32 v35, v37
	v_cmp_gt_f32_e64 s1, 0x3f2aaaab, v35
	v_add_f32_e32 v35, -1.0, v37
	s_delay_alu instid0(VALU_DEP_1)
	v_sub_f32_e32 v39, v35, v37
	v_sub_f32_e32 v35, v36, v35
	s_wait_alu 0xf1ff
	v_subrev_co_ci_u32_e64 v34, null, 0, v34, s1
	s_mov_b32 s1, 0x3e9b6dac
	v_sub_nc_u32_e32 v38, 0, v34
	v_cvt_f32_i32_e32 v34, v34
	s_delay_alu instid0(VALU_DEP_2) | instskip(NEXT) | instid1(VALU_DEP_1)
	v_ldexp_f32 v37, v37, v38
	v_dual_add_f32 v40, 1.0, v37 :: v_dual_add_f32 v39, 1.0, v39
	s_delay_alu instid0(VALU_DEP_1) | instskip(NEXT) | instid1(VALU_DEP_2)
	v_add_f32_e32 v35, v35, v39
	v_add_f32_e32 v39, -1.0, v40
	s_delay_alu instid0(VALU_DEP_2) | instskip(NEXT) | instid1(VALU_DEP_2)
	v_ldexp_f32 v35, v35, v38
	v_dual_add_f32 v38, -1.0, v37 :: v_dual_sub_f32 v39, v37, v39
	s_delay_alu instid0(VALU_DEP_1) | instskip(NEXT) | instid1(VALU_DEP_2)
	v_add_f32_e32 v41, 1.0, v38
	v_add_f32_e32 v39, v35, v39
	s_delay_alu instid0(VALU_DEP_2) | instskip(NEXT) | instid1(VALU_DEP_2)
	v_sub_f32_e32 v37, v37, v41
	v_add_f32_e32 v41, v40, v39
	s_delay_alu instid0(VALU_DEP_2) | instskip(NEXT) | instid1(VALU_DEP_2)
	v_add_f32_e32 v35, v35, v37
	v_rcp_f32_e32 v37, v41
	v_sub_f32_e32 v40, v40, v41
	s_delay_alu instid0(VALU_DEP_1) | instskip(NEXT) | instid1(VALU_DEP_1)
	v_dual_add_f32 v42, v38, v35 :: v_dual_add_f32 v39, v39, v40
	v_sub_f32_e32 v38, v38, v42
	s_delay_alu instid0(TRANS32_DEP_1) | instskip(NEXT) | instid1(VALU_DEP_1)
	v_mul_f32_e32 v43, v42, v37
	v_dual_add_f32 v35, v35, v38 :: v_dual_mul_f32 v44, v41, v43
	s_delay_alu instid0(VALU_DEP_1) | instskip(NEXT) | instid1(VALU_DEP_1)
	v_fma_f32 v40, v43, v41, -v44
	v_fmac_f32_e32 v40, v43, v39
	s_delay_alu instid0(VALU_DEP_1) | instskip(NEXT) | instid1(VALU_DEP_1)
	v_add_f32_e32 v45, v44, v40
	v_sub_f32_e32 v46, v42, v45
	v_sub_f32_e32 v38, v45, v44
	s_delay_alu instid0(VALU_DEP_2) | instskip(NEXT) | instid1(VALU_DEP_2)
	v_sub_f32_e32 v42, v42, v46
	v_sub_f32_e32 v38, v38, v40
	s_delay_alu instid0(VALU_DEP_2) | instskip(NEXT) | instid1(VALU_DEP_1)
	v_sub_f32_e32 v42, v42, v45
	v_add_f32_e32 v35, v35, v42
	s_delay_alu instid0(VALU_DEP_1) | instskip(NEXT) | instid1(VALU_DEP_1)
	v_add_f32_e32 v35, v38, v35
	v_add_f32_e32 v38, v46, v35
	s_delay_alu instid0(VALU_DEP_1) | instskip(NEXT) | instid1(VALU_DEP_1)
	v_mul_f32_e32 v40, v37, v38
	v_dual_sub_f32 v45, v46, v38 :: v_dual_mul_f32 v42, v41, v40
	s_delay_alu instid0(VALU_DEP_1) | instskip(NEXT) | instid1(VALU_DEP_2)
	v_add_f32_e32 v35, v35, v45
	v_fma_f32 v41, v40, v41, -v42
	s_delay_alu instid0(VALU_DEP_1) | instskip(NEXT) | instid1(VALU_DEP_1)
	v_fmac_f32_e32 v41, v40, v39
	v_add_f32_e32 v39, v42, v41
	s_delay_alu instid0(VALU_DEP_1) | instskip(SKIP_1) | instid1(VALU_DEP_2)
	v_sub_f32_e32 v44, v38, v39
	v_sub_f32_e32 v42, v39, v42
	v_sub_f32_e32 v38, v38, v44
	s_delay_alu instid0(VALU_DEP_1) | instskip(NEXT) | instid1(VALU_DEP_3)
	v_sub_f32_e32 v38, v38, v39
	v_sub_f32_e32 v39, v42, v41
	s_delay_alu instid0(VALU_DEP_2) | instskip(SKIP_1) | instid1(VALU_DEP_2)
	v_add_f32_e32 v35, v35, v38
	v_add_f32_e32 v38, v43, v40
	;; [unrolled: 1-line block ×3, first 2 shown]
	s_delay_alu instid0(VALU_DEP_2) | instskip(NEXT) | instid1(VALU_DEP_2)
	v_sub_f32_e32 v39, v38, v43
	v_add_f32_e32 v35, v44, v35
	s_delay_alu instid0(VALU_DEP_2) | instskip(NEXT) | instid1(VALU_DEP_2)
	v_sub_f32_e32 v39, v40, v39
	v_mul_f32_e32 v35, v37, v35
	s_delay_alu instid0(VALU_DEP_1) | instskip(NEXT) | instid1(VALU_DEP_1)
	v_add_f32_e32 v35, v39, v35
	v_add_f32_e32 v37, v38, v35
	s_delay_alu instid0(VALU_DEP_1) | instskip(SKIP_1) | instid1(VALU_DEP_1)
	v_mul_f32_e32 v39, v37, v37
	s_wait_alu 0xfffe
	v_fmaak_f32 v40, s1, v39, 0x3ecc95a3
	v_mul_f32_e32 v41, v37, v39
	v_cmp_neq_f32_e64 s1, 0x7f800000, v36
	s_delay_alu instid0(VALU_DEP_3) | instskip(SKIP_2) | instid1(VALU_DEP_3)
	v_fmaak_f32 v39, v39, v40, 0x3f2aaada
	v_ldexp_f32 v40, v37, 1
	v_sub_f32_e32 v37, v37, v38
	v_mul_f32_e32 v39, v41, v39
	v_mul_f32_e32 v41, 0x3f317218, v34
	s_delay_alu instid0(VALU_DEP_2) | instskip(NEXT) | instid1(VALU_DEP_1)
	v_dual_sub_f32 v35, v35, v37 :: v_dual_add_f32 v38, v40, v39
	v_ldexp_f32 v35, v35, 1
	s_delay_alu instid0(VALU_DEP_2) | instskip(NEXT) | instid1(VALU_DEP_4)
	v_sub_f32_e32 v37, v38, v40
	v_fma_f32 v40, 0x3f317218, v34, -v41
	s_delay_alu instid0(VALU_DEP_1) | instskip(NEXT) | instid1(VALU_DEP_1)
	v_dual_sub_f32 v37, v39, v37 :: v_dual_fmamk_f32 v34, v34, 0xb102e308, v40
	v_add_f32_e32 v35, v35, v37
	s_delay_alu instid0(VALU_DEP_2) | instskip(NEXT) | instid1(VALU_DEP_2)
	v_add_f32_e32 v37, v41, v34
	v_add_f32_e32 v39, v38, v35
	s_delay_alu instid0(VALU_DEP_2) | instskip(NEXT) | instid1(VALU_DEP_2)
	v_sub_f32_e32 v41, v37, v41
	v_add_f32_e32 v40, v37, v39
	v_sub_f32_e32 v38, v39, v38
	s_delay_alu instid0(VALU_DEP_3) | instskip(NEXT) | instid1(VALU_DEP_2)
	v_sub_f32_e32 v34, v34, v41
	v_dual_sub_f32 v42, v40, v37 :: v_dual_sub_f32 v35, v35, v38
	s_delay_alu instid0(VALU_DEP_1) | instskip(NEXT) | instid1(VALU_DEP_2)
	v_sub_f32_e32 v43, v40, v42
	v_dual_sub_f32 v38, v39, v42 :: v_dual_add_f32 v39, v34, v35
	s_delay_alu instid0(VALU_DEP_2) | instskip(NEXT) | instid1(VALU_DEP_1)
	v_sub_f32_e32 v37, v37, v43
	v_dual_add_f32 v37, v38, v37 :: v_dual_sub_f32 v38, v39, v34
	s_delay_alu instid0(VALU_DEP_1) | instskip(NEXT) | instid1(VALU_DEP_2)
	v_add_f32_e32 v37, v39, v37
	v_sub_f32_e32 v39, v39, v38
	v_sub_f32_e32 v35, v35, v38
	s_delay_alu instid0(VALU_DEP_2) | instskip(NEXT) | instid1(VALU_DEP_1)
	v_dual_add_f32 v41, v40, v37 :: v_dual_sub_f32 v34, v34, v39
	v_sub_f32_e32 v38, v41, v40
	s_delay_alu instid0(VALU_DEP_2) | instskip(NEXT) | instid1(VALU_DEP_2)
	v_add_f32_e32 v34, v35, v34
	v_sub_f32_e32 v35, v37, v38
	s_delay_alu instid0(VALU_DEP_1) | instskip(NEXT) | instid1(VALU_DEP_1)
	v_add_f32_e32 v34, v34, v35
	v_add_f32_e32 v34, v41, v34
	s_wait_alu 0xf1ff
	s_delay_alu instid0(VALU_DEP_1) | instskip(SKIP_2) | instid1(VALU_DEP_1)
	v_cndmask_b32_e64 v34, 0x7f800000, v34, s1
	v_cmp_gt_f32_e64 s1, 0x33800000, |v36|
	s_wait_alu 0xf1ff
	v_cndmask_b32_e64 v34, v34, v36, s1
	s_delay_alu instid0(VALU_DEP_1)
	v_add_f32_e32 v34, v33, v34
.LBB460_53:
	s_or_b32 exec_lo, exec_lo, s28
	ds_load_u16 v33, v29 offset:8
	v_bfe_u32 v35, v34, 16, 1
	v_cmp_o_f32_e64 s1, v34, v34
	s_delay_alu instid0(VALU_DEP_2) | instskip(SKIP_2) | instid1(VALU_DEP_1)
	v_add3_u32 v35, v34, v35, 0x7fff
	s_wait_dscnt 0x0
	v_lshlrev_b32_e32 v33, 16, v33
	v_dual_max_num_f32 v36, v33, v33 :: v_dual_and_b32 v35, 0xffff0000, v35
	s_wait_alu 0xf1ff
	s_delay_alu instid0(VALU_DEP_1) | instskip(NEXT) | instid1(VALU_DEP_1)
	v_cndmask_b32_e64 v34, 0x7fc00000, v35, s1
	v_max_num_f32_e32 v35, v34, v34
	v_cmp_u_f32_e64 s1, v34, v34
	s_delay_alu instid0(VALU_DEP_2) | instskip(SKIP_2) | instid1(VALU_DEP_2)
	v_min_num_f32_e32 v37, v35, v36
	v_max_num_f32_e32 v35, v35, v36
	s_wait_alu 0xf1ff
	v_cndmask_b32_e64 v36, v37, v34, s1
	s_delay_alu instid0(VALU_DEP_2) | instskip(SKIP_2) | instid1(VALU_DEP_1)
	v_cndmask_b32_e64 v37, v35, v34, s1
	v_cmp_u_f32_e64 s1, v33, v33
	s_wait_alu 0xf1ff
	v_cndmask_b32_e64 v35, v36, v33, s1
	s_delay_alu instid0(VALU_DEP_3) | instskip(NEXT) | instid1(VALU_DEP_2)
	v_cndmask_b32_e64 v33, v37, v33, s1
	v_cmp_class_f32_e64 s28, v35, 0x1f8
	s_delay_alu instid0(VALU_DEP_2)
	v_cmp_neq_f32_e64 s1, v35, v33
	s_or_b32 s1, s1, s28
	s_wait_alu 0xfffe
	s_and_saveexec_b32 s28, s1
	s_cbranch_execz .LBB460_55
; %bb.54:
	v_sub_f32_e32 v34, v35, v33
	s_delay_alu instid0(VALU_DEP_1) | instskip(SKIP_1) | instid1(VALU_DEP_2)
	v_mul_f32_e32 v35, 0x3fb8aa3b, v34
	v_cmp_ngt_f32_e64 s1, 0xc2ce8ed0, v34
	v_fma_f32 v36, 0x3fb8aa3b, v34, -v35
	v_rndne_f32_e32 v37, v35
	s_delay_alu instid0(VALU_DEP_1) | instskip(NEXT) | instid1(VALU_DEP_1)
	v_dual_fmamk_f32 v36, v34, 0x32a5705f, v36 :: v_dual_sub_f32 v35, v35, v37
	v_add_f32_e32 v35, v35, v36
	v_cvt_i32_f32_e32 v36, v37
	s_delay_alu instid0(VALU_DEP_2) | instskip(NEXT) | instid1(TRANS32_DEP_1)
	v_exp_f32_e32 v35, v35
	v_ldexp_f32 v35, v35, v36
	s_wait_alu 0xf1ff
	s_delay_alu instid0(VALU_DEP_1) | instskip(SKIP_2) | instid1(VALU_DEP_1)
	v_cndmask_b32_e64 v35, 0, v35, s1
	v_cmp_nlt_f32_e64 s1, 0x42b17218, v34
	s_wait_alu 0xf1ff
	v_cndmask_b32_e64 v36, 0x7f800000, v35, s1
	s_delay_alu instid0(VALU_DEP_1) | instskip(NEXT) | instid1(VALU_DEP_1)
	v_add_f32_e32 v37, 1.0, v36
	v_cvt_f64_f32_e32 v[34:35], v37
	s_delay_alu instid0(VALU_DEP_1) | instskip(SKIP_1) | instid1(VALU_DEP_1)
	v_frexp_exp_i32_f64_e32 v34, v[34:35]
	v_frexp_mant_f32_e32 v35, v37
	v_cmp_gt_f32_e64 s1, 0x3f2aaaab, v35
	v_add_f32_e32 v35, -1.0, v37
	s_delay_alu instid0(VALU_DEP_1)
	v_sub_f32_e32 v39, v35, v37
	v_sub_f32_e32 v35, v36, v35
	s_wait_alu 0xf1ff
	v_subrev_co_ci_u32_e64 v34, null, 0, v34, s1
	s_mov_b32 s1, 0x3e9b6dac
	v_sub_nc_u32_e32 v38, 0, v34
	v_cvt_f32_i32_e32 v34, v34
	s_delay_alu instid0(VALU_DEP_2) | instskip(NEXT) | instid1(VALU_DEP_1)
	v_ldexp_f32 v37, v37, v38
	v_dual_add_f32 v40, 1.0, v37 :: v_dual_add_f32 v39, 1.0, v39
	s_delay_alu instid0(VALU_DEP_1) | instskip(NEXT) | instid1(VALU_DEP_2)
	v_add_f32_e32 v35, v35, v39
	v_add_f32_e32 v39, -1.0, v40
	s_delay_alu instid0(VALU_DEP_2) | instskip(NEXT) | instid1(VALU_DEP_2)
	v_ldexp_f32 v35, v35, v38
	v_dual_add_f32 v38, -1.0, v37 :: v_dual_sub_f32 v39, v37, v39
	s_delay_alu instid0(VALU_DEP_1) | instskip(NEXT) | instid1(VALU_DEP_2)
	v_add_f32_e32 v41, 1.0, v38
	v_add_f32_e32 v39, v35, v39
	s_delay_alu instid0(VALU_DEP_2) | instskip(NEXT) | instid1(VALU_DEP_2)
	v_sub_f32_e32 v37, v37, v41
	v_add_f32_e32 v41, v40, v39
	s_delay_alu instid0(VALU_DEP_2) | instskip(NEXT) | instid1(VALU_DEP_2)
	v_add_f32_e32 v35, v35, v37
	v_rcp_f32_e32 v37, v41
	v_sub_f32_e32 v40, v40, v41
	s_delay_alu instid0(VALU_DEP_1) | instskip(NEXT) | instid1(VALU_DEP_1)
	v_dual_add_f32 v42, v38, v35 :: v_dual_add_f32 v39, v39, v40
	v_sub_f32_e32 v38, v38, v42
	s_delay_alu instid0(TRANS32_DEP_1) | instskip(NEXT) | instid1(VALU_DEP_1)
	v_mul_f32_e32 v43, v42, v37
	v_dual_add_f32 v35, v35, v38 :: v_dual_mul_f32 v44, v41, v43
	s_delay_alu instid0(VALU_DEP_1) | instskip(NEXT) | instid1(VALU_DEP_1)
	v_fma_f32 v40, v43, v41, -v44
	v_fmac_f32_e32 v40, v43, v39
	s_delay_alu instid0(VALU_DEP_1) | instskip(NEXT) | instid1(VALU_DEP_1)
	v_add_f32_e32 v45, v44, v40
	v_sub_f32_e32 v46, v42, v45
	v_sub_f32_e32 v38, v45, v44
	s_delay_alu instid0(VALU_DEP_2) | instskip(NEXT) | instid1(VALU_DEP_2)
	v_sub_f32_e32 v42, v42, v46
	v_sub_f32_e32 v38, v38, v40
	s_delay_alu instid0(VALU_DEP_2) | instskip(NEXT) | instid1(VALU_DEP_1)
	v_sub_f32_e32 v42, v42, v45
	v_add_f32_e32 v35, v35, v42
	s_delay_alu instid0(VALU_DEP_1) | instskip(NEXT) | instid1(VALU_DEP_1)
	v_add_f32_e32 v35, v38, v35
	v_add_f32_e32 v38, v46, v35
	s_delay_alu instid0(VALU_DEP_1) | instskip(NEXT) | instid1(VALU_DEP_1)
	v_mul_f32_e32 v40, v37, v38
	v_dual_sub_f32 v45, v46, v38 :: v_dual_mul_f32 v42, v41, v40
	s_delay_alu instid0(VALU_DEP_1) | instskip(NEXT) | instid1(VALU_DEP_2)
	v_add_f32_e32 v35, v35, v45
	v_fma_f32 v41, v40, v41, -v42
	s_delay_alu instid0(VALU_DEP_1) | instskip(NEXT) | instid1(VALU_DEP_1)
	v_fmac_f32_e32 v41, v40, v39
	v_add_f32_e32 v39, v42, v41
	s_delay_alu instid0(VALU_DEP_1) | instskip(SKIP_1) | instid1(VALU_DEP_2)
	v_sub_f32_e32 v44, v38, v39
	v_sub_f32_e32 v42, v39, v42
	;; [unrolled: 1-line block ×3, first 2 shown]
	s_delay_alu instid0(VALU_DEP_1) | instskip(NEXT) | instid1(VALU_DEP_3)
	v_sub_f32_e32 v38, v38, v39
	v_sub_f32_e32 v39, v42, v41
	s_delay_alu instid0(VALU_DEP_2) | instskip(SKIP_1) | instid1(VALU_DEP_2)
	v_add_f32_e32 v35, v35, v38
	v_add_f32_e32 v38, v43, v40
	;; [unrolled: 1-line block ×3, first 2 shown]
	s_delay_alu instid0(VALU_DEP_2) | instskip(NEXT) | instid1(VALU_DEP_2)
	v_sub_f32_e32 v39, v38, v43
	v_add_f32_e32 v35, v44, v35
	s_delay_alu instid0(VALU_DEP_2) | instskip(NEXT) | instid1(VALU_DEP_2)
	v_sub_f32_e32 v39, v40, v39
	v_mul_f32_e32 v35, v37, v35
	s_delay_alu instid0(VALU_DEP_1) | instskip(NEXT) | instid1(VALU_DEP_1)
	v_add_f32_e32 v35, v39, v35
	v_add_f32_e32 v37, v38, v35
	s_delay_alu instid0(VALU_DEP_1) | instskip(SKIP_1) | instid1(VALU_DEP_1)
	v_mul_f32_e32 v39, v37, v37
	s_wait_alu 0xfffe
	v_fmaak_f32 v40, s1, v39, 0x3ecc95a3
	v_mul_f32_e32 v41, v37, v39
	v_cmp_neq_f32_e64 s1, 0x7f800000, v36
	s_delay_alu instid0(VALU_DEP_3) | instskip(SKIP_2) | instid1(VALU_DEP_3)
	v_fmaak_f32 v39, v39, v40, 0x3f2aaada
	v_ldexp_f32 v40, v37, 1
	v_sub_f32_e32 v37, v37, v38
	v_mul_f32_e32 v39, v41, v39
	v_mul_f32_e32 v41, 0x3f317218, v34
	s_delay_alu instid0(VALU_DEP_2) | instskip(NEXT) | instid1(VALU_DEP_1)
	v_dual_sub_f32 v35, v35, v37 :: v_dual_add_f32 v38, v40, v39
	v_ldexp_f32 v35, v35, 1
	s_delay_alu instid0(VALU_DEP_2) | instskip(NEXT) | instid1(VALU_DEP_4)
	v_sub_f32_e32 v37, v38, v40
	v_fma_f32 v40, 0x3f317218, v34, -v41
	s_delay_alu instid0(VALU_DEP_1) | instskip(NEXT) | instid1(VALU_DEP_1)
	v_dual_sub_f32 v37, v39, v37 :: v_dual_fmamk_f32 v34, v34, 0xb102e308, v40
	v_add_f32_e32 v35, v35, v37
	s_delay_alu instid0(VALU_DEP_2) | instskip(NEXT) | instid1(VALU_DEP_2)
	v_add_f32_e32 v37, v41, v34
	v_add_f32_e32 v39, v38, v35
	s_delay_alu instid0(VALU_DEP_2) | instskip(NEXT) | instid1(VALU_DEP_2)
	v_sub_f32_e32 v41, v37, v41
	v_add_f32_e32 v40, v37, v39
	v_sub_f32_e32 v38, v39, v38
	s_delay_alu instid0(VALU_DEP_3) | instskip(NEXT) | instid1(VALU_DEP_2)
	v_sub_f32_e32 v34, v34, v41
	v_dual_sub_f32 v42, v40, v37 :: v_dual_sub_f32 v35, v35, v38
	s_delay_alu instid0(VALU_DEP_1) | instskip(NEXT) | instid1(VALU_DEP_2)
	v_sub_f32_e32 v43, v40, v42
	v_dual_sub_f32 v38, v39, v42 :: v_dual_add_f32 v39, v34, v35
	s_delay_alu instid0(VALU_DEP_2) | instskip(NEXT) | instid1(VALU_DEP_1)
	v_sub_f32_e32 v37, v37, v43
	v_dual_add_f32 v37, v38, v37 :: v_dual_sub_f32 v38, v39, v34
	s_delay_alu instid0(VALU_DEP_1) | instskip(NEXT) | instid1(VALU_DEP_2)
	v_add_f32_e32 v37, v39, v37
	v_sub_f32_e32 v39, v39, v38
	v_sub_f32_e32 v35, v35, v38
	s_delay_alu instid0(VALU_DEP_2) | instskip(NEXT) | instid1(VALU_DEP_1)
	v_dual_add_f32 v41, v40, v37 :: v_dual_sub_f32 v34, v34, v39
	v_sub_f32_e32 v38, v41, v40
	s_delay_alu instid0(VALU_DEP_2) | instskip(NEXT) | instid1(VALU_DEP_2)
	v_add_f32_e32 v34, v35, v34
	v_sub_f32_e32 v35, v37, v38
	s_delay_alu instid0(VALU_DEP_1) | instskip(NEXT) | instid1(VALU_DEP_1)
	v_add_f32_e32 v34, v34, v35
	v_add_f32_e32 v34, v41, v34
	s_wait_alu 0xf1ff
	s_delay_alu instid0(VALU_DEP_1) | instskip(SKIP_2) | instid1(VALU_DEP_1)
	v_cndmask_b32_e64 v34, 0x7f800000, v34, s1
	v_cmp_gt_f32_e64 s1, 0x33800000, |v36|
	s_wait_alu 0xf1ff
	v_cndmask_b32_e64 v34, v34, v36, s1
	s_delay_alu instid0(VALU_DEP_1)
	v_add_f32_e32 v34, v33, v34
.LBB460_55:
	s_or_b32 exec_lo, exec_lo, s28
	ds_load_u16 v33, v29 offset:10
	v_bfe_u32 v35, v34, 16, 1
	v_cmp_o_f32_e64 s1, v34, v34
	s_delay_alu instid0(VALU_DEP_2) | instskip(SKIP_2) | instid1(VALU_DEP_1)
	v_add3_u32 v35, v34, v35, 0x7fff
	s_wait_dscnt 0x0
	v_lshlrev_b32_e32 v33, 16, v33
	v_dual_max_num_f32 v36, v33, v33 :: v_dual_and_b32 v35, 0xffff0000, v35
	s_wait_alu 0xf1ff
	s_delay_alu instid0(VALU_DEP_1) | instskip(NEXT) | instid1(VALU_DEP_1)
	v_cndmask_b32_e64 v34, 0x7fc00000, v35, s1
	v_max_num_f32_e32 v35, v34, v34
	v_cmp_u_f32_e64 s1, v34, v34
	s_delay_alu instid0(VALU_DEP_2) | instskip(SKIP_2) | instid1(VALU_DEP_2)
	v_min_num_f32_e32 v37, v35, v36
	v_max_num_f32_e32 v35, v35, v36
	s_wait_alu 0xf1ff
	v_cndmask_b32_e64 v36, v37, v34, s1
	s_delay_alu instid0(VALU_DEP_2) | instskip(SKIP_2) | instid1(VALU_DEP_1)
	v_cndmask_b32_e64 v37, v35, v34, s1
	v_cmp_u_f32_e64 s1, v33, v33
	s_wait_alu 0xf1ff
	v_cndmask_b32_e64 v35, v36, v33, s1
	s_delay_alu instid0(VALU_DEP_3) | instskip(NEXT) | instid1(VALU_DEP_2)
	v_cndmask_b32_e64 v33, v37, v33, s1
	v_cmp_class_f32_e64 s28, v35, 0x1f8
	s_delay_alu instid0(VALU_DEP_2)
	v_cmp_neq_f32_e64 s1, v35, v33
	s_or_b32 s1, s1, s28
	s_wait_alu 0xfffe
	s_and_saveexec_b32 s28, s1
	s_cbranch_execz .LBB460_57
; %bb.56:
	v_sub_f32_e32 v34, v35, v33
	s_delay_alu instid0(VALU_DEP_1) | instskip(SKIP_1) | instid1(VALU_DEP_2)
	v_mul_f32_e32 v35, 0x3fb8aa3b, v34
	v_cmp_ngt_f32_e64 s1, 0xc2ce8ed0, v34
	v_fma_f32 v36, 0x3fb8aa3b, v34, -v35
	v_rndne_f32_e32 v37, v35
	s_delay_alu instid0(VALU_DEP_1) | instskip(NEXT) | instid1(VALU_DEP_1)
	v_dual_fmamk_f32 v36, v34, 0x32a5705f, v36 :: v_dual_sub_f32 v35, v35, v37
	v_add_f32_e32 v35, v35, v36
	v_cvt_i32_f32_e32 v36, v37
	s_delay_alu instid0(VALU_DEP_2) | instskip(NEXT) | instid1(TRANS32_DEP_1)
	v_exp_f32_e32 v35, v35
	v_ldexp_f32 v35, v35, v36
	s_wait_alu 0xf1ff
	s_delay_alu instid0(VALU_DEP_1) | instskip(SKIP_2) | instid1(VALU_DEP_1)
	v_cndmask_b32_e64 v35, 0, v35, s1
	v_cmp_nlt_f32_e64 s1, 0x42b17218, v34
	s_wait_alu 0xf1ff
	v_cndmask_b32_e64 v36, 0x7f800000, v35, s1
	s_delay_alu instid0(VALU_DEP_1) | instskip(NEXT) | instid1(VALU_DEP_1)
	v_add_f32_e32 v37, 1.0, v36
	v_cvt_f64_f32_e32 v[34:35], v37
	s_delay_alu instid0(VALU_DEP_1) | instskip(SKIP_1) | instid1(VALU_DEP_1)
	v_frexp_exp_i32_f64_e32 v34, v[34:35]
	v_frexp_mant_f32_e32 v35, v37
	v_cmp_gt_f32_e64 s1, 0x3f2aaaab, v35
	v_add_f32_e32 v35, -1.0, v37
	s_delay_alu instid0(VALU_DEP_1)
	v_sub_f32_e32 v39, v35, v37
	v_sub_f32_e32 v35, v36, v35
	s_wait_alu 0xf1ff
	v_subrev_co_ci_u32_e64 v34, null, 0, v34, s1
	s_mov_b32 s1, 0x3e9b6dac
	v_sub_nc_u32_e32 v38, 0, v34
	v_cvt_f32_i32_e32 v34, v34
	s_delay_alu instid0(VALU_DEP_2) | instskip(NEXT) | instid1(VALU_DEP_1)
	v_ldexp_f32 v37, v37, v38
	v_dual_add_f32 v40, 1.0, v37 :: v_dual_add_f32 v39, 1.0, v39
	s_delay_alu instid0(VALU_DEP_1) | instskip(NEXT) | instid1(VALU_DEP_2)
	v_add_f32_e32 v35, v35, v39
	v_add_f32_e32 v39, -1.0, v40
	s_delay_alu instid0(VALU_DEP_2) | instskip(NEXT) | instid1(VALU_DEP_2)
	v_ldexp_f32 v35, v35, v38
	v_dual_add_f32 v38, -1.0, v37 :: v_dual_sub_f32 v39, v37, v39
	s_delay_alu instid0(VALU_DEP_1) | instskip(NEXT) | instid1(VALU_DEP_2)
	v_add_f32_e32 v41, 1.0, v38
	v_add_f32_e32 v39, v35, v39
	s_delay_alu instid0(VALU_DEP_2) | instskip(NEXT) | instid1(VALU_DEP_2)
	v_sub_f32_e32 v37, v37, v41
	v_add_f32_e32 v41, v40, v39
	s_delay_alu instid0(VALU_DEP_2) | instskip(NEXT) | instid1(VALU_DEP_2)
	v_add_f32_e32 v35, v35, v37
	v_rcp_f32_e32 v37, v41
	v_sub_f32_e32 v40, v40, v41
	s_delay_alu instid0(VALU_DEP_1) | instskip(NEXT) | instid1(VALU_DEP_1)
	v_dual_add_f32 v42, v38, v35 :: v_dual_add_f32 v39, v39, v40
	v_sub_f32_e32 v38, v38, v42
	s_delay_alu instid0(TRANS32_DEP_1) | instskip(NEXT) | instid1(VALU_DEP_1)
	v_mul_f32_e32 v43, v42, v37
	v_dual_add_f32 v35, v35, v38 :: v_dual_mul_f32 v44, v41, v43
	s_delay_alu instid0(VALU_DEP_1) | instskip(NEXT) | instid1(VALU_DEP_1)
	v_fma_f32 v40, v43, v41, -v44
	v_fmac_f32_e32 v40, v43, v39
	s_delay_alu instid0(VALU_DEP_1) | instskip(NEXT) | instid1(VALU_DEP_1)
	v_add_f32_e32 v45, v44, v40
	v_sub_f32_e32 v46, v42, v45
	v_sub_f32_e32 v38, v45, v44
	s_delay_alu instid0(VALU_DEP_2) | instskip(NEXT) | instid1(VALU_DEP_2)
	v_sub_f32_e32 v42, v42, v46
	v_sub_f32_e32 v38, v38, v40
	s_delay_alu instid0(VALU_DEP_2) | instskip(NEXT) | instid1(VALU_DEP_1)
	v_sub_f32_e32 v42, v42, v45
	v_add_f32_e32 v35, v35, v42
	s_delay_alu instid0(VALU_DEP_1) | instskip(NEXT) | instid1(VALU_DEP_1)
	v_add_f32_e32 v35, v38, v35
	v_add_f32_e32 v38, v46, v35
	s_delay_alu instid0(VALU_DEP_1) | instskip(NEXT) | instid1(VALU_DEP_1)
	v_mul_f32_e32 v40, v37, v38
	v_dual_sub_f32 v45, v46, v38 :: v_dual_mul_f32 v42, v41, v40
	s_delay_alu instid0(VALU_DEP_1) | instskip(NEXT) | instid1(VALU_DEP_2)
	v_add_f32_e32 v35, v35, v45
	v_fma_f32 v41, v40, v41, -v42
	s_delay_alu instid0(VALU_DEP_1) | instskip(NEXT) | instid1(VALU_DEP_1)
	v_fmac_f32_e32 v41, v40, v39
	v_add_f32_e32 v39, v42, v41
	s_delay_alu instid0(VALU_DEP_1) | instskip(SKIP_1) | instid1(VALU_DEP_2)
	v_sub_f32_e32 v44, v38, v39
	v_sub_f32_e32 v42, v39, v42
	;; [unrolled: 1-line block ×3, first 2 shown]
	s_delay_alu instid0(VALU_DEP_1) | instskip(NEXT) | instid1(VALU_DEP_3)
	v_sub_f32_e32 v38, v38, v39
	v_sub_f32_e32 v39, v42, v41
	s_delay_alu instid0(VALU_DEP_2) | instskip(SKIP_1) | instid1(VALU_DEP_2)
	v_add_f32_e32 v35, v35, v38
	v_add_f32_e32 v38, v43, v40
	;; [unrolled: 1-line block ×3, first 2 shown]
	s_delay_alu instid0(VALU_DEP_2) | instskip(NEXT) | instid1(VALU_DEP_2)
	v_sub_f32_e32 v39, v38, v43
	v_add_f32_e32 v35, v44, v35
	s_delay_alu instid0(VALU_DEP_2) | instskip(NEXT) | instid1(VALU_DEP_2)
	v_sub_f32_e32 v39, v40, v39
	v_mul_f32_e32 v35, v37, v35
	s_delay_alu instid0(VALU_DEP_1) | instskip(NEXT) | instid1(VALU_DEP_1)
	v_add_f32_e32 v35, v39, v35
	v_add_f32_e32 v37, v38, v35
	s_delay_alu instid0(VALU_DEP_1) | instskip(SKIP_1) | instid1(VALU_DEP_1)
	v_mul_f32_e32 v39, v37, v37
	s_wait_alu 0xfffe
	v_fmaak_f32 v40, s1, v39, 0x3ecc95a3
	v_mul_f32_e32 v41, v37, v39
	v_cmp_neq_f32_e64 s1, 0x7f800000, v36
	s_delay_alu instid0(VALU_DEP_3) | instskip(SKIP_2) | instid1(VALU_DEP_3)
	v_fmaak_f32 v39, v39, v40, 0x3f2aaada
	v_ldexp_f32 v40, v37, 1
	v_sub_f32_e32 v37, v37, v38
	v_mul_f32_e32 v39, v41, v39
	v_mul_f32_e32 v41, 0x3f317218, v34
	s_delay_alu instid0(VALU_DEP_2) | instskip(NEXT) | instid1(VALU_DEP_1)
	v_dual_sub_f32 v35, v35, v37 :: v_dual_add_f32 v38, v40, v39
	v_ldexp_f32 v35, v35, 1
	s_delay_alu instid0(VALU_DEP_2) | instskip(NEXT) | instid1(VALU_DEP_4)
	v_sub_f32_e32 v37, v38, v40
	v_fma_f32 v40, 0x3f317218, v34, -v41
	s_delay_alu instid0(VALU_DEP_1) | instskip(NEXT) | instid1(VALU_DEP_1)
	v_dual_sub_f32 v37, v39, v37 :: v_dual_fmamk_f32 v34, v34, 0xb102e308, v40
	v_add_f32_e32 v35, v35, v37
	s_delay_alu instid0(VALU_DEP_2) | instskip(NEXT) | instid1(VALU_DEP_2)
	v_add_f32_e32 v37, v41, v34
	v_add_f32_e32 v39, v38, v35
	s_delay_alu instid0(VALU_DEP_2) | instskip(NEXT) | instid1(VALU_DEP_2)
	v_sub_f32_e32 v41, v37, v41
	v_add_f32_e32 v40, v37, v39
	v_sub_f32_e32 v38, v39, v38
	s_delay_alu instid0(VALU_DEP_3) | instskip(NEXT) | instid1(VALU_DEP_2)
	v_sub_f32_e32 v34, v34, v41
	v_dual_sub_f32 v42, v40, v37 :: v_dual_sub_f32 v35, v35, v38
	s_delay_alu instid0(VALU_DEP_1) | instskip(NEXT) | instid1(VALU_DEP_2)
	v_sub_f32_e32 v43, v40, v42
	v_dual_sub_f32 v38, v39, v42 :: v_dual_add_f32 v39, v34, v35
	s_delay_alu instid0(VALU_DEP_2) | instskip(NEXT) | instid1(VALU_DEP_1)
	v_sub_f32_e32 v37, v37, v43
	v_dual_add_f32 v37, v38, v37 :: v_dual_sub_f32 v38, v39, v34
	s_delay_alu instid0(VALU_DEP_1) | instskip(NEXT) | instid1(VALU_DEP_2)
	v_add_f32_e32 v37, v39, v37
	v_sub_f32_e32 v39, v39, v38
	v_sub_f32_e32 v35, v35, v38
	s_delay_alu instid0(VALU_DEP_2) | instskip(NEXT) | instid1(VALU_DEP_1)
	v_dual_add_f32 v41, v40, v37 :: v_dual_sub_f32 v34, v34, v39
	v_sub_f32_e32 v38, v41, v40
	s_delay_alu instid0(VALU_DEP_2) | instskip(NEXT) | instid1(VALU_DEP_2)
	v_add_f32_e32 v34, v35, v34
	v_sub_f32_e32 v35, v37, v38
	s_delay_alu instid0(VALU_DEP_1) | instskip(NEXT) | instid1(VALU_DEP_1)
	v_add_f32_e32 v34, v34, v35
	v_add_f32_e32 v34, v41, v34
	s_wait_alu 0xf1ff
	s_delay_alu instid0(VALU_DEP_1) | instskip(SKIP_2) | instid1(VALU_DEP_1)
	v_cndmask_b32_e64 v34, 0x7f800000, v34, s1
	v_cmp_gt_f32_e64 s1, 0x33800000, |v36|
	s_wait_alu 0xf1ff
	v_cndmask_b32_e64 v34, v34, v36, s1
	s_delay_alu instid0(VALU_DEP_1)
	v_add_f32_e32 v34, v33, v34
.LBB460_57:
	s_or_b32 exec_lo, exec_lo, s28
	ds_load_u16 v33, v29 offset:12
	v_bfe_u32 v35, v34, 16, 1
	v_cmp_o_f32_e64 s1, v34, v34
	s_delay_alu instid0(VALU_DEP_2) | instskip(SKIP_2) | instid1(VALU_DEP_1)
	v_add3_u32 v35, v34, v35, 0x7fff
	s_wait_dscnt 0x0
	v_lshlrev_b32_e32 v33, 16, v33
	v_dual_max_num_f32 v36, v33, v33 :: v_dual_and_b32 v35, 0xffff0000, v35
	s_wait_alu 0xf1ff
	s_delay_alu instid0(VALU_DEP_1) | instskip(NEXT) | instid1(VALU_DEP_1)
	v_cndmask_b32_e64 v34, 0x7fc00000, v35, s1
	v_max_num_f32_e32 v35, v34, v34
	v_cmp_u_f32_e64 s1, v34, v34
	s_delay_alu instid0(VALU_DEP_2) | instskip(SKIP_2) | instid1(VALU_DEP_2)
	v_min_num_f32_e32 v37, v35, v36
	v_max_num_f32_e32 v35, v35, v36
	s_wait_alu 0xf1ff
	v_cndmask_b32_e64 v36, v37, v34, s1
	s_delay_alu instid0(VALU_DEP_2) | instskip(SKIP_2) | instid1(VALU_DEP_1)
	v_cndmask_b32_e64 v37, v35, v34, s1
	v_cmp_u_f32_e64 s1, v33, v33
	s_wait_alu 0xf1ff
	v_cndmask_b32_e64 v35, v36, v33, s1
	s_delay_alu instid0(VALU_DEP_3) | instskip(NEXT) | instid1(VALU_DEP_2)
	v_cndmask_b32_e64 v33, v37, v33, s1
	v_cmp_class_f32_e64 s28, v35, 0x1f8
	s_delay_alu instid0(VALU_DEP_2)
	v_cmp_neq_f32_e64 s1, v35, v33
	s_or_b32 s1, s1, s28
	s_wait_alu 0xfffe
	s_and_saveexec_b32 s28, s1
	s_cbranch_execz .LBB460_59
; %bb.58:
	v_sub_f32_e32 v34, v35, v33
	s_delay_alu instid0(VALU_DEP_1) | instskip(SKIP_1) | instid1(VALU_DEP_2)
	v_mul_f32_e32 v35, 0x3fb8aa3b, v34
	v_cmp_ngt_f32_e64 s1, 0xc2ce8ed0, v34
	v_fma_f32 v36, 0x3fb8aa3b, v34, -v35
	v_rndne_f32_e32 v37, v35
	s_delay_alu instid0(VALU_DEP_1) | instskip(NEXT) | instid1(VALU_DEP_1)
	v_dual_fmamk_f32 v36, v34, 0x32a5705f, v36 :: v_dual_sub_f32 v35, v35, v37
	v_add_f32_e32 v35, v35, v36
	v_cvt_i32_f32_e32 v36, v37
	s_delay_alu instid0(VALU_DEP_2) | instskip(NEXT) | instid1(TRANS32_DEP_1)
	v_exp_f32_e32 v35, v35
	v_ldexp_f32 v35, v35, v36
	s_wait_alu 0xf1ff
	s_delay_alu instid0(VALU_DEP_1) | instskip(SKIP_2) | instid1(VALU_DEP_1)
	v_cndmask_b32_e64 v35, 0, v35, s1
	v_cmp_nlt_f32_e64 s1, 0x42b17218, v34
	s_wait_alu 0xf1ff
	v_cndmask_b32_e64 v36, 0x7f800000, v35, s1
	s_delay_alu instid0(VALU_DEP_1) | instskip(NEXT) | instid1(VALU_DEP_1)
	v_add_f32_e32 v37, 1.0, v36
	v_cvt_f64_f32_e32 v[34:35], v37
	s_delay_alu instid0(VALU_DEP_1) | instskip(SKIP_1) | instid1(VALU_DEP_1)
	v_frexp_exp_i32_f64_e32 v34, v[34:35]
	v_frexp_mant_f32_e32 v35, v37
	v_cmp_gt_f32_e64 s1, 0x3f2aaaab, v35
	v_add_f32_e32 v35, -1.0, v37
	s_delay_alu instid0(VALU_DEP_1)
	v_sub_f32_e32 v39, v35, v37
	v_sub_f32_e32 v35, v36, v35
	s_wait_alu 0xf1ff
	v_subrev_co_ci_u32_e64 v34, null, 0, v34, s1
	s_mov_b32 s1, 0x3e9b6dac
	v_sub_nc_u32_e32 v38, 0, v34
	v_cvt_f32_i32_e32 v34, v34
	s_delay_alu instid0(VALU_DEP_2) | instskip(NEXT) | instid1(VALU_DEP_1)
	v_ldexp_f32 v37, v37, v38
	v_dual_add_f32 v40, 1.0, v37 :: v_dual_add_f32 v39, 1.0, v39
	s_delay_alu instid0(VALU_DEP_1) | instskip(NEXT) | instid1(VALU_DEP_2)
	v_add_f32_e32 v35, v35, v39
	v_add_f32_e32 v39, -1.0, v40
	s_delay_alu instid0(VALU_DEP_2) | instskip(NEXT) | instid1(VALU_DEP_2)
	v_ldexp_f32 v35, v35, v38
	v_dual_add_f32 v38, -1.0, v37 :: v_dual_sub_f32 v39, v37, v39
	s_delay_alu instid0(VALU_DEP_1) | instskip(NEXT) | instid1(VALU_DEP_2)
	v_add_f32_e32 v41, 1.0, v38
	v_add_f32_e32 v39, v35, v39
	s_delay_alu instid0(VALU_DEP_2) | instskip(NEXT) | instid1(VALU_DEP_2)
	v_sub_f32_e32 v37, v37, v41
	v_add_f32_e32 v41, v40, v39
	s_delay_alu instid0(VALU_DEP_2) | instskip(NEXT) | instid1(VALU_DEP_2)
	v_add_f32_e32 v35, v35, v37
	v_rcp_f32_e32 v37, v41
	v_sub_f32_e32 v40, v40, v41
	s_delay_alu instid0(VALU_DEP_1) | instskip(NEXT) | instid1(VALU_DEP_1)
	v_dual_add_f32 v42, v38, v35 :: v_dual_add_f32 v39, v39, v40
	v_sub_f32_e32 v38, v38, v42
	s_delay_alu instid0(TRANS32_DEP_1) | instskip(NEXT) | instid1(VALU_DEP_1)
	v_mul_f32_e32 v43, v42, v37
	v_dual_add_f32 v35, v35, v38 :: v_dual_mul_f32 v44, v41, v43
	s_delay_alu instid0(VALU_DEP_1) | instskip(NEXT) | instid1(VALU_DEP_1)
	v_fma_f32 v40, v43, v41, -v44
	v_fmac_f32_e32 v40, v43, v39
	s_delay_alu instid0(VALU_DEP_1) | instskip(NEXT) | instid1(VALU_DEP_1)
	v_add_f32_e32 v45, v44, v40
	v_sub_f32_e32 v46, v42, v45
	v_sub_f32_e32 v38, v45, v44
	s_delay_alu instid0(VALU_DEP_2) | instskip(NEXT) | instid1(VALU_DEP_2)
	v_sub_f32_e32 v42, v42, v46
	v_sub_f32_e32 v38, v38, v40
	s_delay_alu instid0(VALU_DEP_2) | instskip(NEXT) | instid1(VALU_DEP_1)
	v_sub_f32_e32 v42, v42, v45
	v_add_f32_e32 v35, v35, v42
	s_delay_alu instid0(VALU_DEP_1) | instskip(NEXT) | instid1(VALU_DEP_1)
	v_add_f32_e32 v35, v38, v35
	v_add_f32_e32 v38, v46, v35
	s_delay_alu instid0(VALU_DEP_1) | instskip(NEXT) | instid1(VALU_DEP_1)
	v_mul_f32_e32 v40, v37, v38
	v_dual_sub_f32 v45, v46, v38 :: v_dual_mul_f32 v42, v41, v40
	s_delay_alu instid0(VALU_DEP_1) | instskip(NEXT) | instid1(VALU_DEP_2)
	v_add_f32_e32 v35, v35, v45
	v_fma_f32 v41, v40, v41, -v42
	s_delay_alu instid0(VALU_DEP_1) | instskip(NEXT) | instid1(VALU_DEP_1)
	v_fmac_f32_e32 v41, v40, v39
	v_add_f32_e32 v39, v42, v41
	s_delay_alu instid0(VALU_DEP_1) | instskip(SKIP_1) | instid1(VALU_DEP_2)
	v_sub_f32_e32 v44, v38, v39
	v_sub_f32_e32 v42, v39, v42
	;; [unrolled: 1-line block ×3, first 2 shown]
	s_delay_alu instid0(VALU_DEP_1) | instskip(NEXT) | instid1(VALU_DEP_3)
	v_sub_f32_e32 v38, v38, v39
	v_sub_f32_e32 v39, v42, v41
	s_delay_alu instid0(VALU_DEP_2) | instskip(SKIP_1) | instid1(VALU_DEP_2)
	v_add_f32_e32 v35, v35, v38
	v_add_f32_e32 v38, v43, v40
	;; [unrolled: 1-line block ×3, first 2 shown]
	s_delay_alu instid0(VALU_DEP_2) | instskip(NEXT) | instid1(VALU_DEP_2)
	v_sub_f32_e32 v39, v38, v43
	v_add_f32_e32 v35, v44, v35
	s_delay_alu instid0(VALU_DEP_2) | instskip(NEXT) | instid1(VALU_DEP_2)
	v_sub_f32_e32 v39, v40, v39
	v_mul_f32_e32 v35, v37, v35
	s_delay_alu instid0(VALU_DEP_1) | instskip(NEXT) | instid1(VALU_DEP_1)
	v_add_f32_e32 v35, v39, v35
	v_add_f32_e32 v37, v38, v35
	s_delay_alu instid0(VALU_DEP_1) | instskip(SKIP_1) | instid1(VALU_DEP_1)
	v_mul_f32_e32 v39, v37, v37
	s_wait_alu 0xfffe
	v_fmaak_f32 v40, s1, v39, 0x3ecc95a3
	v_mul_f32_e32 v41, v37, v39
	v_cmp_neq_f32_e64 s1, 0x7f800000, v36
	s_delay_alu instid0(VALU_DEP_3) | instskip(SKIP_2) | instid1(VALU_DEP_3)
	v_fmaak_f32 v39, v39, v40, 0x3f2aaada
	v_ldexp_f32 v40, v37, 1
	v_sub_f32_e32 v37, v37, v38
	v_mul_f32_e32 v39, v41, v39
	v_mul_f32_e32 v41, 0x3f317218, v34
	s_delay_alu instid0(VALU_DEP_2) | instskip(NEXT) | instid1(VALU_DEP_1)
	v_dual_sub_f32 v35, v35, v37 :: v_dual_add_f32 v38, v40, v39
	v_ldexp_f32 v35, v35, 1
	s_delay_alu instid0(VALU_DEP_2) | instskip(NEXT) | instid1(VALU_DEP_4)
	v_sub_f32_e32 v37, v38, v40
	v_fma_f32 v40, 0x3f317218, v34, -v41
	s_delay_alu instid0(VALU_DEP_1) | instskip(NEXT) | instid1(VALU_DEP_1)
	v_dual_sub_f32 v37, v39, v37 :: v_dual_fmamk_f32 v34, v34, 0xb102e308, v40
	v_add_f32_e32 v35, v35, v37
	s_delay_alu instid0(VALU_DEP_2) | instskip(NEXT) | instid1(VALU_DEP_2)
	v_add_f32_e32 v37, v41, v34
	v_add_f32_e32 v39, v38, v35
	s_delay_alu instid0(VALU_DEP_2) | instskip(NEXT) | instid1(VALU_DEP_2)
	v_sub_f32_e32 v41, v37, v41
	v_add_f32_e32 v40, v37, v39
	v_sub_f32_e32 v38, v39, v38
	s_delay_alu instid0(VALU_DEP_3) | instskip(NEXT) | instid1(VALU_DEP_2)
	v_sub_f32_e32 v34, v34, v41
	v_dual_sub_f32 v42, v40, v37 :: v_dual_sub_f32 v35, v35, v38
	s_delay_alu instid0(VALU_DEP_1) | instskip(NEXT) | instid1(VALU_DEP_2)
	v_sub_f32_e32 v43, v40, v42
	v_dual_sub_f32 v38, v39, v42 :: v_dual_add_f32 v39, v34, v35
	s_delay_alu instid0(VALU_DEP_2) | instskip(NEXT) | instid1(VALU_DEP_1)
	v_sub_f32_e32 v37, v37, v43
	v_dual_add_f32 v37, v38, v37 :: v_dual_sub_f32 v38, v39, v34
	s_delay_alu instid0(VALU_DEP_1) | instskip(NEXT) | instid1(VALU_DEP_2)
	v_add_f32_e32 v37, v39, v37
	v_sub_f32_e32 v39, v39, v38
	v_sub_f32_e32 v35, v35, v38
	s_delay_alu instid0(VALU_DEP_2) | instskip(NEXT) | instid1(VALU_DEP_1)
	v_dual_add_f32 v41, v40, v37 :: v_dual_sub_f32 v34, v34, v39
	v_sub_f32_e32 v38, v41, v40
	s_delay_alu instid0(VALU_DEP_2) | instskip(NEXT) | instid1(VALU_DEP_2)
	v_add_f32_e32 v34, v35, v34
	v_sub_f32_e32 v35, v37, v38
	s_delay_alu instid0(VALU_DEP_1) | instskip(NEXT) | instid1(VALU_DEP_1)
	v_add_f32_e32 v34, v34, v35
	v_add_f32_e32 v34, v41, v34
	s_wait_alu 0xf1ff
	s_delay_alu instid0(VALU_DEP_1) | instskip(SKIP_2) | instid1(VALU_DEP_1)
	v_cndmask_b32_e64 v34, 0x7f800000, v34, s1
	v_cmp_gt_f32_e64 s1, 0x33800000, |v36|
	s_wait_alu 0xf1ff
	v_cndmask_b32_e64 v34, v34, v36, s1
	s_delay_alu instid0(VALU_DEP_1)
	v_add_f32_e32 v34, v33, v34
.LBB460_59:
	s_or_b32 exec_lo, exec_lo, s28
	ds_load_u16 v33, v29 offset:14
	v_bfe_u32 v35, v34, 16, 1
	v_cmp_o_f32_e64 s1, v34, v34
	s_delay_alu instid0(VALU_DEP_2) | instskip(SKIP_2) | instid1(VALU_DEP_1)
	v_add3_u32 v35, v34, v35, 0x7fff
	s_wait_dscnt 0x0
	v_lshlrev_b32_e32 v33, 16, v33
	v_dual_max_num_f32 v36, v33, v33 :: v_dual_and_b32 v35, 0xffff0000, v35
	s_wait_alu 0xf1ff
	s_delay_alu instid0(VALU_DEP_1) | instskip(NEXT) | instid1(VALU_DEP_1)
	v_cndmask_b32_e64 v34, 0x7fc00000, v35, s1
	v_max_num_f32_e32 v35, v34, v34
	v_cmp_u_f32_e64 s1, v34, v34
	s_delay_alu instid0(VALU_DEP_2) | instskip(SKIP_2) | instid1(VALU_DEP_2)
	v_min_num_f32_e32 v37, v35, v36
	v_max_num_f32_e32 v35, v35, v36
	s_wait_alu 0xf1ff
	v_cndmask_b32_e64 v36, v37, v34, s1
	s_delay_alu instid0(VALU_DEP_2) | instskip(SKIP_2) | instid1(VALU_DEP_1)
	v_cndmask_b32_e64 v37, v35, v34, s1
	v_cmp_u_f32_e64 s1, v33, v33
	s_wait_alu 0xf1ff
	v_cndmask_b32_e64 v35, v36, v33, s1
	s_delay_alu instid0(VALU_DEP_3) | instskip(NEXT) | instid1(VALU_DEP_2)
	v_cndmask_b32_e64 v33, v37, v33, s1
	v_cmp_class_f32_e64 s28, v35, 0x1f8
	s_delay_alu instid0(VALU_DEP_2)
	v_cmp_neq_f32_e64 s1, v35, v33
	s_or_b32 s1, s1, s28
	s_wait_alu 0xfffe
	s_and_saveexec_b32 s28, s1
	s_cbranch_execz .LBB460_61
; %bb.60:
	v_sub_f32_e32 v34, v35, v33
	s_delay_alu instid0(VALU_DEP_1) | instskip(SKIP_1) | instid1(VALU_DEP_2)
	v_mul_f32_e32 v35, 0x3fb8aa3b, v34
	v_cmp_ngt_f32_e64 s1, 0xc2ce8ed0, v34
	v_fma_f32 v36, 0x3fb8aa3b, v34, -v35
	v_rndne_f32_e32 v37, v35
	s_delay_alu instid0(VALU_DEP_1) | instskip(NEXT) | instid1(VALU_DEP_1)
	v_dual_fmamk_f32 v36, v34, 0x32a5705f, v36 :: v_dual_sub_f32 v35, v35, v37
	v_add_f32_e32 v35, v35, v36
	v_cvt_i32_f32_e32 v36, v37
	s_delay_alu instid0(VALU_DEP_2) | instskip(NEXT) | instid1(TRANS32_DEP_1)
	v_exp_f32_e32 v35, v35
	v_ldexp_f32 v35, v35, v36
	s_wait_alu 0xf1ff
	s_delay_alu instid0(VALU_DEP_1) | instskip(SKIP_2) | instid1(VALU_DEP_1)
	v_cndmask_b32_e64 v35, 0, v35, s1
	v_cmp_nlt_f32_e64 s1, 0x42b17218, v34
	s_wait_alu 0xf1ff
	v_cndmask_b32_e64 v36, 0x7f800000, v35, s1
	s_delay_alu instid0(VALU_DEP_1) | instskip(NEXT) | instid1(VALU_DEP_1)
	v_add_f32_e32 v37, 1.0, v36
	v_cvt_f64_f32_e32 v[34:35], v37
	s_delay_alu instid0(VALU_DEP_1) | instskip(SKIP_1) | instid1(VALU_DEP_1)
	v_frexp_exp_i32_f64_e32 v34, v[34:35]
	v_frexp_mant_f32_e32 v35, v37
	v_cmp_gt_f32_e64 s1, 0x3f2aaaab, v35
	v_add_f32_e32 v35, -1.0, v37
	s_delay_alu instid0(VALU_DEP_1)
	v_sub_f32_e32 v39, v35, v37
	v_sub_f32_e32 v35, v36, v35
	s_wait_alu 0xf1ff
	v_subrev_co_ci_u32_e64 v34, null, 0, v34, s1
	s_mov_b32 s1, 0x3e9b6dac
	v_sub_nc_u32_e32 v38, 0, v34
	v_cvt_f32_i32_e32 v34, v34
	s_delay_alu instid0(VALU_DEP_2) | instskip(NEXT) | instid1(VALU_DEP_1)
	v_ldexp_f32 v37, v37, v38
	v_dual_add_f32 v40, 1.0, v37 :: v_dual_add_f32 v39, 1.0, v39
	s_delay_alu instid0(VALU_DEP_1) | instskip(NEXT) | instid1(VALU_DEP_2)
	v_add_f32_e32 v35, v35, v39
	v_add_f32_e32 v39, -1.0, v40
	s_delay_alu instid0(VALU_DEP_2) | instskip(NEXT) | instid1(VALU_DEP_2)
	v_ldexp_f32 v35, v35, v38
	v_dual_add_f32 v38, -1.0, v37 :: v_dual_sub_f32 v39, v37, v39
	s_delay_alu instid0(VALU_DEP_1) | instskip(NEXT) | instid1(VALU_DEP_2)
	v_add_f32_e32 v41, 1.0, v38
	v_add_f32_e32 v39, v35, v39
	s_delay_alu instid0(VALU_DEP_2) | instskip(NEXT) | instid1(VALU_DEP_2)
	v_sub_f32_e32 v37, v37, v41
	v_add_f32_e32 v41, v40, v39
	s_delay_alu instid0(VALU_DEP_2) | instskip(NEXT) | instid1(VALU_DEP_2)
	v_add_f32_e32 v35, v35, v37
	v_rcp_f32_e32 v37, v41
	v_sub_f32_e32 v40, v40, v41
	s_delay_alu instid0(VALU_DEP_1) | instskip(NEXT) | instid1(VALU_DEP_1)
	v_dual_add_f32 v42, v38, v35 :: v_dual_add_f32 v39, v39, v40
	v_sub_f32_e32 v38, v38, v42
	s_delay_alu instid0(TRANS32_DEP_1) | instskip(NEXT) | instid1(VALU_DEP_1)
	v_mul_f32_e32 v43, v42, v37
	v_dual_add_f32 v35, v35, v38 :: v_dual_mul_f32 v44, v41, v43
	s_delay_alu instid0(VALU_DEP_1) | instskip(NEXT) | instid1(VALU_DEP_1)
	v_fma_f32 v40, v43, v41, -v44
	v_fmac_f32_e32 v40, v43, v39
	s_delay_alu instid0(VALU_DEP_1) | instskip(NEXT) | instid1(VALU_DEP_1)
	v_add_f32_e32 v45, v44, v40
	v_sub_f32_e32 v46, v42, v45
	v_sub_f32_e32 v38, v45, v44
	s_delay_alu instid0(VALU_DEP_2) | instskip(NEXT) | instid1(VALU_DEP_2)
	v_sub_f32_e32 v42, v42, v46
	v_sub_f32_e32 v38, v38, v40
	s_delay_alu instid0(VALU_DEP_2) | instskip(NEXT) | instid1(VALU_DEP_1)
	v_sub_f32_e32 v42, v42, v45
	v_add_f32_e32 v35, v35, v42
	s_delay_alu instid0(VALU_DEP_1) | instskip(NEXT) | instid1(VALU_DEP_1)
	v_add_f32_e32 v35, v38, v35
	v_add_f32_e32 v38, v46, v35
	s_delay_alu instid0(VALU_DEP_1) | instskip(NEXT) | instid1(VALU_DEP_1)
	v_mul_f32_e32 v40, v37, v38
	v_dual_sub_f32 v45, v46, v38 :: v_dual_mul_f32 v42, v41, v40
	s_delay_alu instid0(VALU_DEP_1) | instskip(NEXT) | instid1(VALU_DEP_2)
	v_add_f32_e32 v35, v35, v45
	v_fma_f32 v41, v40, v41, -v42
	s_delay_alu instid0(VALU_DEP_1) | instskip(NEXT) | instid1(VALU_DEP_1)
	v_fmac_f32_e32 v41, v40, v39
	v_add_f32_e32 v39, v42, v41
	s_delay_alu instid0(VALU_DEP_1) | instskip(SKIP_1) | instid1(VALU_DEP_2)
	v_sub_f32_e32 v44, v38, v39
	v_sub_f32_e32 v42, v39, v42
	;; [unrolled: 1-line block ×3, first 2 shown]
	s_delay_alu instid0(VALU_DEP_1) | instskip(NEXT) | instid1(VALU_DEP_3)
	v_sub_f32_e32 v38, v38, v39
	v_sub_f32_e32 v39, v42, v41
	s_delay_alu instid0(VALU_DEP_2) | instskip(SKIP_1) | instid1(VALU_DEP_2)
	v_add_f32_e32 v35, v35, v38
	v_add_f32_e32 v38, v43, v40
	;; [unrolled: 1-line block ×3, first 2 shown]
	s_delay_alu instid0(VALU_DEP_2) | instskip(NEXT) | instid1(VALU_DEP_2)
	v_sub_f32_e32 v39, v38, v43
	v_add_f32_e32 v35, v44, v35
	s_delay_alu instid0(VALU_DEP_2) | instskip(NEXT) | instid1(VALU_DEP_2)
	v_sub_f32_e32 v39, v40, v39
	v_mul_f32_e32 v35, v37, v35
	s_delay_alu instid0(VALU_DEP_1) | instskip(NEXT) | instid1(VALU_DEP_1)
	v_add_f32_e32 v35, v39, v35
	v_add_f32_e32 v37, v38, v35
	s_delay_alu instid0(VALU_DEP_1) | instskip(SKIP_1) | instid1(VALU_DEP_1)
	v_mul_f32_e32 v39, v37, v37
	s_wait_alu 0xfffe
	v_fmaak_f32 v40, s1, v39, 0x3ecc95a3
	v_mul_f32_e32 v41, v37, v39
	v_cmp_neq_f32_e64 s1, 0x7f800000, v36
	s_delay_alu instid0(VALU_DEP_3) | instskip(SKIP_2) | instid1(VALU_DEP_3)
	v_fmaak_f32 v39, v39, v40, 0x3f2aaada
	v_ldexp_f32 v40, v37, 1
	v_sub_f32_e32 v37, v37, v38
	v_mul_f32_e32 v39, v41, v39
	v_mul_f32_e32 v41, 0x3f317218, v34
	s_delay_alu instid0(VALU_DEP_2) | instskip(NEXT) | instid1(VALU_DEP_1)
	v_dual_sub_f32 v35, v35, v37 :: v_dual_add_f32 v38, v40, v39
	v_ldexp_f32 v35, v35, 1
	s_delay_alu instid0(VALU_DEP_2) | instskip(NEXT) | instid1(VALU_DEP_4)
	v_sub_f32_e32 v37, v38, v40
	v_fma_f32 v40, 0x3f317218, v34, -v41
	s_delay_alu instid0(VALU_DEP_1) | instskip(NEXT) | instid1(VALU_DEP_1)
	v_dual_sub_f32 v37, v39, v37 :: v_dual_fmamk_f32 v34, v34, 0xb102e308, v40
	v_add_f32_e32 v35, v35, v37
	s_delay_alu instid0(VALU_DEP_2) | instskip(NEXT) | instid1(VALU_DEP_2)
	v_add_f32_e32 v37, v41, v34
	v_add_f32_e32 v39, v38, v35
	s_delay_alu instid0(VALU_DEP_2) | instskip(NEXT) | instid1(VALU_DEP_2)
	v_sub_f32_e32 v41, v37, v41
	v_add_f32_e32 v40, v37, v39
	v_sub_f32_e32 v38, v39, v38
	s_delay_alu instid0(VALU_DEP_3) | instskip(NEXT) | instid1(VALU_DEP_2)
	v_sub_f32_e32 v34, v34, v41
	v_dual_sub_f32 v42, v40, v37 :: v_dual_sub_f32 v35, v35, v38
	s_delay_alu instid0(VALU_DEP_1) | instskip(NEXT) | instid1(VALU_DEP_2)
	v_sub_f32_e32 v43, v40, v42
	v_dual_sub_f32 v38, v39, v42 :: v_dual_add_f32 v39, v34, v35
	s_delay_alu instid0(VALU_DEP_2) | instskip(NEXT) | instid1(VALU_DEP_1)
	v_sub_f32_e32 v37, v37, v43
	v_dual_add_f32 v37, v38, v37 :: v_dual_sub_f32 v38, v39, v34
	s_delay_alu instid0(VALU_DEP_1) | instskip(NEXT) | instid1(VALU_DEP_2)
	v_add_f32_e32 v37, v39, v37
	v_sub_f32_e32 v39, v39, v38
	v_sub_f32_e32 v35, v35, v38
	s_delay_alu instid0(VALU_DEP_2) | instskip(NEXT) | instid1(VALU_DEP_1)
	v_dual_add_f32 v41, v40, v37 :: v_dual_sub_f32 v34, v34, v39
	v_sub_f32_e32 v38, v41, v40
	s_delay_alu instid0(VALU_DEP_2) | instskip(NEXT) | instid1(VALU_DEP_2)
	v_add_f32_e32 v34, v35, v34
	v_sub_f32_e32 v35, v37, v38
	s_delay_alu instid0(VALU_DEP_1) | instskip(NEXT) | instid1(VALU_DEP_1)
	v_add_f32_e32 v34, v34, v35
	v_add_f32_e32 v34, v41, v34
	s_wait_alu 0xf1ff
	s_delay_alu instid0(VALU_DEP_1) | instskip(SKIP_2) | instid1(VALU_DEP_1)
	v_cndmask_b32_e64 v34, 0x7f800000, v34, s1
	v_cmp_gt_f32_e64 s1, 0x33800000, |v36|
	s_wait_alu 0xf1ff
	v_cndmask_b32_e64 v34, v34, v36, s1
	s_delay_alu instid0(VALU_DEP_1)
	v_add_f32_e32 v34, v33, v34
.LBB460_61:
	s_or_b32 exec_lo, exec_lo, s28
	s_delay_alu instid0(VALU_DEP_1) | instskip(SKIP_3) | instid1(VALU_DEP_1)
	v_bfe_u32 v33, v34, 16, 1
	v_cmp_o_f32_e64 s1, v34, v34
	s_mov_b32 s28, exec_lo
	v_add3_u32 v33, v34, v33, 0x7fff
	v_lshrrev_b32_e32 v33, 16, v33
	s_wait_alu 0xf1ff
	s_delay_alu instid0(VALU_DEP_1) | instskip(SKIP_1) | instid1(VALU_DEP_2)
	v_cndmask_b32_e64 v35, 0x7fc0, v33, s1
	v_mbcnt_lo_u32_b32 v33, -1, 0
	v_and_b32_e32 v36, 0xffff, v35
	s_delay_alu instid0(VALU_DEP_2) | instskip(NEXT) | instid1(VALU_DEP_2)
	v_and_b32_e32 v34, 15, v33
	v_mov_b32_dpp v37, v36 row_shr:1 row_mask:0xf bank_mask:0xf
	s_delay_alu instid0(VALU_DEP_2)
	v_cmpx_ne_u32_e32 0, v34
	s_xor_b32 s28, exec_lo, s28
	s_cbranch_execz .LBB460_65
; %bb.62:
	v_lshlrev_b32_e32 v35, 16, v36
	s_delay_alu instid0(VALU_DEP_1) | instskip(NEXT) | instid1(VALU_DEP_1)
	v_dual_max_num_f32 v37, v35, v35 :: v_dual_lshlrev_b32 v36, 16, v37
	v_max_num_f32_e32 v38, v36, v36
	v_cmp_u_f32_e64 s1, v36, v36
	s_delay_alu instid0(VALU_DEP_2) | instskip(SKIP_2) | instid1(VALU_DEP_2)
	v_min_num_f32_e32 v39, v38, v37
	v_max_num_f32_e32 v37, v38, v37
	s_wait_alu 0xf1ff
	v_cndmask_b32_e64 v38, v39, v36, s1
	s_delay_alu instid0(VALU_DEP_2) | instskip(SKIP_2) | instid1(VALU_DEP_1)
	v_cndmask_b32_e64 v39, v37, v36, s1
	v_cmp_u_f32_e64 s1, v35, v35
	s_wait_alu 0xf1ff
	v_cndmask_b32_e64 v37, v38, v35, s1
	s_delay_alu instid0(VALU_DEP_3) | instskip(NEXT) | instid1(VALU_DEP_2)
	v_cndmask_b32_e64 v35, v39, v35, s1
	v_cmp_class_f32_e64 s29, v37, 0x1f8
	s_delay_alu instid0(VALU_DEP_2)
	v_cmp_neq_f32_e64 s1, v37, v35
	s_or_b32 s1, s1, s29
	s_wait_alu 0xfffe
	s_and_saveexec_b32 s29, s1
	s_cbranch_execz .LBB460_64
; %bb.63:
	v_sub_f32_e32 v36, v37, v35
	s_delay_alu instid0(VALU_DEP_1) | instskip(SKIP_1) | instid1(VALU_DEP_2)
	v_mul_f32_e32 v37, 0x3fb8aa3b, v36
	v_cmp_ngt_f32_e64 s1, 0xc2ce8ed0, v36
	v_fma_f32 v38, 0x3fb8aa3b, v36, -v37
	v_rndne_f32_e32 v39, v37
	s_delay_alu instid0(VALU_DEP_1) | instskip(NEXT) | instid1(VALU_DEP_1)
	v_dual_fmamk_f32 v38, v36, 0x32a5705f, v38 :: v_dual_sub_f32 v37, v37, v39
	v_add_f32_e32 v37, v37, v38
	v_cvt_i32_f32_e32 v38, v39
	s_delay_alu instid0(VALU_DEP_2) | instskip(NEXT) | instid1(TRANS32_DEP_1)
	v_exp_f32_e32 v37, v37
	v_ldexp_f32 v37, v37, v38
	s_wait_alu 0xf1ff
	s_delay_alu instid0(VALU_DEP_1) | instskip(SKIP_2) | instid1(VALU_DEP_1)
	v_cndmask_b32_e64 v37, 0, v37, s1
	v_cmp_nlt_f32_e64 s1, 0x42b17218, v36
	s_wait_alu 0xf1ff
	v_cndmask_b32_e64 v38, 0x7f800000, v37, s1
	s_delay_alu instid0(VALU_DEP_1) | instskip(NEXT) | instid1(VALU_DEP_1)
	v_add_f32_e32 v39, 1.0, v38
	v_cvt_f64_f32_e32 v[36:37], v39
	s_delay_alu instid0(VALU_DEP_1) | instskip(SKIP_1) | instid1(VALU_DEP_1)
	v_frexp_exp_i32_f64_e32 v36, v[36:37]
	v_frexp_mant_f32_e32 v37, v39
	v_cmp_gt_f32_e64 s1, 0x3f2aaaab, v37
	v_add_f32_e32 v37, -1.0, v39
	s_delay_alu instid0(VALU_DEP_1)
	v_sub_f32_e32 v41, v37, v39
	v_sub_f32_e32 v37, v38, v37
	s_wait_alu 0xf1ff
	v_subrev_co_ci_u32_e64 v36, null, 0, v36, s1
	s_mov_b32 s1, 0x3e9b6dac
	v_sub_nc_u32_e32 v40, 0, v36
	v_cvt_f32_i32_e32 v36, v36
	s_delay_alu instid0(VALU_DEP_2) | instskip(NEXT) | instid1(VALU_DEP_1)
	v_ldexp_f32 v39, v39, v40
	v_dual_add_f32 v42, 1.0, v39 :: v_dual_add_f32 v41, 1.0, v41
	s_delay_alu instid0(VALU_DEP_1) | instskip(NEXT) | instid1(VALU_DEP_2)
	v_add_f32_e32 v37, v37, v41
	v_add_f32_e32 v41, -1.0, v42
	s_delay_alu instid0(VALU_DEP_2) | instskip(NEXT) | instid1(VALU_DEP_2)
	v_ldexp_f32 v37, v37, v40
	v_dual_add_f32 v40, -1.0, v39 :: v_dual_sub_f32 v41, v39, v41
	s_delay_alu instid0(VALU_DEP_1) | instskip(NEXT) | instid1(VALU_DEP_2)
	v_add_f32_e32 v43, 1.0, v40
	v_add_f32_e32 v41, v37, v41
	s_delay_alu instid0(VALU_DEP_2) | instskip(NEXT) | instid1(VALU_DEP_2)
	v_sub_f32_e32 v39, v39, v43
	v_add_f32_e32 v43, v42, v41
	s_delay_alu instid0(VALU_DEP_2) | instskip(NEXT) | instid1(VALU_DEP_2)
	v_add_f32_e32 v37, v37, v39
	v_rcp_f32_e32 v39, v43
	v_sub_f32_e32 v42, v42, v43
	s_delay_alu instid0(VALU_DEP_1) | instskip(NEXT) | instid1(VALU_DEP_1)
	v_dual_add_f32 v44, v40, v37 :: v_dual_add_f32 v41, v41, v42
	v_sub_f32_e32 v40, v40, v44
	s_delay_alu instid0(TRANS32_DEP_1) | instskip(NEXT) | instid1(VALU_DEP_1)
	v_mul_f32_e32 v45, v44, v39
	v_dual_add_f32 v37, v37, v40 :: v_dual_mul_f32 v46, v43, v45
	s_delay_alu instid0(VALU_DEP_1) | instskip(NEXT) | instid1(VALU_DEP_1)
	v_fma_f32 v42, v45, v43, -v46
	v_fmac_f32_e32 v42, v45, v41
	s_delay_alu instid0(VALU_DEP_1) | instskip(NEXT) | instid1(VALU_DEP_1)
	v_add_f32_e32 v47, v46, v42
	v_sub_f32_e32 v48, v44, v47
	v_sub_f32_e32 v40, v47, v46
	s_delay_alu instid0(VALU_DEP_2) | instskip(NEXT) | instid1(VALU_DEP_2)
	v_sub_f32_e32 v44, v44, v48
	v_sub_f32_e32 v40, v40, v42
	s_delay_alu instid0(VALU_DEP_2) | instskip(NEXT) | instid1(VALU_DEP_1)
	v_sub_f32_e32 v44, v44, v47
	v_add_f32_e32 v37, v37, v44
	s_delay_alu instid0(VALU_DEP_1) | instskip(NEXT) | instid1(VALU_DEP_1)
	v_add_f32_e32 v37, v40, v37
	v_add_f32_e32 v40, v48, v37
	s_delay_alu instid0(VALU_DEP_1) | instskip(NEXT) | instid1(VALU_DEP_1)
	v_mul_f32_e32 v42, v39, v40
	v_dual_sub_f32 v47, v48, v40 :: v_dual_mul_f32 v44, v43, v42
	s_delay_alu instid0(VALU_DEP_1) | instskip(NEXT) | instid1(VALU_DEP_2)
	v_add_f32_e32 v37, v37, v47
	v_fma_f32 v43, v42, v43, -v44
	s_delay_alu instid0(VALU_DEP_1) | instskip(NEXT) | instid1(VALU_DEP_1)
	v_fmac_f32_e32 v43, v42, v41
	v_add_f32_e32 v41, v44, v43
	s_delay_alu instid0(VALU_DEP_1) | instskip(SKIP_1) | instid1(VALU_DEP_2)
	v_sub_f32_e32 v46, v40, v41
	v_sub_f32_e32 v44, v41, v44
	;; [unrolled: 1-line block ×3, first 2 shown]
	s_delay_alu instid0(VALU_DEP_1) | instskip(NEXT) | instid1(VALU_DEP_3)
	v_sub_f32_e32 v40, v40, v41
	v_sub_f32_e32 v41, v44, v43
	s_delay_alu instid0(VALU_DEP_2) | instskip(SKIP_1) | instid1(VALU_DEP_2)
	v_add_f32_e32 v37, v37, v40
	v_add_f32_e32 v40, v45, v42
	;; [unrolled: 1-line block ×3, first 2 shown]
	s_delay_alu instid0(VALU_DEP_2) | instskip(NEXT) | instid1(VALU_DEP_2)
	v_sub_f32_e32 v41, v40, v45
	v_add_f32_e32 v37, v46, v37
	s_delay_alu instid0(VALU_DEP_2) | instskip(NEXT) | instid1(VALU_DEP_2)
	v_sub_f32_e32 v41, v42, v41
	v_mul_f32_e32 v37, v39, v37
	s_delay_alu instid0(VALU_DEP_1) | instskip(NEXT) | instid1(VALU_DEP_1)
	v_add_f32_e32 v37, v41, v37
	v_add_f32_e32 v39, v40, v37
	s_delay_alu instid0(VALU_DEP_1) | instskip(SKIP_1) | instid1(VALU_DEP_1)
	v_mul_f32_e32 v41, v39, v39
	s_wait_alu 0xfffe
	v_fmaak_f32 v42, s1, v41, 0x3ecc95a3
	v_mul_f32_e32 v43, v39, v41
	v_cmp_neq_f32_e64 s1, 0x7f800000, v38
	s_delay_alu instid0(VALU_DEP_3) | instskip(SKIP_2) | instid1(VALU_DEP_3)
	v_fmaak_f32 v41, v41, v42, 0x3f2aaada
	v_ldexp_f32 v42, v39, 1
	v_sub_f32_e32 v39, v39, v40
	v_mul_f32_e32 v41, v43, v41
	v_mul_f32_e32 v43, 0x3f317218, v36
	s_delay_alu instid0(VALU_DEP_2) | instskip(NEXT) | instid1(VALU_DEP_1)
	v_dual_sub_f32 v37, v37, v39 :: v_dual_add_f32 v40, v42, v41
	v_ldexp_f32 v37, v37, 1
	s_delay_alu instid0(VALU_DEP_2) | instskip(NEXT) | instid1(VALU_DEP_4)
	v_sub_f32_e32 v39, v40, v42
	v_fma_f32 v42, 0x3f317218, v36, -v43
	s_delay_alu instid0(VALU_DEP_1) | instskip(NEXT) | instid1(VALU_DEP_1)
	v_dual_sub_f32 v39, v41, v39 :: v_dual_fmamk_f32 v36, v36, 0xb102e308, v42
	v_add_f32_e32 v37, v37, v39
	s_delay_alu instid0(VALU_DEP_2) | instskip(NEXT) | instid1(VALU_DEP_2)
	v_add_f32_e32 v39, v43, v36
	v_add_f32_e32 v41, v40, v37
	s_delay_alu instid0(VALU_DEP_2) | instskip(NEXT) | instid1(VALU_DEP_2)
	v_sub_f32_e32 v43, v39, v43
	v_add_f32_e32 v42, v39, v41
	v_sub_f32_e32 v40, v41, v40
	s_delay_alu instid0(VALU_DEP_3) | instskip(NEXT) | instid1(VALU_DEP_2)
	v_sub_f32_e32 v36, v36, v43
	v_dual_sub_f32 v44, v42, v39 :: v_dual_sub_f32 v37, v37, v40
	s_delay_alu instid0(VALU_DEP_1) | instskip(NEXT) | instid1(VALU_DEP_2)
	v_sub_f32_e32 v45, v42, v44
	v_dual_sub_f32 v40, v41, v44 :: v_dual_add_f32 v41, v36, v37
	s_delay_alu instid0(VALU_DEP_2) | instskip(NEXT) | instid1(VALU_DEP_1)
	v_sub_f32_e32 v39, v39, v45
	v_dual_add_f32 v39, v40, v39 :: v_dual_sub_f32 v40, v41, v36
	s_delay_alu instid0(VALU_DEP_1) | instskip(NEXT) | instid1(VALU_DEP_2)
	v_add_f32_e32 v39, v41, v39
	v_sub_f32_e32 v41, v41, v40
	v_sub_f32_e32 v37, v37, v40
	s_delay_alu instid0(VALU_DEP_2) | instskip(NEXT) | instid1(VALU_DEP_1)
	v_dual_add_f32 v43, v42, v39 :: v_dual_sub_f32 v36, v36, v41
	v_sub_f32_e32 v40, v43, v42
	s_delay_alu instid0(VALU_DEP_2) | instskip(NEXT) | instid1(VALU_DEP_2)
	v_add_f32_e32 v36, v37, v36
	v_sub_f32_e32 v37, v39, v40
	s_delay_alu instid0(VALU_DEP_1) | instskip(NEXT) | instid1(VALU_DEP_1)
	v_add_f32_e32 v36, v36, v37
	v_add_f32_e32 v36, v43, v36
	s_wait_alu 0xf1ff
	s_delay_alu instid0(VALU_DEP_1) | instskip(SKIP_2) | instid1(VALU_DEP_1)
	v_cndmask_b32_e64 v36, 0x7f800000, v36, s1
	v_cmp_gt_f32_e64 s1, 0x33800000, |v38|
	s_wait_alu 0xf1ff
	v_cndmask_b32_e64 v36, v36, v38, s1
	s_delay_alu instid0(VALU_DEP_1)
	v_add_f32_e32 v36, v35, v36
.LBB460_64:
	s_or_b32 exec_lo, exec_lo, s29
	s_delay_alu instid0(VALU_DEP_1) | instskip(SKIP_1) | instid1(VALU_DEP_2)
	v_bfe_u32 v35, v36, 16, 1
	v_cmp_o_f32_e64 s1, v36, v36
	v_add3_u32 v35, v36, v35, 0x7fff
	s_delay_alu instid0(VALU_DEP_1) | instskip(SKIP_1) | instid1(VALU_DEP_1)
	v_lshrrev_b32_e32 v35, 16, v35
	s_wait_alu 0xf1ff
	v_cndmask_b32_e64 v35, 0x7fc0, v35, s1
	s_delay_alu instid0(VALU_DEP_1)
	v_and_b32_e32 v36, 0xffff, v35
.LBB460_65:
	s_or_b32 exec_lo, exec_lo, s28
	s_delay_alu instid0(VALU_DEP_1)
	v_mov_b32_dpp v37, v36 row_shr:2 row_mask:0xf bank_mask:0xf
	s_mov_b32 s28, exec_lo
	v_cmpx_lt_u32_e32 1, v34
	s_cbranch_execz .LBB460_69
; %bb.66:
	v_lshlrev_b32_e32 v35, 16, v36
	s_delay_alu instid0(VALU_DEP_1) | instskip(NEXT) | instid1(VALU_DEP_1)
	v_dual_max_num_f32 v37, v35, v35 :: v_dual_lshlrev_b32 v36, 16, v37
	v_max_num_f32_e32 v38, v36, v36
	v_cmp_u_f32_e64 s1, v36, v36
	s_delay_alu instid0(VALU_DEP_2) | instskip(SKIP_2) | instid1(VALU_DEP_2)
	v_min_num_f32_e32 v39, v38, v37
	v_max_num_f32_e32 v37, v38, v37
	s_wait_alu 0xf1ff
	v_cndmask_b32_e64 v38, v39, v36, s1
	s_delay_alu instid0(VALU_DEP_2) | instskip(SKIP_2) | instid1(VALU_DEP_1)
	v_cndmask_b32_e64 v39, v37, v36, s1
	v_cmp_u_f32_e64 s1, v35, v35
	s_wait_alu 0xf1ff
	v_cndmask_b32_e64 v37, v38, v35, s1
	s_delay_alu instid0(VALU_DEP_3) | instskip(NEXT) | instid1(VALU_DEP_2)
	v_cndmask_b32_e64 v35, v39, v35, s1
	v_cmp_class_f32_e64 s29, v37, 0x1f8
	s_delay_alu instid0(VALU_DEP_2)
	v_cmp_neq_f32_e64 s1, v37, v35
	s_or_b32 s1, s1, s29
	s_wait_alu 0xfffe
	s_and_saveexec_b32 s29, s1
	s_cbranch_execz .LBB460_68
; %bb.67:
	v_sub_f32_e32 v36, v37, v35
	s_delay_alu instid0(VALU_DEP_1) | instskip(SKIP_1) | instid1(VALU_DEP_2)
	v_mul_f32_e32 v37, 0x3fb8aa3b, v36
	v_cmp_ngt_f32_e64 s1, 0xc2ce8ed0, v36
	v_fma_f32 v38, 0x3fb8aa3b, v36, -v37
	v_rndne_f32_e32 v39, v37
	s_delay_alu instid0(VALU_DEP_1) | instskip(NEXT) | instid1(VALU_DEP_1)
	v_dual_fmamk_f32 v38, v36, 0x32a5705f, v38 :: v_dual_sub_f32 v37, v37, v39
	v_add_f32_e32 v37, v37, v38
	v_cvt_i32_f32_e32 v38, v39
	s_delay_alu instid0(VALU_DEP_2) | instskip(NEXT) | instid1(TRANS32_DEP_1)
	v_exp_f32_e32 v37, v37
	v_ldexp_f32 v37, v37, v38
	s_wait_alu 0xf1ff
	s_delay_alu instid0(VALU_DEP_1) | instskip(SKIP_2) | instid1(VALU_DEP_1)
	v_cndmask_b32_e64 v37, 0, v37, s1
	v_cmp_nlt_f32_e64 s1, 0x42b17218, v36
	s_wait_alu 0xf1ff
	v_cndmask_b32_e64 v38, 0x7f800000, v37, s1
	s_delay_alu instid0(VALU_DEP_1) | instskip(NEXT) | instid1(VALU_DEP_1)
	v_add_f32_e32 v39, 1.0, v38
	v_cvt_f64_f32_e32 v[36:37], v39
	s_delay_alu instid0(VALU_DEP_1) | instskip(SKIP_1) | instid1(VALU_DEP_1)
	v_frexp_exp_i32_f64_e32 v36, v[36:37]
	v_frexp_mant_f32_e32 v37, v39
	v_cmp_gt_f32_e64 s1, 0x3f2aaaab, v37
	v_add_f32_e32 v37, -1.0, v39
	s_delay_alu instid0(VALU_DEP_1)
	v_sub_f32_e32 v41, v37, v39
	v_sub_f32_e32 v37, v38, v37
	s_wait_alu 0xf1ff
	v_subrev_co_ci_u32_e64 v36, null, 0, v36, s1
	s_mov_b32 s1, 0x3e9b6dac
	v_sub_nc_u32_e32 v40, 0, v36
	v_cvt_f32_i32_e32 v36, v36
	s_delay_alu instid0(VALU_DEP_2) | instskip(NEXT) | instid1(VALU_DEP_1)
	v_ldexp_f32 v39, v39, v40
	v_dual_add_f32 v42, 1.0, v39 :: v_dual_add_f32 v41, 1.0, v41
	s_delay_alu instid0(VALU_DEP_1) | instskip(NEXT) | instid1(VALU_DEP_2)
	v_add_f32_e32 v37, v37, v41
	v_add_f32_e32 v41, -1.0, v42
	s_delay_alu instid0(VALU_DEP_2) | instskip(NEXT) | instid1(VALU_DEP_2)
	v_ldexp_f32 v37, v37, v40
	v_dual_add_f32 v40, -1.0, v39 :: v_dual_sub_f32 v41, v39, v41
	s_delay_alu instid0(VALU_DEP_1) | instskip(NEXT) | instid1(VALU_DEP_2)
	v_add_f32_e32 v43, 1.0, v40
	v_add_f32_e32 v41, v37, v41
	s_delay_alu instid0(VALU_DEP_2) | instskip(NEXT) | instid1(VALU_DEP_2)
	v_sub_f32_e32 v39, v39, v43
	v_add_f32_e32 v43, v42, v41
	s_delay_alu instid0(VALU_DEP_2) | instskip(NEXT) | instid1(VALU_DEP_2)
	v_add_f32_e32 v37, v37, v39
	v_rcp_f32_e32 v39, v43
	v_sub_f32_e32 v42, v42, v43
	s_delay_alu instid0(VALU_DEP_1) | instskip(NEXT) | instid1(VALU_DEP_1)
	v_dual_add_f32 v44, v40, v37 :: v_dual_add_f32 v41, v41, v42
	v_sub_f32_e32 v40, v40, v44
	s_delay_alu instid0(TRANS32_DEP_1) | instskip(NEXT) | instid1(VALU_DEP_1)
	v_mul_f32_e32 v45, v44, v39
	v_dual_add_f32 v37, v37, v40 :: v_dual_mul_f32 v46, v43, v45
	s_delay_alu instid0(VALU_DEP_1) | instskip(NEXT) | instid1(VALU_DEP_1)
	v_fma_f32 v42, v45, v43, -v46
	v_fmac_f32_e32 v42, v45, v41
	s_delay_alu instid0(VALU_DEP_1) | instskip(NEXT) | instid1(VALU_DEP_1)
	v_add_f32_e32 v47, v46, v42
	v_sub_f32_e32 v48, v44, v47
	v_sub_f32_e32 v40, v47, v46
	s_delay_alu instid0(VALU_DEP_2) | instskip(NEXT) | instid1(VALU_DEP_2)
	v_sub_f32_e32 v44, v44, v48
	v_sub_f32_e32 v40, v40, v42
	s_delay_alu instid0(VALU_DEP_2) | instskip(NEXT) | instid1(VALU_DEP_1)
	v_sub_f32_e32 v44, v44, v47
	v_add_f32_e32 v37, v37, v44
	s_delay_alu instid0(VALU_DEP_1) | instskip(NEXT) | instid1(VALU_DEP_1)
	v_add_f32_e32 v37, v40, v37
	v_add_f32_e32 v40, v48, v37
	s_delay_alu instid0(VALU_DEP_1) | instskip(NEXT) | instid1(VALU_DEP_1)
	v_mul_f32_e32 v42, v39, v40
	v_dual_sub_f32 v47, v48, v40 :: v_dual_mul_f32 v44, v43, v42
	s_delay_alu instid0(VALU_DEP_1) | instskip(NEXT) | instid1(VALU_DEP_2)
	v_add_f32_e32 v37, v37, v47
	v_fma_f32 v43, v42, v43, -v44
	s_delay_alu instid0(VALU_DEP_1) | instskip(NEXT) | instid1(VALU_DEP_1)
	v_fmac_f32_e32 v43, v42, v41
	v_add_f32_e32 v41, v44, v43
	s_delay_alu instid0(VALU_DEP_1) | instskip(SKIP_1) | instid1(VALU_DEP_2)
	v_sub_f32_e32 v46, v40, v41
	v_sub_f32_e32 v44, v41, v44
	;; [unrolled: 1-line block ×3, first 2 shown]
	s_delay_alu instid0(VALU_DEP_1) | instskip(NEXT) | instid1(VALU_DEP_3)
	v_sub_f32_e32 v40, v40, v41
	v_sub_f32_e32 v41, v44, v43
	s_delay_alu instid0(VALU_DEP_2) | instskip(SKIP_1) | instid1(VALU_DEP_2)
	v_add_f32_e32 v37, v37, v40
	v_add_f32_e32 v40, v45, v42
	;; [unrolled: 1-line block ×3, first 2 shown]
	s_delay_alu instid0(VALU_DEP_2) | instskip(NEXT) | instid1(VALU_DEP_2)
	v_sub_f32_e32 v41, v40, v45
	v_add_f32_e32 v37, v46, v37
	s_delay_alu instid0(VALU_DEP_2) | instskip(NEXT) | instid1(VALU_DEP_2)
	v_sub_f32_e32 v41, v42, v41
	v_mul_f32_e32 v37, v39, v37
	s_delay_alu instid0(VALU_DEP_1) | instskip(NEXT) | instid1(VALU_DEP_1)
	v_add_f32_e32 v37, v41, v37
	v_add_f32_e32 v39, v40, v37
	s_delay_alu instid0(VALU_DEP_1) | instskip(SKIP_1) | instid1(VALU_DEP_1)
	v_mul_f32_e32 v41, v39, v39
	s_wait_alu 0xfffe
	v_fmaak_f32 v42, s1, v41, 0x3ecc95a3
	v_mul_f32_e32 v43, v39, v41
	v_cmp_neq_f32_e64 s1, 0x7f800000, v38
	s_delay_alu instid0(VALU_DEP_3) | instskip(SKIP_2) | instid1(VALU_DEP_3)
	v_fmaak_f32 v41, v41, v42, 0x3f2aaada
	v_ldexp_f32 v42, v39, 1
	v_sub_f32_e32 v39, v39, v40
	v_mul_f32_e32 v41, v43, v41
	v_mul_f32_e32 v43, 0x3f317218, v36
	s_delay_alu instid0(VALU_DEP_2) | instskip(NEXT) | instid1(VALU_DEP_1)
	v_dual_sub_f32 v37, v37, v39 :: v_dual_add_f32 v40, v42, v41
	v_ldexp_f32 v37, v37, 1
	s_delay_alu instid0(VALU_DEP_2) | instskip(NEXT) | instid1(VALU_DEP_4)
	v_sub_f32_e32 v39, v40, v42
	v_fma_f32 v42, 0x3f317218, v36, -v43
	s_delay_alu instid0(VALU_DEP_1) | instskip(NEXT) | instid1(VALU_DEP_1)
	v_dual_sub_f32 v39, v41, v39 :: v_dual_fmamk_f32 v36, v36, 0xb102e308, v42
	v_add_f32_e32 v37, v37, v39
	s_delay_alu instid0(VALU_DEP_2) | instskip(NEXT) | instid1(VALU_DEP_2)
	v_add_f32_e32 v39, v43, v36
	v_add_f32_e32 v41, v40, v37
	s_delay_alu instid0(VALU_DEP_2) | instskip(NEXT) | instid1(VALU_DEP_2)
	v_sub_f32_e32 v43, v39, v43
	v_add_f32_e32 v42, v39, v41
	v_sub_f32_e32 v40, v41, v40
	s_delay_alu instid0(VALU_DEP_3) | instskip(NEXT) | instid1(VALU_DEP_2)
	v_sub_f32_e32 v36, v36, v43
	v_dual_sub_f32 v44, v42, v39 :: v_dual_sub_f32 v37, v37, v40
	s_delay_alu instid0(VALU_DEP_1) | instskip(NEXT) | instid1(VALU_DEP_2)
	v_sub_f32_e32 v45, v42, v44
	v_dual_sub_f32 v40, v41, v44 :: v_dual_add_f32 v41, v36, v37
	s_delay_alu instid0(VALU_DEP_2) | instskip(NEXT) | instid1(VALU_DEP_1)
	v_sub_f32_e32 v39, v39, v45
	v_dual_add_f32 v39, v40, v39 :: v_dual_sub_f32 v40, v41, v36
	s_delay_alu instid0(VALU_DEP_1) | instskip(NEXT) | instid1(VALU_DEP_2)
	v_add_f32_e32 v39, v41, v39
	v_sub_f32_e32 v41, v41, v40
	v_sub_f32_e32 v37, v37, v40
	s_delay_alu instid0(VALU_DEP_2) | instskip(NEXT) | instid1(VALU_DEP_1)
	v_dual_add_f32 v43, v42, v39 :: v_dual_sub_f32 v36, v36, v41
	v_sub_f32_e32 v40, v43, v42
	s_delay_alu instid0(VALU_DEP_2) | instskip(NEXT) | instid1(VALU_DEP_2)
	v_add_f32_e32 v36, v37, v36
	v_sub_f32_e32 v37, v39, v40
	s_delay_alu instid0(VALU_DEP_1) | instskip(NEXT) | instid1(VALU_DEP_1)
	v_add_f32_e32 v36, v36, v37
	v_add_f32_e32 v36, v43, v36
	s_wait_alu 0xf1ff
	s_delay_alu instid0(VALU_DEP_1) | instskip(SKIP_2) | instid1(VALU_DEP_1)
	v_cndmask_b32_e64 v36, 0x7f800000, v36, s1
	v_cmp_gt_f32_e64 s1, 0x33800000, |v38|
	s_wait_alu 0xf1ff
	v_cndmask_b32_e64 v36, v36, v38, s1
	s_delay_alu instid0(VALU_DEP_1)
	v_add_f32_e32 v36, v35, v36
.LBB460_68:
	s_or_b32 exec_lo, exec_lo, s29
	s_delay_alu instid0(VALU_DEP_1) | instskip(SKIP_1) | instid1(VALU_DEP_2)
	v_bfe_u32 v35, v36, 16, 1
	v_cmp_o_f32_e64 s1, v36, v36
	v_add3_u32 v35, v36, v35, 0x7fff
	s_delay_alu instid0(VALU_DEP_1) | instskip(SKIP_1) | instid1(VALU_DEP_1)
	v_lshrrev_b32_e32 v35, 16, v35
	s_wait_alu 0xf1ff
	v_cndmask_b32_e64 v35, 0x7fc0, v35, s1
	s_delay_alu instid0(VALU_DEP_1)
	v_and_b32_e32 v36, 0xffff, v35
.LBB460_69:
	s_or_b32 exec_lo, exec_lo, s28
	s_delay_alu instid0(VALU_DEP_1)
	v_mov_b32_dpp v37, v36 row_shr:4 row_mask:0xf bank_mask:0xf
	s_mov_b32 s28, exec_lo
	v_cmpx_lt_u32_e32 3, v34
	s_cbranch_execz .LBB460_73
; %bb.70:
	v_lshlrev_b32_e32 v35, 16, v36
	s_delay_alu instid0(VALU_DEP_1) | instskip(NEXT) | instid1(VALU_DEP_1)
	v_dual_max_num_f32 v37, v35, v35 :: v_dual_lshlrev_b32 v36, 16, v37
	v_max_num_f32_e32 v38, v36, v36
	v_cmp_u_f32_e64 s1, v36, v36
	s_delay_alu instid0(VALU_DEP_2) | instskip(SKIP_2) | instid1(VALU_DEP_2)
	v_min_num_f32_e32 v39, v38, v37
	v_max_num_f32_e32 v37, v38, v37
	s_wait_alu 0xf1ff
	v_cndmask_b32_e64 v38, v39, v36, s1
	s_delay_alu instid0(VALU_DEP_2) | instskip(SKIP_2) | instid1(VALU_DEP_1)
	v_cndmask_b32_e64 v39, v37, v36, s1
	v_cmp_u_f32_e64 s1, v35, v35
	s_wait_alu 0xf1ff
	v_cndmask_b32_e64 v37, v38, v35, s1
	s_delay_alu instid0(VALU_DEP_3) | instskip(NEXT) | instid1(VALU_DEP_2)
	v_cndmask_b32_e64 v35, v39, v35, s1
	v_cmp_class_f32_e64 s29, v37, 0x1f8
	s_delay_alu instid0(VALU_DEP_2)
	v_cmp_neq_f32_e64 s1, v37, v35
	s_or_b32 s1, s1, s29
	s_wait_alu 0xfffe
	s_and_saveexec_b32 s29, s1
	s_cbranch_execz .LBB460_72
; %bb.71:
	v_sub_f32_e32 v36, v37, v35
	s_delay_alu instid0(VALU_DEP_1) | instskip(SKIP_1) | instid1(VALU_DEP_2)
	v_mul_f32_e32 v37, 0x3fb8aa3b, v36
	v_cmp_ngt_f32_e64 s1, 0xc2ce8ed0, v36
	v_fma_f32 v38, 0x3fb8aa3b, v36, -v37
	v_rndne_f32_e32 v39, v37
	s_delay_alu instid0(VALU_DEP_1) | instskip(NEXT) | instid1(VALU_DEP_1)
	v_dual_fmamk_f32 v38, v36, 0x32a5705f, v38 :: v_dual_sub_f32 v37, v37, v39
	v_add_f32_e32 v37, v37, v38
	v_cvt_i32_f32_e32 v38, v39
	s_delay_alu instid0(VALU_DEP_2) | instskip(NEXT) | instid1(TRANS32_DEP_1)
	v_exp_f32_e32 v37, v37
	v_ldexp_f32 v37, v37, v38
	s_wait_alu 0xf1ff
	s_delay_alu instid0(VALU_DEP_1) | instskip(SKIP_2) | instid1(VALU_DEP_1)
	v_cndmask_b32_e64 v37, 0, v37, s1
	v_cmp_nlt_f32_e64 s1, 0x42b17218, v36
	s_wait_alu 0xf1ff
	v_cndmask_b32_e64 v38, 0x7f800000, v37, s1
	s_delay_alu instid0(VALU_DEP_1) | instskip(NEXT) | instid1(VALU_DEP_1)
	v_add_f32_e32 v39, 1.0, v38
	v_cvt_f64_f32_e32 v[36:37], v39
	s_delay_alu instid0(VALU_DEP_1) | instskip(SKIP_1) | instid1(VALU_DEP_1)
	v_frexp_exp_i32_f64_e32 v36, v[36:37]
	v_frexp_mant_f32_e32 v37, v39
	v_cmp_gt_f32_e64 s1, 0x3f2aaaab, v37
	v_add_f32_e32 v37, -1.0, v39
	s_delay_alu instid0(VALU_DEP_1)
	v_sub_f32_e32 v41, v37, v39
	v_sub_f32_e32 v37, v38, v37
	s_wait_alu 0xf1ff
	v_subrev_co_ci_u32_e64 v36, null, 0, v36, s1
	s_mov_b32 s1, 0x3e9b6dac
	v_sub_nc_u32_e32 v40, 0, v36
	v_cvt_f32_i32_e32 v36, v36
	s_delay_alu instid0(VALU_DEP_2) | instskip(NEXT) | instid1(VALU_DEP_1)
	v_ldexp_f32 v39, v39, v40
	v_dual_add_f32 v42, 1.0, v39 :: v_dual_add_f32 v41, 1.0, v41
	s_delay_alu instid0(VALU_DEP_1) | instskip(NEXT) | instid1(VALU_DEP_2)
	v_add_f32_e32 v37, v37, v41
	v_add_f32_e32 v41, -1.0, v42
	s_delay_alu instid0(VALU_DEP_2) | instskip(NEXT) | instid1(VALU_DEP_2)
	v_ldexp_f32 v37, v37, v40
	v_dual_add_f32 v40, -1.0, v39 :: v_dual_sub_f32 v41, v39, v41
	s_delay_alu instid0(VALU_DEP_1) | instskip(NEXT) | instid1(VALU_DEP_2)
	v_add_f32_e32 v43, 1.0, v40
	v_add_f32_e32 v41, v37, v41
	s_delay_alu instid0(VALU_DEP_2) | instskip(NEXT) | instid1(VALU_DEP_2)
	v_sub_f32_e32 v39, v39, v43
	v_add_f32_e32 v43, v42, v41
	s_delay_alu instid0(VALU_DEP_2) | instskip(NEXT) | instid1(VALU_DEP_2)
	v_add_f32_e32 v37, v37, v39
	v_rcp_f32_e32 v39, v43
	v_sub_f32_e32 v42, v42, v43
	s_delay_alu instid0(VALU_DEP_1) | instskip(NEXT) | instid1(VALU_DEP_1)
	v_dual_add_f32 v44, v40, v37 :: v_dual_add_f32 v41, v41, v42
	v_sub_f32_e32 v40, v40, v44
	s_delay_alu instid0(TRANS32_DEP_1) | instskip(NEXT) | instid1(VALU_DEP_1)
	v_mul_f32_e32 v45, v44, v39
	v_dual_add_f32 v37, v37, v40 :: v_dual_mul_f32 v46, v43, v45
	s_delay_alu instid0(VALU_DEP_1) | instskip(NEXT) | instid1(VALU_DEP_1)
	v_fma_f32 v42, v45, v43, -v46
	v_fmac_f32_e32 v42, v45, v41
	s_delay_alu instid0(VALU_DEP_1) | instskip(NEXT) | instid1(VALU_DEP_1)
	v_add_f32_e32 v47, v46, v42
	v_sub_f32_e32 v48, v44, v47
	v_sub_f32_e32 v40, v47, v46
	s_delay_alu instid0(VALU_DEP_2) | instskip(NEXT) | instid1(VALU_DEP_2)
	v_sub_f32_e32 v44, v44, v48
	v_sub_f32_e32 v40, v40, v42
	s_delay_alu instid0(VALU_DEP_2) | instskip(NEXT) | instid1(VALU_DEP_1)
	v_sub_f32_e32 v44, v44, v47
	v_add_f32_e32 v37, v37, v44
	s_delay_alu instid0(VALU_DEP_1) | instskip(NEXT) | instid1(VALU_DEP_1)
	v_add_f32_e32 v37, v40, v37
	v_add_f32_e32 v40, v48, v37
	s_delay_alu instid0(VALU_DEP_1) | instskip(NEXT) | instid1(VALU_DEP_1)
	v_mul_f32_e32 v42, v39, v40
	v_dual_sub_f32 v47, v48, v40 :: v_dual_mul_f32 v44, v43, v42
	s_delay_alu instid0(VALU_DEP_1) | instskip(NEXT) | instid1(VALU_DEP_2)
	v_add_f32_e32 v37, v37, v47
	v_fma_f32 v43, v42, v43, -v44
	s_delay_alu instid0(VALU_DEP_1) | instskip(NEXT) | instid1(VALU_DEP_1)
	v_fmac_f32_e32 v43, v42, v41
	v_add_f32_e32 v41, v44, v43
	s_delay_alu instid0(VALU_DEP_1) | instskip(SKIP_1) | instid1(VALU_DEP_2)
	v_sub_f32_e32 v46, v40, v41
	v_sub_f32_e32 v44, v41, v44
	;; [unrolled: 1-line block ×3, first 2 shown]
	s_delay_alu instid0(VALU_DEP_1) | instskip(NEXT) | instid1(VALU_DEP_3)
	v_sub_f32_e32 v40, v40, v41
	v_sub_f32_e32 v41, v44, v43
	s_delay_alu instid0(VALU_DEP_2) | instskip(SKIP_1) | instid1(VALU_DEP_2)
	v_add_f32_e32 v37, v37, v40
	v_add_f32_e32 v40, v45, v42
	;; [unrolled: 1-line block ×3, first 2 shown]
	s_delay_alu instid0(VALU_DEP_2) | instskip(NEXT) | instid1(VALU_DEP_2)
	v_sub_f32_e32 v41, v40, v45
	v_add_f32_e32 v37, v46, v37
	s_delay_alu instid0(VALU_DEP_2) | instskip(NEXT) | instid1(VALU_DEP_2)
	v_sub_f32_e32 v41, v42, v41
	v_mul_f32_e32 v37, v39, v37
	s_delay_alu instid0(VALU_DEP_1) | instskip(NEXT) | instid1(VALU_DEP_1)
	v_add_f32_e32 v37, v41, v37
	v_add_f32_e32 v39, v40, v37
	s_delay_alu instid0(VALU_DEP_1) | instskip(SKIP_1) | instid1(VALU_DEP_1)
	v_mul_f32_e32 v41, v39, v39
	s_wait_alu 0xfffe
	v_fmaak_f32 v42, s1, v41, 0x3ecc95a3
	v_mul_f32_e32 v43, v39, v41
	v_cmp_neq_f32_e64 s1, 0x7f800000, v38
	s_delay_alu instid0(VALU_DEP_3) | instskip(SKIP_2) | instid1(VALU_DEP_3)
	v_fmaak_f32 v41, v41, v42, 0x3f2aaada
	v_ldexp_f32 v42, v39, 1
	v_sub_f32_e32 v39, v39, v40
	v_mul_f32_e32 v41, v43, v41
	v_mul_f32_e32 v43, 0x3f317218, v36
	s_delay_alu instid0(VALU_DEP_2) | instskip(NEXT) | instid1(VALU_DEP_1)
	v_dual_sub_f32 v37, v37, v39 :: v_dual_add_f32 v40, v42, v41
	v_ldexp_f32 v37, v37, 1
	s_delay_alu instid0(VALU_DEP_2) | instskip(NEXT) | instid1(VALU_DEP_4)
	v_sub_f32_e32 v39, v40, v42
	v_fma_f32 v42, 0x3f317218, v36, -v43
	s_delay_alu instid0(VALU_DEP_1) | instskip(NEXT) | instid1(VALU_DEP_1)
	v_dual_sub_f32 v39, v41, v39 :: v_dual_fmamk_f32 v36, v36, 0xb102e308, v42
	v_add_f32_e32 v37, v37, v39
	s_delay_alu instid0(VALU_DEP_2) | instskip(NEXT) | instid1(VALU_DEP_2)
	v_add_f32_e32 v39, v43, v36
	v_add_f32_e32 v41, v40, v37
	s_delay_alu instid0(VALU_DEP_2) | instskip(NEXT) | instid1(VALU_DEP_2)
	v_sub_f32_e32 v43, v39, v43
	v_add_f32_e32 v42, v39, v41
	v_sub_f32_e32 v40, v41, v40
	s_delay_alu instid0(VALU_DEP_3) | instskip(NEXT) | instid1(VALU_DEP_2)
	v_sub_f32_e32 v36, v36, v43
	v_dual_sub_f32 v44, v42, v39 :: v_dual_sub_f32 v37, v37, v40
	s_delay_alu instid0(VALU_DEP_1) | instskip(NEXT) | instid1(VALU_DEP_2)
	v_sub_f32_e32 v45, v42, v44
	v_dual_sub_f32 v40, v41, v44 :: v_dual_add_f32 v41, v36, v37
	s_delay_alu instid0(VALU_DEP_2) | instskip(NEXT) | instid1(VALU_DEP_1)
	v_sub_f32_e32 v39, v39, v45
	v_dual_add_f32 v39, v40, v39 :: v_dual_sub_f32 v40, v41, v36
	s_delay_alu instid0(VALU_DEP_1) | instskip(NEXT) | instid1(VALU_DEP_2)
	v_add_f32_e32 v39, v41, v39
	v_sub_f32_e32 v41, v41, v40
	v_sub_f32_e32 v37, v37, v40
	s_delay_alu instid0(VALU_DEP_2) | instskip(NEXT) | instid1(VALU_DEP_1)
	v_dual_add_f32 v43, v42, v39 :: v_dual_sub_f32 v36, v36, v41
	v_sub_f32_e32 v40, v43, v42
	s_delay_alu instid0(VALU_DEP_2) | instskip(NEXT) | instid1(VALU_DEP_2)
	v_add_f32_e32 v36, v37, v36
	v_sub_f32_e32 v37, v39, v40
	s_delay_alu instid0(VALU_DEP_1) | instskip(NEXT) | instid1(VALU_DEP_1)
	v_add_f32_e32 v36, v36, v37
	v_add_f32_e32 v36, v43, v36
	s_wait_alu 0xf1ff
	s_delay_alu instid0(VALU_DEP_1) | instskip(SKIP_2) | instid1(VALU_DEP_1)
	v_cndmask_b32_e64 v36, 0x7f800000, v36, s1
	v_cmp_gt_f32_e64 s1, 0x33800000, |v38|
	s_wait_alu 0xf1ff
	v_cndmask_b32_e64 v36, v36, v38, s1
	s_delay_alu instid0(VALU_DEP_1)
	v_add_f32_e32 v36, v35, v36
.LBB460_72:
	s_or_b32 exec_lo, exec_lo, s29
	s_delay_alu instid0(VALU_DEP_1) | instskip(SKIP_1) | instid1(VALU_DEP_2)
	v_bfe_u32 v35, v36, 16, 1
	v_cmp_o_f32_e64 s1, v36, v36
	v_add3_u32 v35, v36, v35, 0x7fff
	s_delay_alu instid0(VALU_DEP_1) | instskip(SKIP_1) | instid1(VALU_DEP_1)
	v_lshrrev_b32_e32 v35, 16, v35
	s_wait_alu 0xf1ff
	v_cndmask_b32_e64 v35, 0x7fc0, v35, s1
	s_delay_alu instid0(VALU_DEP_1)
	v_and_b32_e32 v36, 0xffff, v35
.LBB460_73:
	s_or_b32 exec_lo, exec_lo, s28
	s_delay_alu instid0(VALU_DEP_1)
	v_mov_b32_dpp v37, v36 row_shr:8 row_mask:0xf bank_mask:0xf
	s_mov_b32 s28, exec_lo
	v_cmpx_lt_u32_e32 7, v34
	s_cbranch_execz .LBB460_77
; %bb.74:
	s_delay_alu instid0(VALU_DEP_2) | instskip(NEXT) | instid1(VALU_DEP_1)
	v_lshlrev_b32_e32 v35, 16, v37
	v_dual_max_num_f32 v37, v35, v35 :: v_dual_lshlrev_b32 v34, 16, v36
	s_delay_alu instid0(VALU_DEP_1) | instskip(SKIP_1) | instid1(VALU_DEP_2)
	v_max_num_f32_e32 v36, v34, v34
	v_cmp_u_f32_e64 s1, v35, v35
	v_min_num_f32_e32 v38, v37, v36
	v_max_num_f32_e32 v36, v37, v36
	s_wait_alu 0xf1ff
	s_delay_alu instid0(VALU_DEP_2) | instskip(NEXT) | instid1(VALU_DEP_2)
	v_cndmask_b32_e64 v37, v38, v35, s1
	v_cndmask_b32_e64 v38, v36, v35, s1
	v_cmp_u_f32_e64 s1, v34, v34
	s_wait_alu 0xf1ff
	s_delay_alu instid0(VALU_DEP_1) | instskip(NEXT) | instid1(VALU_DEP_3)
	v_cndmask_b32_e64 v36, v37, v34, s1
	v_cndmask_b32_e64 v34, v38, v34, s1
	s_delay_alu instid0(VALU_DEP_2) | instskip(NEXT) | instid1(VALU_DEP_2)
	v_cmp_class_f32_e64 s29, v36, 0x1f8
	v_cmp_neq_f32_e64 s1, v36, v34
	s_or_b32 s1, s1, s29
	s_wait_alu 0xfffe
	s_and_saveexec_b32 s29, s1
	s_cbranch_execz .LBB460_76
; %bb.75:
	v_sub_f32_e32 v35, v36, v34
	s_delay_alu instid0(VALU_DEP_1) | instskip(SKIP_1) | instid1(VALU_DEP_2)
	v_mul_f32_e32 v36, 0x3fb8aa3b, v35
	v_cmp_ngt_f32_e64 s1, 0xc2ce8ed0, v35
	v_fma_f32 v37, 0x3fb8aa3b, v35, -v36
	v_rndne_f32_e32 v38, v36
	s_delay_alu instid0(VALU_DEP_1) | instskip(NEXT) | instid1(VALU_DEP_1)
	v_dual_fmamk_f32 v37, v35, 0x32a5705f, v37 :: v_dual_sub_f32 v36, v36, v38
	v_add_f32_e32 v36, v36, v37
	v_cvt_i32_f32_e32 v37, v38
	s_delay_alu instid0(VALU_DEP_2) | instskip(NEXT) | instid1(TRANS32_DEP_1)
	v_exp_f32_e32 v36, v36
	v_ldexp_f32 v36, v36, v37
	s_wait_alu 0xf1ff
	s_delay_alu instid0(VALU_DEP_1) | instskip(SKIP_2) | instid1(VALU_DEP_1)
	v_cndmask_b32_e64 v36, 0, v36, s1
	v_cmp_nlt_f32_e64 s1, 0x42b17218, v35
	s_wait_alu 0xf1ff
	v_cndmask_b32_e64 v37, 0x7f800000, v36, s1
	s_delay_alu instid0(VALU_DEP_1) | instskip(NEXT) | instid1(VALU_DEP_1)
	v_add_f32_e32 v38, 1.0, v37
	v_cvt_f64_f32_e32 v[35:36], v38
	s_delay_alu instid0(VALU_DEP_1) | instskip(SKIP_1) | instid1(VALU_DEP_1)
	v_frexp_exp_i32_f64_e32 v35, v[35:36]
	v_frexp_mant_f32_e32 v36, v38
	v_cmp_gt_f32_e64 s1, 0x3f2aaaab, v36
	v_add_f32_e32 v36, -1.0, v38
	s_delay_alu instid0(VALU_DEP_1)
	v_sub_f32_e32 v40, v36, v38
	v_sub_f32_e32 v36, v37, v36
	s_wait_alu 0xf1ff
	v_subrev_co_ci_u32_e64 v35, null, 0, v35, s1
	s_mov_b32 s1, 0x3e9b6dac
	v_sub_nc_u32_e32 v39, 0, v35
	v_cvt_f32_i32_e32 v35, v35
	s_delay_alu instid0(VALU_DEP_2) | instskip(NEXT) | instid1(VALU_DEP_1)
	v_ldexp_f32 v38, v38, v39
	v_dual_add_f32 v41, 1.0, v38 :: v_dual_add_f32 v40, 1.0, v40
	s_delay_alu instid0(VALU_DEP_1) | instskip(NEXT) | instid1(VALU_DEP_2)
	v_add_f32_e32 v36, v36, v40
	v_add_f32_e32 v40, -1.0, v41
	s_delay_alu instid0(VALU_DEP_2) | instskip(NEXT) | instid1(VALU_DEP_2)
	v_ldexp_f32 v36, v36, v39
	v_dual_add_f32 v39, -1.0, v38 :: v_dual_sub_f32 v40, v38, v40
	s_delay_alu instid0(VALU_DEP_1) | instskip(NEXT) | instid1(VALU_DEP_2)
	v_add_f32_e32 v42, 1.0, v39
	v_add_f32_e32 v40, v36, v40
	s_delay_alu instid0(VALU_DEP_2) | instskip(NEXT) | instid1(VALU_DEP_2)
	v_sub_f32_e32 v38, v38, v42
	v_add_f32_e32 v42, v41, v40
	s_delay_alu instid0(VALU_DEP_2) | instskip(NEXT) | instid1(VALU_DEP_2)
	v_add_f32_e32 v36, v36, v38
	v_rcp_f32_e32 v38, v42
	v_sub_f32_e32 v41, v41, v42
	s_delay_alu instid0(VALU_DEP_1) | instskip(NEXT) | instid1(VALU_DEP_1)
	v_dual_add_f32 v43, v39, v36 :: v_dual_add_f32 v40, v40, v41
	v_sub_f32_e32 v39, v39, v43
	s_delay_alu instid0(TRANS32_DEP_1) | instskip(NEXT) | instid1(VALU_DEP_1)
	v_mul_f32_e32 v44, v43, v38
	v_dual_add_f32 v36, v36, v39 :: v_dual_mul_f32 v45, v42, v44
	s_delay_alu instid0(VALU_DEP_1) | instskip(NEXT) | instid1(VALU_DEP_1)
	v_fma_f32 v41, v44, v42, -v45
	v_fmac_f32_e32 v41, v44, v40
	s_delay_alu instid0(VALU_DEP_1) | instskip(NEXT) | instid1(VALU_DEP_1)
	v_add_f32_e32 v46, v45, v41
	v_sub_f32_e32 v47, v43, v46
	v_sub_f32_e32 v39, v46, v45
	s_delay_alu instid0(VALU_DEP_2) | instskip(NEXT) | instid1(VALU_DEP_2)
	v_sub_f32_e32 v43, v43, v47
	v_sub_f32_e32 v39, v39, v41
	s_delay_alu instid0(VALU_DEP_2) | instskip(NEXT) | instid1(VALU_DEP_1)
	v_sub_f32_e32 v43, v43, v46
	v_add_f32_e32 v36, v36, v43
	s_delay_alu instid0(VALU_DEP_1) | instskip(NEXT) | instid1(VALU_DEP_1)
	v_add_f32_e32 v36, v39, v36
	v_add_f32_e32 v39, v47, v36
	s_delay_alu instid0(VALU_DEP_1) | instskip(NEXT) | instid1(VALU_DEP_1)
	v_mul_f32_e32 v41, v38, v39
	v_dual_sub_f32 v46, v47, v39 :: v_dual_mul_f32 v43, v42, v41
	s_delay_alu instid0(VALU_DEP_1) | instskip(NEXT) | instid1(VALU_DEP_2)
	v_add_f32_e32 v36, v36, v46
	v_fma_f32 v42, v41, v42, -v43
	s_delay_alu instid0(VALU_DEP_1) | instskip(NEXT) | instid1(VALU_DEP_1)
	v_fmac_f32_e32 v42, v41, v40
	v_add_f32_e32 v40, v43, v42
	s_delay_alu instid0(VALU_DEP_1) | instskip(SKIP_1) | instid1(VALU_DEP_2)
	v_sub_f32_e32 v45, v39, v40
	v_sub_f32_e32 v43, v40, v43
	;; [unrolled: 1-line block ×3, first 2 shown]
	s_delay_alu instid0(VALU_DEP_1) | instskip(NEXT) | instid1(VALU_DEP_3)
	v_sub_f32_e32 v39, v39, v40
	v_sub_f32_e32 v40, v43, v42
	s_delay_alu instid0(VALU_DEP_2) | instskip(SKIP_1) | instid1(VALU_DEP_2)
	v_add_f32_e32 v36, v36, v39
	v_add_f32_e32 v39, v44, v41
	v_add_f32_e32 v36, v40, v36
	s_delay_alu instid0(VALU_DEP_2) | instskip(NEXT) | instid1(VALU_DEP_2)
	v_sub_f32_e32 v40, v39, v44
	v_add_f32_e32 v36, v45, v36
	s_delay_alu instid0(VALU_DEP_2) | instskip(NEXT) | instid1(VALU_DEP_2)
	v_sub_f32_e32 v40, v41, v40
	v_mul_f32_e32 v36, v38, v36
	s_delay_alu instid0(VALU_DEP_1) | instskip(NEXT) | instid1(VALU_DEP_1)
	v_add_f32_e32 v36, v40, v36
	v_add_f32_e32 v38, v39, v36
	s_delay_alu instid0(VALU_DEP_1) | instskip(SKIP_1) | instid1(VALU_DEP_1)
	v_mul_f32_e32 v40, v38, v38
	s_wait_alu 0xfffe
	v_fmaak_f32 v41, s1, v40, 0x3ecc95a3
	v_mul_f32_e32 v42, v38, v40
	v_cmp_neq_f32_e64 s1, 0x7f800000, v37
	s_delay_alu instid0(VALU_DEP_3) | instskip(SKIP_2) | instid1(VALU_DEP_3)
	v_fmaak_f32 v40, v40, v41, 0x3f2aaada
	v_ldexp_f32 v41, v38, 1
	v_sub_f32_e32 v38, v38, v39
	v_mul_f32_e32 v40, v42, v40
	v_mul_f32_e32 v42, 0x3f317218, v35
	s_delay_alu instid0(VALU_DEP_2) | instskip(NEXT) | instid1(VALU_DEP_1)
	v_dual_sub_f32 v36, v36, v38 :: v_dual_add_f32 v39, v41, v40
	v_ldexp_f32 v36, v36, 1
	s_delay_alu instid0(VALU_DEP_2) | instskip(NEXT) | instid1(VALU_DEP_4)
	v_sub_f32_e32 v38, v39, v41
	v_fma_f32 v41, 0x3f317218, v35, -v42
	s_delay_alu instid0(VALU_DEP_1) | instskip(NEXT) | instid1(VALU_DEP_1)
	v_dual_sub_f32 v38, v40, v38 :: v_dual_fmamk_f32 v35, v35, 0xb102e308, v41
	v_add_f32_e32 v36, v36, v38
	s_delay_alu instid0(VALU_DEP_2) | instskip(NEXT) | instid1(VALU_DEP_2)
	v_add_f32_e32 v38, v42, v35
	v_add_f32_e32 v40, v39, v36
	s_delay_alu instid0(VALU_DEP_2) | instskip(NEXT) | instid1(VALU_DEP_2)
	v_sub_f32_e32 v42, v38, v42
	v_add_f32_e32 v41, v38, v40
	v_sub_f32_e32 v39, v40, v39
	s_delay_alu instid0(VALU_DEP_3) | instskip(NEXT) | instid1(VALU_DEP_2)
	v_sub_f32_e32 v35, v35, v42
	v_dual_sub_f32 v43, v41, v38 :: v_dual_sub_f32 v36, v36, v39
	s_delay_alu instid0(VALU_DEP_1) | instskip(NEXT) | instid1(VALU_DEP_2)
	v_sub_f32_e32 v44, v41, v43
	v_dual_sub_f32 v39, v40, v43 :: v_dual_add_f32 v40, v35, v36
	s_delay_alu instid0(VALU_DEP_2) | instskip(NEXT) | instid1(VALU_DEP_1)
	v_sub_f32_e32 v38, v38, v44
	v_dual_add_f32 v38, v39, v38 :: v_dual_sub_f32 v39, v40, v35
	s_delay_alu instid0(VALU_DEP_1) | instskip(NEXT) | instid1(VALU_DEP_2)
	v_add_f32_e32 v38, v40, v38
	v_sub_f32_e32 v40, v40, v39
	v_sub_f32_e32 v36, v36, v39
	s_delay_alu instid0(VALU_DEP_2) | instskip(NEXT) | instid1(VALU_DEP_1)
	v_dual_add_f32 v42, v41, v38 :: v_dual_sub_f32 v35, v35, v40
	v_sub_f32_e32 v39, v42, v41
	s_delay_alu instid0(VALU_DEP_2) | instskip(NEXT) | instid1(VALU_DEP_2)
	v_add_f32_e32 v35, v36, v35
	v_sub_f32_e32 v36, v38, v39
	s_delay_alu instid0(VALU_DEP_1) | instskip(NEXT) | instid1(VALU_DEP_1)
	v_add_f32_e32 v35, v35, v36
	v_add_f32_e32 v35, v42, v35
	s_wait_alu 0xf1ff
	s_delay_alu instid0(VALU_DEP_1) | instskip(SKIP_2) | instid1(VALU_DEP_1)
	v_cndmask_b32_e64 v35, 0x7f800000, v35, s1
	v_cmp_gt_f32_e64 s1, 0x33800000, |v37|
	s_wait_alu 0xf1ff
	v_cndmask_b32_e64 v35, v35, v37, s1
	s_delay_alu instid0(VALU_DEP_1)
	v_add_f32_e32 v35, v34, v35
.LBB460_76:
	s_or_b32 exec_lo, exec_lo, s29
	s_delay_alu instid0(VALU_DEP_1) | instskip(SKIP_1) | instid1(VALU_DEP_2)
	v_bfe_u32 v34, v35, 16, 1
	v_cmp_o_f32_e64 s1, v35, v35
	v_add3_u32 v34, v35, v34, 0x7fff
	s_delay_alu instid0(VALU_DEP_1) | instskip(SKIP_1) | instid1(VALU_DEP_1)
	v_lshrrev_b32_e32 v34, 16, v34
	s_wait_alu 0xf1ff
	v_cndmask_b32_e64 v35, 0x7fc0, v34, s1
	s_delay_alu instid0(VALU_DEP_1)
	v_and_b32_e32 v36, 0xffff, v35
.LBB460_77:
	s_or_b32 exec_lo, exec_lo, s28
	ds_swizzle_b32 v34, v36 offset:swizzle(BROADCAST,32,15)
	v_and_b32_e32 v37, 16, v33
	s_mov_b32 s28, exec_lo
	s_delay_alu instid0(VALU_DEP_1)
	v_cmpx_ne_u32_e32 0, v37
	s_cbranch_execz .LBB460_81
; %bb.78:
	s_wait_dscnt 0x0
	v_lshlrev_b32_e32 v35, 16, v34
	s_delay_alu instid0(VALU_DEP_1) | instskip(NEXT) | instid1(VALU_DEP_1)
	v_dual_max_num_f32 v36, v35, v35 :: v_dual_lshlrev_b32 v37, 16, v36
	v_max_num_f32_e32 v34, v37, v37
	v_cmp_u_f32_e64 s1, v35, v35
	s_delay_alu instid0(VALU_DEP_2) | instskip(SKIP_2) | instid1(VALU_DEP_2)
	v_min_num_f32_e32 v38, v36, v34
	v_max_num_f32_e32 v34, v36, v34
	s_wait_alu 0xf1ff
	v_cndmask_b32_e64 v36, v38, v35, s1
	s_delay_alu instid0(VALU_DEP_2) | instskip(SKIP_2) | instid1(VALU_DEP_1)
	v_cndmask_b32_e64 v34, v34, v35, s1
	v_cmp_u_f32_e64 s1, v37, v37
	s_wait_alu 0xf1ff
	v_cndmask_b32_e64 v36, v36, v37, s1
	s_delay_alu instid0(VALU_DEP_3) | instskip(NEXT) | instid1(VALU_DEP_2)
	v_cndmask_b32_e64 v34, v34, v37, s1
	v_cmp_class_f32_e64 s29, v36, 0x1f8
	s_delay_alu instid0(VALU_DEP_2)
	v_cmp_neq_f32_e64 s1, v36, v34
	s_or_b32 s1, s1, s29
	s_wait_alu 0xfffe
	s_and_saveexec_b32 s29, s1
	s_cbranch_execz .LBB460_80
; %bb.79:
	v_sub_f32_e32 v35, v36, v34
	s_delay_alu instid0(VALU_DEP_1) | instskip(SKIP_1) | instid1(VALU_DEP_2)
	v_mul_f32_e32 v36, 0x3fb8aa3b, v35
	v_cmp_ngt_f32_e64 s1, 0xc2ce8ed0, v35
	v_fma_f32 v37, 0x3fb8aa3b, v35, -v36
	v_rndne_f32_e32 v38, v36
	s_delay_alu instid0(VALU_DEP_1) | instskip(NEXT) | instid1(VALU_DEP_1)
	v_dual_fmamk_f32 v37, v35, 0x32a5705f, v37 :: v_dual_sub_f32 v36, v36, v38
	v_add_f32_e32 v36, v36, v37
	v_cvt_i32_f32_e32 v37, v38
	s_delay_alu instid0(VALU_DEP_2) | instskip(NEXT) | instid1(TRANS32_DEP_1)
	v_exp_f32_e32 v36, v36
	v_ldexp_f32 v36, v36, v37
	s_wait_alu 0xf1ff
	s_delay_alu instid0(VALU_DEP_1) | instskip(SKIP_2) | instid1(VALU_DEP_1)
	v_cndmask_b32_e64 v36, 0, v36, s1
	v_cmp_nlt_f32_e64 s1, 0x42b17218, v35
	s_wait_alu 0xf1ff
	v_cndmask_b32_e64 v37, 0x7f800000, v36, s1
	s_delay_alu instid0(VALU_DEP_1) | instskip(NEXT) | instid1(VALU_DEP_1)
	v_add_f32_e32 v38, 1.0, v37
	v_cvt_f64_f32_e32 v[35:36], v38
	s_delay_alu instid0(VALU_DEP_1) | instskip(SKIP_1) | instid1(VALU_DEP_1)
	v_frexp_exp_i32_f64_e32 v35, v[35:36]
	v_frexp_mant_f32_e32 v36, v38
	v_cmp_gt_f32_e64 s1, 0x3f2aaaab, v36
	v_add_f32_e32 v36, -1.0, v38
	s_delay_alu instid0(VALU_DEP_1)
	v_sub_f32_e32 v40, v36, v38
	v_sub_f32_e32 v36, v37, v36
	s_wait_alu 0xf1ff
	v_subrev_co_ci_u32_e64 v35, null, 0, v35, s1
	s_mov_b32 s1, 0x3e9b6dac
	v_sub_nc_u32_e32 v39, 0, v35
	v_cvt_f32_i32_e32 v35, v35
	s_delay_alu instid0(VALU_DEP_2) | instskip(NEXT) | instid1(VALU_DEP_1)
	v_ldexp_f32 v38, v38, v39
	v_dual_add_f32 v41, 1.0, v38 :: v_dual_add_f32 v40, 1.0, v40
	s_delay_alu instid0(VALU_DEP_1) | instskip(NEXT) | instid1(VALU_DEP_2)
	v_add_f32_e32 v36, v36, v40
	v_add_f32_e32 v40, -1.0, v41
	s_delay_alu instid0(VALU_DEP_2) | instskip(NEXT) | instid1(VALU_DEP_2)
	v_ldexp_f32 v36, v36, v39
	v_dual_add_f32 v39, -1.0, v38 :: v_dual_sub_f32 v40, v38, v40
	s_delay_alu instid0(VALU_DEP_1) | instskip(NEXT) | instid1(VALU_DEP_2)
	v_add_f32_e32 v42, 1.0, v39
	v_add_f32_e32 v40, v36, v40
	s_delay_alu instid0(VALU_DEP_2) | instskip(NEXT) | instid1(VALU_DEP_2)
	v_sub_f32_e32 v38, v38, v42
	v_add_f32_e32 v42, v41, v40
	s_delay_alu instid0(VALU_DEP_2) | instskip(NEXT) | instid1(VALU_DEP_2)
	v_add_f32_e32 v36, v36, v38
	v_rcp_f32_e32 v38, v42
	v_sub_f32_e32 v41, v41, v42
	s_delay_alu instid0(VALU_DEP_1) | instskip(NEXT) | instid1(VALU_DEP_1)
	v_dual_add_f32 v43, v39, v36 :: v_dual_add_f32 v40, v40, v41
	v_sub_f32_e32 v39, v39, v43
	s_delay_alu instid0(TRANS32_DEP_1) | instskip(NEXT) | instid1(VALU_DEP_1)
	v_mul_f32_e32 v44, v43, v38
	v_dual_add_f32 v36, v36, v39 :: v_dual_mul_f32 v45, v42, v44
	s_delay_alu instid0(VALU_DEP_1) | instskip(NEXT) | instid1(VALU_DEP_1)
	v_fma_f32 v41, v44, v42, -v45
	v_fmac_f32_e32 v41, v44, v40
	s_delay_alu instid0(VALU_DEP_1) | instskip(NEXT) | instid1(VALU_DEP_1)
	v_add_f32_e32 v46, v45, v41
	v_sub_f32_e32 v47, v43, v46
	v_sub_f32_e32 v39, v46, v45
	s_delay_alu instid0(VALU_DEP_2) | instskip(NEXT) | instid1(VALU_DEP_2)
	v_sub_f32_e32 v43, v43, v47
	v_sub_f32_e32 v39, v39, v41
	s_delay_alu instid0(VALU_DEP_2) | instskip(NEXT) | instid1(VALU_DEP_1)
	v_sub_f32_e32 v43, v43, v46
	v_add_f32_e32 v36, v36, v43
	s_delay_alu instid0(VALU_DEP_1) | instskip(NEXT) | instid1(VALU_DEP_1)
	v_add_f32_e32 v36, v39, v36
	v_add_f32_e32 v39, v47, v36
	s_delay_alu instid0(VALU_DEP_1) | instskip(NEXT) | instid1(VALU_DEP_1)
	v_mul_f32_e32 v41, v38, v39
	v_dual_sub_f32 v46, v47, v39 :: v_dual_mul_f32 v43, v42, v41
	s_delay_alu instid0(VALU_DEP_1) | instskip(NEXT) | instid1(VALU_DEP_2)
	v_add_f32_e32 v36, v36, v46
	v_fma_f32 v42, v41, v42, -v43
	s_delay_alu instid0(VALU_DEP_1) | instskip(NEXT) | instid1(VALU_DEP_1)
	v_fmac_f32_e32 v42, v41, v40
	v_add_f32_e32 v40, v43, v42
	s_delay_alu instid0(VALU_DEP_1) | instskip(SKIP_1) | instid1(VALU_DEP_2)
	v_sub_f32_e32 v45, v39, v40
	v_sub_f32_e32 v43, v40, v43
	;; [unrolled: 1-line block ×3, first 2 shown]
	s_delay_alu instid0(VALU_DEP_1) | instskip(NEXT) | instid1(VALU_DEP_3)
	v_sub_f32_e32 v39, v39, v40
	v_sub_f32_e32 v40, v43, v42
	s_delay_alu instid0(VALU_DEP_2) | instskip(SKIP_1) | instid1(VALU_DEP_2)
	v_add_f32_e32 v36, v36, v39
	v_add_f32_e32 v39, v44, v41
	;; [unrolled: 1-line block ×3, first 2 shown]
	s_delay_alu instid0(VALU_DEP_2) | instskip(NEXT) | instid1(VALU_DEP_2)
	v_sub_f32_e32 v40, v39, v44
	v_add_f32_e32 v36, v45, v36
	s_delay_alu instid0(VALU_DEP_2) | instskip(NEXT) | instid1(VALU_DEP_2)
	v_sub_f32_e32 v40, v41, v40
	v_mul_f32_e32 v36, v38, v36
	s_delay_alu instid0(VALU_DEP_1) | instskip(NEXT) | instid1(VALU_DEP_1)
	v_add_f32_e32 v36, v40, v36
	v_add_f32_e32 v38, v39, v36
	s_delay_alu instid0(VALU_DEP_1) | instskip(SKIP_1) | instid1(VALU_DEP_1)
	v_mul_f32_e32 v40, v38, v38
	s_wait_alu 0xfffe
	v_fmaak_f32 v41, s1, v40, 0x3ecc95a3
	v_mul_f32_e32 v42, v38, v40
	v_cmp_neq_f32_e64 s1, 0x7f800000, v37
	s_delay_alu instid0(VALU_DEP_3) | instskip(SKIP_2) | instid1(VALU_DEP_3)
	v_fmaak_f32 v40, v40, v41, 0x3f2aaada
	v_ldexp_f32 v41, v38, 1
	v_sub_f32_e32 v38, v38, v39
	v_mul_f32_e32 v40, v42, v40
	v_mul_f32_e32 v42, 0x3f317218, v35
	s_delay_alu instid0(VALU_DEP_2) | instskip(NEXT) | instid1(VALU_DEP_1)
	v_dual_sub_f32 v36, v36, v38 :: v_dual_add_f32 v39, v41, v40
	v_ldexp_f32 v36, v36, 1
	s_delay_alu instid0(VALU_DEP_2) | instskip(NEXT) | instid1(VALU_DEP_4)
	v_sub_f32_e32 v38, v39, v41
	v_fma_f32 v41, 0x3f317218, v35, -v42
	s_delay_alu instid0(VALU_DEP_1) | instskip(NEXT) | instid1(VALU_DEP_1)
	v_dual_sub_f32 v38, v40, v38 :: v_dual_fmamk_f32 v35, v35, 0xb102e308, v41
	v_add_f32_e32 v36, v36, v38
	s_delay_alu instid0(VALU_DEP_2) | instskip(NEXT) | instid1(VALU_DEP_2)
	v_add_f32_e32 v38, v42, v35
	v_add_f32_e32 v40, v39, v36
	s_delay_alu instid0(VALU_DEP_2) | instskip(NEXT) | instid1(VALU_DEP_2)
	v_sub_f32_e32 v42, v38, v42
	v_add_f32_e32 v41, v38, v40
	v_sub_f32_e32 v39, v40, v39
	s_delay_alu instid0(VALU_DEP_3) | instskip(NEXT) | instid1(VALU_DEP_2)
	v_sub_f32_e32 v35, v35, v42
	v_dual_sub_f32 v43, v41, v38 :: v_dual_sub_f32 v36, v36, v39
	s_delay_alu instid0(VALU_DEP_1) | instskip(NEXT) | instid1(VALU_DEP_2)
	v_sub_f32_e32 v44, v41, v43
	v_dual_sub_f32 v39, v40, v43 :: v_dual_add_f32 v40, v35, v36
	s_delay_alu instid0(VALU_DEP_2) | instskip(NEXT) | instid1(VALU_DEP_1)
	v_sub_f32_e32 v38, v38, v44
	v_dual_add_f32 v38, v39, v38 :: v_dual_sub_f32 v39, v40, v35
	s_delay_alu instid0(VALU_DEP_1) | instskip(NEXT) | instid1(VALU_DEP_2)
	v_add_f32_e32 v38, v40, v38
	v_sub_f32_e32 v40, v40, v39
	v_sub_f32_e32 v36, v36, v39
	s_delay_alu instid0(VALU_DEP_2) | instskip(NEXT) | instid1(VALU_DEP_1)
	v_dual_add_f32 v42, v41, v38 :: v_dual_sub_f32 v35, v35, v40
	v_sub_f32_e32 v39, v42, v41
	s_delay_alu instid0(VALU_DEP_2) | instskip(NEXT) | instid1(VALU_DEP_2)
	v_add_f32_e32 v35, v36, v35
	v_sub_f32_e32 v36, v38, v39
	s_delay_alu instid0(VALU_DEP_1) | instskip(NEXT) | instid1(VALU_DEP_1)
	v_add_f32_e32 v35, v35, v36
	v_add_f32_e32 v35, v42, v35
	s_wait_alu 0xf1ff
	s_delay_alu instid0(VALU_DEP_1) | instskip(SKIP_2) | instid1(VALU_DEP_1)
	v_cndmask_b32_e64 v35, 0x7f800000, v35, s1
	v_cmp_gt_f32_e64 s1, 0x33800000, |v37|
	s_wait_alu 0xf1ff
	v_cndmask_b32_e64 v35, v35, v37, s1
	s_delay_alu instid0(VALU_DEP_1)
	v_add_f32_e32 v35, v34, v35
.LBB460_80:
	s_or_b32 exec_lo, exec_lo, s29
	s_delay_alu instid0(VALU_DEP_1) | instskip(SKIP_1) | instid1(VALU_DEP_2)
	v_bfe_u32 v34, v35, 16, 1
	v_cmp_o_f32_e64 s1, v35, v35
	v_add3_u32 v34, v35, v34, 0x7fff
	s_delay_alu instid0(VALU_DEP_1) | instskip(SKIP_1) | instid1(VALU_DEP_1)
	v_lshrrev_b32_e32 v34, 16, v34
	s_wait_alu 0xf1ff
	v_cndmask_b32_e64 v35, 0x7fc0, v34, s1
.LBB460_81:
	s_or_b32 exec_lo, exec_lo, s28
	s_wait_dscnt 0x0
	v_add_nc_u32_e32 v34, -1, v33
	s_delay_alu instid0(VALU_DEP_1) | instskip(SKIP_1) | instid1(VALU_DEP_1)
	v_cmp_gt_i32_e64 s1, 0, v34
	s_wait_alu 0xf1ff
	v_cndmask_b32_e64 v33, v34, v33, s1
	v_and_b32_e32 v34, 0xffff, v35
	s_delay_alu instid0(VALU_DEP_2) | instskip(SKIP_3) | instid1(VALU_DEP_1)
	v_lshlrev_b32_e32 v33, 2, v33
	ds_bpermute_b32 v33, v33, v34
	s_wait_dscnt 0x0
	v_lshlrev_b32_e32 v33, 16, v33
	v_max_num_f32_e32 v34, v33, v33
	v_cmp_u_f32_e64 s1, v33, v33
	s_delay_alu instid0(VALU_DEP_2) | instskip(SKIP_2) | instid1(VALU_DEP_2)
	v_min_num_f32_e32 v35, v34, v32
	v_max_num_f32_e32 v32, v34, v32
	s_wait_alu 0xf1ff
	v_cndmask_b32_e64 v34, v35, v33, s1
	s_delay_alu instid0(VALU_DEP_2) | instskip(NEXT) | instid1(VALU_DEP_2)
	v_cndmask_b32_e64 v35, v32, v33, s1
	v_cndmask_b32_e64 v32, v34, v31, s0
	s_delay_alu instid0(VALU_DEP_2) | instskip(NEXT) | instid1(VALU_DEP_2)
	v_cndmask_b32_e64 v31, v35, v31, s0
	v_cmp_class_f32_e64 s1, v32, 0x1f8
	s_delay_alu instid0(VALU_DEP_2)
	v_cmp_neq_f32_e64 s0, v32, v31
	s_or_b32 s0, s0, s1
	s_wait_alu 0xfffe
	s_and_saveexec_b32 s1, s0
	s_cbranch_execz .LBB460_83
; %bb.82:
	v_sub_f32_e32 v32, v32, v31
	s_delay_alu instid0(VALU_DEP_1) | instskip(NEXT) | instid1(VALU_DEP_1)
	v_mul_f32_e32 v33, 0x3fb8aa3b, v32
	v_fma_f32 v34, 0x3fb8aa3b, v32, -v33
	v_rndne_f32_e32 v35, v33
	s_delay_alu instid0(VALU_DEP_1) | instskip(NEXT) | instid1(VALU_DEP_1)
	v_dual_fmamk_f32 v34, v32, 0x32a5705f, v34 :: v_dual_sub_f32 v33, v33, v35
	v_add_f32_e32 v33, v33, v34
	v_cvt_i32_f32_e32 v34, v35
	v_cmp_ngt_f32_e64 s0, 0xc2ce8ed0, v32
	s_delay_alu instid0(VALU_DEP_3) | instskip(NEXT) | instid1(TRANS32_DEP_1)
	v_exp_f32_e32 v33, v33
	v_ldexp_f32 v33, v33, v34
	s_wait_alu 0xf1ff
	s_delay_alu instid0(VALU_DEP_1) | instskip(SKIP_2) | instid1(VALU_DEP_1)
	v_cndmask_b32_e64 v33, 0, v33, s0
	v_cmp_nlt_f32_e64 s0, 0x42b17218, v32
	s_wait_alu 0xf1ff
	v_cndmask_b32_e64 v34, 0x7f800000, v33, s0
	s_delay_alu instid0(VALU_DEP_1) | instskip(NEXT) | instid1(VALU_DEP_1)
	v_add_f32_e32 v35, 1.0, v34
	v_cvt_f64_f32_e32 v[32:33], v35
	s_delay_alu instid0(VALU_DEP_1) | instskip(SKIP_1) | instid1(VALU_DEP_1)
	v_frexp_exp_i32_f64_e32 v32, v[32:33]
	v_frexp_mant_f32_e32 v33, v35
	v_cmp_gt_f32_e64 s0, 0x3f2aaaab, v33
	v_add_f32_e32 v33, -1.0, v35
	s_delay_alu instid0(VALU_DEP_1) | instskip(SKIP_1) | instid1(VALU_DEP_3)
	v_sub_f32_e32 v37, v33, v35
	s_wait_alu 0xf1ff
	v_subrev_co_ci_u32_e64 v32, null, 0, v32, s0
	s_mov_b32 s0, 0x3e9b6dac
	v_sub_nc_u32_e32 v36, 0, v32
	v_cvt_f32_i32_e32 v32, v32
	s_delay_alu instid0(VALU_DEP_2) | instskip(NEXT) | instid1(VALU_DEP_1)
	v_ldexp_f32 v35, v35, v36
	v_dual_sub_f32 v33, v34, v33 :: v_dual_add_f32 v38, 1.0, v35
	v_add_f32_e32 v37, 1.0, v37
	s_delay_alu instid0(VALU_DEP_1) | instskip(NEXT) | instid1(VALU_DEP_3)
	v_add_f32_e32 v33, v33, v37
	v_add_f32_e32 v37, -1.0, v38
	s_delay_alu instid0(VALU_DEP_2) | instskip(NEXT) | instid1(VALU_DEP_2)
	v_ldexp_f32 v33, v33, v36
	v_dual_add_f32 v36, -1.0, v35 :: v_dual_sub_f32 v37, v35, v37
	s_delay_alu instid0(VALU_DEP_1) | instskip(NEXT) | instid1(VALU_DEP_2)
	v_add_f32_e32 v39, 1.0, v36
	v_add_f32_e32 v37, v33, v37
	s_delay_alu instid0(VALU_DEP_2) | instskip(NEXT) | instid1(VALU_DEP_2)
	v_sub_f32_e32 v35, v35, v39
	v_add_f32_e32 v39, v38, v37
	s_delay_alu instid0(VALU_DEP_2) | instskip(NEXT) | instid1(VALU_DEP_2)
	v_add_f32_e32 v33, v33, v35
	v_rcp_f32_e32 v35, v39
	v_sub_f32_e32 v38, v38, v39
	s_delay_alu instid0(VALU_DEP_1) | instskip(NEXT) | instid1(VALU_DEP_1)
	v_dual_add_f32 v40, v36, v33 :: v_dual_add_f32 v37, v37, v38
	v_sub_f32_e32 v36, v36, v40
	s_delay_alu instid0(TRANS32_DEP_1) | instskip(NEXT) | instid1(VALU_DEP_1)
	v_mul_f32_e32 v41, v40, v35
	v_dual_add_f32 v33, v33, v36 :: v_dual_mul_f32 v42, v39, v41
	s_delay_alu instid0(VALU_DEP_1) | instskip(NEXT) | instid1(VALU_DEP_1)
	v_fma_f32 v38, v41, v39, -v42
	v_fmac_f32_e32 v38, v41, v37
	s_delay_alu instid0(VALU_DEP_1) | instskip(NEXT) | instid1(VALU_DEP_1)
	v_add_f32_e32 v43, v42, v38
	v_sub_f32_e32 v44, v40, v43
	v_sub_f32_e32 v36, v43, v42
	s_delay_alu instid0(VALU_DEP_2) | instskip(NEXT) | instid1(VALU_DEP_2)
	v_sub_f32_e32 v40, v40, v44
	v_sub_f32_e32 v36, v36, v38
	s_delay_alu instid0(VALU_DEP_2) | instskip(NEXT) | instid1(VALU_DEP_1)
	v_sub_f32_e32 v40, v40, v43
	v_add_f32_e32 v33, v33, v40
	s_delay_alu instid0(VALU_DEP_1) | instskip(NEXT) | instid1(VALU_DEP_1)
	v_add_f32_e32 v33, v36, v33
	v_add_f32_e32 v36, v44, v33
	s_delay_alu instid0(VALU_DEP_1) | instskip(NEXT) | instid1(VALU_DEP_1)
	v_mul_f32_e32 v38, v35, v36
	v_dual_sub_f32 v43, v44, v36 :: v_dual_mul_f32 v40, v39, v38
	s_delay_alu instid0(VALU_DEP_1) | instskip(NEXT) | instid1(VALU_DEP_2)
	v_add_f32_e32 v33, v33, v43
	v_fma_f32 v39, v38, v39, -v40
	s_delay_alu instid0(VALU_DEP_1) | instskip(NEXT) | instid1(VALU_DEP_1)
	v_fmac_f32_e32 v39, v38, v37
	v_add_f32_e32 v37, v40, v39
	s_delay_alu instid0(VALU_DEP_1) | instskip(SKIP_1) | instid1(VALU_DEP_2)
	v_sub_f32_e32 v42, v36, v37
	v_sub_f32_e32 v40, v37, v40
	;; [unrolled: 1-line block ×3, first 2 shown]
	s_delay_alu instid0(VALU_DEP_1) | instskip(NEXT) | instid1(VALU_DEP_3)
	v_sub_f32_e32 v36, v36, v37
	v_sub_f32_e32 v37, v40, v39
	s_delay_alu instid0(VALU_DEP_2) | instskip(SKIP_1) | instid1(VALU_DEP_2)
	v_add_f32_e32 v33, v33, v36
	v_add_f32_e32 v36, v41, v38
	;; [unrolled: 1-line block ×3, first 2 shown]
	s_delay_alu instid0(VALU_DEP_2) | instskip(NEXT) | instid1(VALU_DEP_2)
	v_sub_f32_e32 v37, v36, v41
	v_add_f32_e32 v33, v42, v33
	s_delay_alu instid0(VALU_DEP_2) | instskip(NEXT) | instid1(VALU_DEP_2)
	v_sub_f32_e32 v37, v38, v37
	v_mul_f32_e32 v33, v35, v33
	s_delay_alu instid0(VALU_DEP_1) | instskip(NEXT) | instid1(VALU_DEP_1)
	v_add_f32_e32 v33, v37, v33
	v_add_f32_e32 v35, v36, v33
	s_delay_alu instid0(VALU_DEP_1) | instskip(SKIP_1) | instid1(VALU_DEP_1)
	v_mul_f32_e32 v37, v35, v35
	s_wait_alu 0xfffe
	v_fmaak_f32 v38, s0, v37, 0x3ecc95a3
	v_mul_f32_e32 v39, v35, v37
	v_cmp_neq_f32_e64 s0, 0x7f800000, v34
	s_delay_alu instid0(VALU_DEP_3) | instskip(SKIP_2) | instid1(VALU_DEP_3)
	v_fmaak_f32 v37, v37, v38, 0x3f2aaada
	v_ldexp_f32 v38, v35, 1
	v_sub_f32_e32 v35, v35, v36
	v_mul_f32_e32 v37, v39, v37
	v_mul_f32_e32 v39, 0x3f317218, v32
	s_delay_alu instid0(VALU_DEP_2) | instskip(NEXT) | instid1(VALU_DEP_1)
	v_dual_sub_f32 v33, v33, v35 :: v_dual_add_f32 v36, v38, v37
	v_ldexp_f32 v33, v33, 1
	s_delay_alu instid0(VALU_DEP_2) | instskip(NEXT) | instid1(VALU_DEP_4)
	v_sub_f32_e32 v35, v36, v38
	v_fma_f32 v38, 0x3f317218, v32, -v39
	s_delay_alu instid0(VALU_DEP_1) | instskip(NEXT) | instid1(VALU_DEP_1)
	v_dual_sub_f32 v35, v37, v35 :: v_dual_fmamk_f32 v32, v32, 0xb102e308, v38
	v_add_f32_e32 v33, v33, v35
	s_delay_alu instid0(VALU_DEP_2) | instskip(NEXT) | instid1(VALU_DEP_2)
	v_add_f32_e32 v35, v39, v32
	v_add_f32_e32 v37, v36, v33
	s_delay_alu instid0(VALU_DEP_2) | instskip(NEXT) | instid1(VALU_DEP_2)
	v_sub_f32_e32 v39, v35, v39
	v_add_f32_e32 v38, v35, v37
	v_sub_f32_e32 v36, v37, v36
	s_delay_alu instid0(VALU_DEP_3) | instskip(NEXT) | instid1(VALU_DEP_2)
	v_sub_f32_e32 v32, v32, v39
	v_dual_sub_f32 v40, v38, v35 :: v_dual_sub_f32 v33, v33, v36
	s_delay_alu instid0(VALU_DEP_1) | instskip(NEXT) | instid1(VALU_DEP_2)
	v_sub_f32_e32 v41, v38, v40
	v_dual_sub_f32 v36, v37, v40 :: v_dual_add_f32 v37, v32, v33
	s_delay_alu instid0(VALU_DEP_2) | instskip(NEXT) | instid1(VALU_DEP_1)
	v_sub_f32_e32 v35, v35, v41
	v_dual_add_f32 v35, v36, v35 :: v_dual_sub_f32 v36, v37, v32
	s_delay_alu instid0(VALU_DEP_1) | instskip(NEXT) | instid1(VALU_DEP_2)
	v_add_f32_e32 v35, v37, v35
	v_sub_f32_e32 v37, v37, v36
	v_sub_f32_e32 v33, v33, v36
	s_delay_alu instid0(VALU_DEP_2) | instskip(NEXT) | instid1(VALU_DEP_1)
	v_dual_add_f32 v39, v38, v35 :: v_dual_sub_f32 v32, v32, v37
	v_sub_f32_e32 v36, v39, v38
	s_delay_alu instid0(VALU_DEP_2) | instskip(NEXT) | instid1(VALU_DEP_2)
	v_add_f32_e32 v32, v33, v32
	v_sub_f32_e32 v33, v35, v36
	s_delay_alu instid0(VALU_DEP_1) | instskip(NEXT) | instid1(VALU_DEP_1)
	v_add_f32_e32 v32, v32, v33
	v_add_f32_e32 v32, v39, v32
	s_wait_alu 0xf1ff
	s_delay_alu instid0(VALU_DEP_1) | instskip(SKIP_2) | instid1(VALU_DEP_1)
	v_cndmask_b32_e64 v32, 0x7f800000, v32, s0
	v_cmp_gt_f32_e64 s0, 0x33800000, |v34|
	s_wait_alu 0xf1ff
	v_cndmask_b32_e64 v32, v32, v34, s0
	s_delay_alu instid0(VALU_DEP_1)
	v_add_f32_e32 v33, v31, v32
.LBB460_83:
	s_wait_alu 0xfffe
	s_or_b32 exec_lo, exec_lo, s1
	s_delay_alu instid0(VALU_DEP_1) | instskip(SKIP_1) | instid1(VALU_DEP_2)
	v_bfe_u32 v31, v33, 16, 1
	v_cmp_o_f32_e64 s0, v33, v33
	; wave barrier
	v_add3_u32 v31, v33, v31, 0x7fff
	s_delay_alu instid0(VALU_DEP_1) | instskip(SKIP_1) | instid1(VALU_DEP_1)
	v_lshrrev_b32_e32 v31, 16, v31
	s_wait_alu 0xf1ff
	v_cndmask_b32_e64 v31, 0x7fc0, v31, s0
	v_cmp_eq_u32_e64 s0, 0, v0
	s_wait_alu 0xf1ff
	s_delay_alu instid0(VALU_DEP_1)
	v_cndmask_b32_e64 v30, v31, v30, s0
	ds_store_b16 v29, v30
	; wave barrier
	ds_load_u16 v32, v29 offset:2
	v_lshlrev_b32_e32 v31, 16, v30
	s_wait_dscnt 0x0
	v_lshlrev_b32_e32 v30, 16, v32
	s_delay_alu instid0(VALU_DEP_1) | instskip(NEXT) | instid1(VALU_DEP_1)
	v_dual_max_num_f32 v32, v31, v31 :: v_dual_max_num_f32 v33, v30, v30
	v_min_num_f32_e32 v34, v32, v33
	v_max_num_f32_e32 v32, v32, v33
	v_cmp_u_f32_e64 s0, v31, v31
	s_wait_alu 0xf1ff
	s_delay_alu instid0(VALU_DEP_1) | instskip(NEXT) | instid1(VALU_DEP_3)
	v_cndmask_b32_e64 v33, v34, v31, s0
	v_cndmask_b32_e64 v34, v32, v31, s0
	v_cmp_u_f32_e64 s0, v30, v30
	s_wait_alu 0xf1ff
	s_delay_alu instid0(VALU_DEP_1) | instskip(NEXT) | instid1(VALU_DEP_3)
	v_cndmask_b32_e64 v32, v33, v30, s0
	v_cndmask_b32_e64 v30, v34, v30, s0
	s_delay_alu instid0(VALU_DEP_2) | instskip(NEXT) | instid1(VALU_DEP_2)
	v_cmp_class_f32_e64 s1, v32, 0x1f8
	v_cmp_neq_f32_e64 s0, v32, v30
	s_or_b32 s0, s0, s1
	s_wait_alu 0xfffe
	s_and_saveexec_b32 s1, s0
	s_cbranch_execz .LBB460_85
; %bb.84:
	v_sub_f32_e32 v31, v32, v30
	s_delay_alu instid0(VALU_DEP_1) | instskip(SKIP_1) | instid1(VALU_DEP_2)
	v_mul_f32_e32 v32, 0x3fb8aa3b, v31
	v_cmp_ngt_f32_e64 s0, 0xc2ce8ed0, v31
	v_fma_f32 v33, 0x3fb8aa3b, v31, -v32
	v_rndne_f32_e32 v34, v32
	s_delay_alu instid0(VALU_DEP_1) | instskip(NEXT) | instid1(VALU_DEP_1)
	v_dual_fmamk_f32 v33, v31, 0x32a5705f, v33 :: v_dual_sub_f32 v32, v32, v34
	v_add_f32_e32 v32, v32, v33
	v_cvt_i32_f32_e32 v33, v34
	s_delay_alu instid0(VALU_DEP_2) | instskip(NEXT) | instid1(TRANS32_DEP_1)
	v_exp_f32_e32 v32, v32
	v_ldexp_f32 v32, v32, v33
	s_wait_alu 0xf1ff
	s_delay_alu instid0(VALU_DEP_1) | instskip(SKIP_2) | instid1(VALU_DEP_1)
	v_cndmask_b32_e64 v32, 0, v32, s0
	v_cmp_nlt_f32_e64 s0, 0x42b17218, v31
	s_wait_alu 0xf1ff
	v_cndmask_b32_e64 v33, 0x7f800000, v32, s0
	s_delay_alu instid0(VALU_DEP_1) | instskip(NEXT) | instid1(VALU_DEP_1)
	v_add_f32_e32 v34, 1.0, v33
	v_cvt_f64_f32_e32 v[31:32], v34
	s_delay_alu instid0(VALU_DEP_1) | instskip(SKIP_1) | instid1(VALU_DEP_1)
	v_frexp_exp_i32_f64_e32 v31, v[31:32]
	v_frexp_mant_f32_e32 v32, v34
	v_cmp_gt_f32_e64 s0, 0x3f2aaaab, v32
	v_add_f32_e32 v32, -1.0, v34
	s_delay_alu instid0(VALU_DEP_1)
	v_sub_f32_e32 v36, v32, v34
	v_sub_f32_e32 v32, v33, v32
	s_wait_alu 0xf1ff
	v_subrev_co_ci_u32_e64 v31, null, 0, v31, s0
	s_mov_b32 s0, 0x3e9b6dac
	v_sub_nc_u32_e32 v35, 0, v31
	v_cvt_f32_i32_e32 v31, v31
	s_delay_alu instid0(VALU_DEP_2) | instskip(NEXT) | instid1(VALU_DEP_1)
	v_ldexp_f32 v34, v34, v35
	v_dual_add_f32 v37, 1.0, v34 :: v_dual_add_f32 v36, 1.0, v36
	s_delay_alu instid0(VALU_DEP_1) | instskip(NEXT) | instid1(VALU_DEP_2)
	v_add_f32_e32 v32, v32, v36
	v_add_f32_e32 v36, -1.0, v37
	s_delay_alu instid0(VALU_DEP_2) | instskip(NEXT) | instid1(VALU_DEP_2)
	v_ldexp_f32 v32, v32, v35
	v_dual_add_f32 v35, -1.0, v34 :: v_dual_sub_f32 v36, v34, v36
	s_delay_alu instid0(VALU_DEP_1) | instskip(NEXT) | instid1(VALU_DEP_2)
	v_add_f32_e32 v38, 1.0, v35
	v_add_f32_e32 v36, v32, v36
	s_delay_alu instid0(VALU_DEP_2) | instskip(NEXT) | instid1(VALU_DEP_2)
	v_sub_f32_e32 v34, v34, v38
	v_add_f32_e32 v38, v37, v36
	s_delay_alu instid0(VALU_DEP_2) | instskip(NEXT) | instid1(VALU_DEP_2)
	v_add_f32_e32 v32, v32, v34
	v_rcp_f32_e32 v34, v38
	v_sub_f32_e32 v37, v37, v38
	s_delay_alu instid0(VALU_DEP_1) | instskip(NEXT) | instid1(VALU_DEP_1)
	v_dual_add_f32 v39, v35, v32 :: v_dual_add_f32 v36, v36, v37
	v_sub_f32_e32 v35, v35, v39
	s_delay_alu instid0(TRANS32_DEP_1) | instskip(NEXT) | instid1(VALU_DEP_1)
	v_mul_f32_e32 v40, v39, v34
	v_dual_add_f32 v32, v32, v35 :: v_dual_mul_f32 v41, v38, v40
	s_delay_alu instid0(VALU_DEP_1) | instskip(NEXT) | instid1(VALU_DEP_1)
	v_fma_f32 v37, v40, v38, -v41
	v_fmac_f32_e32 v37, v40, v36
	s_delay_alu instid0(VALU_DEP_1) | instskip(NEXT) | instid1(VALU_DEP_1)
	v_add_f32_e32 v42, v41, v37
	v_sub_f32_e32 v43, v39, v42
	v_sub_f32_e32 v35, v42, v41
	s_delay_alu instid0(VALU_DEP_2) | instskip(NEXT) | instid1(VALU_DEP_2)
	v_sub_f32_e32 v39, v39, v43
	v_sub_f32_e32 v35, v35, v37
	s_delay_alu instid0(VALU_DEP_2) | instskip(NEXT) | instid1(VALU_DEP_1)
	v_sub_f32_e32 v39, v39, v42
	v_add_f32_e32 v32, v32, v39
	s_delay_alu instid0(VALU_DEP_1) | instskip(NEXT) | instid1(VALU_DEP_1)
	v_add_f32_e32 v32, v35, v32
	v_add_f32_e32 v35, v43, v32
	s_delay_alu instid0(VALU_DEP_1) | instskip(NEXT) | instid1(VALU_DEP_1)
	v_mul_f32_e32 v37, v34, v35
	v_dual_sub_f32 v42, v43, v35 :: v_dual_mul_f32 v39, v38, v37
	s_delay_alu instid0(VALU_DEP_1) | instskip(NEXT) | instid1(VALU_DEP_2)
	v_add_f32_e32 v32, v32, v42
	v_fma_f32 v38, v37, v38, -v39
	s_delay_alu instid0(VALU_DEP_1) | instskip(NEXT) | instid1(VALU_DEP_1)
	v_fmac_f32_e32 v38, v37, v36
	v_add_f32_e32 v36, v39, v38
	s_delay_alu instid0(VALU_DEP_1) | instskip(SKIP_1) | instid1(VALU_DEP_2)
	v_sub_f32_e32 v41, v35, v36
	v_sub_f32_e32 v39, v36, v39
	;; [unrolled: 1-line block ×3, first 2 shown]
	s_delay_alu instid0(VALU_DEP_1) | instskip(NEXT) | instid1(VALU_DEP_3)
	v_sub_f32_e32 v35, v35, v36
	v_sub_f32_e32 v36, v39, v38
	s_delay_alu instid0(VALU_DEP_2) | instskip(SKIP_1) | instid1(VALU_DEP_2)
	v_add_f32_e32 v32, v32, v35
	v_add_f32_e32 v35, v40, v37
	;; [unrolled: 1-line block ×3, first 2 shown]
	s_delay_alu instid0(VALU_DEP_2) | instskip(NEXT) | instid1(VALU_DEP_2)
	v_sub_f32_e32 v36, v35, v40
	v_add_f32_e32 v32, v41, v32
	s_delay_alu instid0(VALU_DEP_2) | instskip(NEXT) | instid1(VALU_DEP_2)
	v_sub_f32_e32 v36, v37, v36
	v_mul_f32_e32 v32, v34, v32
	s_delay_alu instid0(VALU_DEP_1) | instskip(NEXT) | instid1(VALU_DEP_1)
	v_add_f32_e32 v32, v36, v32
	v_add_f32_e32 v34, v35, v32
	s_delay_alu instid0(VALU_DEP_1) | instskip(SKIP_1) | instid1(VALU_DEP_1)
	v_mul_f32_e32 v36, v34, v34
	s_wait_alu 0xfffe
	v_fmaak_f32 v37, s0, v36, 0x3ecc95a3
	v_mul_f32_e32 v38, v34, v36
	v_cmp_neq_f32_e64 s0, 0x7f800000, v33
	s_delay_alu instid0(VALU_DEP_3) | instskip(SKIP_2) | instid1(VALU_DEP_3)
	v_fmaak_f32 v36, v36, v37, 0x3f2aaada
	v_ldexp_f32 v37, v34, 1
	v_sub_f32_e32 v34, v34, v35
	v_mul_f32_e32 v36, v38, v36
	v_mul_f32_e32 v38, 0x3f317218, v31
	s_delay_alu instid0(VALU_DEP_2) | instskip(NEXT) | instid1(VALU_DEP_1)
	v_dual_sub_f32 v32, v32, v34 :: v_dual_add_f32 v35, v37, v36
	v_ldexp_f32 v32, v32, 1
	s_delay_alu instid0(VALU_DEP_2) | instskip(NEXT) | instid1(VALU_DEP_4)
	v_sub_f32_e32 v34, v35, v37
	v_fma_f32 v37, 0x3f317218, v31, -v38
	s_delay_alu instid0(VALU_DEP_1) | instskip(NEXT) | instid1(VALU_DEP_1)
	v_dual_sub_f32 v34, v36, v34 :: v_dual_fmamk_f32 v31, v31, 0xb102e308, v37
	v_add_f32_e32 v32, v32, v34
	s_delay_alu instid0(VALU_DEP_2) | instskip(NEXT) | instid1(VALU_DEP_2)
	v_add_f32_e32 v34, v38, v31
	v_add_f32_e32 v36, v35, v32
	s_delay_alu instid0(VALU_DEP_2) | instskip(NEXT) | instid1(VALU_DEP_2)
	v_sub_f32_e32 v38, v34, v38
	v_add_f32_e32 v37, v34, v36
	v_sub_f32_e32 v35, v36, v35
	s_delay_alu instid0(VALU_DEP_3) | instskip(NEXT) | instid1(VALU_DEP_2)
	v_sub_f32_e32 v31, v31, v38
	v_dual_sub_f32 v39, v37, v34 :: v_dual_sub_f32 v32, v32, v35
	s_delay_alu instid0(VALU_DEP_1) | instskip(NEXT) | instid1(VALU_DEP_2)
	v_sub_f32_e32 v40, v37, v39
	v_dual_sub_f32 v35, v36, v39 :: v_dual_add_f32 v36, v31, v32
	s_delay_alu instid0(VALU_DEP_2) | instskip(NEXT) | instid1(VALU_DEP_1)
	v_sub_f32_e32 v34, v34, v40
	v_dual_add_f32 v34, v35, v34 :: v_dual_sub_f32 v35, v36, v31
	s_delay_alu instid0(VALU_DEP_1) | instskip(NEXT) | instid1(VALU_DEP_2)
	v_add_f32_e32 v34, v36, v34
	v_sub_f32_e32 v36, v36, v35
	v_sub_f32_e32 v32, v32, v35
	s_delay_alu instid0(VALU_DEP_2) | instskip(NEXT) | instid1(VALU_DEP_1)
	v_dual_add_f32 v38, v37, v34 :: v_dual_sub_f32 v31, v31, v36
	v_sub_f32_e32 v35, v38, v37
	s_delay_alu instid0(VALU_DEP_2) | instskip(NEXT) | instid1(VALU_DEP_2)
	v_add_f32_e32 v31, v32, v31
	v_sub_f32_e32 v32, v34, v35
	s_delay_alu instid0(VALU_DEP_1) | instskip(NEXT) | instid1(VALU_DEP_1)
	v_add_f32_e32 v31, v31, v32
	v_add_f32_e32 v31, v38, v31
	s_wait_alu 0xf1ff
	s_delay_alu instid0(VALU_DEP_1) | instskip(SKIP_2) | instid1(VALU_DEP_1)
	v_cndmask_b32_e64 v31, 0x7f800000, v31, s0
	v_cmp_gt_f32_e64 s0, 0x33800000, |v33|
	s_wait_alu 0xf1ff
	v_cndmask_b32_e64 v31, v31, v33, s0
	s_delay_alu instid0(VALU_DEP_1)
	v_add_f32_e32 v31, v30, v31
.LBB460_85:
	s_wait_alu 0xfffe
	s_or_b32 exec_lo, exec_lo, s1
	s_delay_alu instid0(VALU_DEP_1) | instskip(SKIP_3) | instid1(VALU_DEP_1)
	v_bfe_u32 v30, v31, 16, 1
	ds_load_u16 v32, v29 offset:4
	v_cmp_o_f32_e64 s0, v31, v31
	v_add3_u32 v30, v31, v30, 0x7fff
	v_lshrrev_b32_e32 v30, 16, v30
	s_wait_alu 0xf1ff
	s_delay_alu instid0(VALU_DEP_1) | instskip(SKIP_3) | instid1(VALU_DEP_1)
	v_cndmask_b32_e64 v33, 0x7fc0, v30, s0
	ds_store_b16 v29, v33 offset:2
	s_wait_dscnt 0x1
	v_lshlrev_b32_e32 v30, 16, v32
	v_dual_max_num_f32 v34, v30, v30 :: v_dual_lshlrev_b32 v31, 16, v33
	s_delay_alu instid0(VALU_DEP_1) | instskip(SKIP_1) | instid1(VALU_DEP_2)
	v_max_num_f32_e32 v32, v31, v31
	v_cmp_u_f32_e64 s0, v31, v31
	v_min_num_f32_e32 v35, v32, v34
	v_max_num_f32_e32 v32, v32, v34
	s_wait_alu 0xf1ff
	s_delay_alu instid0(VALU_DEP_2) | instskip(NEXT) | instid1(VALU_DEP_2)
	v_cndmask_b32_e64 v34, v35, v31, s0
	v_cndmask_b32_e64 v35, v32, v31, s0
	v_cmp_u_f32_e64 s0, v30, v30
	s_wait_alu 0xf1ff
	s_delay_alu instid0(VALU_DEP_1) | instskip(NEXT) | instid1(VALU_DEP_3)
	v_cndmask_b32_e64 v32, v34, v30, s0
	v_cndmask_b32_e64 v30, v35, v30, s0
	s_delay_alu instid0(VALU_DEP_2) | instskip(NEXT) | instid1(VALU_DEP_2)
	v_cmp_class_f32_e64 s1, v32, 0x1f8
	v_cmp_neq_f32_e64 s0, v32, v30
	s_or_b32 s0, s0, s1
	s_wait_alu 0xfffe
	s_and_saveexec_b32 s1, s0
	s_cbranch_execz .LBB460_87
; %bb.86:
	v_sub_f32_e32 v31, v32, v30
	s_delay_alu instid0(VALU_DEP_1) | instskip(SKIP_1) | instid1(VALU_DEP_2)
	v_mul_f32_e32 v32, 0x3fb8aa3b, v31
	v_cmp_ngt_f32_e64 s0, 0xc2ce8ed0, v31
	v_fma_f32 v33, 0x3fb8aa3b, v31, -v32
	v_rndne_f32_e32 v34, v32
	s_delay_alu instid0(VALU_DEP_1) | instskip(NEXT) | instid1(VALU_DEP_1)
	v_dual_fmamk_f32 v33, v31, 0x32a5705f, v33 :: v_dual_sub_f32 v32, v32, v34
	v_add_f32_e32 v32, v32, v33
	v_cvt_i32_f32_e32 v33, v34
	s_delay_alu instid0(VALU_DEP_2) | instskip(NEXT) | instid1(TRANS32_DEP_1)
	v_exp_f32_e32 v32, v32
	v_ldexp_f32 v32, v32, v33
	s_wait_alu 0xf1ff
	s_delay_alu instid0(VALU_DEP_1) | instskip(SKIP_2) | instid1(VALU_DEP_1)
	v_cndmask_b32_e64 v32, 0, v32, s0
	v_cmp_nlt_f32_e64 s0, 0x42b17218, v31
	s_wait_alu 0xf1ff
	v_cndmask_b32_e64 v33, 0x7f800000, v32, s0
	s_delay_alu instid0(VALU_DEP_1) | instskip(NEXT) | instid1(VALU_DEP_1)
	v_add_f32_e32 v34, 1.0, v33
	v_cvt_f64_f32_e32 v[31:32], v34
	s_delay_alu instid0(VALU_DEP_1) | instskip(SKIP_1) | instid1(VALU_DEP_1)
	v_frexp_exp_i32_f64_e32 v31, v[31:32]
	v_frexp_mant_f32_e32 v32, v34
	v_cmp_gt_f32_e64 s0, 0x3f2aaaab, v32
	v_add_f32_e32 v32, -1.0, v34
	s_delay_alu instid0(VALU_DEP_1)
	v_sub_f32_e32 v36, v32, v34
	v_sub_f32_e32 v32, v33, v32
	s_wait_alu 0xf1ff
	v_subrev_co_ci_u32_e64 v31, null, 0, v31, s0
	s_mov_b32 s0, 0x3e9b6dac
	v_sub_nc_u32_e32 v35, 0, v31
	v_cvt_f32_i32_e32 v31, v31
	s_delay_alu instid0(VALU_DEP_2) | instskip(NEXT) | instid1(VALU_DEP_1)
	v_ldexp_f32 v34, v34, v35
	v_dual_add_f32 v37, 1.0, v34 :: v_dual_add_f32 v36, 1.0, v36
	s_delay_alu instid0(VALU_DEP_1) | instskip(NEXT) | instid1(VALU_DEP_2)
	v_add_f32_e32 v32, v32, v36
	v_add_f32_e32 v36, -1.0, v37
	s_delay_alu instid0(VALU_DEP_2) | instskip(NEXT) | instid1(VALU_DEP_2)
	v_ldexp_f32 v32, v32, v35
	v_dual_add_f32 v35, -1.0, v34 :: v_dual_sub_f32 v36, v34, v36
	s_delay_alu instid0(VALU_DEP_1) | instskip(NEXT) | instid1(VALU_DEP_2)
	v_add_f32_e32 v38, 1.0, v35
	v_add_f32_e32 v36, v32, v36
	s_delay_alu instid0(VALU_DEP_2) | instskip(NEXT) | instid1(VALU_DEP_2)
	v_sub_f32_e32 v34, v34, v38
	v_add_f32_e32 v38, v37, v36
	s_delay_alu instid0(VALU_DEP_2) | instskip(NEXT) | instid1(VALU_DEP_2)
	v_add_f32_e32 v32, v32, v34
	v_rcp_f32_e32 v34, v38
	v_sub_f32_e32 v37, v37, v38
	s_delay_alu instid0(VALU_DEP_1) | instskip(NEXT) | instid1(VALU_DEP_1)
	v_dual_add_f32 v39, v35, v32 :: v_dual_add_f32 v36, v36, v37
	v_sub_f32_e32 v35, v35, v39
	s_delay_alu instid0(TRANS32_DEP_1) | instskip(NEXT) | instid1(VALU_DEP_1)
	v_mul_f32_e32 v40, v39, v34
	v_dual_add_f32 v32, v32, v35 :: v_dual_mul_f32 v41, v38, v40
	s_delay_alu instid0(VALU_DEP_1) | instskip(NEXT) | instid1(VALU_DEP_1)
	v_fma_f32 v37, v40, v38, -v41
	v_fmac_f32_e32 v37, v40, v36
	s_delay_alu instid0(VALU_DEP_1) | instskip(NEXT) | instid1(VALU_DEP_1)
	v_add_f32_e32 v42, v41, v37
	v_sub_f32_e32 v43, v39, v42
	v_sub_f32_e32 v35, v42, v41
	s_delay_alu instid0(VALU_DEP_2) | instskip(NEXT) | instid1(VALU_DEP_2)
	v_sub_f32_e32 v39, v39, v43
	v_sub_f32_e32 v35, v35, v37
	s_delay_alu instid0(VALU_DEP_2) | instskip(NEXT) | instid1(VALU_DEP_1)
	v_sub_f32_e32 v39, v39, v42
	v_add_f32_e32 v32, v32, v39
	s_delay_alu instid0(VALU_DEP_1) | instskip(NEXT) | instid1(VALU_DEP_1)
	v_add_f32_e32 v32, v35, v32
	v_add_f32_e32 v35, v43, v32
	s_delay_alu instid0(VALU_DEP_1) | instskip(NEXT) | instid1(VALU_DEP_1)
	v_mul_f32_e32 v37, v34, v35
	v_dual_sub_f32 v42, v43, v35 :: v_dual_mul_f32 v39, v38, v37
	s_delay_alu instid0(VALU_DEP_1) | instskip(NEXT) | instid1(VALU_DEP_2)
	v_add_f32_e32 v32, v32, v42
	v_fma_f32 v38, v37, v38, -v39
	s_delay_alu instid0(VALU_DEP_1) | instskip(NEXT) | instid1(VALU_DEP_1)
	v_fmac_f32_e32 v38, v37, v36
	v_add_f32_e32 v36, v39, v38
	s_delay_alu instid0(VALU_DEP_1) | instskip(SKIP_1) | instid1(VALU_DEP_2)
	v_sub_f32_e32 v41, v35, v36
	v_sub_f32_e32 v39, v36, v39
	;; [unrolled: 1-line block ×3, first 2 shown]
	s_delay_alu instid0(VALU_DEP_1) | instskip(NEXT) | instid1(VALU_DEP_3)
	v_sub_f32_e32 v35, v35, v36
	v_sub_f32_e32 v36, v39, v38
	s_delay_alu instid0(VALU_DEP_2) | instskip(SKIP_1) | instid1(VALU_DEP_2)
	v_add_f32_e32 v32, v32, v35
	v_add_f32_e32 v35, v40, v37
	;; [unrolled: 1-line block ×3, first 2 shown]
	s_delay_alu instid0(VALU_DEP_2) | instskip(NEXT) | instid1(VALU_DEP_2)
	v_sub_f32_e32 v36, v35, v40
	v_add_f32_e32 v32, v41, v32
	s_delay_alu instid0(VALU_DEP_2) | instskip(NEXT) | instid1(VALU_DEP_2)
	v_sub_f32_e32 v36, v37, v36
	v_mul_f32_e32 v32, v34, v32
	s_delay_alu instid0(VALU_DEP_1) | instskip(NEXT) | instid1(VALU_DEP_1)
	v_add_f32_e32 v32, v36, v32
	v_add_f32_e32 v34, v35, v32
	s_delay_alu instid0(VALU_DEP_1) | instskip(SKIP_1) | instid1(VALU_DEP_1)
	v_mul_f32_e32 v36, v34, v34
	s_wait_alu 0xfffe
	v_fmaak_f32 v37, s0, v36, 0x3ecc95a3
	v_mul_f32_e32 v38, v34, v36
	v_cmp_neq_f32_e64 s0, 0x7f800000, v33
	s_delay_alu instid0(VALU_DEP_3) | instskip(SKIP_2) | instid1(VALU_DEP_3)
	v_fmaak_f32 v36, v36, v37, 0x3f2aaada
	v_ldexp_f32 v37, v34, 1
	v_sub_f32_e32 v34, v34, v35
	v_mul_f32_e32 v36, v38, v36
	v_mul_f32_e32 v38, 0x3f317218, v31
	s_delay_alu instid0(VALU_DEP_2) | instskip(NEXT) | instid1(VALU_DEP_1)
	v_dual_sub_f32 v32, v32, v34 :: v_dual_add_f32 v35, v37, v36
	v_ldexp_f32 v32, v32, 1
	s_delay_alu instid0(VALU_DEP_2) | instskip(NEXT) | instid1(VALU_DEP_4)
	v_sub_f32_e32 v34, v35, v37
	v_fma_f32 v37, 0x3f317218, v31, -v38
	s_delay_alu instid0(VALU_DEP_1) | instskip(NEXT) | instid1(VALU_DEP_1)
	v_dual_sub_f32 v34, v36, v34 :: v_dual_fmamk_f32 v31, v31, 0xb102e308, v37
	v_add_f32_e32 v32, v32, v34
	s_delay_alu instid0(VALU_DEP_2) | instskip(NEXT) | instid1(VALU_DEP_2)
	v_add_f32_e32 v34, v38, v31
	v_add_f32_e32 v36, v35, v32
	s_delay_alu instid0(VALU_DEP_2) | instskip(NEXT) | instid1(VALU_DEP_2)
	v_sub_f32_e32 v38, v34, v38
	v_add_f32_e32 v37, v34, v36
	v_sub_f32_e32 v35, v36, v35
	s_delay_alu instid0(VALU_DEP_3) | instskip(NEXT) | instid1(VALU_DEP_2)
	v_sub_f32_e32 v31, v31, v38
	v_dual_sub_f32 v39, v37, v34 :: v_dual_sub_f32 v32, v32, v35
	s_delay_alu instid0(VALU_DEP_1) | instskip(NEXT) | instid1(VALU_DEP_2)
	v_sub_f32_e32 v40, v37, v39
	v_dual_sub_f32 v35, v36, v39 :: v_dual_add_f32 v36, v31, v32
	s_delay_alu instid0(VALU_DEP_2) | instskip(NEXT) | instid1(VALU_DEP_1)
	v_sub_f32_e32 v34, v34, v40
	v_dual_add_f32 v34, v35, v34 :: v_dual_sub_f32 v35, v36, v31
	s_delay_alu instid0(VALU_DEP_1) | instskip(NEXT) | instid1(VALU_DEP_2)
	v_add_f32_e32 v34, v36, v34
	v_sub_f32_e32 v36, v36, v35
	v_sub_f32_e32 v32, v32, v35
	s_delay_alu instid0(VALU_DEP_2) | instskip(NEXT) | instid1(VALU_DEP_1)
	v_dual_add_f32 v38, v37, v34 :: v_dual_sub_f32 v31, v31, v36
	v_sub_f32_e32 v35, v38, v37
	s_delay_alu instid0(VALU_DEP_2) | instskip(NEXT) | instid1(VALU_DEP_2)
	v_add_f32_e32 v31, v32, v31
	v_sub_f32_e32 v32, v34, v35
	s_delay_alu instid0(VALU_DEP_1) | instskip(NEXT) | instid1(VALU_DEP_1)
	v_add_f32_e32 v31, v31, v32
	v_add_f32_e32 v31, v38, v31
	s_wait_alu 0xf1ff
	s_delay_alu instid0(VALU_DEP_1) | instskip(SKIP_2) | instid1(VALU_DEP_1)
	v_cndmask_b32_e64 v31, 0x7f800000, v31, s0
	v_cmp_gt_f32_e64 s0, 0x33800000, |v33|
	s_wait_alu 0xf1ff
	v_cndmask_b32_e64 v31, v31, v33, s0
	s_delay_alu instid0(VALU_DEP_1)
	v_add_f32_e32 v31, v30, v31
.LBB460_87:
	s_wait_alu 0xfffe
	s_or_b32 exec_lo, exec_lo, s1
	s_delay_alu instid0(VALU_DEP_1) | instskip(SKIP_3) | instid1(VALU_DEP_1)
	v_bfe_u32 v30, v31, 16, 1
	ds_load_u16 v32, v29 offset:6
	v_cmp_o_f32_e64 s0, v31, v31
	v_add3_u32 v30, v31, v30, 0x7fff
	v_lshrrev_b32_e32 v30, 16, v30
	s_wait_alu 0xf1ff
	s_delay_alu instid0(VALU_DEP_1) | instskip(SKIP_3) | instid1(VALU_DEP_1)
	v_cndmask_b32_e64 v33, 0x7fc0, v30, s0
	ds_store_b16 v29, v33 offset:4
	s_wait_dscnt 0x1
	v_lshlrev_b32_e32 v30, 16, v32
	v_dual_max_num_f32 v34, v30, v30 :: v_dual_lshlrev_b32 v31, 16, v33
	s_delay_alu instid0(VALU_DEP_1) | instskip(SKIP_1) | instid1(VALU_DEP_2)
	v_max_num_f32_e32 v32, v31, v31
	v_cmp_u_f32_e64 s0, v31, v31
	v_min_num_f32_e32 v35, v32, v34
	v_max_num_f32_e32 v32, v32, v34
	s_wait_alu 0xf1ff
	s_delay_alu instid0(VALU_DEP_2) | instskip(NEXT) | instid1(VALU_DEP_2)
	v_cndmask_b32_e64 v34, v35, v31, s0
	v_cndmask_b32_e64 v35, v32, v31, s0
	v_cmp_u_f32_e64 s0, v30, v30
	s_wait_alu 0xf1ff
	s_delay_alu instid0(VALU_DEP_1) | instskip(NEXT) | instid1(VALU_DEP_3)
	v_cndmask_b32_e64 v32, v34, v30, s0
	v_cndmask_b32_e64 v30, v35, v30, s0
	s_delay_alu instid0(VALU_DEP_2) | instskip(NEXT) | instid1(VALU_DEP_2)
	v_cmp_class_f32_e64 s1, v32, 0x1f8
	v_cmp_neq_f32_e64 s0, v32, v30
	s_or_b32 s0, s0, s1
	s_wait_alu 0xfffe
	s_and_saveexec_b32 s1, s0
	s_cbranch_execz .LBB460_89
; %bb.88:
	v_sub_f32_e32 v31, v32, v30
	s_delay_alu instid0(VALU_DEP_1) | instskip(SKIP_1) | instid1(VALU_DEP_2)
	v_mul_f32_e32 v32, 0x3fb8aa3b, v31
	v_cmp_ngt_f32_e64 s0, 0xc2ce8ed0, v31
	v_fma_f32 v33, 0x3fb8aa3b, v31, -v32
	v_rndne_f32_e32 v34, v32
	s_delay_alu instid0(VALU_DEP_1) | instskip(NEXT) | instid1(VALU_DEP_1)
	v_dual_fmamk_f32 v33, v31, 0x32a5705f, v33 :: v_dual_sub_f32 v32, v32, v34
	v_add_f32_e32 v32, v32, v33
	v_cvt_i32_f32_e32 v33, v34
	s_delay_alu instid0(VALU_DEP_2) | instskip(NEXT) | instid1(TRANS32_DEP_1)
	v_exp_f32_e32 v32, v32
	v_ldexp_f32 v32, v32, v33
	s_wait_alu 0xf1ff
	s_delay_alu instid0(VALU_DEP_1) | instskip(SKIP_2) | instid1(VALU_DEP_1)
	v_cndmask_b32_e64 v32, 0, v32, s0
	v_cmp_nlt_f32_e64 s0, 0x42b17218, v31
	s_wait_alu 0xf1ff
	v_cndmask_b32_e64 v33, 0x7f800000, v32, s0
	s_delay_alu instid0(VALU_DEP_1) | instskip(NEXT) | instid1(VALU_DEP_1)
	v_add_f32_e32 v34, 1.0, v33
	v_cvt_f64_f32_e32 v[31:32], v34
	s_delay_alu instid0(VALU_DEP_1) | instskip(SKIP_1) | instid1(VALU_DEP_1)
	v_frexp_exp_i32_f64_e32 v31, v[31:32]
	v_frexp_mant_f32_e32 v32, v34
	v_cmp_gt_f32_e64 s0, 0x3f2aaaab, v32
	v_add_f32_e32 v32, -1.0, v34
	s_delay_alu instid0(VALU_DEP_1)
	v_sub_f32_e32 v36, v32, v34
	v_sub_f32_e32 v32, v33, v32
	s_wait_alu 0xf1ff
	v_subrev_co_ci_u32_e64 v31, null, 0, v31, s0
	s_mov_b32 s0, 0x3e9b6dac
	v_sub_nc_u32_e32 v35, 0, v31
	v_cvt_f32_i32_e32 v31, v31
	s_delay_alu instid0(VALU_DEP_2) | instskip(NEXT) | instid1(VALU_DEP_1)
	v_ldexp_f32 v34, v34, v35
	v_dual_add_f32 v37, 1.0, v34 :: v_dual_add_f32 v36, 1.0, v36
	s_delay_alu instid0(VALU_DEP_1) | instskip(NEXT) | instid1(VALU_DEP_2)
	v_add_f32_e32 v32, v32, v36
	v_add_f32_e32 v36, -1.0, v37
	s_delay_alu instid0(VALU_DEP_2) | instskip(NEXT) | instid1(VALU_DEP_2)
	v_ldexp_f32 v32, v32, v35
	v_dual_add_f32 v35, -1.0, v34 :: v_dual_sub_f32 v36, v34, v36
	s_delay_alu instid0(VALU_DEP_1) | instskip(NEXT) | instid1(VALU_DEP_2)
	v_add_f32_e32 v38, 1.0, v35
	v_add_f32_e32 v36, v32, v36
	s_delay_alu instid0(VALU_DEP_2) | instskip(NEXT) | instid1(VALU_DEP_2)
	v_sub_f32_e32 v34, v34, v38
	v_add_f32_e32 v38, v37, v36
	s_delay_alu instid0(VALU_DEP_2) | instskip(NEXT) | instid1(VALU_DEP_2)
	v_add_f32_e32 v32, v32, v34
	v_rcp_f32_e32 v34, v38
	v_sub_f32_e32 v37, v37, v38
	s_delay_alu instid0(VALU_DEP_1) | instskip(NEXT) | instid1(VALU_DEP_1)
	v_dual_add_f32 v39, v35, v32 :: v_dual_add_f32 v36, v36, v37
	v_sub_f32_e32 v35, v35, v39
	s_delay_alu instid0(TRANS32_DEP_1) | instskip(NEXT) | instid1(VALU_DEP_1)
	v_mul_f32_e32 v40, v39, v34
	v_dual_add_f32 v32, v32, v35 :: v_dual_mul_f32 v41, v38, v40
	s_delay_alu instid0(VALU_DEP_1) | instskip(NEXT) | instid1(VALU_DEP_1)
	v_fma_f32 v37, v40, v38, -v41
	v_fmac_f32_e32 v37, v40, v36
	s_delay_alu instid0(VALU_DEP_1) | instskip(NEXT) | instid1(VALU_DEP_1)
	v_add_f32_e32 v42, v41, v37
	v_sub_f32_e32 v43, v39, v42
	v_sub_f32_e32 v35, v42, v41
	s_delay_alu instid0(VALU_DEP_2) | instskip(NEXT) | instid1(VALU_DEP_2)
	v_sub_f32_e32 v39, v39, v43
	v_sub_f32_e32 v35, v35, v37
	s_delay_alu instid0(VALU_DEP_2) | instskip(NEXT) | instid1(VALU_DEP_1)
	v_sub_f32_e32 v39, v39, v42
	v_add_f32_e32 v32, v32, v39
	s_delay_alu instid0(VALU_DEP_1) | instskip(NEXT) | instid1(VALU_DEP_1)
	v_add_f32_e32 v32, v35, v32
	v_add_f32_e32 v35, v43, v32
	s_delay_alu instid0(VALU_DEP_1) | instskip(NEXT) | instid1(VALU_DEP_1)
	v_mul_f32_e32 v37, v34, v35
	v_dual_sub_f32 v42, v43, v35 :: v_dual_mul_f32 v39, v38, v37
	s_delay_alu instid0(VALU_DEP_1) | instskip(NEXT) | instid1(VALU_DEP_2)
	v_add_f32_e32 v32, v32, v42
	v_fma_f32 v38, v37, v38, -v39
	s_delay_alu instid0(VALU_DEP_1) | instskip(NEXT) | instid1(VALU_DEP_1)
	v_fmac_f32_e32 v38, v37, v36
	v_add_f32_e32 v36, v39, v38
	s_delay_alu instid0(VALU_DEP_1) | instskip(SKIP_1) | instid1(VALU_DEP_2)
	v_sub_f32_e32 v41, v35, v36
	v_sub_f32_e32 v39, v36, v39
	;; [unrolled: 1-line block ×3, first 2 shown]
	s_delay_alu instid0(VALU_DEP_1) | instskip(NEXT) | instid1(VALU_DEP_3)
	v_sub_f32_e32 v35, v35, v36
	v_sub_f32_e32 v36, v39, v38
	s_delay_alu instid0(VALU_DEP_2) | instskip(SKIP_1) | instid1(VALU_DEP_2)
	v_add_f32_e32 v32, v32, v35
	v_add_f32_e32 v35, v40, v37
	;; [unrolled: 1-line block ×3, first 2 shown]
	s_delay_alu instid0(VALU_DEP_2) | instskip(NEXT) | instid1(VALU_DEP_2)
	v_sub_f32_e32 v36, v35, v40
	v_add_f32_e32 v32, v41, v32
	s_delay_alu instid0(VALU_DEP_2) | instskip(NEXT) | instid1(VALU_DEP_2)
	v_sub_f32_e32 v36, v37, v36
	v_mul_f32_e32 v32, v34, v32
	s_delay_alu instid0(VALU_DEP_1) | instskip(NEXT) | instid1(VALU_DEP_1)
	v_add_f32_e32 v32, v36, v32
	v_add_f32_e32 v34, v35, v32
	s_delay_alu instid0(VALU_DEP_1) | instskip(SKIP_1) | instid1(VALU_DEP_1)
	v_mul_f32_e32 v36, v34, v34
	s_wait_alu 0xfffe
	v_fmaak_f32 v37, s0, v36, 0x3ecc95a3
	v_mul_f32_e32 v38, v34, v36
	v_cmp_neq_f32_e64 s0, 0x7f800000, v33
	s_delay_alu instid0(VALU_DEP_3) | instskip(SKIP_2) | instid1(VALU_DEP_3)
	v_fmaak_f32 v36, v36, v37, 0x3f2aaada
	v_ldexp_f32 v37, v34, 1
	v_sub_f32_e32 v34, v34, v35
	v_mul_f32_e32 v36, v38, v36
	v_mul_f32_e32 v38, 0x3f317218, v31
	s_delay_alu instid0(VALU_DEP_2) | instskip(NEXT) | instid1(VALU_DEP_1)
	v_dual_sub_f32 v32, v32, v34 :: v_dual_add_f32 v35, v37, v36
	v_ldexp_f32 v32, v32, 1
	s_delay_alu instid0(VALU_DEP_2) | instskip(NEXT) | instid1(VALU_DEP_4)
	v_sub_f32_e32 v34, v35, v37
	v_fma_f32 v37, 0x3f317218, v31, -v38
	s_delay_alu instid0(VALU_DEP_1) | instskip(NEXT) | instid1(VALU_DEP_1)
	v_dual_sub_f32 v34, v36, v34 :: v_dual_fmamk_f32 v31, v31, 0xb102e308, v37
	v_add_f32_e32 v32, v32, v34
	s_delay_alu instid0(VALU_DEP_2) | instskip(NEXT) | instid1(VALU_DEP_2)
	v_add_f32_e32 v34, v38, v31
	v_add_f32_e32 v36, v35, v32
	s_delay_alu instid0(VALU_DEP_2) | instskip(NEXT) | instid1(VALU_DEP_2)
	v_sub_f32_e32 v38, v34, v38
	v_add_f32_e32 v37, v34, v36
	v_sub_f32_e32 v35, v36, v35
	s_delay_alu instid0(VALU_DEP_3) | instskip(NEXT) | instid1(VALU_DEP_2)
	v_sub_f32_e32 v31, v31, v38
	v_dual_sub_f32 v39, v37, v34 :: v_dual_sub_f32 v32, v32, v35
	s_delay_alu instid0(VALU_DEP_1) | instskip(NEXT) | instid1(VALU_DEP_2)
	v_sub_f32_e32 v40, v37, v39
	v_dual_sub_f32 v35, v36, v39 :: v_dual_add_f32 v36, v31, v32
	s_delay_alu instid0(VALU_DEP_2) | instskip(NEXT) | instid1(VALU_DEP_1)
	v_sub_f32_e32 v34, v34, v40
	v_dual_add_f32 v34, v35, v34 :: v_dual_sub_f32 v35, v36, v31
	s_delay_alu instid0(VALU_DEP_1) | instskip(NEXT) | instid1(VALU_DEP_2)
	v_add_f32_e32 v34, v36, v34
	v_sub_f32_e32 v36, v36, v35
	v_sub_f32_e32 v32, v32, v35
	s_delay_alu instid0(VALU_DEP_2) | instskip(NEXT) | instid1(VALU_DEP_1)
	v_dual_add_f32 v38, v37, v34 :: v_dual_sub_f32 v31, v31, v36
	v_sub_f32_e32 v35, v38, v37
	s_delay_alu instid0(VALU_DEP_2) | instskip(NEXT) | instid1(VALU_DEP_2)
	v_add_f32_e32 v31, v32, v31
	v_sub_f32_e32 v32, v34, v35
	s_delay_alu instid0(VALU_DEP_1) | instskip(NEXT) | instid1(VALU_DEP_1)
	v_add_f32_e32 v31, v31, v32
	v_add_f32_e32 v31, v38, v31
	s_wait_alu 0xf1ff
	s_delay_alu instid0(VALU_DEP_1) | instskip(SKIP_2) | instid1(VALU_DEP_1)
	v_cndmask_b32_e64 v31, 0x7f800000, v31, s0
	v_cmp_gt_f32_e64 s0, 0x33800000, |v33|
	s_wait_alu 0xf1ff
	v_cndmask_b32_e64 v31, v31, v33, s0
	s_delay_alu instid0(VALU_DEP_1)
	v_add_f32_e32 v31, v30, v31
.LBB460_89:
	s_wait_alu 0xfffe
	s_or_b32 exec_lo, exec_lo, s1
	s_delay_alu instid0(VALU_DEP_1) | instskip(SKIP_3) | instid1(VALU_DEP_1)
	v_bfe_u32 v30, v31, 16, 1
	ds_load_u16 v32, v29 offset:8
	v_cmp_o_f32_e64 s0, v31, v31
	v_add3_u32 v30, v31, v30, 0x7fff
	v_lshrrev_b32_e32 v30, 16, v30
	s_wait_alu 0xf1ff
	s_delay_alu instid0(VALU_DEP_1) | instskip(SKIP_3) | instid1(VALU_DEP_1)
	v_cndmask_b32_e64 v33, 0x7fc0, v30, s0
	ds_store_b16 v29, v33 offset:6
	s_wait_dscnt 0x1
	v_lshlrev_b32_e32 v30, 16, v32
	v_dual_max_num_f32 v34, v30, v30 :: v_dual_lshlrev_b32 v31, 16, v33
	s_delay_alu instid0(VALU_DEP_1) | instskip(SKIP_1) | instid1(VALU_DEP_2)
	v_max_num_f32_e32 v32, v31, v31
	v_cmp_u_f32_e64 s0, v31, v31
	v_min_num_f32_e32 v35, v32, v34
	v_max_num_f32_e32 v32, v32, v34
	s_wait_alu 0xf1ff
	s_delay_alu instid0(VALU_DEP_2) | instskip(NEXT) | instid1(VALU_DEP_2)
	v_cndmask_b32_e64 v34, v35, v31, s0
	v_cndmask_b32_e64 v35, v32, v31, s0
	v_cmp_u_f32_e64 s0, v30, v30
	s_wait_alu 0xf1ff
	s_delay_alu instid0(VALU_DEP_1) | instskip(NEXT) | instid1(VALU_DEP_3)
	v_cndmask_b32_e64 v32, v34, v30, s0
	v_cndmask_b32_e64 v30, v35, v30, s0
	s_delay_alu instid0(VALU_DEP_2) | instskip(NEXT) | instid1(VALU_DEP_2)
	v_cmp_class_f32_e64 s1, v32, 0x1f8
	v_cmp_neq_f32_e64 s0, v32, v30
	s_or_b32 s0, s0, s1
	s_wait_alu 0xfffe
	s_and_saveexec_b32 s1, s0
	s_cbranch_execz .LBB460_91
; %bb.90:
	v_sub_f32_e32 v31, v32, v30
	s_delay_alu instid0(VALU_DEP_1) | instskip(SKIP_1) | instid1(VALU_DEP_2)
	v_mul_f32_e32 v32, 0x3fb8aa3b, v31
	v_cmp_ngt_f32_e64 s0, 0xc2ce8ed0, v31
	v_fma_f32 v33, 0x3fb8aa3b, v31, -v32
	v_rndne_f32_e32 v34, v32
	s_delay_alu instid0(VALU_DEP_1) | instskip(NEXT) | instid1(VALU_DEP_1)
	v_dual_fmamk_f32 v33, v31, 0x32a5705f, v33 :: v_dual_sub_f32 v32, v32, v34
	v_add_f32_e32 v32, v32, v33
	v_cvt_i32_f32_e32 v33, v34
	s_delay_alu instid0(VALU_DEP_2) | instskip(NEXT) | instid1(TRANS32_DEP_1)
	v_exp_f32_e32 v32, v32
	v_ldexp_f32 v32, v32, v33
	s_wait_alu 0xf1ff
	s_delay_alu instid0(VALU_DEP_1) | instskip(SKIP_2) | instid1(VALU_DEP_1)
	v_cndmask_b32_e64 v32, 0, v32, s0
	v_cmp_nlt_f32_e64 s0, 0x42b17218, v31
	s_wait_alu 0xf1ff
	v_cndmask_b32_e64 v33, 0x7f800000, v32, s0
	s_delay_alu instid0(VALU_DEP_1) | instskip(NEXT) | instid1(VALU_DEP_1)
	v_add_f32_e32 v34, 1.0, v33
	v_cvt_f64_f32_e32 v[31:32], v34
	s_delay_alu instid0(VALU_DEP_1) | instskip(SKIP_1) | instid1(VALU_DEP_1)
	v_frexp_exp_i32_f64_e32 v31, v[31:32]
	v_frexp_mant_f32_e32 v32, v34
	v_cmp_gt_f32_e64 s0, 0x3f2aaaab, v32
	v_add_f32_e32 v32, -1.0, v34
	s_delay_alu instid0(VALU_DEP_1)
	v_sub_f32_e32 v36, v32, v34
	v_sub_f32_e32 v32, v33, v32
	s_wait_alu 0xf1ff
	v_subrev_co_ci_u32_e64 v31, null, 0, v31, s0
	s_mov_b32 s0, 0x3e9b6dac
	v_sub_nc_u32_e32 v35, 0, v31
	v_cvt_f32_i32_e32 v31, v31
	s_delay_alu instid0(VALU_DEP_2) | instskip(NEXT) | instid1(VALU_DEP_1)
	v_ldexp_f32 v34, v34, v35
	v_dual_add_f32 v37, 1.0, v34 :: v_dual_add_f32 v36, 1.0, v36
	s_delay_alu instid0(VALU_DEP_1) | instskip(NEXT) | instid1(VALU_DEP_2)
	v_add_f32_e32 v32, v32, v36
	v_add_f32_e32 v36, -1.0, v37
	s_delay_alu instid0(VALU_DEP_2) | instskip(NEXT) | instid1(VALU_DEP_2)
	v_ldexp_f32 v32, v32, v35
	v_dual_add_f32 v35, -1.0, v34 :: v_dual_sub_f32 v36, v34, v36
	s_delay_alu instid0(VALU_DEP_1) | instskip(NEXT) | instid1(VALU_DEP_2)
	v_add_f32_e32 v38, 1.0, v35
	v_add_f32_e32 v36, v32, v36
	s_delay_alu instid0(VALU_DEP_2) | instskip(NEXT) | instid1(VALU_DEP_2)
	v_sub_f32_e32 v34, v34, v38
	v_add_f32_e32 v38, v37, v36
	s_delay_alu instid0(VALU_DEP_2) | instskip(NEXT) | instid1(VALU_DEP_2)
	v_add_f32_e32 v32, v32, v34
	v_rcp_f32_e32 v34, v38
	v_sub_f32_e32 v37, v37, v38
	s_delay_alu instid0(VALU_DEP_1) | instskip(NEXT) | instid1(VALU_DEP_1)
	v_dual_add_f32 v39, v35, v32 :: v_dual_add_f32 v36, v36, v37
	v_sub_f32_e32 v35, v35, v39
	s_delay_alu instid0(TRANS32_DEP_1) | instskip(NEXT) | instid1(VALU_DEP_1)
	v_mul_f32_e32 v40, v39, v34
	v_dual_add_f32 v32, v32, v35 :: v_dual_mul_f32 v41, v38, v40
	s_delay_alu instid0(VALU_DEP_1) | instskip(NEXT) | instid1(VALU_DEP_1)
	v_fma_f32 v37, v40, v38, -v41
	v_fmac_f32_e32 v37, v40, v36
	s_delay_alu instid0(VALU_DEP_1) | instskip(NEXT) | instid1(VALU_DEP_1)
	v_add_f32_e32 v42, v41, v37
	v_sub_f32_e32 v43, v39, v42
	v_sub_f32_e32 v35, v42, v41
	s_delay_alu instid0(VALU_DEP_2) | instskip(NEXT) | instid1(VALU_DEP_2)
	v_sub_f32_e32 v39, v39, v43
	v_sub_f32_e32 v35, v35, v37
	s_delay_alu instid0(VALU_DEP_2) | instskip(NEXT) | instid1(VALU_DEP_1)
	v_sub_f32_e32 v39, v39, v42
	v_add_f32_e32 v32, v32, v39
	s_delay_alu instid0(VALU_DEP_1) | instskip(NEXT) | instid1(VALU_DEP_1)
	v_add_f32_e32 v32, v35, v32
	v_add_f32_e32 v35, v43, v32
	s_delay_alu instid0(VALU_DEP_1) | instskip(NEXT) | instid1(VALU_DEP_1)
	v_mul_f32_e32 v37, v34, v35
	v_dual_sub_f32 v42, v43, v35 :: v_dual_mul_f32 v39, v38, v37
	s_delay_alu instid0(VALU_DEP_1) | instskip(NEXT) | instid1(VALU_DEP_2)
	v_add_f32_e32 v32, v32, v42
	v_fma_f32 v38, v37, v38, -v39
	s_delay_alu instid0(VALU_DEP_1) | instskip(NEXT) | instid1(VALU_DEP_1)
	v_fmac_f32_e32 v38, v37, v36
	v_add_f32_e32 v36, v39, v38
	s_delay_alu instid0(VALU_DEP_1) | instskip(SKIP_1) | instid1(VALU_DEP_2)
	v_sub_f32_e32 v41, v35, v36
	v_sub_f32_e32 v39, v36, v39
	v_sub_f32_e32 v35, v35, v41
	s_delay_alu instid0(VALU_DEP_1) | instskip(NEXT) | instid1(VALU_DEP_3)
	v_sub_f32_e32 v35, v35, v36
	v_sub_f32_e32 v36, v39, v38
	s_delay_alu instid0(VALU_DEP_2) | instskip(SKIP_1) | instid1(VALU_DEP_2)
	v_add_f32_e32 v32, v32, v35
	v_add_f32_e32 v35, v40, v37
	;; [unrolled: 1-line block ×3, first 2 shown]
	s_delay_alu instid0(VALU_DEP_2) | instskip(NEXT) | instid1(VALU_DEP_2)
	v_sub_f32_e32 v36, v35, v40
	v_add_f32_e32 v32, v41, v32
	s_delay_alu instid0(VALU_DEP_2) | instskip(NEXT) | instid1(VALU_DEP_2)
	v_sub_f32_e32 v36, v37, v36
	v_mul_f32_e32 v32, v34, v32
	s_delay_alu instid0(VALU_DEP_1) | instskip(NEXT) | instid1(VALU_DEP_1)
	v_add_f32_e32 v32, v36, v32
	v_add_f32_e32 v34, v35, v32
	s_delay_alu instid0(VALU_DEP_1) | instskip(SKIP_1) | instid1(VALU_DEP_1)
	v_mul_f32_e32 v36, v34, v34
	s_wait_alu 0xfffe
	v_fmaak_f32 v37, s0, v36, 0x3ecc95a3
	v_mul_f32_e32 v38, v34, v36
	v_cmp_neq_f32_e64 s0, 0x7f800000, v33
	s_delay_alu instid0(VALU_DEP_3) | instskip(SKIP_2) | instid1(VALU_DEP_3)
	v_fmaak_f32 v36, v36, v37, 0x3f2aaada
	v_ldexp_f32 v37, v34, 1
	v_sub_f32_e32 v34, v34, v35
	v_mul_f32_e32 v36, v38, v36
	v_mul_f32_e32 v38, 0x3f317218, v31
	s_delay_alu instid0(VALU_DEP_2) | instskip(NEXT) | instid1(VALU_DEP_1)
	v_dual_sub_f32 v32, v32, v34 :: v_dual_add_f32 v35, v37, v36
	v_ldexp_f32 v32, v32, 1
	s_delay_alu instid0(VALU_DEP_2) | instskip(NEXT) | instid1(VALU_DEP_4)
	v_sub_f32_e32 v34, v35, v37
	v_fma_f32 v37, 0x3f317218, v31, -v38
	s_delay_alu instid0(VALU_DEP_1) | instskip(NEXT) | instid1(VALU_DEP_1)
	v_dual_sub_f32 v34, v36, v34 :: v_dual_fmamk_f32 v31, v31, 0xb102e308, v37
	v_add_f32_e32 v32, v32, v34
	s_delay_alu instid0(VALU_DEP_2) | instskip(NEXT) | instid1(VALU_DEP_2)
	v_add_f32_e32 v34, v38, v31
	v_add_f32_e32 v36, v35, v32
	s_delay_alu instid0(VALU_DEP_2) | instskip(NEXT) | instid1(VALU_DEP_2)
	v_sub_f32_e32 v38, v34, v38
	v_add_f32_e32 v37, v34, v36
	v_sub_f32_e32 v35, v36, v35
	s_delay_alu instid0(VALU_DEP_3) | instskip(NEXT) | instid1(VALU_DEP_2)
	v_sub_f32_e32 v31, v31, v38
	v_dual_sub_f32 v39, v37, v34 :: v_dual_sub_f32 v32, v32, v35
	s_delay_alu instid0(VALU_DEP_1) | instskip(NEXT) | instid1(VALU_DEP_2)
	v_sub_f32_e32 v40, v37, v39
	v_dual_sub_f32 v35, v36, v39 :: v_dual_add_f32 v36, v31, v32
	s_delay_alu instid0(VALU_DEP_2) | instskip(NEXT) | instid1(VALU_DEP_1)
	v_sub_f32_e32 v34, v34, v40
	v_dual_add_f32 v34, v35, v34 :: v_dual_sub_f32 v35, v36, v31
	s_delay_alu instid0(VALU_DEP_1) | instskip(NEXT) | instid1(VALU_DEP_2)
	v_add_f32_e32 v34, v36, v34
	v_sub_f32_e32 v36, v36, v35
	v_sub_f32_e32 v32, v32, v35
	s_delay_alu instid0(VALU_DEP_2) | instskip(NEXT) | instid1(VALU_DEP_1)
	v_dual_add_f32 v38, v37, v34 :: v_dual_sub_f32 v31, v31, v36
	v_sub_f32_e32 v35, v38, v37
	s_delay_alu instid0(VALU_DEP_2) | instskip(NEXT) | instid1(VALU_DEP_2)
	v_add_f32_e32 v31, v32, v31
	v_sub_f32_e32 v32, v34, v35
	s_delay_alu instid0(VALU_DEP_1) | instskip(NEXT) | instid1(VALU_DEP_1)
	v_add_f32_e32 v31, v31, v32
	v_add_f32_e32 v31, v38, v31
	s_wait_alu 0xf1ff
	s_delay_alu instid0(VALU_DEP_1) | instskip(SKIP_2) | instid1(VALU_DEP_1)
	v_cndmask_b32_e64 v31, 0x7f800000, v31, s0
	v_cmp_gt_f32_e64 s0, 0x33800000, |v33|
	s_wait_alu 0xf1ff
	v_cndmask_b32_e64 v31, v31, v33, s0
	s_delay_alu instid0(VALU_DEP_1)
	v_add_f32_e32 v31, v30, v31
.LBB460_91:
	s_wait_alu 0xfffe
	s_or_b32 exec_lo, exec_lo, s1
	s_delay_alu instid0(VALU_DEP_1) | instskip(SKIP_3) | instid1(VALU_DEP_1)
	v_bfe_u32 v30, v31, 16, 1
	ds_load_u16 v32, v29 offset:10
	v_cmp_o_f32_e64 s0, v31, v31
	v_add3_u32 v30, v31, v30, 0x7fff
	v_lshrrev_b32_e32 v30, 16, v30
	s_wait_alu 0xf1ff
	s_delay_alu instid0(VALU_DEP_1) | instskip(SKIP_3) | instid1(VALU_DEP_1)
	v_cndmask_b32_e64 v33, 0x7fc0, v30, s0
	ds_store_b16 v29, v33 offset:8
	s_wait_dscnt 0x1
	v_lshlrev_b32_e32 v30, 16, v32
	v_dual_max_num_f32 v34, v30, v30 :: v_dual_lshlrev_b32 v31, 16, v33
	s_delay_alu instid0(VALU_DEP_1) | instskip(SKIP_1) | instid1(VALU_DEP_2)
	v_max_num_f32_e32 v32, v31, v31
	v_cmp_u_f32_e64 s0, v31, v31
	v_min_num_f32_e32 v35, v32, v34
	v_max_num_f32_e32 v32, v32, v34
	s_wait_alu 0xf1ff
	s_delay_alu instid0(VALU_DEP_2) | instskip(NEXT) | instid1(VALU_DEP_2)
	v_cndmask_b32_e64 v34, v35, v31, s0
	v_cndmask_b32_e64 v35, v32, v31, s0
	v_cmp_u_f32_e64 s0, v30, v30
	s_wait_alu 0xf1ff
	s_delay_alu instid0(VALU_DEP_1) | instskip(NEXT) | instid1(VALU_DEP_3)
	v_cndmask_b32_e64 v32, v34, v30, s0
	v_cndmask_b32_e64 v30, v35, v30, s0
	s_delay_alu instid0(VALU_DEP_2) | instskip(NEXT) | instid1(VALU_DEP_2)
	v_cmp_class_f32_e64 s1, v32, 0x1f8
	v_cmp_neq_f32_e64 s0, v32, v30
	s_or_b32 s0, s0, s1
	s_wait_alu 0xfffe
	s_and_saveexec_b32 s1, s0
	s_cbranch_execz .LBB460_93
; %bb.92:
	v_sub_f32_e32 v31, v32, v30
	s_delay_alu instid0(VALU_DEP_1) | instskip(SKIP_1) | instid1(VALU_DEP_2)
	v_mul_f32_e32 v32, 0x3fb8aa3b, v31
	v_cmp_ngt_f32_e64 s0, 0xc2ce8ed0, v31
	v_fma_f32 v33, 0x3fb8aa3b, v31, -v32
	v_rndne_f32_e32 v34, v32
	s_delay_alu instid0(VALU_DEP_1) | instskip(NEXT) | instid1(VALU_DEP_1)
	v_dual_fmamk_f32 v33, v31, 0x32a5705f, v33 :: v_dual_sub_f32 v32, v32, v34
	v_add_f32_e32 v32, v32, v33
	v_cvt_i32_f32_e32 v33, v34
	s_delay_alu instid0(VALU_DEP_2) | instskip(NEXT) | instid1(TRANS32_DEP_1)
	v_exp_f32_e32 v32, v32
	v_ldexp_f32 v32, v32, v33
	s_wait_alu 0xf1ff
	s_delay_alu instid0(VALU_DEP_1) | instskip(SKIP_2) | instid1(VALU_DEP_1)
	v_cndmask_b32_e64 v32, 0, v32, s0
	v_cmp_nlt_f32_e64 s0, 0x42b17218, v31
	s_wait_alu 0xf1ff
	v_cndmask_b32_e64 v33, 0x7f800000, v32, s0
	s_delay_alu instid0(VALU_DEP_1) | instskip(NEXT) | instid1(VALU_DEP_1)
	v_add_f32_e32 v34, 1.0, v33
	v_cvt_f64_f32_e32 v[31:32], v34
	s_delay_alu instid0(VALU_DEP_1) | instskip(SKIP_1) | instid1(VALU_DEP_1)
	v_frexp_exp_i32_f64_e32 v31, v[31:32]
	v_frexp_mant_f32_e32 v32, v34
	v_cmp_gt_f32_e64 s0, 0x3f2aaaab, v32
	v_add_f32_e32 v32, -1.0, v34
	s_delay_alu instid0(VALU_DEP_1)
	v_sub_f32_e32 v36, v32, v34
	v_sub_f32_e32 v32, v33, v32
	s_wait_alu 0xf1ff
	v_subrev_co_ci_u32_e64 v31, null, 0, v31, s0
	s_mov_b32 s0, 0x3e9b6dac
	v_sub_nc_u32_e32 v35, 0, v31
	v_cvt_f32_i32_e32 v31, v31
	s_delay_alu instid0(VALU_DEP_2) | instskip(NEXT) | instid1(VALU_DEP_1)
	v_ldexp_f32 v34, v34, v35
	v_dual_add_f32 v37, 1.0, v34 :: v_dual_add_f32 v36, 1.0, v36
	s_delay_alu instid0(VALU_DEP_1) | instskip(NEXT) | instid1(VALU_DEP_2)
	v_add_f32_e32 v32, v32, v36
	v_add_f32_e32 v36, -1.0, v37
	s_delay_alu instid0(VALU_DEP_2) | instskip(NEXT) | instid1(VALU_DEP_2)
	v_ldexp_f32 v32, v32, v35
	v_dual_add_f32 v35, -1.0, v34 :: v_dual_sub_f32 v36, v34, v36
	s_delay_alu instid0(VALU_DEP_1) | instskip(NEXT) | instid1(VALU_DEP_2)
	v_add_f32_e32 v38, 1.0, v35
	v_add_f32_e32 v36, v32, v36
	s_delay_alu instid0(VALU_DEP_2) | instskip(NEXT) | instid1(VALU_DEP_2)
	v_sub_f32_e32 v34, v34, v38
	v_add_f32_e32 v38, v37, v36
	s_delay_alu instid0(VALU_DEP_2) | instskip(NEXT) | instid1(VALU_DEP_2)
	v_add_f32_e32 v32, v32, v34
	v_rcp_f32_e32 v34, v38
	v_sub_f32_e32 v37, v37, v38
	s_delay_alu instid0(VALU_DEP_1) | instskip(NEXT) | instid1(VALU_DEP_1)
	v_dual_add_f32 v39, v35, v32 :: v_dual_add_f32 v36, v36, v37
	v_sub_f32_e32 v35, v35, v39
	s_delay_alu instid0(TRANS32_DEP_1) | instskip(NEXT) | instid1(VALU_DEP_1)
	v_mul_f32_e32 v40, v39, v34
	v_dual_add_f32 v32, v32, v35 :: v_dual_mul_f32 v41, v38, v40
	s_delay_alu instid0(VALU_DEP_1) | instskip(NEXT) | instid1(VALU_DEP_1)
	v_fma_f32 v37, v40, v38, -v41
	v_fmac_f32_e32 v37, v40, v36
	s_delay_alu instid0(VALU_DEP_1) | instskip(NEXT) | instid1(VALU_DEP_1)
	v_add_f32_e32 v42, v41, v37
	v_sub_f32_e32 v43, v39, v42
	v_sub_f32_e32 v35, v42, v41
	s_delay_alu instid0(VALU_DEP_2) | instskip(NEXT) | instid1(VALU_DEP_2)
	v_sub_f32_e32 v39, v39, v43
	v_sub_f32_e32 v35, v35, v37
	s_delay_alu instid0(VALU_DEP_2) | instskip(NEXT) | instid1(VALU_DEP_1)
	v_sub_f32_e32 v39, v39, v42
	v_add_f32_e32 v32, v32, v39
	s_delay_alu instid0(VALU_DEP_1) | instskip(NEXT) | instid1(VALU_DEP_1)
	v_add_f32_e32 v32, v35, v32
	v_add_f32_e32 v35, v43, v32
	s_delay_alu instid0(VALU_DEP_1) | instskip(NEXT) | instid1(VALU_DEP_1)
	v_mul_f32_e32 v37, v34, v35
	v_dual_sub_f32 v42, v43, v35 :: v_dual_mul_f32 v39, v38, v37
	s_delay_alu instid0(VALU_DEP_1) | instskip(NEXT) | instid1(VALU_DEP_2)
	v_add_f32_e32 v32, v32, v42
	v_fma_f32 v38, v37, v38, -v39
	s_delay_alu instid0(VALU_DEP_1) | instskip(NEXT) | instid1(VALU_DEP_1)
	v_fmac_f32_e32 v38, v37, v36
	v_add_f32_e32 v36, v39, v38
	s_delay_alu instid0(VALU_DEP_1) | instskip(SKIP_1) | instid1(VALU_DEP_2)
	v_sub_f32_e32 v41, v35, v36
	v_sub_f32_e32 v39, v36, v39
	;; [unrolled: 1-line block ×3, first 2 shown]
	s_delay_alu instid0(VALU_DEP_1) | instskip(NEXT) | instid1(VALU_DEP_3)
	v_sub_f32_e32 v35, v35, v36
	v_sub_f32_e32 v36, v39, v38
	s_delay_alu instid0(VALU_DEP_2) | instskip(SKIP_1) | instid1(VALU_DEP_2)
	v_add_f32_e32 v32, v32, v35
	v_add_f32_e32 v35, v40, v37
	;; [unrolled: 1-line block ×3, first 2 shown]
	s_delay_alu instid0(VALU_DEP_2) | instskip(NEXT) | instid1(VALU_DEP_2)
	v_sub_f32_e32 v36, v35, v40
	v_add_f32_e32 v32, v41, v32
	s_delay_alu instid0(VALU_DEP_2) | instskip(NEXT) | instid1(VALU_DEP_2)
	v_sub_f32_e32 v36, v37, v36
	v_mul_f32_e32 v32, v34, v32
	s_delay_alu instid0(VALU_DEP_1) | instskip(NEXT) | instid1(VALU_DEP_1)
	v_add_f32_e32 v32, v36, v32
	v_add_f32_e32 v34, v35, v32
	s_delay_alu instid0(VALU_DEP_1) | instskip(SKIP_1) | instid1(VALU_DEP_1)
	v_mul_f32_e32 v36, v34, v34
	s_wait_alu 0xfffe
	v_fmaak_f32 v37, s0, v36, 0x3ecc95a3
	v_mul_f32_e32 v38, v34, v36
	v_cmp_neq_f32_e64 s0, 0x7f800000, v33
	s_delay_alu instid0(VALU_DEP_3) | instskip(SKIP_2) | instid1(VALU_DEP_3)
	v_fmaak_f32 v36, v36, v37, 0x3f2aaada
	v_ldexp_f32 v37, v34, 1
	v_sub_f32_e32 v34, v34, v35
	v_mul_f32_e32 v36, v38, v36
	v_mul_f32_e32 v38, 0x3f317218, v31
	s_delay_alu instid0(VALU_DEP_2) | instskip(NEXT) | instid1(VALU_DEP_1)
	v_dual_sub_f32 v32, v32, v34 :: v_dual_add_f32 v35, v37, v36
	v_ldexp_f32 v32, v32, 1
	s_delay_alu instid0(VALU_DEP_2) | instskip(NEXT) | instid1(VALU_DEP_4)
	v_sub_f32_e32 v34, v35, v37
	v_fma_f32 v37, 0x3f317218, v31, -v38
	s_delay_alu instid0(VALU_DEP_1) | instskip(NEXT) | instid1(VALU_DEP_1)
	v_dual_sub_f32 v34, v36, v34 :: v_dual_fmamk_f32 v31, v31, 0xb102e308, v37
	v_add_f32_e32 v32, v32, v34
	s_delay_alu instid0(VALU_DEP_2) | instskip(NEXT) | instid1(VALU_DEP_2)
	v_add_f32_e32 v34, v38, v31
	v_add_f32_e32 v36, v35, v32
	s_delay_alu instid0(VALU_DEP_2) | instskip(NEXT) | instid1(VALU_DEP_2)
	v_sub_f32_e32 v38, v34, v38
	v_add_f32_e32 v37, v34, v36
	v_sub_f32_e32 v35, v36, v35
	s_delay_alu instid0(VALU_DEP_3) | instskip(NEXT) | instid1(VALU_DEP_2)
	v_sub_f32_e32 v31, v31, v38
	v_dual_sub_f32 v39, v37, v34 :: v_dual_sub_f32 v32, v32, v35
	s_delay_alu instid0(VALU_DEP_1) | instskip(NEXT) | instid1(VALU_DEP_2)
	v_sub_f32_e32 v40, v37, v39
	v_dual_sub_f32 v35, v36, v39 :: v_dual_add_f32 v36, v31, v32
	s_delay_alu instid0(VALU_DEP_2) | instskip(NEXT) | instid1(VALU_DEP_1)
	v_sub_f32_e32 v34, v34, v40
	v_dual_add_f32 v34, v35, v34 :: v_dual_sub_f32 v35, v36, v31
	s_delay_alu instid0(VALU_DEP_1) | instskip(NEXT) | instid1(VALU_DEP_2)
	v_add_f32_e32 v34, v36, v34
	v_sub_f32_e32 v36, v36, v35
	v_sub_f32_e32 v32, v32, v35
	s_delay_alu instid0(VALU_DEP_2) | instskip(NEXT) | instid1(VALU_DEP_1)
	v_dual_add_f32 v38, v37, v34 :: v_dual_sub_f32 v31, v31, v36
	v_sub_f32_e32 v35, v38, v37
	s_delay_alu instid0(VALU_DEP_2) | instskip(NEXT) | instid1(VALU_DEP_2)
	v_add_f32_e32 v31, v32, v31
	v_sub_f32_e32 v32, v34, v35
	s_delay_alu instid0(VALU_DEP_1) | instskip(NEXT) | instid1(VALU_DEP_1)
	v_add_f32_e32 v31, v31, v32
	v_add_f32_e32 v31, v38, v31
	s_wait_alu 0xf1ff
	s_delay_alu instid0(VALU_DEP_1) | instskip(SKIP_2) | instid1(VALU_DEP_1)
	v_cndmask_b32_e64 v31, 0x7f800000, v31, s0
	v_cmp_gt_f32_e64 s0, 0x33800000, |v33|
	s_wait_alu 0xf1ff
	v_cndmask_b32_e64 v31, v31, v33, s0
	s_delay_alu instid0(VALU_DEP_1)
	v_add_f32_e32 v31, v30, v31
.LBB460_93:
	s_wait_alu 0xfffe
	s_or_b32 exec_lo, exec_lo, s1
	s_delay_alu instid0(VALU_DEP_1) | instskip(SKIP_3) | instid1(VALU_DEP_1)
	v_bfe_u32 v30, v31, 16, 1
	ds_load_u16 v32, v29 offset:12
	v_cmp_o_f32_e64 s0, v31, v31
	v_add3_u32 v30, v31, v30, 0x7fff
	v_lshrrev_b32_e32 v30, 16, v30
	s_wait_alu 0xf1ff
	s_delay_alu instid0(VALU_DEP_1) | instskip(SKIP_3) | instid1(VALU_DEP_1)
	v_cndmask_b32_e64 v33, 0x7fc0, v30, s0
	ds_store_b16 v29, v33 offset:10
	s_wait_dscnt 0x1
	v_lshlrev_b32_e32 v30, 16, v32
	v_dual_max_num_f32 v34, v30, v30 :: v_dual_lshlrev_b32 v31, 16, v33
	s_delay_alu instid0(VALU_DEP_1) | instskip(SKIP_1) | instid1(VALU_DEP_2)
	v_max_num_f32_e32 v32, v31, v31
	v_cmp_u_f32_e64 s0, v31, v31
	v_min_num_f32_e32 v35, v32, v34
	v_max_num_f32_e32 v32, v32, v34
	s_wait_alu 0xf1ff
	s_delay_alu instid0(VALU_DEP_2) | instskip(NEXT) | instid1(VALU_DEP_2)
	v_cndmask_b32_e64 v34, v35, v31, s0
	v_cndmask_b32_e64 v35, v32, v31, s0
	v_cmp_u_f32_e64 s0, v30, v30
	s_wait_alu 0xf1ff
	s_delay_alu instid0(VALU_DEP_1) | instskip(NEXT) | instid1(VALU_DEP_3)
	v_cndmask_b32_e64 v32, v34, v30, s0
	v_cndmask_b32_e64 v30, v35, v30, s0
	s_delay_alu instid0(VALU_DEP_2) | instskip(NEXT) | instid1(VALU_DEP_2)
	v_cmp_class_f32_e64 s1, v32, 0x1f8
	v_cmp_neq_f32_e64 s0, v32, v30
	s_or_b32 s0, s0, s1
	s_wait_alu 0xfffe
	s_and_saveexec_b32 s1, s0
	s_cbranch_execz .LBB460_95
; %bb.94:
	v_sub_f32_e32 v31, v32, v30
	s_delay_alu instid0(VALU_DEP_1) | instskip(SKIP_1) | instid1(VALU_DEP_2)
	v_mul_f32_e32 v32, 0x3fb8aa3b, v31
	v_cmp_ngt_f32_e64 s0, 0xc2ce8ed0, v31
	v_fma_f32 v33, 0x3fb8aa3b, v31, -v32
	v_rndne_f32_e32 v34, v32
	s_delay_alu instid0(VALU_DEP_1) | instskip(NEXT) | instid1(VALU_DEP_1)
	v_dual_fmamk_f32 v33, v31, 0x32a5705f, v33 :: v_dual_sub_f32 v32, v32, v34
	v_add_f32_e32 v32, v32, v33
	v_cvt_i32_f32_e32 v33, v34
	s_delay_alu instid0(VALU_DEP_2) | instskip(NEXT) | instid1(TRANS32_DEP_1)
	v_exp_f32_e32 v32, v32
	v_ldexp_f32 v32, v32, v33
	s_wait_alu 0xf1ff
	s_delay_alu instid0(VALU_DEP_1) | instskip(SKIP_2) | instid1(VALU_DEP_1)
	v_cndmask_b32_e64 v32, 0, v32, s0
	v_cmp_nlt_f32_e64 s0, 0x42b17218, v31
	s_wait_alu 0xf1ff
	v_cndmask_b32_e64 v33, 0x7f800000, v32, s0
	s_delay_alu instid0(VALU_DEP_1) | instskip(NEXT) | instid1(VALU_DEP_1)
	v_add_f32_e32 v34, 1.0, v33
	v_cvt_f64_f32_e32 v[31:32], v34
	s_delay_alu instid0(VALU_DEP_1) | instskip(SKIP_1) | instid1(VALU_DEP_1)
	v_frexp_exp_i32_f64_e32 v31, v[31:32]
	v_frexp_mant_f32_e32 v32, v34
	v_cmp_gt_f32_e64 s0, 0x3f2aaaab, v32
	v_add_f32_e32 v32, -1.0, v34
	s_delay_alu instid0(VALU_DEP_1)
	v_sub_f32_e32 v36, v32, v34
	v_sub_f32_e32 v32, v33, v32
	s_wait_alu 0xf1ff
	v_subrev_co_ci_u32_e64 v31, null, 0, v31, s0
	s_mov_b32 s0, 0x3e9b6dac
	v_sub_nc_u32_e32 v35, 0, v31
	v_cvt_f32_i32_e32 v31, v31
	s_delay_alu instid0(VALU_DEP_2) | instskip(NEXT) | instid1(VALU_DEP_1)
	v_ldexp_f32 v34, v34, v35
	v_dual_add_f32 v37, 1.0, v34 :: v_dual_add_f32 v36, 1.0, v36
	s_delay_alu instid0(VALU_DEP_1) | instskip(NEXT) | instid1(VALU_DEP_2)
	v_add_f32_e32 v32, v32, v36
	v_add_f32_e32 v36, -1.0, v37
	s_delay_alu instid0(VALU_DEP_2) | instskip(NEXT) | instid1(VALU_DEP_2)
	v_ldexp_f32 v32, v32, v35
	v_dual_add_f32 v35, -1.0, v34 :: v_dual_sub_f32 v36, v34, v36
	s_delay_alu instid0(VALU_DEP_1) | instskip(NEXT) | instid1(VALU_DEP_2)
	v_add_f32_e32 v38, 1.0, v35
	v_add_f32_e32 v36, v32, v36
	s_delay_alu instid0(VALU_DEP_2) | instskip(NEXT) | instid1(VALU_DEP_2)
	v_sub_f32_e32 v34, v34, v38
	v_add_f32_e32 v38, v37, v36
	s_delay_alu instid0(VALU_DEP_2) | instskip(NEXT) | instid1(VALU_DEP_2)
	v_add_f32_e32 v32, v32, v34
	v_rcp_f32_e32 v34, v38
	v_sub_f32_e32 v37, v37, v38
	s_delay_alu instid0(VALU_DEP_1) | instskip(NEXT) | instid1(VALU_DEP_1)
	v_dual_add_f32 v39, v35, v32 :: v_dual_add_f32 v36, v36, v37
	v_sub_f32_e32 v35, v35, v39
	s_delay_alu instid0(TRANS32_DEP_1) | instskip(NEXT) | instid1(VALU_DEP_1)
	v_mul_f32_e32 v40, v39, v34
	v_dual_add_f32 v32, v32, v35 :: v_dual_mul_f32 v41, v38, v40
	s_delay_alu instid0(VALU_DEP_1) | instskip(NEXT) | instid1(VALU_DEP_1)
	v_fma_f32 v37, v40, v38, -v41
	v_fmac_f32_e32 v37, v40, v36
	s_delay_alu instid0(VALU_DEP_1) | instskip(NEXT) | instid1(VALU_DEP_1)
	v_add_f32_e32 v42, v41, v37
	v_sub_f32_e32 v43, v39, v42
	v_sub_f32_e32 v35, v42, v41
	s_delay_alu instid0(VALU_DEP_2) | instskip(NEXT) | instid1(VALU_DEP_2)
	v_sub_f32_e32 v39, v39, v43
	v_sub_f32_e32 v35, v35, v37
	s_delay_alu instid0(VALU_DEP_2) | instskip(NEXT) | instid1(VALU_DEP_1)
	v_sub_f32_e32 v39, v39, v42
	v_add_f32_e32 v32, v32, v39
	s_delay_alu instid0(VALU_DEP_1) | instskip(NEXT) | instid1(VALU_DEP_1)
	v_add_f32_e32 v32, v35, v32
	v_add_f32_e32 v35, v43, v32
	s_delay_alu instid0(VALU_DEP_1) | instskip(NEXT) | instid1(VALU_DEP_1)
	v_mul_f32_e32 v37, v34, v35
	v_dual_sub_f32 v42, v43, v35 :: v_dual_mul_f32 v39, v38, v37
	s_delay_alu instid0(VALU_DEP_1) | instskip(NEXT) | instid1(VALU_DEP_2)
	v_add_f32_e32 v32, v32, v42
	v_fma_f32 v38, v37, v38, -v39
	s_delay_alu instid0(VALU_DEP_1) | instskip(NEXT) | instid1(VALU_DEP_1)
	v_fmac_f32_e32 v38, v37, v36
	v_add_f32_e32 v36, v39, v38
	s_delay_alu instid0(VALU_DEP_1) | instskip(SKIP_1) | instid1(VALU_DEP_2)
	v_sub_f32_e32 v41, v35, v36
	v_sub_f32_e32 v39, v36, v39
	;; [unrolled: 1-line block ×3, first 2 shown]
	s_delay_alu instid0(VALU_DEP_1) | instskip(NEXT) | instid1(VALU_DEP_3)
	v_sub_f32_e32 v35, v35, v36
	v_sub_f32_e32 v36, v39, v38
	s_delay_alu instid0(VALU_DEP_2) | instskip(SKIP_1) | instid1(VALU_DEP_2)
	v_add_f32_e32 v32, v32, v35
	v_add_f32_e32 v35, v40, v37
	;; [unrolled: 1-line block ×3, first 2 shown]
	s_delay_alu instid0(VALU_DEP_2) | instskip(NEXT) | instid1(VALU_DEP_2)
	v_sub_f32_e32 v36, v35, v40
	v_add_f32_e32 v32, v41, v32
	s_delay_alu instid0(VALU_DEP_2) | instskip(NEXT) | instid1(VALU_DEP_2)
	v_sub_f32_e32 v36, v37, v36
	v_mul_f32_e32 v32, v34, v32
	s_delay_alu instid0(VALU_DEP_1) | instskip(NEXT) | instid1(VALU_DEP_1)
	v_add_f32_e32 v32, v36, v32
	v_add_f32_e32 v34, v35, v32
	s_delay_alu instid0(VALU_DEP_1) | instskip(SKIP_1) | instid1(VALU_DEP_1)
	v_mul_f32_e32 v36, v34, v34
	s_wait_alu 0xfffe
	v_fmaak_f32 v37, s0, v36, 0x3ecc95a3
	v_mul_f32_e32 v38, v34, v36
	v_cmp_neq_f32_e64 s0, 0x7f800000, v33
	s_delay_alu instid0(VALU_DEP_3) | instskip(SKIP_2) | instid1(VALU_DEP_3)
	v_fmaak_f32 v36, v36, v37, 0x3f2aaada
	v_ldexp_f32 v37, v34, 1
	v_sub_f32_e32 v34, v34, v35
	v_mul_f32_e32 v36, v38, v36
	v_mul_f32_e32 v38, 0x3f317218, v31
	s_delay_alu instid0(VALU_DEP_2) | instskip(NEXT) | instid1(VALU_DEP_1)
	v_dual_sub_f32 v32, v32, v34 :: v_dual_add_f32 v35, v37, v36
	v_ldexp_f32 v32, v32, 1
	s_delay_alu instid0(VALU_DEP_2) | instskip(NEXT) | instid1(VALU_DEP_4)
	v_sub_f32_e32 v34, v35, v37
	v_fma_f32 v37, 0x3f317218, v31, -v38
	s_delay_alu instid0(VALU_DEP_1) | instskip(NEXT) | instid1(VALU_DEP_1)
	v_dual_sub_f32 v34, v36, v34 :: v_dual_fmamk_f32 v31, v31, 0xb102e308, v37
	v_add_f32_e32 v32, v32, v34
	s_delay_alu instid0(VALU_DEP_2) | instskip(NEXT) | instid1(VALU_DEP_2)
	v_add_f32_e32 v34, v38, v31
	v_add_f32_e32 v36, v35, v32
	s_delay_alu instid0(VALU_DEP_2) | instskip(NEXT) | instid1(VALU_DEP_2)
	v_sub_f32_e32 v38, v34, v38
	v_add_f32_e32 v37, v34, v36
	v_sub_f32_e32 v35, v36, v35
	s_delay_alu instid0(VALU_DEP_3) | instskip(NEXT) | instid1(VALU_DEP_2)
	v_sub_f32_e32 v31, v31, v38
	v_dual_sub_f32 v39, v37, v34 :: v_dual_sub_f32 v32, v32, v35
	s_delay_alu instid0(VALU_DEP_1) | instskip(NEXT) | instid1(VALU_DEP_2)
	v_sub_f32_e32 v40, v37, v39
	v_dual_sub_f32 v35, v36, v39 :: v_dual_add_f32 v36, v31, v32
	s_delay_alu instid0(VALU_DEP_2) | instskip(NEXT) | instid1(VALU_DEP_1)
	v_sub_f32_e32 v34, v34, v40
	v_dual_add_f32 v34, v35, v34 :: v_dual_sub_f32 v35, v36, v31
	s_delay_alu instid0(VALU_DEP_1) | instskip(NEXT) | instid1(VALU_DEP_2)
	v_add_f32_e32 v34, v36, v34
	v_sub_f32_e32 v36, v36, v35
	v_sub_f32_e32 v32, v32, v35
	s_delay_alu instid0(VALU_DEP_2) | instskip(NEXT) | instid1(VALU_DEP_1)
	v_dual_add_f32 v38, v37, v34 :: v_dual_sub_f32 v31, v31, v36
	v_sub_f32_e32 v35, v38, v37
	s_delay_alu instid0(VALU_DEP_2) | instskip(NEXT) | instid1(VALU_DEP_2)
	v_add_f32_e32 v31, v32, v31
	v_sub_f32_e32 v32, v34, v35
	s_delay_alu instid0(VALU_DEP_1) | instskip(NEXT) | instid1(VALU_DEP_1)
	v_add_f32_e32 v31, v31, v32
	v_add_f32_e32 v31, v38, v31
	s_wait_alu 0xf1ff
	s_delay_alu instid0(VALU_DEP_1) | instskip(SKIP_2) | instid1(VALU_DEP_1)
	v_cndmask_b32_e64 v31, 0x7f800000, v31, s0
	v_cmp_gt_f32_e64 s0, 0x33800000, |v33|
	s_wait_alu 0xf1ff
	v_cndmask_b32_e64 v31, v31, v33, s0
	s_delay_alu instid0(VALU_DEP_1)
	v_add_f32_e32 v31, v30, v31
.LBB460_95:
	s_wait_alu 0xfffe
	s_or_b32 exec_lo, exec_lo, s1
	s_delay_alu instid0(VALU_DEP_1) | instskip(SKIP_3) | instid1(VALU_DEP_1)
	v_bfe_u32 v30, v31, 16, 1
	ds_load_u16 v32, v29 offset:14
	v_cmp_o_f32_e64 s0, v31, v31
	v_add3_u32 v30, v31, v30, 0x7fff
	v_lshrrev_b32_e32 v30, 16, v30
	s_wait_alu 0xf1ff
	s_delay_alu instid0(VALU_DEP_1) | instskip(SKIP_3) | instid1(VALU_DEP_1)
	v_cndmask_b32_e64 v33, 0x7fc0, v30, s0
	ds_store_b16 v29, v33 offset:12
	s_wait_dscnt 0x1
	v_lshlrev_b32_e32 v30, 16, v32
	v_dual_max_num_f32 v34, v30, v30 :: v_dual_lshlrev_b32 v31, 16, v33
	s_delay_alu instid0(VALU_DEP_1) | instskip(SKIP_1) | instid1(VALU_DEP_2)
	v_max_num_f32_e32 v32, v31, v31
	v_cmp_u_f32_e64 s0, v31, v31
	v_min_num_f32_e32 v35, v32, v34
	v_max_num_f32_e32 v32, v32, v34
	s_wait_alu 0xf1ff
	s_delay_alu instid0(VALU_DEP_2) | instskip(NEXT) | instid1(VALU_DEP_2)
	v_cndmask_b32_e64 v34, v35, v31, s0
	v_cndmask_b32_e64 v35, v32, v31, s0
	v_cmp_u_f32_e64 s0, v30, v30
	s_wait_alu 0xf1ff
	s_delay_alu instid0(VALU_DEP_1) | instskip(NEXT) | instid1(VALU_DEP_3)
	v_cndmask_b32_e64 v32, v34, v30, s0
	v_cndmask_b32_e64 v30, v35, v30, s0
	s_delay_alu instid0(VALU_DEP_2) | instskip(NEXT) | instid1(VALU_DEP_2)
	v_cmp_class_f32_e64 s1, v32, 0x1f8
	v_cmp_neq_f32_e64 s0, v32, v30
	s_or_b32 s0, s0, s1
	s_wait_alu 0xfffe
	s_and_saveexec_b32 s1, s0
	s_cbranch_execz .LBB460_97
; %bb.96:
	v_sub_f32_e32 v31, v32, v30
	s_delay_alu instid0(VALU_DEP_1) | instskip(SKIP_1) | instid1(VALU_DEP_2)
	v_mul_f32_e32 v32, 0x3fb8aa3b, v31
	v_cmp_ngt_f32_e64 s0, 0xc2ce8ed0, v31
	v_fma_f32 v33, 0x3fb8aa3b, v31, -v32
	v_rndne_f32_e32 v34, v32
	s_delay_alu instid0(VALU_DEP_1) | instskip(NEXT) | instid1(VALU_DEP_1)
	v_dual_fmamk_f32 v33, v31, 0x32a5705f, v33 :: v_dual_sub_f32 v32, v32, v34
	v_add_f32_e32 v32, v32, v33
	v_cvt_i32_f32_e32 v33, v34
	s_delay_alu instid0(VALU_DEP_2) | instskip(NEXT) | instid1(TRANS32_DEP_1)
	v_exp_f32_e32 v32, v32
	v_ldexp_f32 v32, v32, v33
	s_wait_alu 0xf1ff
	s_delay_alu instid0(VALU_DEP_1) | instskip(SKIP_2) | instid1(VALU_DEP_1)
	v_cndmask_b32_e64 v32, 0, v32, s0
	v_cmp_nlt_f32_e64 s0, 0x42b17218, v31
	s_wait_alu 0xf1ff
	v_cndmask_b32_e64 v33, 0x7f800000, v32, s0
	s_delay_alu instid0(VALU_DEP_1) | instskip(NEXT) | instid1(VALU_DEP_1)
	v_add_f32_e32 v34, 1.0, v33
	v_cvt_f64_f32_e32 v[31:32], v34
	s_delay_alu instid0(VALU_DEP_1) | instskip(SKIP_1) | instid1(VALU_DEP_1)
	v_frexp_exp_i32_f64_e32 v31, v[31:32]
	v_frexp_mant_f32_e32 v32, v34
	v_cmp_gt_f32_e64 s0, 0x3f2aaaab, v32
	v_add_f32_e32 v32, -1.0, v34
	s_delay_alu instid0(VALU_DEP_1)
	v_sub_f32_e32 v36, v32, v34
	v_sub_f32_e32 v32, v33, v32
	s_wait_alu 0xf1ff
	v_subrev_co_ci_u32_e64 v31, null, 0, v31, s0
	s_mov_b32 s0, 0x3e9b6dac
	v_sub_nc_u32_e32 v35, 0, v31
	v_cvt_f32_i32_e32 v31, v31
	s_delay_alu instid0(VALU_DEP_2) | instskip(NEXT) | instid1(VALU_DEP_1)
	v_ldexp_f32 v34, v34, v35
	v_dual_add_f32 v37, 1.0, v34 :: v_dual_add_f32 v36, 1.0, v36
	s_delay_alu instid0(VALU_DEP_1) | instskip(NEXT) | instid1(VALU_DEP_2)
	v_add_f32_e32 v32, v32, v36
	v_add_f32_e32 v36, -1.0, v37
	s_delay_alu instid0(VALU_DEP_2) | instskip(NEXT) | instid1(VALU_DEP_2)
	v_ldexp_f32 v32, v32, v35
	v_dual_add_f32 v35, -1.0, v34 :: v_dual_sub_f32 v36, v34, v36
	s_delay_alu instid0(VALU_DEP_1) | instskip(NEXT) | instid1(VALU_DEP_2)
	v_add_f32_e32 v38, 1.0, v35
	v_add_f32_e32 v36, v32, v36
	s_delay_alu instid0(VALU_DEP_2) | instskip(NEXT) | instid1(VALU_DEP_2)
	v_sub_f32_e32 v34, v34, v38
	v_add_f32_e32 v38, v37, v36
	s_delay_alu instid0(VALU_DEP_2) | instskip(NEXT) | instid1(VALU_DEP_2)
	v_add_f32_e32 v32, v32, v34
	v_rcp_f32_e32 v34, v38
	v_sub_f32_e32 v37, v37, v38
	s_delay_alu instid0(VALU_DEP_1) | instskip(NEXT) | instid1(VALU_DEP_1)
	v_dual_add_f32 v39, v35, v32 :: v_dual_add_f32 v36, v36, v37
	v_sub_f32_e32 v35, v35, v39
	s_delay_alu instid0(TRANS32_DEP_1) | instskip(NEXT) | instid1(VALU_DEP_1)
	v_mul_f32_e32 v40, v39, v34
	v_dual_add_f32 v32, v32, v35 :: v_dual_mul_f32 v41, v38, v40
	s_delay_alu instid0(VALU_DEP_1) | instskip(NEXT) | instid1(VALU_DEP_1)
	v_fma_f32 v37, v40, v38, -v41
	v_fmac_f32_e32 v37, v40, v36
	s_delay_alu instid0(VALU_DEP_1) | instskip(NEXT) | instid1(VALU_DEP_1)
	v_add_f32_e32 v42, v41, v37
	v_sub_f32_e32 v43, v39, v42
	v_sub_f32_e32 v35, v42, v41
	s_delay_alu instid0(VALU_DEP_2) | instskip(NEXT) | instid1(VALU_DEP_2)
	v_sub_f32_e32 v39, v39, v43
	v_sub_f32_e32 v35, v35, v37
	s_delay_alu instid0(VALU_DEP_2) | instskip(NEXT) | instid1(VALU_DEP_1)
	v_sub_f32_e32 v39, v39, v42
	v_add_f32_e32 v32, v32, v39
	s_delay_alu instid0(VALU_DEP_1) | instskip(NEXT) | instid1(VALU_DEP_1)
	v_add_f32_e32 v32, v35, v32
	v_add_f32_e32 v35, v43, v32
	s_delay_alu instid0(VALU_DEP_1) | instskip(NEXT) | instid1(VALU_DEP_1)
	v_mul_f32_e32 v37, v34, v35
	v_dual_sub_f32 v42, v43, v35 :: v_dual_mul_f32 v39, v38, v37
	s_delay_alu instid0(VALU_DEP_1) | instskip(NEXT) | instid1(VALU_DEP_2)
	v_add_f32_e32 v32, v32, v42
	v_fma_f32 v38, v37, v38, -v39
	s_delay_alu instid0(VALU_DEP_1) | instskip(NEXT) | instid1(VALU_DEP_1)
	v_fmac_f32_e32 v38, v37, v36
	v_add_f32_e32 v36, v39, v38
	s_delay_alu instid0(VALU_DEP_1) | instskip(SKIP_1) | instid1(VALU_DEP_2)
	v_sub_f32_e32 v41, v35, v36
	v_sub_f32_e32 v39, v36, v39
	;; [unrolled: 1-line block ×3, first 2 shown]
	s_delay_alu instid0(VALU_DEP_1) | instskip(NEXT) | instid1(VALU_DEP_3)
	v_sub_f32_e32 v35, v35, v36
	v_sub_f32_e32 v36, v39, v38
	s_delay_alu instid0(VALU_DEP_2) | instskip(SKIP_1) | instid1(VALU_DEP_2)
	v_add_f32_e32 v32, v32, v35
	v_add_f32_e32 v35, v40, v37
	v_add_f32_e32 v32, v36, v32
	s_delay_alu instid0(VALU_DEP_2) | instskip(NEXT) | instid1(VALU_DEP_2)
	v_sub_f32_e32 v36, v35, v40
	v_add_f32_e32 v32, v41, v32
	s_delay_alu instid0(VALU_DEP_2) | instskip(NEXT) | instid1(VALU_DEP_2)
	v_sub_f32_e32 v36, v37, v36
	v_mul_f32_e32 v32, v34, v32
	s_delay_alu instid0(VALU_DEP_1) | instskip(NEXT) | instid1(VALU_DEP_1)
	v_add_f32_e32 v32, v36, v32
	v_add_f32_e32 v34, v35, v32
	s_delay_alu instid0(VALU_DEP_1) | instskip(SKIP_1) | instid1(VALU_DEP_1)
	v_mul_f32_e32 v36, v34, v34
	s_wait_alu 0xfffe
	v_fmaak_f32 v37, s0, v36, 0x3ecc95a3
	v_mul_f32_e32 v38, v34, v36
	v_cmp_neq_f32_e64 s0, 0x7f800000, v33
	s_delay_alu instid0(VALU_DEP_3) | instskip(SKIP_2) | instid1(VALU_DEP_3)
	v_fmaak_f32 v36, v36, v37, 0x3f2aaada
	v_ldexp_f32 v37, v34, 1
	v_sub_f32_e32 v34, v34, v35
	v_mul_f32_e32 v36, v38, v36
	v_mul_f32_e32 v38, 0x3f317218, v31
	s_delay_alu instid0(VALU_DEP_2) | instskip(NEXT) | instid1(VALU_DEP_1)
	v_dual_sub_f32 v32, v32, v34 :: v_dual_add_f32 v35, v37, v36
	v_ldexp_f32 v32, v32, 1
	s_delay_alu instid0(VALU_DEP_2) | instskip(NEXT) | instid1(VALU_DEP_4)
	v_sub_f32_e32 v34, v35, v37
	v_fma_f32 v37, 0x3f317218, v31, -v38
	s_delay_alu instid0(VALU_DEP_1) | instskip(NEXT) | instid1(VALU_DEP_1)
	v_dual_sub_f32 v34, v36, v34 :: v_dual_fmamk_f32 v31, v31, 0xb102e308, v37
	v_add_f32_e32 v32, v32, v34
	s_delay_alu instid0(VALU_DEP_2) | instskip(NEXT) | instid1(VALU_DEP_2)
	v_add_f32_e32 v34, v38, v31
	v_add_f32_e32 v36, v35, v32
	s_delay_alu instid0(VALU_DEP_2) | instskip(NEXT) | instid1(VALU_DEP_2)
	v_sub_f32_e32 v38, v34, v38
	v_add_f32_e32 v37, v34, v36
	v_sub_f32_e32 v35, v36, v35
	s_delay_alu instid0(VALU_DEP_3) | instskip(NEXT) | instid1(VALU_DEP_2)
	v_sub_f32_e32 v31, v31, v38
	v_dual_sub_f32 v39, v37, v34 :: v_dual_sub_f32 v32, v32, v35
	s_delay_alu instid0(VALU_DEP_1) | instskip(NEXT) | instid1(VALU_DEP_2)
	v_sub_f32_e32 v40, v37, v39
	v_dual_sub_f32 v35, v36, v39 :: v_dual_add_f32 v36, v31, v32
	s_delay_alu instid0(VALU_DEP_2) | instskip(NEXT) | instid1(VALU_DEP_1)
	v_sub_f32_e32 v34, v34, v40
	v_dual_add_f32 v34, v35, v34 :: v_dual_sub_f32 v35, v36, v31
	s_delay_alu instid0(VALU_DEP_1) | instskip(NEXT) | instid1(VALU_DEP_2)
	v_add_f32_e32 v34, v36, v34
	v_sub_f32_e32 v36, v36, v35
	v_sub_f32_e32 v32, v32, v35
	s_delay_alu instid0(VALU_DEP_2) | instskip(NEXT) | instid1(VALU_DEP_1)
	v_dual_add_f32 v38, v37, v34 :: v_dual_sub_f32 v31, v31, v36
	v_sub_f32_e32 v35, v38, v37
	s_delay_alu instid0(VALU_DEP_2) | instskip(NEXT) | instid1(VALU_DEP_2)
	v_add_f32_e32 v31, v32, v31
	v_sub_f32_e32 v32, v34, v35
	s_delay_alu instid0(VALU_DEP_1) | instskip(NEXT) | instid1(VALU_DEP_1)
	v_add_f32_e32 v31, v31, v32
	v_add_f32_e32 v31, v38, v31
	s_wait_alu 0xf1ff
	s_delay_alu instid0(VALU_DEP_1) | instskip(SKIP_2) | instid1(VALU_DEP_1)
	v_cndmask_b32_e64 v31, 0x7f800000, v31, s0
	v_cmp_gt_f32_e64 s0, 0x33800000, |v33|
	s_wait_alu 0xf1ff
	v_cndmask_b32_e64 v31, v31, v33, s0
	s_delay_alu instid0(VALU_DEP_1)
	v_add_f32_e32 v31, v30, v31
.LBB460_97:
	s_wait_alu 0xfffe
	s_or_b32 exec_lo, exec_lo, s1
	s_delay_alu instid0(VALU_DEP_1) | instskip(SKIP_1) | instid1(VALU_DEP_2)
	v_bfe_u32 v30, v31, 16, 1
	v_cmp_o_f32_e64 s0, v31, v31
	v_add3_u32 v30, v31, v30, 0x7fff
	s_delay_alu instid0(VALU_DEP_1) | instskip(SKIP_1) | instid1(VALU_DEP_1)
	v_lshrrev_b32_e32 v30, 16, v30
	s_wait_alu 0xf1ff
	v_cndmask_b32_e64 v30, 0x7fc0, v30, s0
	ds_store_b16 v29, v30 offset:14
.LBB460_98:
	s_wait_alu 0xfffe
	s_or_b32 exec_lo, exec_lo, s25
	v_mul_u32_u24_e32 v29, 22, v0
	s_mov_b32 s1, exec_lo
	s_wait_loadcnt_dscnt 0x0
	s_barrier_signal -1
	s_barrier_wait -1
	global_inv scope:SCOPE_SE
	v_cmpx_ne_u32_e32 0, v0
	s_cbranch_execz .LBB460_102
; %bb.99:
	v_add_nc_u32_e32 v1, -1, v0
	s_delay_alu instid0(VALU_DEP_1) | instskip(NEXT) | instid1(VALU_DEP_1)
	v_lshrrev_b32_e32 v26, 4, v1
	v_and_b32_e32 v26, 0xffffffe, v26
	s_delay_alu instid0(VALU_DEP_1) | instskip(SKIP_3) | instid1(VALU_DEP_1)
	v_lshl_add_u32 v1, v1, 1, v26
	ds_load_u16 v1, v1
	s_wait_dscnt 0x0
	v_lshlrev_b32_e32 v26, 16, v1
	v_max_num_f32_e32 v1, v26, v26
	s_delay_alu instid0(VALU_DEP_1) | instskip(SKIP_3) | instid1(VALU_DEP_1)
	v_min_num_f32_e32 v27, v1, v28
	v_max_num_f32_e32 v1, v1, v28
	v_cmp_u_f32_e64 s0, v26, v26
	s_wait_alu 0xf1ff
	v_cndmask_b32_e64 v27, v27, v26, s0
	s_delay_alu instid0(VALU_DEP_3) | instskip(NEXT) | instid1(VALU_DEP_2)
	v_cndmask_b32_e64 v1, v1, v26, s0
	v_cndmask_b32_e64 v27, v27, v25, s24
	s_delay_alu instid0(VALU_DEP_2) | instskip(NEXT) | instid1(VALU_DEP_2)
	v_cndmask_b32_e64 v1, v1, v25, s24
	v_cmp_class_f32_e64 s24, v27, 0x1f8
	s_delay_alu instid0(VALU_DEP_2)
	v_cmp_neq_f32_e64 s0, v27, v1
	s_or_b32 s0, s0, s24
	s_wait_alu 0xfffe
	s_and_saveexec_b32 s24, s0
	s_cbranch_execz .LBB460_101
; %bb.100:
	v_sub_f32_e32 v25, v27, v1
	s_delay_alu instid0(VALU_DEP_1) | instskip(NEXT) | instid1(VALU_DEP_1)
	v_mul_f32_e32 v26, 0x3fb8aa3b, v25
	v_fma_f32 v27, 0x3fb8aa3b, v25, -v26
	v_rndne_f32_e32 v28, v26
	s_delay_alu instid0(VALU_DEP_1) | instskip(SKIP_1) | instid1(VALU_DEP_2)
	v_dual_sub_f32 v26, v26, v28 :: v_dual_fmamk_f32 v27, v25, 0x32a5705f, v27
	v_cmp_ngt_f32_e64 s0, 0xc2ce8ed0, v25
	v_add_f32_e32 v26, v26, v27
	v_cvt_i32_f32_e32 v27, v28
	s_delay_alu instid0(VALU_DEP_2) | instskip(NEXT) | instid1(TRANS32_DEP_1)
	v_exp_f32_e32 v26, v26
	v_ldexp_f32 v26, v26, v27
	s_wait_alu 0xf1ff
	s_delay_alu instid0(VALU_DEP_1) | instskip(SKIP_2) | instid1(VALU_DEP_1)
	v_cndmask_b32_e64 v26, 0, v26, s0
	v_cmp_nlt_f32_e64 s0, 0x42b17218, v25
	s_wait_alu 0xf1ff
	v_cndmask_b32_e64 v27, 0x7f800000, v26, s0
	s_delay_alu instid0(VALU_DEP_1) | instskip(NEXT) | instid1(VALU_DEP_1)
	v_add_f32_e32 v28, 1.0, v27
	v_cvt_f64_f32_e32 v[25:26], v28
	s_delay_alu instid0(VALU_DEP_1) | instskip(SKIP_1) | instid1(VALU_DEP_1)
	v_frexp_exp_i32_f64_e32 v25, v[25:26]
	v_frexp_mant_f32_e32 v26, v28
	v_cmp_gt_f32_e64 s0, 0x3f2aaaab, v26
	v_add_f32_e32 v26, -1.0, v28
	s_delay_alu instid0(VALU_DEP_1) | instskip(NEXT) | instid1(VALU_DEP_1)
	v_dual_sub_f32 v31, v26, v28 :: v_dual_sub_f32 v26, v27, v26
	v_add_f32_e32 v31, 1.0, v31
	s_delay_alu instid0(VALU_DEP_1)
	v_add_f32_e32 v26, v26, v31
	s_wait_alu 0xf1ff
	v_subrev_co_ci_u32_e64 v25, null, 0, v25, s0
	s_mov_b32 s0, 0x3e9b6dac
	v_sub_nc_u32_e32 v30, 0, v25
	v_cvt_f32_i32_e32 v25, v25
	s_delay_alu instid0(VALU_DEP_2) | instskip(SKIP_1) | instid1(VALU_DEP_2)
	v_ldexp_f32 v28, v28, v30
	v_ldexp_f32 v26, v26, v30
	v_add_f32_e32 v32, 1.0, v28
	s_delay_alu instid0(VALU_DEP_1) | instskip(NEXT) | instid1(VALU_DEP_1)
	v_add_f32_e32 v31, -1.0, v32
	v_dual_sub_f32 v31, v28, v31 :: v_dual_add_f32 v30, -1.0, v28
	s_delay_alu instid0(VALU_DEP_1) | instskip(NEXT) | instid1(VALU_DEP_2)
	v_add_f32_e32 v31, v26, v31
	v_add_f32_e32 v33, 1.0, v30
	s_delay_alu instid0(VALU_DEP_1) | instskip(NEXT) | instid1(VALU_DEP_1)
	v_sub_f32_e32 v28, v28, v33
	v_dual_add_f32 v33, v32, v31 :: v_dual_add_f32 v26, v26, v28
	s_delay_alu instid0(VALU_DEP_1) | instskip(SKIP_1) | instid1(VALU_DEP_1)
	v_rcp_f32_e32 v28, v33
	v_sub_f32_e32 v32, v32, v33
	v_dual_add_f32 v34, v30, v26 :: v_dual_add_f32 v31, v31, v32
	s_delay_alu instid0(TRANS32_DEP_1) | instid1(VALU_DEP_1)
	v_mul_f32_e32 v35, v34, v28
	s_delay_alu instid0(VALU_DEP_1) | instskip(NEXT) | instid1(VALU_DEP_1)
	v_mul_f32_e32 v36, v33, v35
	v_fma_f32 v32, v35, v33, -v36
	s_delay_alu instid0(VALU_DEP_1) | instskip(NEXT) | instid1(VALU_DEP_1)
	v_fmac_f32_e32 v32, v35, v31
	v_dual_add_f32 v37, v36, v32 :: v_dual_sub_f32 v30, v30, v34
	s_delay_alu instid0(VALU_DEP_1) | instskip(NEXT) | instid1(VALU_DEP_2)
	v_sub_f32_e32 v38, v34, v37
	v_add_f32_e32 v26, v26, v30
	v_sub_f32_e32 v30, v37, v36
	s_delay_alu instid0(VALU_DEP_3) | instskip(NEXT) | instid1(VALU_DEP_2)
	v_sub_f32_e32 v34, v34, v38
	v_sub_f32_e32 v30, v30, v32
	s_delay_alu instid0(VALU_DEP_2) | instskip(NEXT) | instid1(VALU_DEP_1)
	v_sub_f32_e32 v34, v34, v37
	v_add_f32_e32 v26, v26, v34
	s_delay_alu instid0(VALU_DEP_1) | instskip(NEXT) | instid1(VALU_DEP_1)
	v_add_f32_e32 v26, v30, v26
	v_add_f32_e32 v30, v38, v26
	s_delay_alu instid0(VALU_DEP_1) | instskip(NEXT) | instid1(VALU_DEP_1)
	v_mul_f32_e32 v32, v28, v30
	v_mul_f32_e32 v34, v33, v32
	s_delay_alu instid0(VALU_DEP_1) | instskip(NEXT) | instid1(VALU_DEP_1)
	v_fma_f32 v33, v32, v33, -v34
	v_fmac_f32_e32 v33, v32, v31
	v_sub_f32_e32 v37, v38, v30
	s_delay_alu instid0(VALU_DEP_2) | instskip(NEXT) | instid1(VALU_DEP_2)
	v_add_f32_e32 v31, v34, v33
	v_add_f32_e32 v26, v26, v37
	s_delay_alu instid0(VALU_DEP_2) | instskip(SKIP_1) | instid1(VALU_DEP_2)
	v_sub_f32_e32 v36, v30, v31
	v_sub_f32_e32 v34, v31, v34
	;; [unrolled: 1-line block ×3, first 2 shown]
	s_delay_alu instid0(VALU_DEP_1) | instskip(NEXT) | instid1(VALU_DEP_3)
	v_sub_f32_e32 v30, v30, v31
	v_sub_f32_e32 v31, v34, v33
	s_delay_alu instid0(VALU_DEP_2) | instskip(SKIP_1) | instid1(VALU_DEP_1)
	v_add_f32_e32 v26, v26, v30
	v_add_f32_e32 v30, v35, v32
	v_dual_add_f32 v26, v31, v26 :: v_dual_sub_f32 v31, v30, v35
	s_delay_alu instid0(VALU_DEP_1) | instskip(NEXT) | instid1(VALU_DEP_2)
	v_add_f32_e32 v26, v36, v26
	v_sub_f32_e32 v31, v32, v31
	s_delay_alu instid0(VALU_DEP_2) | instskip(NEXT) | instid1(VALU_DEP_1)
	v_mul_f32_e32 v26, v28, v26
	v_add_f32_e32 v26, v31, v26
	s_delay_alu instid0(VALU_DEP_1) | instskip(NEXT) | instid1(VALU_DEP_1)
	v_add_f32_e32 v28, v30, v26
	v_mul_f32_e32 v31, v28, v28
	s_wait_alu 0xfffe
	s_delay_alu instid0(VALU_DEP_1) | instskip(SKIP_2) | instid1(VALU_DEP_3)
	v_fmaak_f32 v32, s0, v31, 0x3ecc95a3
	v_mul_f32_e32 v33, v28, v31
	v_cmp_neq_f32_e64 s0, 0x7f800000, v27
	v_fmaak_f32 v31, v31, v32, 0x3f2aaada
	v_ldexp_f32 v32, v28, 1
	s_delay_alu instid0(VALU_DEP_2) | instskip(NEXT) | instid1(VALU_DEP_1)
	v_dual_sub_f32 v28, v28, v30 :: v_dual_mul_f32 v31, v33, v31
	v_dual_mul_f32 v33, 0x3f317218, v25 :: v_dual_sub_f32 v26, v26, v28
	s_delay_alu instid0(VALU_DEP_2) | instskip(NEXT) | instid1(VALU_DEP_2)
	v_add_f32_e32 v30, v32, v31
	v_ldexp_f32 v26, v26, 1
	s_delay_alu instid0(VALU_DEP_2) | instskip(NEXT) | instid1(VALU_DEP_4)
	v_sub_f32_e32 v28, v30, v32
	v_fma_f32 v32, 0x3f317218, v25, -v33
	s_delay_alu instid0(VALU_DEP_1) | instskip(NEXT) | instid1(VALU_DEP_1)
	v_dual_sub_f32 v28, v31, v28 :: v_dual_fmamk_f32 v25, v25, 0xb102e308, v32
	v_add_f32_e32 v26, v26, v28
	s_delay_alu instid0(VALU_DEP_1) | instskip(NEXT) | instid1(VALU_DEP_1)
	v_dual_add_f32 v28, v33, v25 :: v_dual_add_f32 v31, v30, v26
	v_sub_f32_e32 v33, v28, v33
	s_delay_alu instid0(VALU_DEP_2) | instskip(NEXT) | instid1(VALU_DEP_2)
	v_add_f32_e32 v32, v28, v31
	v_dual_sub_f32 v30, v31, v30 :: v_dual_sub_f32 v25, v25, v33
	s_delay_alu instid0(VALU_DEP_2) | instskip(NEXT) | instid1(VALU_DEP_2)
	v_sub_f32_e32 v34, v32, v28
	v_sub_f32_e32 v26, v26, v30
	s_delay_alu instid0(VALU_DEP_2) | instskip(SKIP_1) | instid1(VALU_DEP_2)
	v_sub_f32_e32 v35, v32, v34
	v_sub_f32_e32 v30, v31, v34
	v_dual_add_f32 v31, v25, v26 :: v_dual_sub_f32 v28, v28, v35
	s_delay_alu instid0(VALU_DEP_1) | instskip(NEXT) | instid1(VALU_DEP_2)
	v_add_f32_e32 v28, v30, v28
	v_sub_f32_e32 v30, v31, v25
	s_delay_alu instid0(VALU_DEP_2) | instskip(NEXT) | instid1(VALU_DEP_2)
	v_add_f32_e32 v28, v31, v28
	v_sub_f32_e32 v31, v31, v30
	s_delay_alu instid0(VALU_DEP_2) | instskip(NEXT) | instid1(VALU_DEP_2)
	v_dual_sub_f32 v26, v26, v30 :: v_dual_add_f32 v33, v32, v28
	v_sub_f32_e32 v25, v25, v31
	s_delay_alu instid0(VALU_DEP_1) | instskip(NEXT) | instid1(VALU_DEP_1)
	v_dual_sub_f32 v30, v33, v32 :: v_dual_add_f32 v25, v26, v25
	v_sub_f32_e32 v26, v28, v30
	s_delay_alu instid0(VALU_DEP_1) | instskip(NEXT) | instid1(VALU_DEP_1)
	v_add_f32_e32 v25, v25, v26
	v_add_f32_e32 v25, v33, v25
	s_wait_alu 0xf1ff
	s_delay_alu instid0(VALU_DEP_1) | instskip(SKIP_2) | instid1(VALU_DEP_1)
	v_cndmask_b32_e64 v25, 0x7f800000, v25, s0
	v_cmp_gt_f32_e64 s0, 0x33800000, |v27|
	s_wait_alu 0xf1ff
	v_cndmask_b32_e64 v25, v25, v27, s0
	s_delay_alu instid0(VALU_DEP_1)
	v_add_f32_e32 v26, v1, v25
.LBB460_101:
	s_wait_alu 0xfffe
	s_or_b32 exec_lo, exec_lo, s24
	s_delay_alu instid0(VALU_DEP_1) | instskip(SKIP_2) | instid1(VALU_DEP_2)
	v_bfe_u32 v1, v26, 16, 1
	v_cmp_o_f32_e64 s0, v26, v26
	;;#ASMSTART
	;;#ASMEND
	v_add3_u32 v1, v26, v1, 0x7fff
	s_delay_alu instid0(VALU_DEP_1) | instskip(SKIP_1) | instid1(VALU_DEP_1)
	v_lshrrev_b32_e32 v1, 16, v1
	s_wait_alu 0xf1ff
	v_cndmask_b32_e64 v1, 0x7fc0, v1, s0
	s_delay_alu instid0(VALU_DEP_1) | instskip(NEXT) | instid1(VALU_DEP_1)
	v_lshlrev_b32_e32 v25, 16, v1
	v_max_num_f32_e32 v27, v25, v25
	s_delay_alu instid0(VALU_DEP_1)
	v_min_num_f32_e32 v26, v27, v12
	v_max_num_f32_e32 v27, v27, v12
.LBB460_102:
	s_wait_alu 0xfffe
	s_or_b32 exec_lo, exec_lo, s1
	v_cmp_u_f32_e64 s0, v25, v25
	s_wait_alu 0xf1ff
	s_delay_alu instid0(VALU_DEP_1) | instskip(SKIP_1) | instid1(VALU_DEP_2)
	v_cndmask_b32_e64 v12, v26, v25, s0
	v_cndmask_b32_e64 v26, v27, v25, s0
	;; [unrolled: 1-line block ×3, first 2 shown]
	s_delay_alu instid0(VALU_DEP_2) | instskip(NEXT) | instid1(VALU_DEP_2)
	v_cndmask_b32_e64 v8, v26, v8, s13
	v_cmp_class_f32_e64 s1, v12, 0x1f8
	s_delay_alu instid0(VALU_DEP_2)
	v_cmp_neq_f32_e64 s0, v12, v8
	s_or_b32 s0, s0, s1
	s_wait_alu 0xfffe
	s_and_saveexec_b32 s1, s0
	s_cbranch_execz .LBB460_104
; %bb.103:
	v_sub_f32_e32 v12, v12, v8
	s_delay_alu instid0(VALU_DEP_1) | instskip(NEXT) | instid1(VALU_DEP_1)
	v_mul_f32_e32 v25, 0x3fb8aa3b, v12
	v_fma_f32 v26, 0x3fb8aa3b, v12, -v25
	v_rndne_f32_e32 v27, v25
	s_delay_alu instid0(VALU_DEP_1) | instskip(SKIP_1) | instid1(VALU_DEP_2)
	v_dual_sub_f32 v25, v25, v27 :: v_dual_fmamk_f32 v26, v12, 0x32a5705f, v26
	v_cmp_ngt_f32_e64 s0, 0xc2ce8ed0, v12
	v_add_f32_e32 v25, v25, v26
	v_cvt_i32_f32_e32 v26, v27
	s_delay_alu instid0(VALU_DEP_2) | instskip(NEXT) | instid1(TRANS32_DEP_1)
	v_exp_f32_e32 v25, v25
	v_ldexp_f32 v25, v25, v26
	s_wait_alu 0xf1ff
	s_delay_alu instid0(VALU_DEP_1) | instskip(SKIP_2) | instid1(VALU_DEP_1)
	v_cndmask_b32_e64 v25, 0, v25, s0
	v_cmp_nlt_f32_e64 s0, 0x42b17218, v12
	s_wait_alu 0xf1ff
	v_cndmask_b32_e64 v12, 0x7f800000, v25, s0
	s_delay_alu instid0(VALU_DEP_1) | instskip(NEXT) | instid1(VALU_DEP_1)
	v_add_f32_e32 v27, 1.0, v12
	v_cvt_f64_f32_e32 v[25:26], v27
	s_delay_alu instid0(VALU_DEP_1) | instskip(SKIP_1) | instid1(VALU_DEP_1)
	v_frexp_exp_i32_f64_e32 v25, v[25:26]
	v_frexp_mant_f32_e32 v26, v27
	v_cmp_gt_f32_e64 s0, 0x3f2aaaab, v26
	v_add_f32_e32 v26, -1.0, v27
	s_delay_alu instid0(VALU_DEP_1) | instskip(SKIP_1) | instid1(VALU_DEP_3)
	v_sub_f32_e32 v30, v26, v27
	s_wait_alu 0xf1ff
	v_subrev_co_ci_u32_e64 v25, null, 0, v25, s0
	s_mov_b32 s0, 0x3e9b6dac
	v_sub_nc_u32_e32 v28, 0, v25
	v_cvt_f32_i32_e32 v25, v25
	s_delay_alu instid0(VALU_DEP_2) | instskip(SKIP_1) | instid1(VALU_DEP_2)
	v_ldexp_f32 v27, v27, v28
	v_sub_f32_e32 v26, v12, v26
	v_dual_add_f32 v30, 1.0, v30 :: v_dual_add_f32 v31, 1.0, v27
	s_delay_alu instid0(VALU_DEP_1) | instskip(NEXT) | instid1(VALU_DEP_1)
	v_add_f32_e32 v26, v26, v30
	v_ldexp_f32 v26, v26, v28
	v_add_f32_e32 v28, -1.0, v27
	s_delay_alu instid0(VALU_DEP_4) | instskip(NEXT) | instid1(VALU_DEP_2)
	v_add_f32_e32 v30, -1.0, v31
	v_add_f32_e32 v32, 1.0, v28
	s_delay_alu instid0(VALU_DEP_2) | instskip(NEXT) | instid1(VALU_DEP_1)
	v_sub_f32_e32 v30, v27, v30
	v_dual_sub_f32 v27, v27, v32 :: v_dual_add_f32 v30, v26, v30
	s_delay_alu instid0(VALU_DEP_1) | instskip(NEXT) | instid1(VALU_DEP_2)
	v_add_f32_e32 v26, v26, v27
	v_add_f32_e32 v32, v31, v30
	s_delay_alu instid0(VALU_DEP_2) | instskip(NEXT) | instid1(VALU_DEP_2)
	v_add_f32_e32 v33, v28, v26
	v_rcp_f32_e32 v27, v32
	v_sub_f32_e32 v31, v31, v32
	s_delay_alu instid0(VALU_DEP_1) | instskip(NEXT) | instid1(TRANS32_DEP_1)
	v_add_f32_e32 v30, v30, v31
	v_mul_f32_e32 v34, v33, v27
	s_delay_alu instid0(VALU_DEP_1) | instskip(SKIP_1) | instid1(VALU_DEP_2)
	v_mul_f32_e32 v35, v32, v34
	v_sub_f32_e32 v28, v28, v33
	v_fma_f32 v31, v34, v32, -v35
	s_delay_alu instid0(VALU_DEP_2) | instskip(NEXT) | instid1(VALU_DEP_2)
	v_add_f32_e32 v26, v26, v28
	v_fmac_f32_e32 v31, v34, v30
	s_delay_alu instid0(VALU_DEP_1) | instskip(NEXT) | instid1(VALU_DEP_1)
	v_add_f32_e32 v36, v35, v31
	v_dual_sub_f32 v37, v33, v36 :: v_dual_sub_f32 v28, v36, v35
	s_delay_alu instid0(VALU_DEP_1) | instskip(NEXT) | instid1(VALU_DEP_1)
	v_dual_sub_f32 v33, v33, v37 :: v_dual_sub_f32 v28, v28, v31
	v_sub_f32_e32 v33, v33, v36
	s_delay_alu instid0(VALU_DEP_1) | instskip(NEXT) | instid1(VALU_DEP_1)
	v_add_f32_e32 v26, v26, v33
	v_add_f32_e32 v26, v28, v26
	s_delay_alu instid0(VALU_DEP_1) | instskip(NEXT) | instid1(VALU_DEP_1)
	v_add_f32_e32 v28, v37, v26
	v_mul_f32_e32 v31, v27, v28
	s_delay_alu instid0(VALU_DEP_1) | instskip(NEXT) | instid1(VALU_DEP_1)
	v_dual_sub_f32 v36, v37, v28 :: v_dual_mul_f32 v33, v32, v31
	v_add_f32_e32 v26, v26, v36
	s_delay_alu instid0(VALU_DEP_2) | instskip(NEXT) | instid1(VALU_DEP_1)
	v_fma_f32 v32, v31, v32, -v33
	v_fmac_f32_e32 v32, v31, v30
	s_delay_alu instid0(VALU_DEP_1) | instskip(NEXT) | instid1(VALU_DEP_1)
	v_add_f32_e32 v30, v33, v32
	v_sub_f32_e32 v35, v28, v30
	s_delay_alu instid0(VALU_DEP_1) | instskip(NEXT) | instid1(VALU_DEP_1)
	v_dual_sub_f32 v33, v30, v33 :: v_dual_sub_f32 v28, v28, v35
	v_sub_f32_e32 v28, v28, v30
	s_delay_alu instid0(VALU_DEP_2) | instskip(NEXT) | instid1(VALU_DEP_2)
	v_sub_f32_e32 v30, v33, v32
	v_add_f32_e32 v26, v26, v28
	v_add_f32_e32 v28, v34, v31
	s_delay_alu instid0(VALU_DEP_2) | instskip(NEXT) | instid1(VALU_DEP_2)
	v_add_f32_e32 v26, v30, v26
	v_sub_f32_e32 v30, v28, v34
	s_delay_alu instid0(VALU_DEP_2) | instskip(NEXT) | instid1(VALU_DEP_2)
	v_add_f32_e32 v26, v35, v26
	v_sub_f32_e32 v30, v31, v30
	s_delay_alu instid0(VALU_DEP_2) | instskip(NEXT) | instid1(VALU_DEP_1)
	v_mul_f32_e32 v26, v27, v26
	v_add_f32_e32 v26, v30, v26
	s_delay_alu instid0(VALU_DEP_1) | instskip(NEXT) | instid1(VALU_DEP_1)
	v_add_f32_e32 v27, v28, v26
	v_mul_f32_e32 v30, v27, v27
	s_wait_alu 0xfffe
	s_delay_alu instid0(VALU_DEP_1) | instskip(SKIP_2) | instid1(VALU_DEP_3)
	v_fmaak_f32 v31, s0, v30, 0x3ecc95a3
	v_mul_f32_e32 v32, v27, v30
	v_cmp_neq_f32_e64 s0, 0x7f800000, v12
	v_fmaak_f32 v30, v30, v31, 0x3f2aaada
	v_ldexp_f32 v31, v27, 1
	s_delay_alu instid0(VALU_DEP_2) | instskip(SKIP_1) | instid1(VALU_DEP_2)
	v_dual_sub_f32 v27, v27, v28 :: v_dual_mul_f32 v30, v32, v30
	v_mul_f32_e32 v32, 0x3f317218, v25
	v_sub_f32_e32 v26, v26, v27
	s_delay_alu instid0(VALU_DEP_3) | instskip(NEXT) | instid1(VALU_DEP_2)
	v_add_f32_e32 v28, v31, v30
	v_ldexp_f32 v26, v26, 1
	s_delay_alu instid0(VALU_DEP_2) | instskip(SKIP_1) | instid1(VALU_DEP_2)
	v_sub_f32_e32 v27, v28, v31
	v_fma_f32 v31, 0x3f317218, v25, -v32
	v_sub_f32_e32 v27, v30, v27
	s_delay_alu instid0(VALU_DEP_1) | instskip(NEXT) | instid1(VALU_DEP_1)
	v_dual_fmamk_f32 v25, v25, 0xb102e308, v31 :: v_dual_add_f32 v26, v26, v27
	v_add_f32_e32 v27, v32, v25
	s_delay_alu instid0(VALU_DEP_2) | instskip(NEXT) | instid1(VALU_DEP_2)
	v_add_f32_e32 v30, v28, v26
	v_sub_f32_e32 v32, v27, v32
	s_delay_alu instid0(VALU_DEP_2) | instskip(NEXT) | instid1(VALU_DEP_2)
	v_dual_add_f32 v31, v27, v30 :: v_dual_sub_f32 v28, v30, v28
	v_sub_f32_e32 v25, v25, v32
	s_delay_alu instid0(VALU_DEP_2) | instskip(NEXT) | instid1(VALU_DEP_1)
	v_dual_sub_f32 v33, v31, v27 :: v_dual_sub_f32 v26, v26, v28
	v_sub_f32_e32 v34, v31, v33
	v_sub_f32_e32 v28, v30, v33
	s_delay_alu instid0(VALU_DEP_3) | instskip(NEXT) | instid1(VALU_DEP_3)
	v_add_f32_e32 v30, v25, v26
	v_sub_f32_e32 v27, v27, v34
	s_delay_alu instid0(VALU_DEP_1) | instskip(NEXT) | instid1(VALU_DEP_1)
	v_dual_add_f32 v27, v28, v27 :: v_dual_sub_f32 v28, v30, v25
	v_add_f32_e32 v27, v30, v27
	s_delay_alu instid0(VALU_DEP_2) | instskip(SKIP_1) | instid1(VALU_DEP_2)
	v_sub_f32_e32 v30, v30, v28
	v_sub_f32_e32 v26, v26, v28
	v_dual_add_f32 v32, v31, v27 :: v_dual_sub_f32 v25, v25, v30
	s_delay_alu instid0(VALU_DEP_1) | instskip(NEXT) | instid1(VALU_DEP_1)
	v_dual_sub_f32 v28, v32, v31 :: v_dual_add_f32 v25, v26, v25
	v_sub_f32_e32 v26, v27, v28
	s_delay_alu instid0(VALU_DEP_1) | instskip(NEXT) | instid1(VALU_DEP_1)
	v_add_f32_e32 v25, v25, v26
	v_add_f32_e32 v25, v32, v25
	s_wait_alu 0xf1ff
	s_delay_alu instid0(VALU_DEP_1) | instskip(SKIP_2) | instid1(VALU_DEP_1)
	v_cndmask_b32_e64 v25, 0x7f800000, v25, s0
	v_cmp_gt_f32_e64 s0, 0x33800000, |v12|
	s_wait_alu 0xf1ff
	v_cndmask_b32_e64 v12, v25, v12, s0
	s_delay_alu instid0(VALU_DEP_1)
	v_add_f32_e32 v25, v8, v12
.LBB460_104:
	s_wait_alu 0xfffe
	s_or_b32 exec_lo, exec_lo, s1
	s_delay_alu instid0(VALU_DEP_1) | instskip(SKIP_1) | instid1(VALU_DEP_2)
	v_bfe_u32 v8, v25, 16, 1
	v_cmp_o_f32_e64 s0, v25, v25
	v_add3_u32 v8, v25, v8, 0x7fff
	s_delay_alu instid0(VALU_DEP_1) | instskip(SKIP_1) | instid1(VALU_DEP_1)
	v_lshrrev_b32_e32 v8, 16, v8
	s_wait_alu 0xf1ff
	v_cndmask_b32_e64 v8, 0x7fc0, v8, s0
	s_delay_alu instid0(VALU_DEP_1) | instskip(NEXT) | instid1(VALU_DEP_1)
	v_lshlrev_b32_e32 v12, 16, v8
	v_max_num_f32_e32 v25, v12, v12
	s_delay_alu instid0(VALU_DEP_1) | instskip(SKIP_3) | instid1(VALU_DEP_1)
	v_min_num_f32_e32 v26, v25, v11
	v_max_num_f32_e32 v11, v25, v11
	v_cmp_u_f32_e64 s0, v12, v12
	s_wait_alu 0xf1ff
	v_cndmask_b32_e64 v25, v26, v12, s0
	s_delay_alu instid0(VALU_DEP_3) | instskip(NEXT) | instid1(VALU_DEP_2)
	v_cndmask_b32_e64 v26, v11, v12, s0
	v_cndmask_b32_e64 v11, v25, v9, s14
	s_delay_alu instid0(VALU_DEP_2) | instskip(NEXT) | instid1(VALU_DEP_2)
	v_cndmask_b32_e64 v9, v26, v9, s14
	v_cmp_class_f32_e64 s1, v11, 0x1f8
	s_delay_alu instid0(VALU_DEP_2)
	v_cmp_neq_f32_e64 s0, v11, v9
	s_or_b32 s0, s0, s1
	s_wait_alu 0xfffe
	s_and_saveexec_b32 s1, s0
	s_cbranch_execz .LBB460_106
; %bb.105:
	v_sub_f32_e32 v11, v11, v9
	s_delay_alu instid0(VALU_DEP_1) | instskip(NEXT) | instid1(VALU_DEP_1)
	v_mul_f32_e32 v12, 0x3fb8aa3b, v11
	v_fma_f32 v25, 0x3fb8aa3b, v11, -v12
	v_rndne_f32_e32 v26, v12
	s_delay_alu instid0(VALU_DEP_1) | instskip(SKIP_1) | instid1(VALU_DEP_2)
	v_dual_sub_f32 v12, v12, v26 :: v_dual_fmamk_f32 v25, v11, 0x32a5705f, v25
	v_cmp_ngt_f32_e64 s0, 0xc2ce8ed0, v11
	v_add_f32_e32 v12, v12, v25
	v_cvt_i32_f32_e32 v25, v26
	s_delay_alu instid0(VALU_DEP_2) | instskip(NEXT) | instid1(TRANS32_DEP_1)
	v_exp_f32_e32 v12, v12
	v_ldexp_f32 v12, v12, v25
	s_wait_alu 0xf1ff
	s_delay_alu instid0(VALU_DEP_1) | instskip(SKIP_2) | instid1(VALU_DEP_1)
	v_cndmask_b32_e64 v12, 0, v12, s0
	v_cmp_nlt_f32_e64 s0, 0x42b17218, v11
	s_wait_alu 0xf1ff
	v_cndmask_b32_e64 v25, 0x7f800000, v12, s0
	s_delay_alu instid0(VALU_DEP_1) | instskip(NEXT) | instid1(VALU_DEP_1)
	v_add_f32_e32 v26, 1.0, v25
	v_cvt_f64_f32_e32 v[11:12], v26
	s_delay_alu instid0(VALU_DEP_1) | instskip(SKIP_1) | instid1(VALU_DEP_1)
	v_frexp_exp_i32_f64_e32 v11, v[11:12]
	v_frexp_mant_f32_e32 v12, v26
	v_cmp_gt_f32_e64 s0, 0x3f2aaaab, v12
	v_add_f32_e32 v12, -1.0, v26
	s_delay_alu instid0(VALU_DEP_1) | instskip(SKIP_1) | instid1(VALU_DEP_2)
	v_sub_f32_e32 v28, v12, v26
	v_sub_f32_e32 v12, v25, v12
	v_add_f32_e32 v28, 1.0, v28
	s_delay_alu instid0(VALU_DEP_1)
	v_add_f32_e32 v12, v12, v28
	s_wait_alu 0xf1ff
	v_subrev_co_ci_u32_e64 v11, null, 0, v11, s0
	s_mov_b32 s0, 0x3e9b6dac
	v_sub_nc_u32_e32 v27, 0, v11
	v_cvt_f32_i32_e32 v11, v11
	s_delay_alu instid0(VALU_DEP_2) | instskip(SKIP_1) | instid1(VALU_DEP_2)
	v_ldexp_f32 v26, v26, v27
	v_ldexp_f32 v12, v12, v27
	v_add_f32_e32 v30, 1.0, v26
	v_add_f32_e32 v27, -1.0, v26
	s_delay_alu instid0(VALU_DEP_1) | instskip(NEXT) | instid1(VALU_DEP_1)
	v_dual_add_f32 v28, -1.0, v30 :: v_dual_add_f32 v31, 1.0, v27
	v_sub_f32_e32 v28, v26, v28
	s_delay_alu instid0(VALU_DEP_2) | instskip(NEXT) | instid1(VALU_DEP_2)
	v_sub_f32_e32 v26, v26, v31
	v_add_f32_e32 v28, v12, v28
	s_delay_alu instid0(VALU_DEP_1) | instskip(NEXT) | instid1(VALU_DEP_1)
	v_add_f32_e32 v31, v30, v28
	v_sub_f32_e32 v30, v30, v31
	s_delay_alu instid0(VALU_DEP_1) | instskip(SKIP_2) | instid1(VALU_DEP_1)
	v_add_f32_e32 v28, v28, v30
	v_add_f32_e32 v12, v12, v26
	v_rcp_f32_e32 v26, v31
	v_add_f32_e32 v32, v27, v12
	s_delay_alu instid0(VALU_DEP_1) | instskip(NEXT) | instid1(TRANS32_DEP_1)
	v_sub_f32_e32 v27, v27, v32
	v_mul_f32_e32 v33, v32, v26
	s_delay_alu instid0(VALU_DEP_2) | instskip(NEXT) | instid1(VALU_DEP_2)
	v_add_f32_e32 v12, v12, v27
	v_mul_f32_e32 v34, v31, v33
	s_delay_alu instid0(VALU_DEP_1) | instskip(NEXT) | instid1(VALU_DEP_1)
	v_fma_f32 v30, v33, v31, -v34
	v_fmac_f32_e32 v30, v33, v28
	s_delay_alu instid0(VALU_DEP_1) | instskip(NEXT) | instid1(VALU_DEP_1)
	v_add_f32_e32 v35, v34, v30
	v_dual_sub_f32 v36, v32, v35 :: v_dual_sub_f32 v27, v35, v34
	s_delay_alu instid0(VALU_DEP_1) | instskip(NEXT) | instid1(VALU_DEP_1)
	v_dual_sub_f32 v32, v32, v36 :: v_dual_sub_f32 v27, v27, v30
	v_sub_f32_e32 v32, v32, v35
	s_delay_alu instid0(VALU_DEP_1) | instskip(NEXT) | instid1(VALU_DEP_1)
	v_add_f32_e32 v12, v12, v32
	v_add_f32_e32 v12, v27, v12
	s_delay_alu instid0(VALU_DEP_1) | instskip(NEXT) | instid1(VALU_DEP_1)
	v_add_f32_e32 v27, v36, v12
	v_mul_f32_e32 v30, v26, v27
	s_delay_alu instid0(VALU_DEP_1) | instskip(NEXT) | instid1(VALU_DEP_1)
	v_dual_sub_f32 v35, v36, v27 :: v_dual_mul_f32 v32, v31, v30
	v_add_f32_e32 v12, v12, v35
	s_delay_alu instid0(VALU_DEP_2) | instskip(NEXT) | instid1(VALU_DEP_1)
	v_fma_f32 v31, v30, v31, -v32
	v_fmac_f32_e32 v31, v30, v28
	s_delay_alu instid0(VALU_DEP_1) | instskip(NEXT) | instid1(VALU_DEP_1)
	v_add_f32_e32 v28, v32, v31
	v_sub_f32_e32 v34, v27, v28
	s_delay_alu instid0(VALU_DEP_1) | instskip(NEXT) | instid1(VALU_DEP_1)
	v_dual_sub_f32 v32, v28, v32 :: v_dual_sub_f32 v27, v27, v34
	v_dual_sub_f32 v27, v27, v28 :: v_dual_sub_f32 v28, v32, v31
	s_delay_alu instid0(VALU_DEP_1) | instskip(NEXT) | instid1(VALU_DEP_1)
	v_dual_add_f32 v12, v12, v27 :: v_dual_add_f32 v27, v33, v30
	v_add_f32_e32 v12, v28, v12
	s_delay_alu instid0(VALU_DEP_2) | instskip(NEXT) | instid1(VALU_DEP_2)
	v_sub_f32_e32 v28, v27, v33
	v_add_f32_e32 v12, v34, v12
	s_delay_alu instid0(VALU_DEP_2) | instskip(NEXT) | instid1(VALU_DEP_2)
	v_sub_f32_e32 v28, v30, v28
	v_mul_f32_e32 v12, v26, v12
	s_delay_alu instid0(VALU_DEP_1) | instskip(NEXT) | instid1(VALU_DEP_1)
	v_add_f32_e32 v12, v28, v12
	v_add_f32_e32 v26, v27, v12
	s_delay_alu instid0(VALU_DEP_1) | instskip(SKIP_1) | instid1(VALU_DEP_1)
	v_mul_f32_e32 v28, v26, v26
	s_wait_alu 0xfffe
	v_fmaak_f32 v30, s0, v28, 0x3ecc95a3
	v_mul_f32_e32 v31, v26, v28
	v_cmp_neq_f32_e64 s0, 0x7f800000, v25
	s_delay_alu instid0(VALU_DEP_3) | instskip(SKIP_2) | instid1(VALU_DEP_3)
	v_fmaak_f32 v28, v28, v30, 0x3f2aaada
	v_ldexp_f32 v30, v26, 1
	v_sub_f32_e32 v26, v26, v27
	v_dual_mul_f32 v28, v31, v28 :: v_dual_mul_f32 v31, 0x3f317218, v11
	s_delay_alu instid0(VALU_DEP_1) | instskip(NEXT) | instid1(VALU_DEP_1)
	v_dual_sub_f32 v12, v12, v26 :: v_dual_add_f32 v27, v30, v28
	v_ldexp_f32 v12, v12, 1
	s_delay_alu instid0(VALU_DEP_2) | instskip(NEXT) | instid1(VALU_DEP_4)
	v_sub_f32_e32 v26, v27, v30
	v_fma_f32 v30, 0x3f317218, v11, -v31
	s_delay_alu instid0(VALU_DEP_1) | instskip(NEXT) | instid1(VALU_DEP_1)
	v_dual_sub_f32 v26, v28, v26 :: v_dual_fmamk_f32 v11, v11, 0xb102e308, v30
	v_add_f32_e32 v12, v12, v26
	s_delay_alu instid0(VALU_DEP_2) | instskip(NEXT) | instid1(VALU_DEP_1)
	v_add_f32_e32 v26, v31, v11
	v_dual_add_f32 v28, v27, v12 :: v_dual_sub_f32 v31, v26, v31
	s_delay_alu instid0(VALU_DEP_1) | instskip(NEXT) | instid1(VALU_DEP_1)
	v_dual_add_f32 v30, v26, v28 :: v_dual_sub_f32 v27, v28, v27
	v_dual_sub_f32 v11, v11, v31 :: v_dual_sub_f32 v32, v30, v26
	s_delay_alu instid0(VALU_DEP_1) | instskip(SKIP_1) | instid1(VALU_DEP_2)
	v_dual_sub_f32 v12, v12, v27 :: v_dual_sub_f32 v33, v30, v32
	v_sub_f32_e32 v27, v28, v32
	v_add_f32_e32 v28, v11, v12
	s_delay_alu instid0(VALU_DEP_3) | instskip(NEXT) | instid1(VALU_DEP_1)
	v_sub_f32_e32 v26, v26, v33
	v_dual_add_f32 v26, v27, v26 :: v_dual_sub_f32 v27, v28, v11
	s_delay_alu instid0(VALU_DEP_1) | instskip(NEXT) | instid1(VALU_DEP_2)
	v_add_f32_e32 v26, v28, v26
	v_sub_f32_e32 v28, v28, v27
	s_delay_alu instid0(VALU_DEP_2) | instskip(NEXT) | instid1(VALU_DEP_2)
	v_dual_sub_f32 v12, v12, v27 :: v_dual_add_f32 v31, v30, v26
	v_sub_f32_e32 v11, v11, v28
	s_delay_alu instid0(VALU_DEP_2) | instskip(NEXT) | instid1(VALU_DEP_2)
	v_sub_f32_e32 v27, v31, v30
	v_add_f32_e32 v11, v12, v11
	s_delay_alu instid0(VALU_DEP_2) | instskip(NEXT) | instid1(VALU_DEP_1)
	v_sub_f32_e32 v12, v26, v27
	v_add_f32_e32 v11, v11, v12
	s_delay_alu instid0(VALU_DEP_1) | instskip(SKIP_1) | instid1(VALU_DEP_1)
	v_add_f32_e32 v11, v31, v11
	s_wait_alu 0xf1ff
	v_cndmask_b32_e64 v11, 0x7f800000, v11, s0
	v_cmp_gt_f32_e64 s0, 0x33800000, |v25|
	s_wait_alu 0xf1ff
	s_delay_alu instid0(VALU_DEP_1) | instskip(NEXT) | instid1(VALU_DEP_1)
	v_cndmask_b32_e64 v11, v11, v25, s0
	v_add_f32_e32 v12, v9, v11
.LBB460_106:
	s_wait_alu 0xfffe
	s_or_b32 exec_lo, exec_lo, s1
	s_delay_alu instid0(VALU_DEP_1) | instskip(SKIP_1) | instid1(VALU_DEP_2)
	v_bfe_u32 v9, v12, 16, 1
	v_cmp_o_f32_e64 s0, v12, v12
	v_add3_u32 v9, v12, v9, 0x7fff
	s_delay_alu instid0(VALU_DEP_1) | instskip(SKIP_1) | instid1(VALU_DEP_1)
	v_lshrrev_b32_e32 v9, 16, v9
	s_wait_alu 0xf1ff
	v_cndmask_b32_e64 v9, 0x7fc0, v9, s0
	s_delay_alu instid0(VALU_DEP_1) | instskip(NEXT) | instid1(VALU_DEP_1)
	v_lshlrev_b32_e32 v11, 16, v9
	v_max_num_f32_e32 v12, v11, v11
	v_cmp_u_f32_e64 s0, v11, v11
	s_delay_alu instid0(VALU_DEP_2) | instskip(SKIP_2) | instid1(VALU_DEP_2)
	v_min_num_f32_e32 v25, v12, v13
	v_max_num_f32_e32 v12, v12, v13
	s_wait_alu 0xf1ff
	v_cndmask_b32_e64 v13, v25, v11, s0
	s_delay_alu instid0(VALU_DEP_2) | instskip(NEXT) | instid1(VALU_DEP_2)
	v_cndmask_b32_e64 v25, v12, v11, s0
	v_cndmask_b32_e64 v12, v13, v2, s15
	s_delay_alu instid0(VALU_DEP_2) | instskip(NEXT) | instid1(VALU_DEP_2)
	v_cndmask_b32_e64 v2, v25, v2, s15
	v_cmp_class_f32_e64 s1, v12, 0x1f8
	s_delay_alu instid0(VALU_DEP_2)
	v_cmp_neq_f32_e64 s0, v12, v2
	s_or_b32 s0, s0, s1
	s_wait_alu 0xfffe
	s_and_saveexec_b32 s1, s0
	s_cbranch_execz .LBB460_108
; %bb.107:
	v_sub_f32_e32 v11, v12, v2
	s_delay_alu instid0(VALU_DEP_1) | instskip(SKIP_1) | instid1(VALU_DEP_2)
	v_mul_f32_e32 v12, 0x3fb8aa3b, v11
	v_cmp_ngt_f32_e64 s0, 0xc2ce8ed0, v11
	v_fma_f32 v13, 0x3fb8aa3b, v11, -v12
	v_rndne_f32_e32 v25, v12
	s_delay_alu instid0(VALU_DEP_1) | instskip(NEXT) | instid1(VALU_DEP_1)
	v_dual_fmamk_f32 v13, v11, 0x32a5705f, v13 :: v_dual_sub_f32 v12, v12, v25
	v_add_f32_e32 v12, v12, v13
	v_cvt_i32_f32_e32 v13, v25
	s_delay_alu instid0(VALU_DEP_2) | instskip(NEXT) | instid1(TRANS32_DEP_1)
	v_exp_f32_e32 v12, v12
	v_ldexp_f32 v12, v12, v13
	s_wait_alu 0xf1ff
	s_delay_alu instid0(VALU_DEP_1) | instskip(SKIP_2) | instid1(VALU_DEP_1)
	v_cndmask_b32_e64 v12, 0, v12, s0
	v_cmp_nlt_f32_e64 s0, 0x42b17218, v11
	s_wait_alu 0xf1ff
	v_cndmask_b32_e64 v13, 0x7f800000, v12, s0
	s_delay_alu instid0(VALU_DEP_1) | instskip(NEXT) | instid1(VALU_DEP_1)
	v_add_f32_e32 v25, 1.0, v13
	v_cvt_f64_f32_e32 v[11:12], v25
	s_delay_alu instid0(VALU_DEP_1) | instskip(SKIP_1) | instid1(VALU_DEP_1)
	v_frexp_exp_i32_f64_e32 v11, v[11:12]
	v_frexp_mant_f32_e32 v12, v25
	v_cmp_gt_f32_e64 s0, 0x3f2aaaab, v12
	v_add_f32_e32 v12, -1.0, v25
	s_delay_alu instid0(VALU_DEP_1) | instskip(NEXT) | instid1(VALU_DEP_1)
	v_dual_sub_f32 v27, v12, v25 :: v_dual_sub_f32 v12, v13, v12
	v_add_f32_e32 v27, 1.0, v27
	s_wait_alu 0xf1ff
	v_subrev_co_ci_u32_e64 v11, null, 0, v11, s0
	s_mov_b32 s0, 0x3e9b6dac
	v_sub_nc_u32_e32 v26, 0, v11
	v_cvt_f32_i32_e32 v11, v11
	s_delay_alu instid0(VALU_DEP_2) | instskip(NEXT) | instid1(VALU_DEP_1)
	v_ldexp_f32 v25, v25, v26
	v_add_f32_e32 v28, 1.0, v25
	s_delay_alu instid0(VALU_DEP_1) | instskip(NEXT) | instid1(VALU_DEP_1)
	v_dual_add_f32 v12, v12, v27 :: v_dual_add_f32 v27, -1.0, v28
	v_ldexp_f32 v12, v12, v26
	s_delay_alu instid0(VALU_DEP_2) | instskip(NEXT) | instid1(VALU_DEP_1)
	v_dual_sub_f32 v27, v25, v27 :: v_dual_add_f32 v26, -1.0, v25
	v_dual_add_f32 v27, v12, v27 :: v_dual_add_f32 v30, 1.0, v26
	s_delay_alu instid0(VALU_DEP_1) | instskip(NEXT) | instid1(VALU_DEP_1)
	v_dual_sub_f32 v25, v25, v30 :: v_dual_add_f32 v30, v28, v27
	v_add_f32_e32 v12, v12, v25
	s_delay_alu instid0(VALU_DEP_2) | instskip(NEXT) | instid1(VALU_DEP_1)
	v_rcp_f32_e32 v25, v30
	v_dual_add_f32 v31, v26, v12 :: v_dual_sub_f32 v28, v28, v30
	s_delay_alu instid0(VALU_DEP_1) | instskip(NEXT) | instid1(TRANS32_DEP_1)
	v_dual_sub_f32 v26, v26, v31 :: v_dual_add_f32 v27, v27, v28
	v_mul_f32_e32 v32, v31, v25
	s_delay_alu instid0(VALU_DEP_1) | instskip(NEXT) | instid1(VALU_DEP_1)
	v_dual_mul_f32 v33, v30, v32 :: v_dual_add_f32 v12, v12, v26
	v_fma_f32 v28, v32, v30, -v33
	s_delay_alu instid0(VALU_DEP_1) | instskip(NEXT) | instid1(VALU_DEP_1)
	v_fmac_f32_e32 v28, v32, v27
	v_add_f32_e32 v34, v33, v28
	s_delay_alu instid0(VALU_DEP_1) | instskip(NEXT) | instid1(VALU_DEP_1)
	v_sub_f32_e32 v35, v31, v34
	v_dual_sub_f32 v31, v31, v35 :: v_dual_sub_f32 v26, v34, v33
	s_delay_alu instid0(VALU_DEP_1) | instskip(NEXT) | instid1(VALU_DEP_1)
	v_dual_sub_f32 v31, v31, v34 :: v_dual_sub_f32 v26, v26, v28
	v_add_f32_e32 v12, v12, v31
	s_delay_alu instid0(VALU_DEP_1) | instskip(NEXT) | instid1(VALU_DEP_1)
	v_add_f32_e32 v12, v26, v12
	v_add_f32_e32 v26, v35, v12
	s_delay_alu instid0(VALU_DEP_1) | instskip(NEXT) | instid1(VALU_DEP_1)
	v_mul_f32_e32 v28, v25, v26
	v_dual_sub_f32 v34, v35, v26 :: v_dual_mul_f32 v31, v30, v28
	s_delay_alu instid0(VALU_DEP_1) | instskip(NEXT) | instid1(VALU_DEP_2)
	v_add_f32_e32 v12, v12, v34
	v_fma_f32 v30, v28, v30, -v31
	s_delay_alu instid0(VALU_DEP_1) | instskip(NEXT) | instid1(VALU_DEP_1)
	v_fmac_f32_e32 v30, v28, v27
	v_add_f32_e32 v27, v31, v30
	s_delay_alu instid0(VALU_DEP_1) | instskip(NEXT) | instid1(VALU_DEP_1)
	v_sub_f32_e32 v33, v26, v27
	v_dual_sub_f32 v31, v27, v31 :: v_dual_sub_f32 v26, v26, v33
	s_delay_alu instid0(VALU_DEP_1) | instskip(NEXT) | instid1(VALU_DEP_1)
	v_dual_sub_f32 v26, v26, v27 :: v_dual_sub_f32 v27, v31, v30
	v_add_f32_e32 v12, v12, v26
	v_add_f32_e32 v26, v32, v28
	s_delay_alu instid0(VALU_DEP_2) | instskip(NEXT) | instid1(VALU_DEP_2)
	v_add_f32_e32 v12, v27, v12
	v_sub_f32_e32 v27, v26, v32
	s_delay_alu instid0(VALU_DEP_1) | instskip(NEXT) | instid1(VALU_DEP_1)
	v_dual_add_f32 v12, v33, v12 :: v_dual_sub_f32 v27, v28, v27
	v_mul_f32_e32 v12, v25, v12
	s_delay_alu instid0(VALU_DEP_1) | instskip(NEXT) | instid1(VALU_DEP_1)
	v_add_f32_e32 v12, v27, v12
	v_add_f32_e32 v25, v26, v12
	s_delay_alu instid0(VALU_DEP_1) | instskip(SKIP_1) | instid1(VALU_DEP_1)
	v_mul_f32_e32 v27, v25, v25
	s_wait_alu 0xfffe
	v_fmaak_f32 v28, s0, v27, 0x3ecc95a3
	v_mul_f32_e32 v30, v25, v27
	v_cmp_neq_f32_e64 s0, 0x7f800000, v13
	s_delay_alu instid0(VALU_DEP_3) | instskip(SKIP_2) | instid1(VALU_DEP_3)
	v_fmaak_f32 v27, v27, v28, 0x3f2aaada
	v_ldexp_f32 v28, v25, 1
	v_sub_f32_e32 v25, v25, v26
	v_mul_f32_e32 v27, v30, v27
	v_mul_f32_e32 v30, 0x3f317218, v11
	s_delay_alu instid0(VALU_DEP_3) | instskip(NEXT) | instid1(VALU_DEP_3)
	v_sub_f32_e32 v12, v12, v25
	v_add_f32_e32 v26, v28, v27
	s_delay_alu instid0(VALU_DEP_2) | instskip(NEXT) | instid1(VALU_DEP_2)
	v_ldexp_f32 v12, v12, 1
	v_sub_f32_e32 v25, v26, v28
	v_fma_f32 v28, 0x3f317218, v11, -v30
	s_delay_alu instid0(VALU_DEP_2) | instskip(NEXT) | instid1(VALU_DEP_1)
	v_sub_f32_e32 v25, v27, v25
	v_dual_fmamk_f32 v11, v11, 0xb102e308, v28 :: v_dual_add_f32 v12, v12, v25
	s_delay_alu instid0(VALU_DEP_1) | instskip(NEXT) | instid1(VALU_DEP_1)
	v_add_f32_e32 v25, v30, v11
	v_dual_add_f32 v27, v26, v12 :: v_dual_sub_f32 v30, v25, v30
	s_delay_alu instid0(VALU_DEP_1) | instskip(NEXT) | instid1(VALU_DEP_1)
	v_dual_add_f32 v28, v25, v27 :: v_dual_sub_f32 v11, v11, v30
	v_sub_f32_e32 v31, v28, v25
	s_delay_alu instid0(VALU_DEP_1) | instskip(NEXT) | instid1(VALU_DEP_1)
	v_sub_f32_e32 v32, v28, v31
	v_dual_sub_f32 v25, v25, v32 :: v_dual_sub_f32 v26, v27, v26
	s_delay_alu instid0(VALU_DEP_1) | instskip(SKIP_1) | instid1(VALU_DEP_2)
	v_sub_f32_e32 v12, v12, v26
	v_sub_f32_e32 v26, v27, v31
	v_add_f32_e32 v27, v11, v12
	s_delay_alu instid0(VALU_DEP_1) | instskip(NEXT) | instid1(VALU_DEP_1)
	v_dual_add_f32 v25, v26, v25 :: v_dual_sub_f32 v26, v27, v11
	v_add_f32_e32 v25, v27, v25
	s_delay_alu instid0(VALU_DEP_1) | instskip(NEXT) | instid1(VALU_DEP_1)
	v_dual_sub_f32 v27, v27, v26 :: v_dual_add_f32 v30, v28, v25
	v_dual_sub_f32 v12, v12, v26 :: v_dual_sub_f32 v11, v11, v27
	s_delay_alu instid0(VALU_DEP_1) | instskip(NEXT) | instid1(VALU_DEP_1)
	v_dual_sub_f32 v26, v30, v28 :: v_dual_add_f32 v11, v12, v11
	v_sub_f32_e32 v12, v25, v26
	s_delay_alu instid0(VALU_DEP_1) | instskip(NEXT) | instid1(VALU_DEP_1)
	v_add_f32_e32 v11, v11, v12
	v_add_f32_e32 v11, v30, v11
	s_wait_alu 0xf1ff
	s_delay_alu instid0(VALU_DEP_1) | instskip(SKIP_2) | instid1(VALU_DEP_1)
	v_cndmask_b32_e64 v11, 0x7f800000, v11, s0
	v_cmp_gt_f32_e64 s0, 0x33800000, |v13|
	s_wait_alu 0xf1ff
	v_cndmask_b32_e64 v11, v11, v13, s0
	s_delay_alu instid0(VALU_DEP_1)
	v_add_f32_e32 v11, v2, v11
.LBB460_108:
	s_wait_alu 0xfffe
	s_or_b32 exec_lo, exec_lo, s1
	s_delay_alu instid0(VALU_DEP_1) | instskip(SKIP_1) | instid1(VALU_DEP_2)
	v_bfe_u32 v2, v11, 16, 1
	v_cmp_o_f32_e64 s0, v11, v11
	v_add3_u32 v2, v11, v2, 0x7fff
	s_delay_alu instid0(VALU_DEP_1) | instskip(SKIP_1) | instid1(VALU_DEP_1)
	v_lshrrev_b32_e32 v2, 16, v2
	s_wait_alu 0xf1ff
	v_cndmask_b32_e64 v2, 0x7fc0, v2, s0
	s_delay_alu instid0(VALU_DEP_1) | instskip(NEXT) | instid1(VALU_DEP_1)
	v_lshlrev_b32_e32 v11, 16, v2
	v_max_num_f32_e32 v12, v11, v11
	s_delay_alu instid0(VALU_DEP_1) | instskip(SKIP_3) | instid1(VALU_DEP_1)
	v_min_num_f32_e32 v13, v12, v15
	v_max_num_f32_e32 v12, v12, v15
	v_cmp_u_f32_e64 s0, v11, v11
	s_wait_alu 0xf1ff
	v_cndmask_b32_e64 v13, v13, v11, s0
	s_delay_alu instid0(VALU_DEP_3) | instskip(NEXT) | instid1(VALU_DEP_2)
	v_cndmask_b32_e64 v15, v12, v11, s0
	v_cndmask_b32_e64 v12, v13, v10, s16
	s_delay_alu instid0(VALU_DEP_2) | instskip(NEXT) | instid1(VALU_DEP_2)
	v_cndmask_b32_e64 v10, v15, v10, s16
	v_cmp_class_f32_e64 s1, v12, 0x1f8
	s_delay_alu instid0(VALU_DEP_2)
	v_cmp_neq_f32_e64 s0, v12, v10
	s_or_b32 s0, s0, s1
	s_wait_alu 0xfffe
	s_and_saveexec_b32 s1, s0
	s_cbranch_execz .LBB460_110
; %bb.109:
	v_sub_f32_e32 v11, v12, v10
	s_delay_alu instid0(VALU_DEP_1) | instskip(SKIP_1) | instid1(VALU_DEP_2)
	v_mul_f32_e32 v12, 0x3fb8aa3b, v11
	v_cmp_ngt_f32_e64 s0, 0xc2ce8ed0, v11
	v_fma_f32 v13, 0x3fb8aa3b, v11, -v12
	v_rndne_f32_e32 v15, v12
	s_delay_alu instid0(VALU_DEP_1) | instskip(NEXT) | instid1(VALU_DEP_1)
	v_dual_fmamk_f32 v13, v11, 0x32a5705f, v13 :: v_dual_sub_f32 v12, v12, v15
	v_add_f32_e32 v12, v12, v13
	v_cvt_i32_f32_e32 v13, v15
	s_delay_alu instid0(VALU_DEP_2) | instskip(NEXT) | instid1(TRANS32_DEP_1)
	v_exp_f32_e32 v12, v12
	v_ldexp_f32 v12, v12, v13
	s_wait_alu 0xf1ff
	s_delay_alu instid0(VALU_DEP_1) | instskip(SKIP_2) | instid1(VALU_DEP_1)
	v_cndmask_b32_e64 v12, 0, v12, s0
	v_cmp_nlt_f32_e64 s0, 0x42b17218, v11
	s_wait_alu 0xf1ff
	v_cndmask_b32_e64 v13, 0x7f800000, v12, s0
	s_delay_alu instid0(VALU_DEP_1) | instskip(NEXT) | instid1(VALU_DEP_1)
	v_add_f32_e32 v15, 1.0, v13
	v_cvt_f64_f32_e32 v[11:12], v15
	s_delay_alu instid0(VALU_DEP_1) | instskip(SKIP_1) | instid1(VALU_DEP_1)
	v_frexp_exp_i32_f64_e32 v11, v[11:12]
	v_frexp_mant_f32_e32 v12, v15
	v_cmp_gt_f32_e64 s0, 0x3f2aaaab, v12
	v_add_f32_e32 v12, -1.0, v15
	s_delay_alu instid0(VALU_DEP_1) | instskip(NEXT) | instid1(VALU_DEP_1)
	v_sub_f32_e32 v26, v12, v15
	v_add_f32_e32 v26, 1.0, v26
	s_wait_alu 0xf1ff
	v_subrev_co_ci_u32_e64 v11, null, 0, v11, s0
	s_mov_b32 s0, 0x3e9b6dac
	v_sub_nc_u32_e32 v25, 0, v11
	v_cvt_f32_i32_e32 v11, v11
	s_delay_alu instid0(VALU_DEP_2) | instskip(NEXT) | instid1(VALU_DEP_1)
	v_ldexp_f32 v15, v15, v25
	v_dual_sub_f32 v12, v13, v12 :: v_dual_add_f32 v27, 1.0, v15
	s_delay_alu instid0(VALU_DEP_1) | instskip(NEXT) | instid1(VALU_DEP_1)
	v_add_f32_e32 v12, v12, v26
	v_ldexp_f32 v12, v12, v25
	v_add_f32_e32 v25, -1.0, v15
	s_delay_alu instid0(VALU_DEP_4) | instskip(NEXT) | instid1(VALU_DEP_2)
	v_add_f32_e32 v26, -1.0, v27
	v_add_f32_e32 v28, 1.0, v25
	s_delay_alu instid0(VALU_DEP_2) | instskip(NEXT) | instid1(VALU_DEP_1)
	v_sub_f32_e32 v26, v15, v26
	v_dual_sub_f32 v15, v15, v28 :: v_dual_add_f32 v26, v12, v26
	s_delay_alu instid0(VALU_DEP_1) | instskip(NEXT) | instid1(VALU_DEP_2)
	v_add_f32_e32 v12, v12, v15
	v_add_f32_e32 v28, v27, v26
	s_delay_alu instid0(VALU_DEP_2) | instskip(NEXT) | instid1(VALU_DEP_2)
	v_add_f32_e32 v30, v25, v12
	v_rcp_f32_e32 v15, v28
	v_sub_f32_e32 v27, v27, v28
	s_delay_alu instid0(VALU_DEP_1)
	v_dual_sub_f32 v25, v25, v30 :: v_dual_add_f32 v26, v26, v27
	s_delay_alu instid0(TRANS32_DEP_1) | instid1(VALU_DEP_1)
	v_dual_add_f32 v12, v12, v25 :: v_dual_mul_f32 v31, v30, v15
	s_delay_alu instid0(VALU_DEP_1) | instskip(NEXT) | instid1(VALU_DEP_1)
	v_mul_f32_e32 v32, v28, v31
	v_fma_f32 v27, v31, v28, -v32
	s_delay_alu instid0(VALU_DEP_1) | instskip(NEXT) | instid1(VALU_DEP_1)
	v_fmac_f32_e32 v27, v31, v26
	v_add_f32_e32 v33, v32, v27
	s_delay_alu instid0(VALU_DEP_1) | instskip(NEXT) | instid1(VALU_DEP_1)
	v_dual_sub_f32 v34, v30, v33 :: v_dual_sub_f32 v25, v33, v32
	v_dual_sub_f32 v30, v30, v34 :: v_dual_sub_f32 v25, v25, v27
	s_delay_alu instid0(VALU_DEP_1) | instskip(NEXT) | instid1(VALU_DEP_1)
	v_sub_f32_e32 v30, v30, v33
	v_add_f32_e32 v12, v12, v30
	s_delay_alu instid0(VALU_DEP_1) | instskip(NEXT) | instid1(VALU_DEP_1)
	v_add_f32_e32 v12, v25, v12
	v_add_f32_e32 v25, v34, v12
	s_delay_alu instid0(VALU_DEP_1) | instskip(NEXT) | instid1(VALU_DEP_1)
	v_mul_f32_e32 v27, v15, v25
	v_dual_sub_f32 v33, v34, v25 :: v_dual_mul_f32 v30, v28, v27
	s_delay_alu instid0(VALU_DEP_1) | instskip(NEXT) | instid1(VALU_DEP_2)
	v_add_f32_e32 v12, v12, v33
	v_fma_f32 v28, v27, v28, -v30
	s_delay_alu instid0(VALU_DEP_1) | instskip(NEXT) | instid1(VALU_DEP_1)
	v_fmac_f32_e32 v28, v27, v26
	v_add_f32_e32 v26, v30, v28
	s_delay_alu instid0(VALU_DEP_1) | instskip(NEXT) | instid1(VALU_DEP_1)
	v_sub_f32_e32 v32, v25, v26
	v_dual_sub_f32 v30, v26, v30 :: v_dual_sub_f32 v25, v25, v32
	s_delay_alu instid0(VALU_DEP_1) | instskip(NEXT) | instid1(VALU_DEP_1)
	v_dual_sub_f32 v25, v25, v26 :: v_dual_sub_f32 v26, v30, v28
	v_dual_add_f32 v12, v12, v25 :: v_dual_add_f32 v25, v31, v27
	s_delay_alu instid0(VALU_DEP_1) | instskip(NEXT) | instid1(VALU_DEP_2)
	v_add_f32_e32 v12, v26, v12
	v_sub_f32_e32 v26, v25, v31
	s_delay_alu instid0(VALU_DEP_2) | instskip(NEXT) | instid1(VALU_DEP_2)
	v_add_f32_e32 v12, v32, v12
	v_sub_f32_e32 v26, v27, v26
	s_delay_alu instid0(VALU_DEP_2) | instskip(NEXT) | instid1(VALU_DEP_1)
	v_mul_f32_e32 v12, v15, v12
	v_add_f32_e32 v12, v26, v12
	s_delay_alu instid0(VALU_DEP_1) | instskip(NEXT) | instid1(VALU_DEP_1)
	v_add_f32_e32 v15, v25, v12
	v_mul_f32_e32 v26, v15, v15
	s_wait_alu 0xfffe
	s_delay_alu instid0(VALU_DEP_1) | instskip(SKIP_2) | instid1(VALU_DEP_3)
	v_fmaak_f32 v27, s0, v26, 0x3ecc95a3
	v_mul_f32_e32 v28, v15, v26
	v_cmp_neq_f32_e64 s0, 0x7f800000, v13
	v_fmaak_f32 v26, v26, v27, 0x3f2aaada
	v_ldexp_f32 v27, v15, 1
	s_delay_alu instid0(VALU_DEP_2) | instskip(SKIP_1) | instid1(VALU_DEP_2)
	v_dual_sub_f32 v15, v15, v25 :: v_dual_mul_f32 v26, v28, v26
	v_mul_f32_e32 v28, 0x3f317218, v11
	v_dual_sub_f32 v12, v12, v15 :: v_dual_add_f32 v25, v27, v26
	s_delay_alu instid0(VALU_DEP_1) | instskip(NEXT) | instid1(VALU_DEP_2)
	v_ldexp_f32 v12, v12, 1
	v_sub_f32_e32 v15, v25, v27
	s_delay_alu instid0(VALU_DEP_4) | instskip(NEXT) | instid1(VALU_DEP_2)
	v_fma_f32 v27, 0x3f317218, v11, -v28
	v_sub_f32_e32 v15, v26, v15
	s_delay_alu instid0(VALU_DEP_1) | instskip(NEXT) | instid1(VALU_DEP_1)
	v_dual_fmamk_f32 v11, v11, 0xb102e308, v27 :: v_dual_add_f32 v12, v12, v15
	v_dual_add_f32 v15, v28, v11 :: v_dual_add_f32 v26, v25, v12
	s_delay_alu instid0(VALU_DEP_1) | instskip(NEXT) | instid1(VALU_DEP_2)
	v_sub_f32_e32 v28, v15, v28
	v_add_f32_e32 v27, v15, v26
	v_sub_f32_e32 v25, v26, v25
	s_delay_alu instid0(VALU_DEP_3) | instskip(NEXT) | instid1(VALU_DEP_3)
	v_sub_f32_e32 v11, v11, v28
	v_sub_f32_e32 v30, v27, v15
	s_delay_alu instid0(VALU_DEP_1) | instskip(NEXT) | instid1(VALU_DEP_1)
	v_dual_sub_f32 v12, v12, v25 :: v_dual_sub_f32 v31, v27, v30
	v_dual_sub_f32 v25, v26, v30 :: v_dual_add_f32 v26, v11, v12
	s_delay_alu instid0(VALU_DEP_2) | instskip(NEXT) | instid1(VALU_DEP_1)
	v_sub_f32_e32 v15, v15, v31
	v_add_f32_e32 v15, v25, v15
	s_delay_alu instid0(VALU_DEP_3) | instskip(NEXT) | instid1(VALU_DEP_2)
	v_sub_f32_e32 v25, v26, v11
	v_add_f32_e32 v15, v26, v15
	s_delay_alu instid0(VALU_DEP_2) | instskip(SKIP_1) | instid1(VALU_DEP_3)
	v_sub_f32_e32 v26, v26, v25
	v_sub_f32_e32 v12, v12, v25
	v_add_f32_e32 v28, v27, v15
	s_delay_alu instid0(VALU_DEP_3) | instskip(NEXT) | instid1(VALU_DEP_2)
	v_sub_f32_e32 v11, v11, v26
	v_sub_f32_e32 v25, v28, v27
	s_delay_alu instid0(VALU_DEP_1) | instskip(NEXT) | instid1(VALU_DEP_1)
	v_dual_add_f32 v11, v12, v11 :: v_dual_sub_f32 v12, v15, v25
	v_add_f32_e32 v11, v11, v12
	s_delay_alu instid0(VALU_DEP_1) | instskip(SKIP_1) | instid1(VALU_DEP_1)
	v_add_f32_e32 v11, v28, v11
	s_wait_alu 0xf1ff
	v_cndmask_b32_e64 v11, 0x7f800000, v11, s0
	v_cmp_gt_f32_e64 s0, 0x33800000, |v13|
	s_wait_alu 0xf1ff
	s_delay_alu instid0(VALU_DEP_1) | instskip(NEXT) | instid1(VALU_DEP_1)
	v_cndmask_b32_e64 v11, v11, v13, s0
	v_add_f32_e32 v11, v10, v11
.LBB460_110:
	s_wait_alu 0xfffe
	s_or_b32 exec_lo, exec_lo, s1
	s_delay_alu instid0(VALU_DEP_1) | instskip(SKIP_1) | instid1(VALU_DEP_2)
	v_bfe_u32 v10, v11, 16, 1
	v_cmp_o_f32_e64 s0, v11, v11
	v_add3_u32 v10, v11, v10, 0x7fff
	s_delay_alu instid0(VALU_DEP_1) | instskip(SKIP_1) | instid1(VALU_DEP_1)
	v_lshrrev_b32_e32 v10, 16, v10
	s_wait_alu 0xf1ff
	v_cndmask_b32_e64 v10, 0x7fc0, v10, s0
	s_delay_alu instid0(VALU_DEP_1) | instskip(NEXT) | instid1(VALU_DEP_1)
	v_lshlrev_b32_e32 v11, 16, v10
	v_max_num_f32_e32 v12, v11, v11
	s_delay_alu instid0(VALU_DEP_1) | instskip(SKIP_3) | instid1(VALU_DEP_1)
	v_min_num_f32_e32 v13, v12, v16
	v_max_num_f32_e32 v12, v12, v16
	v_cmp_u_f32_e64 s0, v11, v11
	s_wait_alu 0xf1ff
	v_cndmask_b32_e64 v13, v13, v11, s0
	s_delay_alu instid0(VALU_DEP_3) | instskip(NEXT) | instid1(VALU_DEP_2)
	v_cndmask_b32_e64 v15, v12, v11, s0
	v_cndmask_b32_e64 v12, v13, v3, s17
	s_delay_alu instid0(VALU_DEP_2) | instskip(NEXT) | instid1(VALU_DEP_2)
	v_cndmask_b32_e64 v3, v15, v3, s17
	v_cmp_class_f32_e64 s1, v12, 0x1f8
	s_delay_alu instid0(VALU_DEP_2)
	v_cmp_neq_f32_e64 s0, v12, v3
	s_or_b32 s0, s0, s1
	s_wait_alu 0xfffe
	s_and_saveexec_b32 s1, s0
	s_cbranch_execz .LBB460_112
; %bb.111:
	v_sub_f32_e32 v11, v12, v3
	s_delay_alu instid0(VALU_DEP_1) | instskip(SKIP_1) | instid1(VALU_DEP_2)
	v_mul_f32_e32 v12, 0x3fb8aa3b, v11
	v_cmp_ngt_f32_e64 s0, 0xc2ce8ed0, v11
	v_fma_f32 v13, 0x3fb8aa3b, v11, -v12
	v_rndne_f32_e32 v15, v12
	s_delay_alu instid0(VALU_DEP_1) | instskip(NEXT) | instid1(VALU_DEP_1)
	v_dual_fmamk_f32 v13, v11, 0x32a5705f, v13 :: v_dual_sub_f32 v12, v12, v15
	v_add_f32_e32 v12, v12, v13
	v_cvt_i32_f32_e32 v13, v15
	s_delay_alu instid0(VALU_DEP_2) | instskip(NEXT) | instid1(TRANS32_DEP_1)
	v_exp_f32_e32 v12, v12
	v_ldexp_f32 v12, v12, v13
	s_wait_alu 0xf1ff
	s_delay_alu instid0(VALU_DEP_1) | instskip(SKIP_2) | instid1(VALU_DEP_1)
	v_cndmask_b32_e64 v12, 0, v12, s0
	v_cmp_nlt_f32_e64 s0, 0x42b17218, v11
	s_wait_alu 0xf1ff
	v_cndmask_b32_e64 v13, 0x7f800000, v12, s0
	s_delay_alu instid0(VALU_DEP_1) | instskip(NEXT) | instid1(VALU_DEP_1)
	v_add_f32_e32 v15, 1.0, v13
	v_cvt_f64_f32_e32 v[11:12], v15
	s_delay_alu instid0(VALU_DEP_1) | instskip(SKIP_1) | instid1(VALU_DEP_1)
	v_frexp_exp_i32_f64_e32 v11, v[11:12]
	v_frexp_mant_f32_e32 v12, v15
	v_cmp_gt_f32_e64 s0, 0x3f2aaaab, v12
	v_add_f32_e32 v12, -1.0, v15
	s_delay_alu instid0(VALU_DEP_1) | instskip(NEXT) | instid1(VALU_DEP_1)
	v_sub_f32_e32 v25, v12, v15
	v_dual_add_f32 v25, 1.0, v25 :: v_dual_sub_f32 v12, v13, v12
	s_delay_alu instid0(VALU_DEP_1)
	v_add_f32_e32 v12, v12, v25
	s_wait_alu 0xf1ff
	v_subrev_co_ci_u32_e64 v11, null, 0, v11, s0
	s_mov_b32 s0, 0x3e9b6dac
	v_sub_nc_u32_e32 v16, 0, v11
	v_cvt_f32_i32_e32 v11, v11
	s_delay_alu instid0(VALU_DEP_2) | instskip(SKIP_1) | instid1(VALU_DEP_2)
	v_ldexp_f32 v15, v15, v16
	v_ldexp_f32 v12, v12, v16
	v_add_f32_e32 v26, 1.0, v15
	s_delay_alu instid0(VALU_DEP_1) | instskip(NEXT) | instid1(VALU_DEP_1)
	v_add_f32_e32 v25, -1.0, v26
	v_dual_sub_f32 v25, v15, v25 :: v_dual_add_f32 v16, -1.0, v15
	s_delay_alu instid0(VALU_DEP_1) | instskip(NEXT) | instid1(VALU_DEP_2)
	v_add_f32_e32 v25, v12, v25
	v_add_f32_e32 v27, 1.0, v16
	s_delay_alu instid0(VALU_DEP_1) | instskip(NEXT) | instid1(VALU_DEP_1)
	v_sub_f32_e32 v15, v15, v27
	v_dual_add_f32 v27, v26, v25 :: v_dual_add_f32 v12, v12, v15
	s_delay_alu instid0(VALU_DEP_1) | instskip(SKIP_1) | instid1(VALU_DEP_1)
	v_rcp_f32_e32 v15, v27
	v_sub_f32_e32 v26, v26, v27
	v_dual_add_f32 v28, v16, v12 :: v_dual_add_f32 v25, v25, v26
	s_delay_alu instid0(VALU_DEP_1) | instskip(NEXT) | instid1(TRANS32_DEP_1)
	v_sub_f32_e32 v16, v16, v28
	v_mul_f32_e32 v30, v28, v15
	s_delay_alu instid0(VALU_DEP_1) | instskip(NEXT) | instid1(VALU_DEP_1)
	v_dual_add_f32 v12, v12, v16 :: v_dual_mul_f32 v31, v27, v30
	v_fma_f32 v26, v30, v27, -v31
	s_delay_alu instid0(VALU_DEP_1) | instskip(NEXT) | instid1(VALU_DEP_1)
	v_fmac_f32_e32 v26, v30, v25
	v_add_f32_e32 v32, v31, v26
	s_delay_alu instid0(VALU_DEP_1) | instskip(SKIP_1) | instid1(VALU_DEP_2)
	v_sub_f32_e32 v33, v28, v32
	v_sub_f32_e32 v16, v32, v31
	;; [unrolled: 1-line block ×3, first 2 shown]
	s_delay_alu instid0(VALU_DEP_2) | instskip(NEXT) | instid1(VALU_DEP_2)
	v_sub_f32_e32 v16, v16, v26
	v_sub_f32_e32 v28, v28, v32
	s_delay_alu instid0(VALU_DEP_1) | instskip(NEXT) | instid1(VALU_DEP_1)
	v_add_f32_e32 v12, v12, v28
	v_add_f32_e32 v12, v16, v12
	s_delay_alu instid0(VALU_DEP_1) | instskip(NEXT) | instid1(VALU_DEP_1)
	v_add_f32_e32 v16, v33, v12
	v_mul_f32_e32 v26, v15, v16
	s_delay_alu instid0(VALU_DEP_1) | instskip(NEXT) | instid1(VALU_DEP_1)
	v_mul_f32_e32 v28, v27, v26
	v_fma_f32 v27, v26, v27, -v28
	s_delay_alu instid0(VALU_DEP_1) | instskip(NEXT) | instid1(VALU_DEP_1)
	v_fmac_f32_e32 v27, v26, v25
	v_add_f32_e32 v25, v28, v27
	s_delay_alu instid0(VALU_DEP_1) | instskip(SKIP_1) | instid1(VALU_DEP_2)
	v_dual_sub_f32 v31, v16, v25 :: v_dual_sub_f32 v28, v25, v28
	v_sub_f32_e32 v32, v33, v16
	v_sub_f32_e32 v16, v16, v31
	s_delay_alu instid0(VALU_DEP_1) | instskip(NEXT) | instid1(VALU_DEP_4)
	v_sub_f32_e32 v16, v16, v25
	v_sub_f32_e32 v25, v28, v27
	s_delay_alu instid0(VALU_DEP_4) | instskip(NEXT) | instid1(VALU_DEP_1)
	v_add_f32_e32 v12, v12, v32
	v_add_f32_e32 v12, v12, v16
	v_add_f32_e32 v16, v30, v26
	s_delay_alu instid0(VALU_DEP_1) | instskip(NEXT) | instid1(VALU_DEP_1)
	v_dual_add_f32 v12, v25, v12 :: v_dual_sub_f32 v25, v16, v30
	v_dual_add_f32 v12, v31, v12 :: v_dual_sub_f32 v25, v26, v25
	s_delay_alu instid0(VALU_DEP_1) | instskip(NEXT) | instid1(VALU_DEP_1)
	v_mul_f32_e32 v12, v15, v12
	v_add_f32_e32 v12, v25, v12
	s_delay_alu instid0(VALU_DEP_1) | instskip(NEXT) | instid1(VALU_DEP_1)
	v_add_f32_e32 v15, v16, v12
	v_mul_f32_e32 v25, v15, v15
	s_wait_alu 0xfffe
	s_delay_alu instid0(VALU_DEP_1) | instskip(SKIP_2) | instid1(VALU_DEP_3)
	v_fmaak_f32 v26, s0, v25, 0x3ecc95a3
	v_mul_f32_e32 v27, v15, v25
	v_cmp_neq_f32_e64 s0, 0x7f800000, v13
	v_fmaak_f32 v25, v25, v26, 0x3f2aaada
	v_ldexp_f32 v26, v15, 1
	v_sub_f32_e32 v15, v15, v16
	s_delay_alu instid0(VALU_DEP_3) | instskip(SKIP_1) | instid1(VALU_DEP_3)
	v_mul_f32_e32 v25, v27, v25
	v_mul_f32_e32 v27, 0x3f317218, v11
	v_sub_f32_e32 v12, v12, v15
	s_delay_alu instid0(VALU_DEP_3) | instskip(NEXT) | instid1(VALU_DEP_2)
	v_add_f32_e32 v16, v26, v25
	v_ldexp_f32 v12, v12, 1
	s_delay_alu instid0(VALU_DEP_2) | instskip(SKIP_1) | instid1(VALU_DEP_2)
	v_sub_f32_e32 v15, v16, v26
	v_fma_f32 v26, 0x3f317218, v11, -v27
	v_sub_f32_e32 v15, v25, v15
	s_delay_alu instid0(VALU_DEP_1) | instskip(NEXT) | instid1(VALU_DEP_1)
	v_dual_fmamk_f32 v11, v11, 0xb102e308, v26 :: v_dual_add_f32 v12, v12, v15
	v_add_f32_e32 v15, v27, v11
	s_delay_alu instid0(VALU_DEP_2) | instskip(NEXT) | instid1(VALU_DEP_2)
	v_add_f32_e32 v25, v16, v12
	v_sub_f32_e32 v27, v15, v27
	s_delay_alu instid0(VALU_DEP_2) | instskip(NEXT) | instid1(VALU_DEP_2)
	v_add_f32_e32 v26, v15, v25
	v_sub_f32_e32 v11, v11, v27
	s_delay_alu instid0(VALU_DEP_2) | instskip(SKIP_1) | instid1(VALU_DEP_2)
	v_sub_f32_e32 v28, v26, v15
	v_sub_f32_e32 v16, v25, v16
	;; [unrolled: 1-line block ×3, first 2 shown]
	s_delay_alu instid0(VALU_DEP_2) | instskip(NEXT) | instid1(VALU_DEP_2)
	v_sub_f32_e32 v12, v12, v16
	v_dual_sub_f32 v16, v25, v28 :: v_dual_sub_f32 v15, v15, v30
	s_delay_alu instid0(VALU_DEP_2) | instskip(NEXT) | instid1(VALU_DEP_2)
	v_add_f32_e32 v25, v11, v12
	v_add_f32_e32 v15, v16, v15
	s_delay_alu instid0(VALU_DEP_2) | instskip(NEXT) | instid1(VALU_DEP_2)
	v_sub_f32_e32 v16, v25, v11
	v_add_f32_e32 v15, v25, v15
	s_delay_alu instid0(VALU_DEP_2) | instskip(NEXT) | instid1(VALU_DEP_2)
	v_sub_f32_e32 v25, v25, v16
	v_dual_sub_f32 v12, v12, v16 :: v_dual_add_f32 v27, v26, v15
	s_delay_alu instid0(VALU_DEP_2) | instskip(NEXT) | instid1(VALU_DEP_1)
	v_sub_f32_e32 v11, v11, v25
	v_dual_sub_f32 v16, v27, v26 :: v_dual_add_f32 v11, v12, v11
	s_delay_alu instid0(VALU_DEP_1) | instskip(NEXT) | instid1(VALU_DEP_1)
	v_sub_f32_e32 v12, v15, v16
	v_add_f32_e32 v11, v11, v12
	s_delay_alu instid0(VALU_DEP_1) | instskip(SKIP_1) | instid1(VALU_DEP_1)
	v_add_f32_e32 v11, v27, v11
	s_wait_alu 0xf1ff
	v_cndmask_b32_e64 v11, 0x7f800000, v11, s0
	v_cmp_gt_f32_e64 s0, 0x33800000, |v13|
	s_wait_alu 0xf1ff
	s_delay_alu instid0(VALU_DEP_1) | instskip(NEXT) | instid1(VALU_DEP_1)
	v_cndmask_b32_e64 v11, v11, v13, s0
	v_add_f32_e32 v11, v3, v11
.LBB460_112:
	s_wait_alu 0xfffe
	s_or_b32 exec_lo, exec_lo, s1
	s_delay_alu instid0(VALU_DEP_1) | instskip(SKIP_1) | instid1(VALU_DEP_2)
	v_bfe_u32 v3, v11, 16, 1
	v_cmp_o_f32_e64 s0, v11, v11
	v_add3_u32 v3, v11, v3, 0x7fff
	s_delay_alu instid0(VALU_DEP_1) | instskip(SKIP_1) | instid1(VALU_DEP_1)
	v_lshrrev_b32_e32 v3, 16, v3
	s_wait_alu 0xf1ff
	v_cndmask_b32_e64 v3, 0x7fc0, v3, s0
	s_delay_alu instid0(VALU_DEP_1) | instskip(NEXT) | instid1(VALU_DEP_1)
	v_lshlrev_b32_e32 v12, 16, v3
	v_max_num_f32_e32 v11, v12, v12
	s_delay_alu instid0(VALU_DEP_1) | instskip(SKIP_3) | instid1(VALU_DEP_1)
	v_min_num_f32_e32 v13, v11, v18
	v_max_num_f32_e32 v11, v11, v18
	v_cmp_u_f32_e64 s0, v12, v12
	s_wait_alu 0xf1ff
	v_cndmask_b32_e64 v13, v13, v12, s0
	s_delay_alu instid0(VALU_DEP_3) | instskip(NEXT) | instid1(VALU_DEP_2)
	v_cndmask_b32_e64 v11, v11, v12, s0
	v_cndmask_b32_e64 v13, v13, v14, s18
	s_delay_alu instid0(VALU_DEP_2) | instskip(NEXT) | instid1(VALU_DEP_2)
	v_cndmask_b32_e64 v11, v11, v14, s18
	v_cmp_class_f32_e64 s1, v13, 0x1f8
	s_delay_alu instid0(VALU_DEP_2)
	v_cmp_neq_f32_e64 s0, v13, v11
	s_or_b32 s0, s0, s1
	s_wait_alu 0xfffe
	s_and_saveexec_b32 s1, s0
	s_cbranch_execz .LBB460_114
; %bb.113:
	v_sub_f32_e32 v12, v13, v11
	s_delay_alu instid0(VALU_DEP_1) | instskip(SKIP_1) | instid1(VALU_DEP_2)
	v_mul_f32_e32 v13, 0x3fb8aa3b, v12
	v_cmp_ngt_f32_e64 s0, 0xc2ce8ed0, v12
	v_fma_f32 v14, 0x3fb8aa3b, v12, -v13
	v_rndne_f32_e32 v15, v13
	s_delay_alu instid0(VALU_DEP_1) | instskip(NEXT) | instid1(VALU_DEP_1)
	v_dual_fmamk_f32 v14, v12, 0x32a5705f, v14 :: v_dual_sub_f32 v13, v13, v15
	v_add_f32_e32 v13, v13, v14
	v_cvt_i32_f32_e32 v14, v15
	s_delay_alu instid0(VALU_DEP_2) | instskip(NEXT) | instid1(TRANS32_DEP_1)
	v_exp_f32_e32 v13, v13
	v_ldexp_f32 v13, v13, v14
	s_wait_alu 0xf1ff
	s_delay_alu instid0(VALU_DEP_1) | instskip(SKIP_2) | instid1(VALU_DEP_1)
	v_cndmask_b32_e64 v13, 0, v13, s0
	v_cmp_nlt_f32_e64 s0, 0x42b17218, v12
	s_wait_alu 0xf1ff
	v_cndmask_b32_e64 v14, 0x7f800000, v13, s0
	s_delay_alu instid0(VALU_DEP_1) | instskip(NEXT) | instid1(VALU_DEP_1)
	v_add_f32_e32 v15, 1.0, v14
	v_cvt_f64_f32_e32 v[12:13], v15
	s_delay_alu instid0(VALU_DEP_1) | instskip(SKIP_1) | instid1(VALU_DEP_1)
	v_frexp_exp_i32_f64_e32 v12, v[12:13]
	v_frexp_mant_f32_e32 v13, v15
	v_cmp_gt_f32_e64 s0, 0x3f2aaaab, v13
	v_add_f32_e32 v13, -1.0, v15
	s_delay_alu instid0(VALU_DEP_1) | instskip(NEXT) | instid1(VALU_DEP_1)
	v_dual_sub_f32 v18, v13, v15 :: v_dual_sub_f32 v13, v14, v13
	v_add_f32_e32 v18, 1.0, v18
	s_wait_alu 0xf1ff
	v_subrev_co_ci_u32_e64 v12, null, 0, v12, s0
	s_mov_b32 s0, 0x3e9b6dac
	v_sub_nc_u32_e32 v16, 0, v12
	v_cvt_f32_i32_e32 v12, v12
	s_delay_alu instid0(VALU_DEP_2) | instskip(SKIP_1) | instid1(VALU_DEP_1)
	v_ldexp_f32 v15, v15, v16
	v_add_f32_e32 v13, v13, v18
	v_ldexp_f32 v13, v13, v16
	s_delay_alu instid0(VALU_DEP_3) | instskip(NEXT) | instid1(VALU_DEP_1)
	v_add_f32_e32 v16, -1.0, v15
	v_dual_add_f32 v25, 1.0, v15 :: v_dual_add_f32 v26, 1.0, v16
	s_delay_alu instid0(VALU_DEP_1) | instskip(NEXT) | instid1(VALU_DEP_1)
	v_add_f32_e32 v18, -1.0, v25
	v_sub_f32_e32 v18, v15, v18
	s_delay_alu instid0(VALU_DEP_3) | instskip(NEXT) | instid1(VALU_DEP_2)
	v_sub_f32_e32 v15, v15, v26
	v_add_f32_e32 v18, v13, v18
	s_delay_alu instid0(VALU_DEP_2) | instskip(NEXT) | instid1(VALU_DEP_1)
	v_add_f32_e32 v13, v13, v15
	v_dual_add_f32 v27, v16, v13 :: v_dual_add_f32 v26, v25, v18
	s_delay_alu instid0(VALU_DEP_1) | instskip(SKIP_1) | instid1(VALU_DEP_1)
	v_rcp_f32_e32 v15, v26
	v_sub_f32_e32 v25, v25, v26
	v_add_f32_e32 v18, v18, v25
	s_delay_alu instid0(TRANS32_DEP_1) | instskip(NEXT) | instid1(VALU_DEP_1)
	v_mul_f32_e32 v28, v27, v15
	v_mul_f32_e32 v30, v26, v28
	s_delay_alu instid0(VALU_DEP_1) | instskip(NEXT) | instid1(VALU_DEP_1)
	v_fma_f32 v25, v28, v26, -v30
	v_fmac_f32_e32 v25, v28, v18
	s_delay_alu instid0(VALU_DEP_1) | instskip(NEXT) | instid1(VALU_DEP_1)
	v_add_f32_e32 v31, v30, v25
	v_sub_f32_e32 v32, v27, v31
	s_delay_alu instid0(VALU_DEP_1) | instskip(NEXT) | instid1(VALU_DEP_1)
	v_dual_sub_f32 v16, v16, v27 :: v_dual_sub_f32 v27, v27, v32
	v_dual_add_f32 v13, v13, v16 :: v_dual_sub_f32 v16, v31, v30
	s_delay_alu instid0(VALU_DEP_1) | instskip(NEXT) | instid1(VALU_DEP_1)
	v_dual_sub_f32 v27, v27, v31 :: v_dual_sub_f32 v16, v16, v25
	v_add_f32_e32 v13, v13, v27
	s_delay_alu instid0(VALU_DEP_1) | instskip(NEXT) | instid1(VALU_DEP_1)
	v_add_f32_e32 v13, v16, v13
	v_add_f32_e32 v16, v32, v13
	s_delay_alu instid0(VALU_DEP_1) | instskip(NEXT) | instid1(VALU_DEP_1)
	v_mul_f32_e32 v25, v15, v16
	v_mul_f32_e32 v27, v26, v25
	s_delay_alu instid0(VALU_DEP_1) | instskip(NEXT) | instid1(VALU_DEP_1)
	v_fma_f32 v26, v25, v26, -v27
	v_dual_fmac_f32 v26, v25, v18 :: v_dual_sub_f32 v31, v32, v16
	s_delay_alu instid0(VALU_DEP_1) | instskip(NEXT) | instid1(VALU_DEP_1)
	v_dual_add_f32 v18, v27, v26 :: v_dual_add_f32 v13, v13, v31
	v_sub_f32_e32 v30, v16, v18
	s_delay_alu instid0(VALU_DEP_1) | instskip(NEXT) | instid1(VALU_DEP_1)
	v_dual_sub_f32 v16, v16, v30 :: v_dual_sub_f32 v27, v18, v27
	v_sub_f32_e32 v16, v16, v18
	s_delay_alu instid0(VALU_DEP_1) | instskip(SKIP_1) | instid1(VALU_DEP_1)
	v_dual_sub_f32 v18, v27, v26 :: v_dual_add_f32 v13, v13, v16
	v_add_f32_e32 v16, v28, v25
	v_dual_add_f32 v13, v18, v13 :: v_dual_sub_f32 v18, v16, v28
	s_delay_alu instid0(VALU_DEP_1) | instskip(NEXT) | instid1(VALU_DEP_1)
	v_dual_add_f32 v13, v30, v13 :: v_dual_sub_f32 v18, v25, v18
	v_mul_f32_e32 v13, v15, v13
	s_delay_alu instid0(VALU_DEP_1) | instskip(NEXT) | instid1(VALU_DEP_1)
	v_add_f32_e32 v13, v18, v13
	v_add_f32_e32 v15, v16, v13
	s_delay_alu instid0(VALU_DEP_1) | instskip(SKIP_1) | instid1(VALU_DEP_1)
	v_mul_f32_e32 v18, v15, v15
	s_wait_alu 0xfffe
	v_fmaak_f32 v25, s0, v18, 0x3ecc95a3
	v_mul_f32_e32 v26, v15, v18
	v_cmp_neq_f32_e64 s0, 0x7f800000, v14
	s_delay_alu instid0(VALU_DEP_3) | instskip(SKIP_2) | instid1(VALU_DEP_1)
	v_fmaak_f32 v18, v18, v25, 0x3f2aaada
	v_ldexp_f32 v25, v15, 1
	v_sub_f32_e32 v15, v15, v16
	v_dual_sub_f32 v13, v13, v15 :: v_dual_mul_f32 v18, v26, v18
	s_delay_alu instid0(VALU_DEP_1) | instskip(NEXT) | instid1(VALU_DEP_2)
	v_ldexp_f32 v13, v13, 1
	v_add_f32_e32 v16, v25, v18
	s_delay_alu instid0(VALU_DEP_1) | instskip(NEXT) | instid1(VALU_DEP_1)
	v_dual_mul_f32 v26, 0x3f317218, v12 :: v_dual_sub_f32 v15, v16, v25
	v_fma_f32 v25, 0x3f317218, v12, -v26
	s_delay_alu instid0(VALU_DEP_1) | instskip(NEXT) | instid1(VALU_DEP_1)
	v_dual_sub_f32 v15, v18, v15 :: v_dual_fmamk_f32 v12, v12, 0xb102e308, v25
	v_add_f32_e32 v13, v13, v15
	s_delay_alu instid0(VALU_DEP_2) | instskip(NEXT) | instid1(VALU_DEP_1)
	v_add_f32_e32 v15, v26, v12
	v_sub_f32_e32 v26, v15, v26
	s_delay_alu instid0(VALU_DEP_3) | instskip(NEXT) | instid1(VALU_DEP_2)
	v_add_f32_e32 v18, v16, v13
	v_sub_f32_e32 v12, v12, v26
	s_delay_alu instid0(VALU_DEP_2) | instskip(NEXT) | instid1(VALU_DEP_1)
	v_dual_add_f32 v25, v15, v18 :: v_dual_sub_f32 v16, v18, v16
	v_sub_f32_e32 v27, v25, v15
	s_delay_alu instid0(VALU_DEP_1) | instskip(SKIP_1) | instid1(VALU_DEP_1)
	v_dual_sub_f32 v13, v13, v16 :: v_dual_sub_f32 v16, v18, v27
	v_sub_f32_e32 v28, v25, v27
	v_dual_add_f32 v18, v12, v13 :: v_dual_sub_f32 v15, v15, v28
	s_delay_alu instid0(VALU_DEP_1) | instskip(NEXT) | instid1(VALU_DEP_1)
	v_dual_add_f32 v15, v16, v15 :: v_dual_sub_f32 v16, v18, v12
	v_add_f32_e32 v15, v18, v15
	s_delay_alu instid0(VALU_DEP_2) | instskip(NEXT) | instid1(VALU_DEP_1)
	v_sub_f32_e32 v18, v18, v16
	v_sub_f32_e32 v12, v12, v18
	s_delay_alu instid0(VALU_DEP_3) | instskip(NEXT) | instid1(VALU_DEP_1)
	v_add_f32_e32 v26, v25, v15
	v_dual_sub_f32 v13, v13, v16 :: v_dual_sub_f32 v16, v26, v25
	s_delay_alu instid0(VALU_DEP_1) | instskip(NEXT) | instid1(VALU_DEP_2)
	v_add_f32_e32 v12, v13, v12
	v_sub_f32_e32 v13, v15, v16
	s_delay_alu instid0(VALU_DEP_1) | instskip(NEXT) | instid1(VALU_DEP_1)
	v_add_f32_e32 v12, v12, v13
	v_add_f32_e32 v12, v26, v12
	s_wait_alu 0xf1ff
	s_delay_alu instid0(VALU_DEP_1) | instskip(SKIP_2) | instid1(VALU_DEP_1)
	v_cndmask_b32_e64 v12, 0x7f800000, v12, s0
	v_cmp_gt_f32_e64 s0, 0x33800000, |v14|
	s_wait_alu 0xf1ff
	v_cndmask_b32_e64 v12, v12, v14, s0
	s_delay_alu instid0(VALU_DEP_1)
	v_add_f32_e32 v12, v11, v12
.LBB460_114:
	s_wait_alu 0xfffe
	s_or_b32 exec_lo, exec_lo, s1
	s_delay_alu instid0(VALU_DEP_1) | instskip(SKIP_1) | instid1(VALU_DEP_2)
	v_bfe_u32 v11, v12, 16, 1
	v_cmp_o_f32_e64 s0, v12, v12
	v_add3_u32 v11, v12, v11, 0x7fff
	s_delay_alu instid0(VALU_DEP_1) | instskip(SKIP_1) | instid1(VALU_DEP_1)
	v_lshrrev_b32_e32 v11, 16, v11
	s_wait_alu 0xf1ff
	v_cndmask_b32_e64 v11, 0x7fc0, v11, s0
	s_delay_alu instid0(VALU_DEP_1) | instskip(NEXT) | instid1(VALU_DEP_1)
	v_lshlrev_b32_e32 v12, 16, v11
	v_max_num_f32_e32 v13, v12, v12
	v_cmp_u_f32_e64 s0, v12, v12
	s_delay_alu instid0(VALU_DEP_2) | instskip(SKIP_2) | instid1(VALU_DEP_2)
	v_min_num_f32_e32 v14, v13, v19
	v_max_num_f32_e32 v13, v13, v19
	s_wait_alu 0xf1ff
	v_cndmask_b32_e64 v14, v14, v12, s0
	s_delay_alu instid0(VALU_DEP_2) | instskip(NEXT) | instid1(VALU_DEP_2)
	v_cndmask_b32_e64 v15, v13, v12, s0
	v_cndmask_b32_e64 v13, v14, v4, s19
	s_delay_alu instid0(VALU_DEP_2) | instskip(NEXT) | instid1(VALU_DEP_2)
	v_cndmask_b32_e64 v4, v15, v4, s19
	v_cmp_class_f32_e64 s1, v13, 0x1f8
	s_delay_alu instid0(VALU_DEP_2)
	v_cmp_neq_f32_e64 s0, v13, v4
	s_or_b32 s0, s0, s1
	s_wait_alu 0xfffe
	s_and_saveexec_b32 s1, s0
	s_cbranch_execz .LBB460_116
; %bb.115:
	v_sub_f32_e32 v12, v13, v4
	s_delay_alu instid0(VALU_DEP_1) | instskip(SKIP_1) | instid1(VALU_DEP_2)
	v_mul_f32_e32 v13, 0x3fb8aa3b, v12
	v_cmp_ngt_f32_e64 s0, 0xc2ce8ed0, v12
	v_fma_f32 v14, 0x3fb8aa3b, v12, -v13
	v_rndne_f32_e32 v15, v13
	s_delay_alu instid0(VALU_DEP_1) | instskip(NEXT) | instid1(VALU_DEP_1)
	v_dual_fmamk_f32 v14, v12, 0x32a5705f, v14 :: v_dual_sub_f32 v13, v13, v15
	v_add_f32_e32 v13, v13, v14
	v_cvt_i32_f32_e32 v14, v15
	s_delay_alu instid0(VALU_DEP_2) | instskip(NEXT) | instid1(TRANS32_DEP_1)
	v_exp_f32_e32 v13, v13
	v_ldexp_f32 v13, v13, v14
	s_wait_alu 0xf1ff
	s_delay_alu instid0(VALU_DEP_1) | instskip(SKIP_2) | instid1(VALU_DEP_1)
	v_cndmask_b32_e64 v13, 0, v13, s0
	v_cmp_nlt_f32_e64 s0, 0x42b17218, v12
	s_wait_alu 0xf1ff
	v_cndmask_b32_e64 v14, 0x7f800000, v13, s0
	s_delay_alu instid0(VALU_DEP_1) | instskip(NEXT) | instid1(VALU_DEP_1)
	v_add_f32_e32 v15, 1.0, v14
	v_cvt_f64_f32_e32 v[12:13], v15
	s_delay_alu instid0(VALU_DEP_1) | instskip(SKIP_1) | instid1(VALU_DEP_1)
	v_frexp_exp_i32_f64_e32 v12, v[12:13]
	v_frexp_mant_f32_e32 v13, v15
	v_cmp_gt_f32_e64 s0, 0x3f2aaaab, v13
	v_add_f32_e32 v13, -1.0, v15
	s_delay_alu instid0(VALU_DEP_1) | instskip(NEXT) | instid1(VALU_DEP_1)
	v_dual_sub_f32 v18, v13, v15 :: v_dual_sub_f32 v13, v14, v13
	v_add_f32_e32 v18, 1.0, v18
	s_wait_alu 0xf1ff
	v_subrev_co_ci_u32_e64 v12, null, 0, v12, s0
	s_mov_b32 s0, 0x3e9b6dac
	v_sub_nc_u32_e32 v16, 0, v12
	v_cvt_f32_i32_e32 v12, v12
	s_delay_alu instid0(VALU_DEP_2) | instskip(SKIP_1) | instid1(VALU_DEP_1)
	v_ldexp_f32 v15, v15, v16
	v_add_f32_e32 v13, v13, v18
	v_ldexp_f32 v13, v13, v16
	s_delay_alu instid0(VALU_DEP_3) | instskip(SKIP_1) | instid1(VALU_DEP_1)
	v_add_f32_e32 v19, 1.0, v15
	v_add_f32_e32 v16, -1.0, v15
	v_dual_add_f32 v18, -1.0, v19 :: v_dual_add_f32 v25, 1.0, v16
	s_delay_alu instid0(VALU_DEP_1) | instskip(NEXT) | instid1(VALU_DEP_1)
	v_sub_f32_e32 v18, v15, v18
	v_dual_sub_f32 v15, v15, v25 :: v_dual_add_f32 v18, v13, v18
	s_delay_alu instid0(VALU_DEP_1) | instskip(NEXT) | instid1(VALU_DEP_1)
	v_add_f32_e32 v13, v13, v15
	v_dual_add_f32 v25, v19, v18 :: v_dual_add_f32 v26, v16, v13
	s_delay_alu instid0(VALU_DEP_1) | instskip(NEXT) | instid1(VALU_DEP_1)
	v_dual_sub_f32 v19, v19, v25 :: v_dual_sub_f32 v16, v16, v26
	v_add_f32_e32 v18, v18, v19
	v_rcp_f32_e32 v15, v25
	s_delay_alu instid0(VALU_DEP_2) | instskip(NEXT) | instid1(TRANS32_DEP_1)
	v_add_f32_e32 v13, v13, v16
	v_mul_f32_e32 v27, v26, v15
	s_delay_alu instid0(VALU_DEP_1) | instskip(NEXT) | instid1(VALU_DEP_1)
	v_mul_f32_e32 v28, v25, v27
	v_fma_f32 v19, v27, v25, -v28
	s_delay_alu instid0(VALU_DEP_1) | instskip(NEXT) | instid1(VALU_DEP_1)
	v_fmac_f32_e32 v19, v27, v18
	v_add_f32_e32 v30, v28, v19
	s_delay_alu instid0(VALU_DEP_1) | instskip(NEXT) | instid1(VALU_DEP_1)
	v_sub_f32_e32 v16, v30, v28
	v_dual_sub_f32 v31, v26, v30 :: v_dual_sub_f32 v16, v16, v19
	s_delay_alu instid0(VALU_DEP_1) | instskip(NEXT) | instid1(VALU_DEP_1)
	v_sub_f32_e32 v26, v26, v31
	v_sub_f32_e32 v26, v26, v30
	s_delay_alu instid0(VALU_DEP_1) | instskip(NEXT) | instid1(VALU_DEP_1)
	v_add_f32_e32 v13, v13, v26
	v_add_f32_e32 v13, v16, v13
	s_delay_alu instid0(VALU_DEP_1) | instskip(NEXT) | instid1(VALU_DEP_1)
	v_add_f32_e32 v16, v31, v13
	v_mul_f32_e32 v19, v15, v16
	v_sub_f32_e32 v30, v31, v16
	s_delay_alu instid0(VALU_DEP_2) | instskip(NEXT) | instid1(VALU_DEP_2)
	v_mul_f32_e32 v26, v25, v19
	v_add_f32_e32 v13, v13, v30
	s_delay_alu instid0(VALU_DEP_2) | instskip(NEXT) | instid1(VALU_DEP_1)
	v_fma_f32 v25, v19, v25, -v26
	v_fmac_f32_e32 v25, v19, v18
	s_delay_alu instid0(VALU_DEP_1) | instskip(NEXT) | instid1(VALU_DEP_1)
	v_add_f32_e32 v18, v26, v25
	v_sub_f32_e32 v28, v16, v18
	s_delay_alu instid0(VALU_DEP_1) | instskip(NEXT) | instid1(VALU_DEP_1)
	v_sub_f32_e32 v16, v16, v28
	v_sub_f32_e32 v16, v16, v18
	s_delay_alu instid0(VALU_DEP_1) | instskip(SKIP_1) | instid1(VALU_DEP_2)
	v_dual_sub_f32 v26, v18, v26 :: v_dual_add_f32 v13, v13, v16
	v_add_f32_e32 v16, v27, v19
	v_sub_f32_e32 v18, v26, v25
	s_delay_alu instid0(VALU_DEP_1) | instskip(NEXT) | instid1(VALU_DEP_1)
	v_add_f32_e32 v13, v18, v13
	v_add_f32_e32 v13, v28, v13
	s_delay_alu instid0(VALU_DEP_1) | instskip(NEXT) | instid1(VALU_DEP_1)
	v_dual_sub_f32 v18, v16, v27 :: v_dual_mul_f32 v13, v15, v13
	v_sub_f32_e32 v18, v19, v18
	s_delay_alu instid0(VALU_DEP_1) | instskip(NEXT) | instid1(VALU_DEP_1)
	v_add_f32_e32 v13, v18, v13
	v_add_f32_e32 v15, v16, v13
	s_delay_alu instid0(VALU_DEP_1) | instskip(SKIP_1) | instid1(VALU_DEP_1)
	v_mul_f32_e32 v18, v15, v15
	s_wait_alu 0xfffe
	v_fmaak_f32 v19, s0, v18, 0x3ecc95a3
	v_mul_f32_e32 v25, v15, v18
	v_cmp_neq_f32_e64 s0, 0x7f800000, v14
	s_delay_alu instid0(VALU_DEP_3) | instskip(SKIP_1) | instid1(VALU_DEP_2)
	v_fmaak_f32 v18, v18, v19, 0x3f2aaada
	v_ldexp_f32 v19, v15, 1
	v_dual_sub_f32 v15, v15, v16 :: v_dual_mul_f32 v18, v25, v18
	v_mul_f32_e32 v25, 0x3f317218, v12
	s_delay_alu instid0(VALU_DEP_2) | instskip(NEXT) | instid1(VALU_DEP_1)
	v_dual_sub_f32 v13, v13, v15 :: v_dual_add_f32 v16, v19, v18
	v_ldexp_f32 v13, v13, 1
	s_delay_alu instid0(VALU_DEP_2) | instskip(NEXT) | instid1(VALU_DEP_4)
	v_sub_f32_e32 v15, v16, v19
	v_fma_f32 v19, 0x3f317218, v12, -v25
	s_delay_alu instid0(VALU_DEP_1) | instskip(NEXT) | instid1(VALU_DEP_1)
	v_dual_sub_f32 v15, v18, v15 :: v_dual_fmamk_f32 v12, v12, 0xb102e308, v19
	v_add_f32_e32 v13, v13, v15
	s_delay_alu instid0(VALU_DEP_1) | instskip(NEXT) | instid1(VALU_DEP_1)
	v_dual_add_f32 v15, v25, v12 :: v_dual_add_f32 v18, v16, v13
	v_dual_sub_f32 v25, v15, v25 :: v_dual_sub_f32 v16, v18, v16
	s_delay_alu instid0(VALU_DEP_1) | instskip(SKIP_1) | instid1(VALU_DEP_1)
	v_dual_sub_f32 v12, v12, v25 :: v_dual_sub_f32 v13, v13, v16
	v_add_f32_e32 v19, v15, v18
	v_sub_f32_e32 v26, v19, v15
	s_delay_alu instid0(VALU_DEP_1) | instskip(NEXT) | instid1(VALU_DEP_4)
	v_sub_f32_e32 v16, v18, v26
	v_dual_add_f32 v18, v12, v13 :: v_dual_sub_f32 v27, v19, v26
	s_delay_alu instid0(VALU_DEP_1) | instskip(NEXT) | instid1(VALU_DEP_1)
	v_sub_f32_e32 v15, v15, v27
	v_dual_add_f32 v15, v16, v15 :: v_dual_sub_f32 v16, v18, v12
	s_delay_alu instid0(VALU_DEP_1) | instskip(NEXT) | instid1(VALU_DEP_1)
	v_add_f32_e32 v15, v18, v15
	v_dual_sub_f32 v18, v18, v16 :: v_dual_add_f32 v25, v19, v15
	s_delay_alu instid0(VALU_DEP_1) | instskip(NEXT) | instid1(VALU_DEP_2)
	v_dual_sub_f32 v12, v12, v18 :: v_dual_sub_f32 v13, v13, v16
	v_sub_f32_e32 v16, v25, v19
	s_delay_alu instid0(VALU_DEP_2) | instskip(NEXT) | instid1(VALU_DEP_2)
	v_add_f32_e32 v12, v13, v12
	v_sub_f32_e32 v13, v15, v16
	s_delay_alu instid0(VALU_DEP_1) | instskip(NEXT) | instid1(VALU_DEP_1)
	v_add_f32_e32 v12, v12, v13
	v_add_f32_e32 v12, v25, v12
	s_wait_alu 0xf1ff
	s_delay_alu instid0(VALU_DEP_1) | instskip(SKIP_2) | instid1(VALU_DEP_1)
	v_cndmask_b32_e64 v12, 0x7f800000, v12, s0
	v_cmp_gt_f32_e64 s0, 0x33800000, |v14|
	s_wait_alu 0xf1ff
	v_cndmask_b32_e64 v12, v12, v14, s0
	s_delay_alu instid0(VALU_DEP_1)
	v_add_f32_e32 v12, v4, v12
.LBB460_116:
	s_wait_alu 0xfffe
	s_or_b32 exec_lo, exec_lo, s1
	s_delay_alu instid0(VALU_DEP_1) | instskip(SKIP_1) | instid1(VALU_DEP_2)
	v_bfe_u32 v4, v12, 16, 1
	v_cmp_o_f32_e64 s0, v12, v12
	v_add3_u32 v4, v12, v4, 0x7fff
	s_delay_alu instid0(VALU_DEP_1) | instskip(SKIP_1) | instid1(VALU_DEP_1)
	v_lshrrev_b32_e32 v4, 16, v4
	s_wait_alu 0xf1ff
	v_cndmask_b32_e64 v4, 0x7fc0, v4, s0
	s_delay_alu instid0(VALU_DEP_1) | instskip(NEXT) | instid1(VALU_DEP_1)
	v_lshlrev_b32_e32 v13, 16, v4
	v_max_num_f32_e32 v12, v13, v13
	s_delay_alu instid0(VALU_DEP_1) | instskip(SKIP_3) | instid1(VALU_DEP_1)
	v_min_num_f32_e32 v14, v12, v21
	v_max_num_f32_e32 v12, v12, v21
	v_cmp_u_f32_e64 s0, v13, v13
	s_wait_alu 0xf1ff
	v_cndmask_b32_e64 v14, v14, v13, s0
	s_delay_alu instid0(VALU_DEP_3) | instskip(NEXT) | instid1(VALU_DEP_2)
	v_cndmask_b32_e64 v12, v12, v13, s0
	v_cndmask_b32_e64 v14, v14, v17, s20
	s_delay_alu instid0(VALU_DEP_2) | instskip(NEXT) | instid1(VALU_DEP_2)
	v_cndmask_b32_e64 v12, v12, v17, s20
	v_cmp_class_f32_e64 s1, v14, 0x1f8
	s_delay_alu instid0(VALU_DEP_2)
	v_cmp_neq_f32_e64 s0, v14, v12
	s_or_b32 s0, s0, s1
	s_wait_alu 0xfffe
	s_and_saveexec_b32 s1, s0
	s_cbranch_execz .LBB460_118
; %bb.117:
	v_sub_f32_e32 v13, v14, v12
	s_delay_alu instid0(VALU_DEP_1) | instskip(SKIP_1) | instid1(VALU_DEP_2)
	v_mul_f32_e32 v14, 0x3fb8aa3b, v13
	v_cmp_ngt_f32_e64 s0, 0xc2ce8ed0, v13
	v_fma_f32 v15, 0x3fb8aa3b, v13, -v14
	v_rndne_f32_e32 v16, v14
	s_delay_alu instid0(VALU_DEP_1) | instskip(NEXT) | instid1(VALU_DEP_1)
	v_dual_fmamk_f32 v15, v13, 0x32a5705f, v15 :: v_dual_sub_f32 v14, v14, v16
	v_add_f32_e32 v14, v14, v15
	v_cvt_i32_f32_e32 v15, v16
	s_delay_alu instid0(VALU_DEP_2) | instskip(NEXT) | instid1(TRANS32_DEP_1)
	v_exp_f32_e32 v14, v14
	v_ldexp_f32 v14, v14, v15
	s_wait_alu 0xf1ff
	s_delay_alu instid0(VALU_DEP_1) | instskip(SKIP_2) | instid1(VALU_DEP_1)
	v_cndmask_b32_e64 v14, 0, v14, s0
	v_cmp_nlt_f32_e64 s0, 0x42b17218, v13
	s_wait_alu 0xf1ff
	v_cndmask_b32_e64 v15, 0x7f800000, v14, s0
	s_delay_alu instid0(VALU_DEP_1) | instskip(NEXT) | instid1(VALU_DEP_1)
	v_add_f32_e32 v16, 1.0, v15
	v_cvt_f64_f32_e32 v[13:14], v16
	s_delay_alu instid0(VALU_DEP_1) | instskip(SKIP_1) | instid1(VALU_DEP_1)
	v_frexp_exp_i32_f64_e32 v13, v[13:14]
	v_frexp_mant_f32_e32 v14, v16
	v_cmp_gt_f32_e64 s0, 0x3f2aaaab, v14
	v_add_f32_e32 v14, -1.0, v16
	s_delay_alu instid0(VALU_DEP_1)
	v_sub_f32_e32 v18, v14, v16
	v_sub_f32_e32 v14, v15, v14
	s_wait_alu 0xf1ff
	v_subrev_co_ci_u32_e64 v13, null, 0, v13, s0
	s_mov_b32 s0, 0x3e9b6dac
	v_sub_nc_u32_e32 v17, 0, v13
	v_cvt_f32_i32_e32 v13, v13
	s_delay_alu instid0(VALU_DEP_2) | instskip(NEXT) | instid1(VALU_DEP_1)
	v_ldexp_f32 v16, v16, v17
	v_dual_add_f32 v19, 1.0, v16 :: v_dual_add_f32 v18, 1.0, v18
	s_delay_alu instid0(VALU_DEP_1) | instskip(NEXT) | instid1(VALU_DEP_2)
	v_add_f32_e32 v14, v14, v18
	v_add_f32_e32 v18, -1.0, v19
	s_delay_alu instid0(VALU_DEP_2) | instskip(NEXT) | instid1(VALU_DEP_2)
	v_ldexp_f32 v14, v14, v17
	v_dual_add_f32 v17, -1.0, v16 :: v_dual_sub_f32 v18, v16, v18
	s_delay_alu instid0(VALU_DEP_1) | instskip(NEXT) | instid1(VALU_DEP_1)
	v_dual_add_f32 v21, 1.0, v17 :: v_dual_add_f32 v18, v14, v18
	v_dual_sub_f32 v16, v16, v21 :: v_dual_add_f32 v21, v19, v18
	s_delay_alu instid0(VALU_DEP_1) | instskip(NEXT) | instid1(VALU_DEP_2)
	v_add_f32_e32 v14, v14, v16
	v_rcp_f32_e32 v16, v21
	v_sub_f32_e32 v19, v19, v21
	s_delay_alu instid0(VALU_DEP_1) | instskip(NEXT) | instid1(VALU_DEP_1)
	v_dual_add_f32 v25, v17, v14 :: v_dual_add_f32 v18, v18, v19
	v_sub_f32_e32 v17, v17, v25
	s_delay_alu instid0(TRANS32_DEP_1) | instskip(NEXT) | instid1(VALU_DEP_1)
	v_mul_f32_e32 v26, v25, v16
	v_mul_f32_e32 v27, v21, v26
	s_delay_alu instid0(VALU_DEP_1) | instskip(NEXT) | instid1(VALU_DEP_1)
	v_fma_f32 v19, v26, v21, -v27
	v_fmac_f32_e32 v19, v26, v18
	s_delay_alu instid0(VALU_DEP_1) | instskip(NEXT) | instid1(VALU_DEP_1)
	v_add_f32_e32 v28, v27, v19
	v_sub_f32_e32 v30, v25, v28
	s_delay_alu instid0(VALU_DEP_1) | instskip(SKIP_1) | instid1(VALU_DEP_2)
	v_dual_sub_f32 v25, v25, v30 :: v_dual_add_f32 v14, v14, v17
	v_sub_f32_e32 v17, v28, v27
	v_sub_f32_e32 v25, v25, v28
	s_delay_alu instid0(VALU_DEP_1) | instskip(NEXT) | instid1(VALU_DEP_1)
	v_dual_sub_f32 v17, v17, v19 :: v_dual_add_f32 v14, v14, v25
	v_add_f32_e32 v14, v17, v14
	s_delay_alu instid0(VALU_DEP_1) | instskip(NEXT) | instid1(VALU_DEP_1)
	v_add_f32_e32 v17, v30, v14
	v_mul_f32_e32 v19, v16, v17
	s_delay_alu instid0(VALU_DEP_1) | instskip(NEXT) | instid1(VALU_DEP_1)
	v_mul_f32_e32 v25, v21, v19
	v_fma_f32 v21, v19, v21, -v25
	s_delay_alu instid0(VALU_DEP_1) | instskip(NEXT) | instid1(VALU_DEP_1)
	v_fmac_f32_e32 v21, v19, v18
	v_add_f32_e32 v18, v25, v21
	s_delay_alu instid0(VALU_DEP_1) | instskip(SKIP_1) | instid1(VALU_DEP_2)
	v_dual_sub_f32 v27, v17, v18 :: v_dual_sub_f32 v28, v30, v17
	v_sub_f32_e32 v25, v18, v25
	v_dual_sub_f32 v17, v17, v27 :: v_dual_add_f32 v14, v14, v28
	s_delay_alu instid0(VALU_DEP_1) | instskip(NEXT) | instid1(VALU_DEP_3)
	v_sub_f32_e32 v17, v17, v18
	v_sub_f32_e32 v18, v25, v21
	s_delay_alu instid0(VALU_DEP_2) | instskip(SKIP_1) | instid1(VALU_DEP_2)
	v_add_f32_e32 v14, v14, v17
	v_add_f32_e32 v17, v26, v19
	;; [unrolled: 1-line block ×3, first 2 shown]
	s_delay_alu instid0(VALU_DEP_2) | instskip(NEXT) | instid1(VALU_DEP_2)
	v_sub_f32_e32 v18, v17, v26
	v_add_f32_e32 v14, v27, v14
	s_delay_alu instid0(VALU_DEP_2) | instskip(NEXT) | instid1(VALU_DEP_2)
	v_sub_f32_e32 v18, v19, v18
	v_mul_f32_e32 v14, v16, v14
	s_delay_alu instid0(VALU_DEP_1) | instskip(NEXT) | instid1(VALU_DEP_1)
	v_add_f32_e32 v14, v18, v14
	v_add_f32_e32 v16, v17, v14
	s_delay_alu instid0(VALU_DEP_1) | instskip(SKIP_1) | instid1(VALU_DEP_1)
	v_mul_f32_e32 v18, v16, v16
	s_wait_alu 0xfffe
	v_fmaak_f32 v19, s0, v18, 0x3ecc95a3
	v_mul_f32_e32 v21, v16, v18
	v_cmp_neq_f32_e64 s0, 0x7f800000, v15
	s_delay_alu instid0(VALU_DEP_3) | instskip(SKIP_1) | instid1(VALU_DEP_2)
	v_fmaak_f32 v18, v18, v19, 0x3f2aaada
	v_ldexp_f32 v19, v16, 1
	v_mul_f32_e32 v18, v21, v18
	v_sub_f32_e32 v16, v16, v17
	v_mul_f32_e32 v21, 0x3f317218, v13
	s_delay_alu instid0(VALU_DEP_2) | instskip(NEXT) | instid1(VALU_DEP_1)
	v_dual_add_f32 v17, v19, v18 :: v_dual_sub_f32 v14, v14, v16
	v_sub_f32_e32 v16, v17, v19
	s_delay_alu instid0(VALU_DEP_3) | instskip(NEXT) | instid1(VALU_DEP_3)
	v_fma_f32 v19, 0x3f317218, v13, -v21
	v_ldexp_f32 v14, v14, 1
	s_delay_alu instid0(VALU_DEP_2) | instskip(NEXT) | instid1(VALU_DEP_1)
	v_dual_sub_f32 v16, v18, v16 :: v_dual_fmamk_f32 v13, v13, 0xb102e308, v19
	v_add_f32_e32 v14, v14, v16
	s_delay_alu instid0(VALU_DEP_2) | instskip(NEXT) | instid1(VALU_DEP_1)
	v_add_f32_e32 v16, v21, v13
	v_dual_add_f32 v18, v17, v14 :: v_dual_sub_f32 v21, v16, v21
	s_delay_alu instid0(VALU_DEP_1) | instskip(SKIP_1) | instid1(VALU_DEP_3)
	v_add_f32_e32 v19, v16, v18
	v_sub_f32_e32 v17, v18, v17
	v_sub_f32_e32 v13, v13, v21
	s_delay_alu instid0(VALU_DEP_2) | instskip(NEXT) | instid1(VALU_DEP_1)
	v_dual_sub_f32 v25, v19, v16 :: v_dual_sub_f32 v14, v14, v17
	v_sub_f32_e32 v26, v19, v25
	s_delay_alu instid0(VALU_DEP_2) | instskip(NEXT) | instid1(VALU_DEP_2)
	v_dual_sub_f32 v17, v18, v25 :: v_dual_add_f32 v18, v13, v14
	v_sub_f32_e32 v16, v16, v26
	s_delay_alu instid0(VALU_DEP_1) | instskip(NEXT) | instid1(VALU_DEP_1)
	v_dual_add_f32 v16, v17, v16 :: v_dual_sub_f32 v17, v18, v13
	v_add_f32_e32 v16, v18, v16
	s_delay_alu instid0(VALU_DEP_2) | instskip(NEXT) | instid1(VALU_DEP_2)
	v_sub_f32_e32 v18, v18, v17
	v_dual_sub_f32 v14, v14, v17 :: v_dual_add_f32 v21, v19, v16
	s_delay_alu instid0(VALU_DEP_2) | instskip(NEXT) | instid1(VALU_DEP_2)
	v_sub_f32_e32 v13, v13, v18
	v_sub_f32_e32 v17, v21, v19
	s_delay_alu instid0(VALU_DEP_2) | instskip(NEXT) | instid1(VALU_DEP_2)
	v_add_f32_e32 v13, v14, v13
	v_sub_f32_e32 v14, v16, v17
	s_delay_alu instid0(VALU_DEP_1) | instskip(NEXT) | instid1(VALU_DEP_1)
	v_add_f32_e32 v13, v13, v14
	v_add_f32_e32 v13, v21, v13
	s_wait_alu 0xf1ff
	s_delay_alu instid0(VALU_DEP_1) | instskip(SKIP_2) | instid1(VALU_DEP_1)
	v_cndmask_b32_e64 v13, 0x7f800000, v13, s0
	v_cmp_gt_f32_e64 s0, 0x33800000, |v15|
	s_wait_alu 0xf1ff
	v_cndmask_b32_e64 v13, v13, v15, s0
	s_delay_alu instid0(VALU_DEP_1)
	v_add_f32_e32 v13, v12, v13
.LBB460_118:
	s_wait_alu 0xfffe
	s_or_b32 exec_lo, exec_lo, s1
	s_delay_alu instid0(VALU_DEP_1) | instskip(SKIP_1) | instid1(VALU_DEP_2)
	v_bfe_u32 v12, v13, 16, 1
	v_cmp_o_f32_e64 s0, v13, v13
	v_add3_u32 v12, v13, v12, 0x7fff
	s_delay_alu instid0(VALU_DEP_1) | instskip(SKIP_1) | instid1(VALU_DEP_1)
	v_lshrrev_b32_e32 v12, 16, v12
	s_wait_alu 0xf1ff
	v_cndmask_b32_e64 v12, 0x7fc0, v12, s0
	s_delay_alu instid0(VALU_DEP_1) | instskip(NEXT) | instid1(VALU_DEP_1)
	v_lshlrev_b32_e32 v13, 16, v12
	v_max_num_f32_e32 v14, v13, v13
	s_delay_alu instid0(VALU_DEP_1) | instskip(SKIP_3) | instid1(VALU_DEP_1)
	v_min_num_f32_e32 v15, v14, v22
	v_max_num_f32_e32 v14, v14, v22
	v_cmp_u_f32_e64 s0, v13, v13
	s_wait_alu 0xf1ff
	v_cndmask_b32_e64 v15, v15, v13, s0
	s_delay_alu instid0(VALU_DEP_3) | instskip(NEXT) | instid1(VALU_DEP_2)
	v_cndmask_b32_e64 v16, v14, v13, s0
	v_cndmask_b32_e64 v14, v15, v5, s21
	s_delay_alu instid0(VALU_DEP_2) | instskip(NEXT) | instid1(VALU_DEP_2)
	v_cndmask_b32_e64 v5, v16, v5, s21
	v_cmp_class_f32_e64 s1, v14, 0x1f8
	s_delay_alu instid0(VALU_DEP_2)
	v_cmp_neq_f32_e64 s0, v14, v5
	s_or_b32 s0, s0, s1
	s_wait_alu 0xfffe
	s_and_saveexec_b32 s1, s0
	s_cbranch_execz .LBB460_120
; %bb.119:
	v_sub_f32_e32 v13, v14, v5
	s_delay_alu instid0(VALU_DEP_1) | instskip(SKIP_1) | instid1(VALU_DEP_2)
	v_mul_f32_e32 v14, 0x3fb8aa3b, v13
	v_cmp_ngt_f32_e64 s0, 0xc2ce8ed0, v13
	v_fma_f32 v15, 0x3fb8aa3b, v13, -v14
	v_rndne_f32_e32 v16, v14
	s_delay_alu instid0(VALU_DEP_1) | instskip(NEXT) | instid1(VALU_DEP_1)
	v_dual_fmamk_f32 v15, v13, 0x32a5705f, v15 :: v_dual_sub_f32 v14, v14, v16
	v_add_f32_e32 v14, v14, v15
	v_cvt_i32_f32_e32 v15, v16
	s_delay_alu instid0(VALU_DEP_2) | instskip(NEXT) | instid1(TRANS32_DEP_1)
	v_exp_f32_e32 v14, v14
	v_ldexp_f32 v14, v14, v15
	s_wait_alu 0xf1ff
	s_delay_alu instid0(VALU_DEP_1) | instskip(SKIP_2) | instid1(VALU_DEP_1)
	v_cndmask_b32_e64 v14, 0, v14, s0
	v_cmp_nlt_f32_e64 s0, 0x42b17218, v13
	s_wait_alu 0xf1ff
	v_cndmask_b32_e64 v15, 0x7f800000, v14, s0
	s_delay_alu instid0(VALU_DEP_1) | instskip(NEXT) | instid1(VALU_DEP_1)
	v_add_f32_e32 v16, 1.0, v15
	v_cvt_f64_f32_e32 v[13:14], v16
	s_delay_alu instid0(VALU_DEP_1) | instskip(SKIP_1) | instid1(VALU_DEP_1)
	v_frexp_exp_i32_f64_e32 v13, v[13:14]
	v_frexp_mant_f32_e32 v14, v16
	v_cmp_gt_f32_e64 s0, 0x3f2aaaab, v14
	v_add_f32_e32 v14, -1.0, v16
	s_delay_alu instid0(VALU_DEP_1) | instskip(SKIP_1) | instid1(VALU_DEP_2)
	v_sub_f32_e32 v18, v14, v16
	v_sub_f32_e32 v14, v15, v14
	v_add_f32_e32 v18, 1.0, v18
	s_delay_alu instid0(VALU_DEP_1)
	v_add_f32_e32 v14, v14, v18
	s_wait_alu 0xf1ff
	v_subrev_co_ci_u32_e64 v13, null, 0, v13, s0
	s_mov_b32 s0, 0x3e9b6dac
	v_sub_nc_u32_e32 v17, 0, v13
	v_cvt_f32_i32_e32 v13, v13
	s_delay_alu instid0(VALU_DEP_2) | instskip(SKIP_1) | instid1(VALU_DEP_2)
	v_ldexp_f32 v16, v16, v17
	v_ldexp_f32 v14, v14, v17
	v_add_f32_e32 v19, 1.0, v16
	s_delay_alu instid0(VALU_DEP_1) | instskip(NEXT) | instid1(VALU_DEP_1)
	v_dual_add_f32 v17, -1.0, v16 :: v_dual_add_f32 v18, -1.0, v19
	v_dual_add_f32 v21, 1.0, v17 :: v_dual_sub_f32 v18, v16, v18
	s_delay_alu instid0(VALU_DEP_1) | instskip(NEXT) | instid1(VALU_DEP_1)
	v_add_f32_e32 v18, v14, v18
	v_dual_sub_f32 v16, v16, v21 :: v_dual_add_f32 v21, v19, v18
	s_delay_alu instid0(VALU_DEP_1) | instskip(NEXT) | instid1(VALU_DEP_1)
	v_sub_f32_e32 v19, v19, v21
	v_add_f32_e32 v18, v18, v19
	s_delay_alu instid0(VALU_DEP_3) | instskip(SKIP_1) | instid1(VALU_DEP_1)
	v_add_f32_e32 v14, v14, v16
	v_rcp_f32_e32 v16, v21
	v_add_f32_e32 v22, v17, v14
	s_delay_alu instid0(VALU_DEP_1) | instskip(NEXT) | instid1(TRANS32_DEP_1)
	v_sub_f32_e32 v17, v17, v22
	v_mul_f32_e32 v25, v22, v16
	s_delay_alu instid0(VALU_DEP_1) | instskip(NEXT) | instid1(VALU_DEP_1)
	v_mul_f32_e32 v26, v21, v25
	v_fma_f32 v19, v25, v21, -v26
	s_delay_alu instid0(VALU_DEP_1) | instskip(NEXT) | instid1(VALU_DEP_1)
	v_dual_fmac_f32 v19, v25, v18 :: v_dual_add_f32 v14, v14, v17
	v_add_f32_e32 v27, v26, v19
	s_delay_alu instid0(VALU_DEP_1) | instskip(NEXT) | instid1(VALU_DEP_1)
	v_dual_sub_f32 v17, v27, v26 :: v_dual_sub_f32 v28, v22, v27
	v_dual_sub_f32 v17, v17, v19 :: v_dual_sub_f32 v22, v22, v28
	s_delay_alu instid0(VALU_DEP_1) | instskip(NEXT) | instid1(VALU_DEP_1)
	v_sub_f32_e32 v22, v22, v27
	v_add_f32_e32 v14, v14, v22
	s_delay_alu instid0(VALU_DEP_1) | instskip(NEXT) | instid1(VALU_DEP_1)
	v_add_f32_e32 v14, v17, v14
	v_add_f32_e32 v17, v28, v14
	s_delay_alu instid0(VALU_DEP_1) | instskip(NEXT) | instid1(VALU_DEP_1)
	v_mul_f32_e32 v19, v16, v17
	v_mul_f32_e32 v22, v21, v19
	s_delay_alu instid0(VALU_DEP_1) | instskip(NEXT) | instid1(VALU_DEP_1)
	v_fma_f32 v21, v19, v21, -v22
	v_fmac_f32_e32 v21, v19, v18
	v_sub_f32_e32 v27, v28, v17
	s_delay_alu instid0(VALU_DEP_2) | instskip(NEXT) | instid1(VALU_DEP_2)
	v_add_f32_e32 v18, v22, v21
	v_add_f32_e32 v14, v14, v27
	s_delay_alu instid0(VALU_DEP_2) | instskip(SKIP_1) | instid1(VALU_DEP_2)
	v_sub_f32_e32 v26, v17, v18
	v_sub_f32_e32 v22, v18, v22
	;; [unrolled: 1-line block ×3, first 2 shown]
	s_delay_alu instid0(VALU_DEP_1) | instskip(NEXT) | instid1(VALU_DEP_1)
	v_dual_sub_f32 v17, v17, v18 :: v_dual_sub_f32 v18, v22, v21
	v_dual_add_f32 v14, v14, v17 :: v_dual_add_f32 v17, v25, v19
	s_delay_alu instid0(VALU_DEP_1) | instskip(NEXT) | instid1(VALU_DEP_2)
	v_add_f32_e32 v14, v18, v14
	v_sub_f32_e32 v18, v17, v25
	s_delay_alu instid0(VALU_DEP_2) | instskip(NEXT) | instid1(VALU_DEP_2)
	v_add_f32_e32 v14, v26, v14
	v_sub_f32_e32 v18, v19, v18
	s_delay_alu instid0(VALU_DEP_2) | instskip(NEXT) | instid1(VALU_DEP_1)
	v_mul_f32_e32 v14, v16, v14
	v_add_f32_e32 v14, v18, v14
	s_delay_alu instid0(VALU_DEP_1) | instskip(NEXT) | instid1(VALU_DEP_1)
	v_add_f32_e32 v16, v17, v14
	v_mul_f32_e32 v18, v16, v16
	s_wait_alu 0xfffe
	s_delay_alu instid0(VALU_DEP_1) | instskip(SKIP_2) | instid1(VALU_DEP_3)
	v_fmaak_f32 v19, s0, v18, 0x3ecc95a3
	v_mul_f32_e32 v21, v16, v18
	v_cmp_neq_f32_e64 s0, 0x7f800000, v15
	v_fmaak_f32 v18, v18, v19, 0x3f2aaada
	v_ldexp_f32 v19, v16, 1
	v_sub_f32_e32 v16, v16, v17
	s_delay_alu instid0(VALU_DEP_3) | instskip(NEXT) | instid1(VALU_DEP_1)
	v_dual_mul_f32 v18, v21, v18 :: v_dual_mul_f32 v21, 0x3f317218, v13
	v_dual_sub_f32 v14, v14, v16 :: v_dual_add_f32 v17, v19, v18
	s_delay_alu instid0(VALU_DEP_1) | instskip(NEXT) | instid1(VALU_DEP_2)
	v_ldexp_f32 v14, v14, 1
	v_sub_f32_e32 v16, v17, v19
	s_delay_alu instid0(VALU_DEP_4) | instskip(NEXT) | instid1(VALU_DEP_1)
	v_fma_f32 v19, 0x3f317218, v13, -v21
	v_dual_sub_f32 v16, v18, v16 :: v_dual_fmamk_f32 v13, v13, 0xb102e308, v19
	s_delay_alu instid0(VALU_DEP_1) | instskip(NEXT) | instid1(VALU_DEP_2)
	v_add_f32_e32 v14, v14, v16
	v_add_f32_e32 v16, v21, v13
	s_delay_alu instid0(VALU_DEP_1) | instskip(NEXT) | instid1(VALU_DEP_1)
	v_dual_add_f32 v18, v17, v14 :: v_dual_sub_f32 v21, v16, v21
	v_add_f32_e32 v19, v16, v18
	v_sub_f32_e32 v17, v18, v17
	s_delay_alu instid0(VALU_DEP_2) | instskip(NEXT) | instid1(VALU_DEP_1)
	v_dual_sub_f32 v13, v13, v21 :: v_dual_sub_f32 v22, v19, v16
	v_dual_sub_f32 v14, v14, v17 :: v_dual_sub_f32 v25, v19, v22
	v_sub_f32_e32 v17, v18, v22
	s_delay_alu instid0(VALU_DEP_2) | instskip(NEXT) | instid1(VALU_DEP_3)
	v_add_f32_e32 v18, v13, v14
	v_sub_f32_e32 v16, v16, v25
	s_delay_alu instid0(VALU_DEP_1) | instskip(NEXT) | instid1(VALU_DEP_1)
	v_dual_add_f32 v16, v17, v16 :: v_dual_sub_f32 v17, v18, v13
	v_add_f32_e32 v16, v18, v16
	s_delay_alu instid0(VALU_DEP_2) | instskip(NEXT) | instid1(VALU_DEP_2)
	v_sub_f32_e32 v18, v18, v17
	v_dual_sub_f32 v14, v14, v17 :: v_dual_add_f32 v21, v19, v16
	s_delay_alu instid0(VALU_DEP_2) | instskip(NEXT) | instid1(VALU_DEP_2)
	v_sub_f32_e32 v13, v13, v18
	v_sub_f32_e32 v17, v21, v19
	s_delay_alu instid0(VALU_DEP_2) | instskip(NEXT) | instid1(VALU_DEP_2)
	v_add_f32_e32 v13, v14, v13
	v_sub_f32_e32 v14, v16, v17
	s_delay_alu instid0(VALU_DEP_1) | instskip(NEXT) | instid1(VALU_DEP_1)
	v_add_f32_e32 v13, v13, v14
	v_add_f32_e32 v13, v21, v13
	s_wait_alu 0xf1ff
	s_delay_alu instid0(VALU_DEP_1) | instskip(SKIP_2) | instid1(VALU_DEP_1)
	v_cndmask_b32_e64 v13, 0x7f800000, v13, s0
	v_cmp_gt_f32_e64 s0, 0x33800000, |v15|
	s_wait_alu 0xf1ff
	v_cndmask_b32_e64 v13, v13, v15, s0
	s_delay_alu instid0(VALU_DEP_1)
	v_add_f32_e32 v13, v5, v13
.LBB460_120:
	s_wait_alu 0xfffe
	s_or_b32 exec_lo, exec_lo, s1
	s_delay_alu instid0(VALU_DEP_1) | instskip(SKIP_1) | instid1(VALU_DEP_2)
	v_bfe_u32 v5, v13, 16, 1
	v_cmp_o_f32_e64 s0, v13, v13
	v_add3_u32 v5, v13, v5, 0x7fff
	s_delay_alu instid0(VALU_DEP_1) | instskip(SKIP_1) | instid1(VALU_DEP_1)
	v_lshrrev_b32_e32 v5, 16, v5
	s_wait_alu 0xf1ff
	v_cndmask_b32_e64 v5, 0x7fc0, v5, s0
	s_delay_alu instid0(VALU_DEP_1) | instskip(NEXT) | instid1(VALU_DEP_1)
	v_lshlrev_b32_e32 v14, 16, v5
	v_max_num_f32_e32 v13, v14, v14
	s_delay_alu instid0(VALU_DEP_1) | instskip(SKIP_3) | instid1(VALU_DEP_1)
	v_min_num_f32_e32 v15, v13, v23
	v_max_num_f32_e32 v13, v13, v23
	v_cmp_u_f32_e64 s0, v14, v14
	s_wait_alu 0xf1ff
	v_cndmask_b32_e64 v15, v15, v14, s0
	s_delay_alu instid0(VALU_DEP_3) | instskip(NEXT) | instid1(VALU_DEP_2)
	v_cndmask_b32_e64 v13, v13, v14, s0
	v_cndmask_b32_e64 v15, v15, v20, s22
	s_delay_alu instid0(VALU_DEP_2) | instskip(NEXT) | instid1(VALU_DEP_2)
	v_cndmask_b32_e64 v13, v13, v20, s22
	v_cmp_class_f32_e64 s1, v15, 0x1f8
	s_delay_alu instid0(VALU_DEP_2)
	v_cmp_neq_f32_e64 s0, v15, v13
	s_or_b32 s0, s0, s1
	s_wait_alu 0xfffe
	s_and_saveexec_b32 s1, s0
	s_cbranch_execz .LBB460_122
; %bb.121:
	v_sub_f32_e32 v14, v15, v13
	s_delay_alu instid0(VALU_DEP_1) | instskip(SKIP_1) | instid1(VALU_DEP_2)
	v_mul_f32_e32 v15, 0x3fb8aa3b, v14
	v_cmp_ngt_f32_e64 s0, 0xc2ce8ed0, v14
	v_fma_f32 v16, 0x3fb8aa3b, v14, -v15
	v_rndne_f32_e32 v17, v15
	s_delay_alu instid0(VALU_DEP_1) | instskip(NEXT) | instid1(VALU_DEP_1)
	v_dual_fmamk_f32 v16, v14, 0x32a5705f, v16 :: v_dual_sub_f32 v15, v15, v17
	v_add_f32_e32 v15, v15, v16
	v_cvt_i32_f32_e32 v16, v17
	s_delay_alu instid0(VALU_DEP_2) | instskip(NEXT) | instid1(TRANS32_DEP_1)
	v_exp_f32_e32 v15, v15
	v_ldexp_f32 v15, v15, v16
	s_wait_alu 0xf1ff
	s_delay_alu instid0(VALU_DEP_1) | instskip(SKIP_2) | instid1(VALU_DEP_1)
	v_cndmask_b32_e64 v15, 0, v15, s0
	v_cmp_nlt_f32_e64 s0, 0x42b17218, v14
	s_wait_alu 0xf1ff
	v_cndmask_b32_e64 v16, 0x7f800000, v15, s0
	s_delay_alu instid0(VALU_DEP_1) | instskip(NEXT) | instid1(VALU_DEP_1)
	v_add_f32_e32 v17, 1.0, v16
	v_cvt_f64_f32_e32 v[14:15], v17
	s_delay_alu instid0(VALU_DEP_1) | instskip(SKIP_1) | instid1(VALU_DEP_1)
	v_frexp_exp_i32_f64_e32 v14, v[14:15]
	v_frexp_mant_f32_e32 v15, v17
	v_cmp_gt_f32_e64 s0, 0x3f2aaaab, v15
	v_add_f32_e32 v15, -1.0, v17
	s_delay_alu instid0(VALU_DEP_1)
	v_sub_f32_e32 v19, v15, v17
	v_sub_f32_e32 v15, v16, v15
	s_wait_alu 0xf1ff
	v_subrev_co_ci_u32_e64 v14, null, 0, v14, s0
	s_mov_b32 s0, 0x3e9b6dac
	v_sub_nc_u32_e32 v18, 0, v14
	v_cvt_f32_i32_e32 v14, v14
	s_delay_alu instid0(VALU_DEP_2) | instskip(NEXT) | instid1(VALU_DEP_1)
	v_ldexp_f32 v17, v17, v18
	v_dual_add_f32 v20, 1.0, v17 :: v_dual_add_f32 v19, 1.0, v19
	s_delay_alu instid0(VALU_DEP_1) | instskip(NEXT) | instid1(VALU_DEP_2)
	v_add_f32_e32 v15, v15, v19
	v_add_f32_e32 v19, -1.0, v20
	s_delay_alu instid0(VALU_DEP_2) | instskip(NEXT) | instid1(VALU_DEP_2)
	v_ldexp_f32 v15, v15, v18
	v_dual_add_f32 v18, -1.0, v17 :: v_dual_sub_f32 v19, v17, v19
	s_delay_alu instid0(VALU_DEP_1) | instskip(NEXT) | instid1(VALU_DEP_2)
	v_add_f32_e32 v21, 1.0, v18
	v_add_f32_e32 v19, v15, v19
	s_delay_alu instid0(VALU_DEP_2) | instskip(NEXT) | instid1(VALU_DEP_2)
	v_sub_f32_e32 v17, v17, v21
	v_add_f32_e32 v21, v20, v19
	s_delay_alu instid0(VALU_DEP_2) | instskip(NEXT) | instid1(VALU_DEP_2)
	v_add_f32_e32 v15, v15, v17
	v_rcp_f32_e32 v17, v21
	v_sub_f32_e32 v20, v20, v21
	s_delay_alu instid0(VALU_DEP_1) | instskip(NEXT) | instid1(VALU_DEP_1)
	v_dual_add_f32 v22, v18, v15 :: v_dual_add_f32 v19, v19, v20
	v_sub_f32_e32 v18, v18, v22
	s_delay_alu instid0(TRANS32_DEP_1) | instskip(NEXT) | instid1(VALU_DEP_2)
	v_mul_f32_e32 v23, v22, v17
	v_add_f32_e32 v15, v15, v18
	s_delay_alu instid0(VALU_DEP_2) | instskip(NEXT) | instid1(VALU_DEP_1)
	v_mul_f32_e32 v25, v21, v23
	v_fma_f32 v20, v23, v21, -v25
	s_delay_alu instid0(VALU_DEP_1) | instskip(NEXT) | instid1(VALU_DEP_1)
	v_fmac_f32_e32 v20, v23, v19
	v_add_f32_e32 v26, v25, v20
	s_delay_alu instid0(VALU_DEP_1) | instskip(SKIP_1) | instid1(VALU_DEP_2)
	v_sub_f32_e32 v27, v22, v26
	v_sub_f32_e32 v18, v26, v25
	;; [unrolled: 1-line block ×3, first 2 shown]
	s_delay_alu instid0(VALU_DEP_2) | instskip(NEXT) | instid1(VALU_DEP_2)
	v_sub_f32_e32 v18, v18, v20
	v_sub_f32_e32 v22, v22, v26
	s_delay_alu instid0(VALU_DEP_1) | instskip(NEXT) | instid1(VALU_DEP_1)
	v_add_f32_e32 v15, v15, v22
	v_add_f32_e32 v15, v18, v15
	s_delay_alu instid0(VALU_DEP_1) | instskip(NEXT) | instid1(VALU_DEP_1)
	v_add_f32_e32 v18, v27, v15
	v_mul_f32_e32 v20, v17, v18
	v_sub_f32_e32 v26, v27, v18
	s_delay_alu instid0(VALU_DEP_1) | instskip(NEXT) | instid1(VALU_DEP_1)
	v_dual_mul_f32 v22, v21, v20 :: v_dual_add_f32 v15, v15, v26
	v_fma_f32 v21, v20, v21, -v22
	s_delay_alu instid0(VALU_DEP_1) | instskip(NEXT) | instid1(VALU_DEP_1)
	v_fmac_f32_e32 v21, v20, v19
	v_add_f32_e32 v19, v22, v21
	s_delay_alu instid0(VALU_DEP_1) | instskip(NEXT) | instid1(VALU_DEP_1)
	v_dual_sub_f32 v25, v18, v19 :: v_dual_sub_f32 v22, v19, v22
	v_sub_f32_e32 v18, v18, v25
	s_delay_alu instid0(VALU_DEP_1) | instskip(NEXT) | instid1(VALU_DEP_3)
	v_sub_f32_e32 v18, v18, v19
	v_sub_f32_e32 v19, v22, v21
	s_delay_alu instid0(VALU_DEP_2) | instskip(SKIP_1) | instid1(VALU_DEP_2)
	v_add_f32_e32 v15, v15, v18
	v_add_f32_e32 v18, v23, v20
	;; [unrolled: 1-line block ×3, first 2 shown]
	s_delay_alu instid0(VALU_DEP_2) | instskip(NEXT) | instid1(VALU_DEP_2)
	v_sub_f32_e32 v19, v18, v23
	v_add_f32_e32 v15, v25, v15
	s_delay_alu instid0(VALU_DEP_2) | instskip(NEXT) | instid1(VALU_DEP_2)
	v_sub_f32_e32 v19, v20, v19
	v_mul_f32_e32 v15, v17, v15
	s_delay_alu instid0(VALU_DEP_1) | instskip(NEXT) | instid1(VALU_DEP_1)
	v_add_f32_e32 v15, v19, v15
	v_add_f32_e32 v17, v18, v15
	s_delay_alu instid0(VALU_DEP_1) | instskip(SKIP_1) | instid1(VALU_DEP_1)
	v_mul_f32_e32 v19, v17, v17
	s_wait_alu 0xfffe
	v_fmaak_f32 v20, s0, v19, 0x3ecc95a3
	v_mul_f32_e32 v21, v17, v19
	v_cmp_neq_f32_e64 s0, 0x7f800000, v16
	s_delay_alu instid0(VALU_DEP_3) | instskip(SKIP_2) | instid1(VALU_DEP_3)
	v_fmaak_f32 v19, v19, v20, 0x3f2aaada
	v_ldexp_f32 v20, v17, 1
	v_sub_f32_e32 v17, v17, v18
	v_mul_f32_e32 v19, v21, v19
	v_mul_f32_e32 v21, 0x3f317218, v14
	s_delay_alu instid0(VALU_DEP_2) | instskip(NEXT) | instid1(VALU_DEP_1)
	v_dual_sub_f32 v15, v15, v17 :: v_dual_add_f32 v18, v20, v19
	v_ldexp_f32 v15, v15, 1
	s_delay_alu instid0(VALU_DEP_2) | instskip(NEXT) | instid1(VALU_DEP_4)
	v_sub_f32_e32 v17, v18, v20
	v_fma_f32 v20, 0x3f317218, v14, -v21
	s_delay_alu instid0(VALU_DEP_1) | instskip(NEXT) | instid1(VALU_DEP_1)
	v_dual_sub_f32 v17, v19, v17 :: v_dual_fmamk_f32 v14, v14, 0xb102e308, v20
	v_add_f32_e32 v15, v15, v17
	s_delay_alu instid0(VALU_DEP_2) | instskip(NEXT) | instid1(VALU_DEP_2)
	v_add_f32_e32 v17, v21, v14
	v_add_f32_e32 v19, v18, v15
	s_delay_alu instid0(VALU_DEP_2) | instskip(NEXT) | instid1(VALU_DEP_2)
	v_sub_f32_e32 v21, v17, v21
	v_add_f32_e32 v20, v17, v19
	v_sub_f32_e32 v18, v19, v18
	s_delay_alu instid0(VALU_DEP_3) | instskip(NEXT) | instid1(VALU_DEP_2)
	v_sub_f32_e32 v14, v14, v21
	v_dual_sub_f32 v22, v20, v17 :: v_dual_sub_f32 v15, v15, v18
	s_delay_alu instid0(VALU_DEP_1) | instskip(NEXT) | instid1(VALU_DEP_2)
	v_sub_f32_e32 v23, v20, v22
	v_dual_sub_f32 v18, v19, v22 :: v_dual_add_f32 v19, v14, v15
	s_delay_alu instid0(VALU_DEP_2) | instskip(NEXT) | instid1(VALU_DEP_1)
	v_sub_f32_e32 v17, v17, v23
	v_dual_add_f32 v17, v18, v17 :: v_dual_sub_f32 v18, v19, v14
	s_delay_alu instid0(VALU_DEP_1) | instskip(NEXT) | instid1(VALU_DEP_2)
	v_add_f32_e32 v17, v19, v17
	v_sub_f32_e32 v19, v19, v18
	v_sub_f32_e32 v15, v15, v18
	s_delay_alu instid0(VALU_DEP_2) | instskip(NEXT) | instid1(VALU_DEP_1)
	v_dual_add_f32 v21, v20, v17 :: v_dual_sub_f32 v14, v14, v19
	v_sub_f32_e32 v18, v21, v20
	s_delay_alu instid0(VALU_DEP_2) | instskip(NEXT) | instid1(VALU_DEP_2)
	v_add_f32_e32 v14, v15, v14
	v_sub_f32_e32 v15, v17, v18
	s_delay_alu instid0(VALU_DEP_1) | instskip(NEXT) | instid1(VALU_DEP_1)
	v_add_f32_e32 v14, v14, v15
	v_add_f32_e32 v14, v21, v14
	s_wait_alu 0xf1ff
	s_delay_alu instid0(VALU_DEP_1) | instskip(SKIP_2) | instid1(VALU_DEP_1)
	v_cndmask_b32_e64 v14, 0x7f800000, v14, s0
	v_cmp_gt_f32_e64 s0, 0x33800000, |v16|
	s_wait_alu 0xf1ff
	v_cndmask_b32_e64 v14, v14, v16, s0
	s_delay_alu instid0(VALU_DEP_1)
	v_add_f32_e32 v14, v13, v14
.LBB460_122:
	s_wait_alu 0xfffe
	s_or_b32 exec_lo, exec_lo, s1
	s_delay_alu instid0(VALU_DEP_1) | instskip(SKIP_1) | instid1(VALU_DEP_2)
	v_bfe_u32 v13, v14, 16, 1
	v_cmp_o_f32_e64 s0, v14, v14
	v_add3_u32 v13, v14, v13, 0x7fff
	s_delay_alu instid0(VALU_DEP_1) | instskip(SKIP_1) | instid1(VALU_DEP_1)
	v_lshrrev_b32_e32 v13, 16, v13
	s_wait_alu 0xf1ff
	v_cndmask_b32_e64 v13, 0x7fc0, v13, s0
	s_delay_alu instid0(VALU_DEP_1) | instskip(NEXT) | instid1(VALU_DEP_1)
	v_lshlrev_b32_e32 v14, 16, v13
	v_max_num_f32_e32 v15, v14, v14
	s_delay_alu instid0(VALU_DEP_1) | instskip(SKIP_3) | instid1(VALU_DEP_1)
	v_min_num_f32_e32 v16, v15, v24
	v_max_num_f32_e32 v15, v15, v24
	v_cmp_u_f32_e64 s0, v14, v14
	s_wait_alu 0xf1ff
	v_cndmask_b32_e64 v16, v16, v14, s0
	s_delay_alu instid0(VALU_DEP_3) | instskip(NEXT) | instid1(VALU_DEP_2)
	v_cndmask_b32_e64 v17, v15, v14, s0
	v_cndmask_b32_e64 v15, v16, v6, s23
	s_delay_alu instid0(VALU_DEP_2) | instskip(NEXT) | instid1(VALU_DEP_2)
	v_cndmask_b32_e64 v6, v17, v6, s23
	v_cmp_class_f32_e64 s1, v15, 0x1f8
	s_delay_alu instid0(VALU_DEP_2)
	v_cmp_neq_f32_e64 s0, v15, v6
	s_or_b32 s0, s0, s1
	s_wait_alu 0xfffe
	s_and_saveexec_b32 s1, s0
	s_cbranch_execz .LBB460_124
; %bb.123:
	v_sub_f32_e32 v14, v15, v6
	s_delay_alu instid0(VALU_DEP_1) | instskip(SKIP_1) | instid1(VALU_DEP_2)
	v_mul_f32_e32 v15, 0x3fb8aa3b, v14
	v_cmp_ngt_f32_e64 s0, 0xc2ce8ed0, v14
	v_fma_f32 v16, 0x3fb8aa3b, v14, -v15
	v_rndne_f32_e32 v17, v15
	s_delay_alu instid0(VALU_DEP_1) | instskip(NEXT) | instid1(VALU_DEP_1)
	v_dual_fmamk_f32 v16, v14, 0x32a5705f, v16 :: v_dual_sub_f32 v15, v15, v17
	v_add_f32_e32 v15, v15, v16
	v_cvt_i32_f32_e32 v16, v17
	s_delay_alu instid0(VALU_DEP_2) | instskip(NEXT) | instid1(TRANS32_DEP_1)
	v_exp_f32_e32 v15, v15
	v_ldexp_f32 v15, v15, v16
	s_wait_alu 0xf1ff
	s_delay_alu instid0(VALU_DEP_1) | instskip(SKIP_2) | instid1(VALU_DEP_1)
	v_cndmask_b32_e64 v15, 0, v15, s0
	v_cmp_nlt_f32_e64 s0, 0x42b17218, v14
	s_wait_alu 0xf1ff
	v_cndmask_b32_e64 v16, 0x7f800000, v15, s0
	s_delay_alu instid0(VALU_DEP_1) | instskip(NEXT) | instid1(VALU_DEP_1)
	v_add_f32_e32 v17, 1.0, v16
	v_cvt_f64_f32_e32 v[14:15], v17
	s_delay_alu instid0(VALU_DEP_1) | instskip(SKIP_1) | instid1(VALU_DEP_1)
	v_frexp_exp_i32_f64_e32 v14, v[14:15]
	v_frexp_mant_f32_e32 v15, v17
	v_cmp_gt_f32_e64 s0, 0x3f2aaaab, v15
	v_add_f32_e32 v15, -1.0, v17
	s_delay_alu instid0(VALU_DEP_1)
	v_sub_f32_e32 v19, v15, v17
	v_sub_f32_e32 v15, v16, v15
	s_wait_alu 0xf1ff
	v_subrev_co_ci_u32_e64 v14, null, 0, v14, s0
	s_mov_b32 s0, 0x3e9b6dac
	v_sub_nc_u32_e32 v18, 0, v14
	v_cvt_f32_i32_e32 v14, v14
	s_delay_alu instid0(VALU_DEP_2) | instskip(NEXT) | instid1(VALU_DEP_1)
	v_ldexp_f32 v17, v17, v18
	v_dual_add_f32 v20, 1.0, v17 :: v_dual_add_f32 v19, 1.0, v19
	s_delay_alu instid0(VALU_DEP_1) | instskip(NEXT) | instid1(VALU_DEP_2)
	v_add_f32_e32 v15, v15, v19
	v_add_f32_e32 v19, -1.0, v20
	s_delay_alu instid0(VALU_DEP_2) | instskip(NEXT) | instid1(VALU_DEP_2)
	v_ldexp_f32 v15, v15, v18
	v_dual_add_f32 v18, -1.0, v17 :: v_dual_sub_f32 v19, v17, v19
	s_delay_alu instid0(VALU_DEP_1) | instskip(NEXT) | instid1(VALU_DEP_2)
	v_add_f32_e32 v21, 1.0, v18
	v_add_f32_e32 v19, v15, v19
	s_delay_alu instid0(VALU_DEP_2) | instskip(NEXT) | instid1(VALU_DEP_2)
	v_sub_f32_e32 v17, v17, v21
	v_add_f32_e32 v21, v20, v19
	s_delay_alu instid0(VALU_DEP_2) | instskip(NEXT) | instid1(VALU_DEP_2)
	v_add_f32_e32 v15, v15, v17
	v_rcp_f32_e32 v17, v21
	v_sub_f32_e32 v20, v20, v21
	s_delay_alu instid0(VALU_DEP_1) | instskip(NEXT) | instid1(VALU_DEP_1)
	v_dual_add_f32 v22, v18, v15 :: v_dual_add_f32 v19, v19, v20
	v_sub_f32_e32 v18, v18, v22
	s_delay_alu instid0(TRANS32_DEP_1) | instskip(NEXT) | instid1(VALU_DEP_1)
	v_mul_f32_e32 v23, v22, v17
	v_dual_add_f32 v15, v15, v18 :: v_dual_mul_f32 v24, v21, v23
	s_delay_alu instid0(VALU_DEP_1) | instskip(NEXT) | instid1(VALU_DEP_1)
	v_fma_f32 v20, v23, v21, -v24
	v_fmac_f32_e32 v20, v23, v19
	s_delay_alu instid0(VALU_DEP_1) | instskip(NEXT) | instid1(VALU_DEP_1)
	v_add_f32_e32 v25, v24, v20
	v_sub_f32_e32 v26, v22, v25
	v_sub_f32_e32 v18, v25, v24
	s_delay_alu instid0(VALU_DEP_2) | instskip(NEXT) | instid1(VALU_DEP_2)
	v_sub_f32_e32 v22, v22, v26
	v_sub_f32_e32 v18, v18, v20
	s_delay_alu instid0(VALU_DEP_2) | instskip(NEXT) | instid1(VALU_DEP_1)
	v_sub_f32_e32 v22, v22, v25
	v_add_f32_e32 v15, v15, v22
	s_delay_alu instid0(VALU_DEP_1) | instskip(NEXT) | instid1(VALU_DEP_1)
	v_add_f32_e32 v15, v18, v15
	v_add_f32_e32 v18, v26, v15
	s_delay_alu instid0(VALU_DEP_1) | instskip(NEXT) | instid1(VALU_DEP_1)
	v_mul_f32_e32 v20, v17, v18
	v_dual_sub_f32 v25, v26, v18 :: v_dual_mul_f32 v22, v21, v20
	s_delay_alu instid0(VALU_DEP_1) | instskip(NEXT) | instid1(VALU_DEP_2)
	v_add_f32_e32 v15, v15, v25
	v_fma_f32 v21, v20, v21, -v22
	s_delay_alu instid0(VALU_DEP_1) | instskip(NEXT) | instid1(VALU_DEP_1)
	v_fmac_f32_e32 v21, v20, v19
	v_add_f32_e32 v19, v22, v21
	s_delay_alu instid0(VALU_DEP_1) | instskip(SKIP_1) | instid1(VALU_DEP_2)
	v_sub_f32_e32 v24, v18, v19
	v_sub_f32_e32 v22, v19, v22
	;; [unrolled: 1-line block ×3, first 2 shown]
	s_delay_alu instid0(VALU_DEP_1) | instskip(NEXT) | instid1(VALU_DEP_3)
	v_sub_f32_e32 v18, v18, v19
	v_sub_f32_e32 v19, v22, v21
	s_delay_alu instid0(VALU_DEP_2) | instskip(SKIP_1) | instid1(VALU_DEP_2)
	v_add_f32_e32 v15, v15, v18
	v_add_f32_e32 v18, v23, v20
	v_add_f32_e32 v15, v19, v15
	s_delay_alu instid0(VALU_DEP_2) | instskip(NEXT) | instid1(VALU_DEP_2)
	v_sub_f32_e32 v19, v18, v23
	v_add_f32_e32 v15, v24, v15
	s_delay_alu instid0(VALU_DEP_2) | instskip(NEXT) | instid1(VALU_DEP_2)
	v_sub_f32_e32 v19, v20, v19
	v_mul_f32_e32 v15, v17, v15
	s_delay_alu instid0(VALU_DEP_1) | instskip(NEXT) | instid1(VALU_DEP_1)
	v_add_f32_e32 v15, v19, v15
	v_add_f32_e32 v17, v18, v15
	s_delay_alu instid0(VALU_DEP_1) | instskip(SKIP_1) | instid1(VALU_DEP_1)
	v_mul_f32_e32 v19, v17, v17
	s_wait_alu 0xfffe
	v_fmaak_f32 v20, s0, v19, 0x3ecc95a3
	v_mul_f32_e32 v21, v17, v19
	v_cmp_neq_f32_e64 s0, 0x7f800000, v16
	s_delay_alu instid0(VALU_DEP_3) | instskip(SKIP_2) | instid1(VALU_DEP_3)
	v_fmaak_f32 v19, v19, v20, 0x3f2aaada
	v_ldexp_f32 v20, v17, 1
	v_sub_f32_e32 v17, v17, v18
	v_mul_f32_e32 v19, v21, v19
	v_mul_f32_e32 v21, 0x3f317218, v14
	s_delay_alu instid0(VALU_DEP_2) | instskip(NEXT) | instid1(VALU_DEP_1)
	v_dual_sub_f32 v15, v15, v17 :: v_dual_add_f32 v18, v20, v19
	v_ldexp_f32 v15, v15, 1
	s_delay_alu instid0(VALU_DEP_2) | instskip(NEXT) | instid1(VALU_DEP_4)
	v_sub_f32_e32 v17, v18, v20
	v_fma_f32 v20, 0x3f317218, v14, -v21
	s_delay_alu instid0(VALU_DEP_1) | instskip(NEXT) | instid1(VALU_DEP_1)
	v_dual_sub_f32 v17, v19, v17 :: v_dual_fmamk_f32 v14, v14, 0xb102e308, v20
	v_add_f32_e32 v15, v15, v17
	s_delay_alu instid0(VALU_DEP_2) | instskip(NEXT) | instid1(VALU_DEP_2)
	v_add_f32_e32 v17, v21, v14
	v_add_f32_e32 v19, v18, v15
	s_delay_alu instid0(VALU_DEP_2) | instskip(NEXT) | instid1(VALU_DEP_2)
	v_sub_f32_e32 v21, v17, v21
	v_add_f32_e32 v20, v17, v19
	v_sub_f32_e32 v18, v19, v18
	s_delay_alu instid0(VALU_DEP_3) | instskip(NEXT) | instid1(VALU_DEP_2)
	v_sub_f32_e32 v14, v14, v21
	v_dual_sub_f32 v22, v20, v17 :: v_dual_sub_f32 v15, v15, v18
	s_delay_alu instid0(VALU_DEP_1) | instskip(NEXT) | instid1(VALU_DEP_2)
	v_sub_f32_e32 v23, v20, v22
	v_dual_sub_f32 v18, v19, v22 :: v_dual_add_f32 v19, v14, v15
	s_delay_alu instid0(VALU_DEP_2) | instskip(NEXT) | instid1(VALU_DEP_1)
	v_sub_f32_e32 v17, v17, v23
	v_dual_add_f32 v17, v18, v17 :: v_dual_sub_f32 v18, v19, v14
	s_delay_alu instid0(VALU_DEP_1) | instskip(NEXT) | instid1(VALU_DEP_2)
	v_add_f32_e32 v17, v19, v17
	v_sub_f32_e32 v19, v19, v18
	v_sub_f32_e32 v15, v15, v18
	s_delay_alu instid0(VALU_DEP_2) | instskip(NEXT) | instid1(VALU_DEP_1)
	v_dual_add_f32 v21, v20, v17 :: v_dual_sub_f32 v14, v14, v19
	v_sub_f32_e32 v18, v21, v20
	s_delay_alu instid0(VALU_DEP_2) | instskip(NEXT) | instid1(VALU_DEP_2)
	v_add_f32_e32 v14, v15, v14
	v_sub_f32_e32 v15, v17, v18
	s_delay_alu instid0(VALU_DEP_1) | instskip(NEXT) | instid1(VALU_DEP_1)
	v_add_f32_e32 v14, v14, v15
	v_add_f32_e32 v14, v21, v14
	s_wait_alu 0xf1ff
	s_delay_alu instid0(VALU_DEP_1) | instskip(SKIP_2) | instid1(VALU_DEP_1)
	v_cndmask_b32_e64 v14, 0x7f800000, v14, s0
	v_cmp_gt_f32_e64 s0, 0x33800000, |v16|
	s_wait_alu 0xf1ff
	v_cndmask_b32_e64 v14, v14, v16, s0
	s_delay_alu instid0(VALU_DEP_1)
	v_add_f32_e32 v14, v6, v14
.LBB460_124:
	s_wait_alu 0xfffe
	s_or_b32 exec_lo, exec_lo, s1
	s_delay_alu instid0(VALU_DEP_1)
	v_bfe_u32 v6, v14, 16, 1
	v_cmp_o_f32_e64 s0, v14, v14
	v_add_nc_u32_e32 v15, v7, v29
	v_perm_b32 v4, v4, v11, 0x5040100
	v_perm_b32 v3, v3, v10, 0x5040100
	v_add3_u32 v6, v14, v6, 0x7fff
	v_perm_b32 v2, v2, v9, 0x5040100
	v_perm_b32 v1, v8, v1, 0x5040100
	;; [unrolled: 1-line block ×3, first 2 shown]
	s_wait_loadcnt 0x0
	v_lshrrev_b32_e32 v6, 16, v6
	s_barrier_signal -1
	s_barrier_wait -1
	global_inv scope:SCOPE_SE
	v_lshlrev_b32_e32 v0, 1, v0
	s_wait_alu 0xf1ff
	v_cndmask_b32_e64 v6, 0x7fc0, v6, s0
	s_wait_kmcnt 0x0
	s_delay_alu instid0(VALU_DEP_2) | instskip(NEXT) | instid1(VALU_DEP_2)
	v_add_co_u32 v0, s0, s26, v0
	v_perm_b32 v6, v6, v13, 0x5040100
	ds_store_2addr_b64 v15, v[1:2], v[3:4] offset1:1
	ds_store_b64 v15, v[5:6] offset:16
	s_wait_loadcnt_dscnt 0x0
	s_barrier_signal -1
	s_barrier_wait -1
	global_inv scope:SCOPE_SE
	ds_load_u16 v13, v7 offset:512
	ds_load_u16 v12, v7 offset:1024
	;; [unrolled: 1-line block ×11, first 2 shown]
	s_wait_alu 0xf1ff
	v_add_co_ci_u32_e64 v1, null, s27, 0, s0
	s_and_saveexec_b32 s0, vcc_lo
	s_cbranch_execnz .LBB460_137
; %bb.125:
	s_wait_alu 0xfffe
	s_or_b32 exec_lo, exec_lo, s0
	s_and_saveexec_b32 s0, s2
	s_cbranch_execnz .LBB460_138
.LBB460_126:
	s_wait_alu 0xfffe
	s_or_b32 exec_lo, exec_lo, s0
	s_and_saveexec_b32 s0, s3
	s_cbranch_execnz .LBB460_139
.LBB460_127:
	s_wait_alu 0xfffe
	s_or_b32 exec_lo, exec_lo, s0
	s_and_saveexec_b32 s0, s4
	s_cbranch_execnz .LBB460_140
.LBB460_128:
	s_wait_alu 0xfffe
	s_or_b32 exec_lo, exec_lo, s0
	s_and_saveexec_b32 s0, s5
	s_cbranch_execnz .LBB460_141
.LBB460_129:
	s_wait_alu 0xfffe
	s_or_b32 exec_lo, exec_lo, s0
	s_and_saveexec_b32 s0, s6
	s_cbranch_execnz .LBB460_142
.LBB460_130:
	s_wait_alu 0xfffe
	s_or_b32 exec_lo, exec_lo, s0
	s_and_saveexec_b32 s0, s7
	s_cbranch_execnz .LBB460_143
.LBB460_131:
	s_wait_alu 0xfffe
	s_or_b32 exec_lo, exec_lo, s0
	s_and_saveexec_b32 s0, s8
	s_cbranch_execnz .LBB460_144
.LBB460_132:
	s_wait_alu 0xfffe
	s_or_b32 exec_lo, exec_lo, s0
	s_and_saveexec_b32 s0, s9
	s_cbranch_execnz .LBB460_145
.LBB460_133:
	s_wait_alu 0xfffe
	s_or_b32 exec_lo, exec_lo, s0
	s_and_saveexec_b32 s0, s10
	s_cbranch_execnz .LBB460_146
.LBB460_134:
	s_wait_alu 0xfffe
	s_or_b32 exec_lo, exec_lo, s0
	s_and_saveexec_b32 s0, s11
	s_cbranch_execnz .LBB460_147
.LBB460_135:
	s_wait_alu 0xfffe
	s_or_b32 exec_lo, exec_lo, s0
	s_and_saveexec_b32 s0, s12
	s_cbranch_execnz .LBB460_148
.LBB460_136:
	s_endpgm
.LBB460_137:
	ds_load_u16 v7, v7
	s_wait_dscnt 0x0
	global_store_b16 v[0:1], v7, off
	s_wait_alu 0xfffe
	s_or_b32 exec_lo, exec_lo, s0
	s_and_saveexec_b32 s0, s2
	s_cbranch_execz .LBB460_126
.LBB460_138:
	s_wait_dscnt 0xa
	global_store_b16 v[0:1], v13, off offset:512
	s_wait_alu 0xfffe
	s_or_b32 exec_lo, exec_lo, s0
	s_and_saveexec_b32 s0, s3
	s_cbranch_execz .LBB460_127
.LBB460_139:
	s_wait_dscnt 0x9
	global_store_b16 v[0:1], v12, off offset:1024
	s_wait_alu 0xfffe
	s_or_b32 exec_lo, exec_lo, s0
	s_and_saveexec_b32 s0, s4
	s_cbranch_execz .LBB460_128
.LBB460_140:
	s_wait_dscnt 0x8
	global_store_b16 v[0:1], v11, off offset:1536
	s_wait_alu 0xfffe
	s_or_b32 exec_lo, exec_lo, s0
	s_and_saveexec_b32 s0, s5
	s_cbranch_execz .LBB460_129
.LBB460_141:
	s_wait_dscnt 0x7
	global_store_b16 v[0:1], v10, off offset:2048
	s_wait_alu 0xfffe
	s_or_b32 exec_lo, exec_lo, s0
	s_and_saveexec_b32 s0, s6
	s_cbranch_execz .LBB460_130
.LBB460_142:
	s_wait_dscnt 0x6
	global_store_b16 v[0:1], v9, off offset:2560
	s_wait_alu 0xfffe
	s_or_b32 exec_lo, exec_lo, s0
	s_and_saveexec_b32 s0, s7
	s_cbranch_execz .LBB460_131
.LBB460_143:
	s_wait_dscnt 0x5
	global_store_b16 v[0:1], v8, off offset:3072
	s_wait_alu 0xfffe
	s_or_b32 exec_lo, exec_lo, s0
	s_and_saveexec_b32 s0, s8
	s_cbranch_execz .LBB460_132
.LBB460_144:
	s_wait_dscnt 0x4
	global_store_b16 v[0:1], v6, off offset:3584
	s_wait_alu 0xfffe
	s_or_b32 exec_lo, exec_lo, s0
	s_and_saveexec_b32 s0, s9
	s_cbranch_execz .LBB460_133
.LBB460_145:
	s_wait_dscnt 0x3
	global_store_b16 v[0:1], v5, off offset:4096
	s_wait_alu 0xfffe
	s_or_b32 exec_lo, exec_lo, s0
	s_and_saveexec_b32 s0, s10
	s_cbranch_execz .LBB460_134
.LBB460_146:
	s_wait_dscnt 0x2
	global_store_b16 v[0:1], v4, off offset:4608
	s_wait_alu 0xfffe
	s_or_b32 exec_lo, exec_lo, s0
	s_and_saveexec_b32 s0, s11
	s_cbranch_execz .LBB460_135
.LBB460_147:
	s_wait_dscnt 0x1
	global_store_b16 v[0:1], v3, off offset:5120
	s_wait_alu 0xfffe
	s_or_b32 exec_lo, exec_lo, s0
	s_and_saveexec_b32 s0, s12
	s_cbranch_execz .LBB460_136
.LBB460_148:
	s_wait_dscnt 0x0
	global_store_b16 v[0:1], v2, off offset:5632
	s_endpgm
	.section	.rodata,"a",@progbits
	.p2align	6, 0x0
	.amdhsa_kernel _ZN7rocprim17ROCPRIM_400000_NS6detail17trampoline_kernelINS0_14default_configENS1_20scan_config_selectorIN3c108BFloat16EEEZZNS1_9scan_implILNS1_25lookback_scan_determinismE0ELb0ELb0ES3_PKS6_PS6_S6_ZZZN2at6native31launch_logcumsumexp_cuda_kernelERKNSD_10TensorBaseESH_lENKUlvE_clEvENKUlvE4_clEvEUlS6_S6_E_S6_EEDaPvRmT3_T4_T5_mT6_P12ihipStream_tbENKUlT_T0_E_clISt17integral_constantIbLb0EESY_EEDaST_SU_EUlST_E0_NS1_11comp_targetILNS1_3genE10ELNS1_11target_archE1201ELNS1_3gpuE5ELNS1_3repE0EEENS1_30default_config_static_selectorELNS0_4arch9wavefront6targetE0EEEvT1_
		.amdhsa_group_segment_fixed_size 6144
		.amdhsa_private_segment_fixed_size 0
		.amdhsa_kernarg_size 32
		.amdhsa_user_sgpr_count 2
		.amdhsa_user_sgpr_dispatch_ptr 0
		.amdhsa_user_sgpr_queue_ptr 0
		.amdhsa_user_sgpr_kernarg_segment_ptr 1
		.amdhsa_user_sgpr_dispatch_id 0
		.amdhsa_user_sgpr_private_segment_size 0
		.amdhsa_wavefront_size32 1
		.amdhsa_uses_dynamic_stack 0
		.amdhsa_enable_private_segment 0
		.amdhsa_system_sgpr_workgroup_id_x 1
		.amdhsa_system_sgpr_workgroup_id_y 0
		.amdhsa_system_sgpr_workgroup_id_z 0
		.amdhsa_system_sgpr_workgroup_info 0
		.amdhsa_system_vgpr_workitem_id 0
		.amdhsa_next_free_vgpr 49
		.amdhsa_next_free_sgpr 30
		.amdhsa_reserve_vcc 1
		.amdhsa_float_round_mode_32 0
		.amdhsa_float_round_mode_16_64 0
		.amdhsa_float_denorm_mode_32 3
		.amdhsa_float_denorm_mode_16_64 3
		.amdhsa_fp16_overflow 0
		.amdhsa_workgroup_processor_mode 1
		.amdhsa_memory_ordered 1
		.amdhsa_forward_progress 1
		.amdhsa_inst_pref_size 255
		.amdhsa_round_robin_scheduling 0
		.amdhsa_exception_fp_ieee_invalid_op 0
		.amdhsa_exception_fp_denorm_src 0
		.amdhsa_exception_fp_ieee_div_zero 0
		.amdhsa_exception_fp_ieee_overflow 0
		.amdhsa_exception_fp_ieee_underflow 0
		.amdhsa_exception_fp_ieee_inexact 0
		.amdhsa_exception_int_div_zero 0
	.end_amdhsa_kernel
	.section	.text._ZN7rocprim17ROCPRIM_400000_NS6detail17trampoline_kernelINS0_14default_configENS1_20scan_config_selectorIN3c108BFloat16EEEZZNS1_9scan_implILNS1_25lookback_scan_determinismE0ELb0ELb0ES3_PKS6_PS6_S6_ZZZN2at6native31launch_logcumsumexp_cuda_kernelERKNSD_10TensorBaseESH_lENKUlvE_clEvENKUlvE4_clEvEUlS6_S6_E_S6_EEDaPvRmT3_T4_T5_mT6_P12ihipStream_tbENKUlT_T0_E_clISt17integral_constantIbLb0EESY_EEDaST_SU_EUlST_E0_NS1_11comp_targetILNS1_3genE10ELNS1_11target_archE1201ELNS1_3gpuE5ELNS1_3repE0EEENS1_30default_config_static_selectorELNS0_4arch9wavefront6targetE0EEEvT1_,"axG",@progbits,_ZN7rocprim17ROCPRIM_400000_NS6detail17trampoline_kernelINS0_14default_configENS1_20scan_config_selectorIN3c108BFloat16EEEZZNS1_9scan_implILNS1_25lookback_scan_determinismE0ELb0ELb0ES3_PKS6_PS6_S6_ZZZN2at6native31launch_logcumsumexp_cuda_kernelERKNSD_10TensorBaseESH_lENKUlvE_clEvENKUlvE4_clEvEUlS6_S6_E_S6_EEDaPvRmT3_T4_T5_mT6_P12ihipStream_tbENKUlT_T0_E_clISt17integral_constantIbLb0EESY_EEDaST_SU_EUlST_E0_NS1_11comp_targetILNS1_3genE10ELNS1_11target_archE1201ELNS1_3gpuE5ELNS1_3repE0EEENS1_30default_config_static_selectorELNS0_4arch9wavefront6targetE0EEEvT1_,comdat
.Lfunc_end460:
	.size	_ZN7rocprim17ROCPRIM_400000_NS6detail17trampoline_kernelINS0_14default_configENS1_20scan_config_selectorIN3c108BFloat16EEEZZNS1_9scan_implILNS1_25lookback_scan_determinismE0ELb0ELb0ES3_PKS6_PS6_S6_ZZZN2at6native31launch_logcumsumexp_cuda_kernelERKNSD_10TensorBaseESH_lENKUlvE_clEvENKUlvE4_clEvEUlS6_S6_E_S6_EEDaPvRmT3_T4_T5_mT6_P12ihipStream_tbENKUlT_T0_E_clISt17integral_constantIbLb0EESY_EEDaST_SU_EUlST_E0_NS1_11comp_targetILNS1_3genE10ELNS1_11target_archE1201ELNS1_3gpuE5ELNS1_3repE0EEENS1_30default_config_static_selectorELNS0_4arch9wavefront6targetE0EEEvT1_, .Lfunc_end460-_ZN7rocprim17ROCPRIM_400000_NS6detail17trampoline_kernelINS0_14default_configENS1_20scan_config_selectorIN3c108BFloat16EEEZZNS1_9scan_implILNS1_25lookback_scan_determinismE0ELb0ELb0ES3_PKS6_PS6_S6_ZZZN2at6native31launch_logcumsumexp_cuda_kernelERKNSD_10TensorBaseESH_lENKUlvE_clEvENKUlvE4_clEvEUlS6_S6_E_S6_EEDaPvRmT3_T4_T5_mT6_P12ihipStream_tbENKUlT_T0_E_clISt17integral_constantIbLb0EESY_EEDaST_SU_EUlST_E0_NS1_11comp_targetILNS1_3genE10ELNS1_11target_archE1201ELNS1_3gpuE5ELNS1_3repE0EEENS1_30default_config_static_selectorELNS0_4arch9wavefront6targetE0EEEvT1_
                                        ; -- End function
	.set _ZN7rocprim17ROCPRIM_400000_NS6detail17trampoline_kernelINS0_14default_configENS1_20scan_config_selectorIN3c108BFloat16EEEZZNS1_9scan_implILNS1_25lookback_scan_determinismE0ELb0ELb0ES3_PKS6_PS6_S6_ZZZN2at6native31launch_logcumsumexp_cuda_kernelERKNSD_10TensorBaseESH_lENKUlvE_clEvENKUlvE4_clEvEUlS6_S6_E_S6_EEDaPvRmT3_T4_T5_mT6_P12ihipStream_tbENKUlT_T0_E_clISt17integral_constantIbLb0EESY_EEDaST_SU_EUlST_E0_NS1_11comp_targetILNS1_3genE10ELNS1_11target_archE1201ELNS1_3gpuE5ELNS1_3repE0EEENS1_30default_config_static_selectorELNS0_4arch9wavefront6targetE0EEEvT1_.num_vgpr, 49
	.set _ZN7rocprim17ROCPRIM_400000_NS6detail17trampoline_kernelINS0_14default_configENS1_20scan_config_selectorIN3c108BFloat16EEEZZNS1_9scan_implILNS1_25lookback_scan_determinismE0ELb0ELb0ES3_PKS6_PS6_S6_ZZZN2at6native31launch_logcumsumexp_cuda_kernelERKNSD_10TensorBaseESH_lENKUlvE_clEvENKUlvE4_clEvEUlS6_S6_E_S6_EEDaPvRmT3_T4_T5_mT6_P12ihipStream_tbENKUlT_T0_E_clISt17integral_constantIbLb0EESY_EEDaST_SU_EUlST_E0_NS1_11comp_targetILNS1_3genE10ELNS1_11target_archE1201ELNS1_3gpuE5ELNS1_3repE0EEENS1_30default_config_static_selectorELNS0_4arch9wavefront6targetE0EEEvT1_.num_agpr, 0
	.set _ZN7rocprim17ROCPRIM_400000_NS6detail17trampoline_kernelINS0_14default_configENS1_20scan_config_selectorIN3c108BFloat16EEEZZNS1_9scan_implILNS1_25lookback_scan_determinismE0ELb0ELb0ES3_PKS6_PS6_S6_ZZZN2at6native31launch_logcumsumexp_cuda_kernelERKNSD_10TensorBaseESH_lENKUlvE_clEvENKUlvE4_clEvEUlS6_S6_E_S6_EEDaPvRmT3_T4_T5_mT6_P12ihipStream_tbENKUlT_T0_E_clISt17integral_constantIbLb0EESY_EEDaST_SU_EUlST_E0_NS1_11comp_targetILNS1_3genE10ELNS1_11target_archE1201ELNS1_3gpuE5ELNS1_3repE0EEENS1_30default_config_static_selectorELNS0_4arch9wavefront6targetE0EEEvT1_.numbered_sgpr, 30
	.set _ZN7rocprim17ROCPRIM_400000_NS6detail17trampoline_kernelINS0_14default_configENS1_20scan_config_selectorIN3c108BFloat16EEEZZNS1_9scan_implILNS1_25lookback_scan_determinismE0ELb0ELb0ES3_PKS6_PS6_S6_ZZZN2at6native31launch_logcumsumexp_cuda_kernelERKNSD_10TensorBaseESH_lENKUlvE_clEvENKUlvE4_clEvEUlS6_S6_E_S6_EEDaPvRmT3_T4_T5_mT6_P12ihipStream_tbENKUlT_T0_E_clISt17integral_constantIbLb0EESY_EEDaST_SU_EUlST_E0_NS1_11comp_targetILNS1_3genE10ELNS1_11target_archE1201ELNS1_3gpuE5ELNS1_3repE0EEENS1_30default_config_static_selectorELNS0_4arch9wavefront6targetE0EEEvT1_.num_named_barrier, 0
	.set _ZN7rocprim17ROCPRIM_400000_NS6detail17trampoline_kernelINS0_14default_configENS1_20scan_config_selectorIN3c108BFloat16EEEZZNS1_9scan_implILNS1_25lookback_scan_determinismE0ELb0ELb0ES3_PKS6_PS6_S6_ZZZN2at6native31launch_logcumsumexp_cuda_kernelERKNSD_10TensorBaseESH_lENKUlvE_clEvENKUlvE4_clEvEUlS6_S6_E_S6_EEDaPvRmT3_T4_T5_mT6_P12ihipStream_tbENKUlT_T0_E_clISt17integral_constantIbLb0EESY_EEDaST_SU_EUlST_E0_NS1_11comp_targetILNS1_3genE10ELNS1_11target_archE1201ELNS1_3gpuE5ELNS1_3repE0EEENS1_30default_config_static_selectorELNS0_4arch9wavefront6targetE0EEEvT1_.private_seg_size, 0
	.set _ZN7rocprim17ROCPRIM_400000_NS6detail17trampoline_kernelINS0_14default_configENS1_20scan_config_selectorIN3c108BFloat16EEEZZNS1_9scan_implILNS1_25lookback_scan_determinismE0ELb0ELb0ES3_PKS6_PS6_S6_ZZZN2at6native31launch_logcumsumexp_cuda_kernelERKNSD_10TensorBaseESH_lENKUlvE_clEvENKUlvE4_clEvEUlS6_S6_E_S6_EEDaPvRmT3_T4_T5_mT6_P12ihipStream_tbENKUlT_T0_E_clISt17integral_constantIbLb0EESY_EEDaST_SU_EUlST_E0_NS1_11comp_targetILNS1_3genE10ELNS1_11target_archE1201ELNS1_3gpuE5ELNS1_3repE0EEENS1_30default_config_static_selectorELNS0_4arch9wavefront6targetE0EEEvT1_.uses_vcc, 1
	.set _ZN7rocprim17ROCPRIM_400000_NS6detail17trampoline_kernelINS0_14default_configENS1_20scan_config_selectorIN3c108BFloat16EEEZZNS1_9scan_implILNS1_25lookback_scan_determinismE0ELb0ELb0ES3_PKS6_PS6_S6_ZZZN2at6native31launch_logcumsumexp_cuda_kernelERKNSD_10TensorBaseESH_lENKUlvE_clEvENKUlvE4_clEvEUlS6_S6_E_S6_EEDaPvRmT3_T4_T5_mT6_P12ihipStream_tbENKUlT_T0_E_clISt17integral_constantIbLb0EESY_EEDaST_SU_EUlST_E0_NS1_11comp_targetILNS1_3genE10ELNS1_11target_archE1201ELNS1_3gpuE5ELNS1_3repE0EEENS1_30default_config_static_selectorELNS0_4arch9wavefront6targetE0EEEvT1_.uses_flat_scratch, 0
	.set _ZN7rocprim17ROCPRIM_400000_NS6detail17trampoline_kernelINS0_14default_configENS1_20scan_config_selectorIN3c108BFloat16EEEZZNS1_9scan_implILNS1_25lookback_scan_determinismE0ELb0ELb0ES3_PKS6_PS6_S6_ZZZN2at6native31launch_logcumsumexp_cuda_kernelERKNSD_10TensorBaseESH_lENKUlvE_clEvENKUlvE4_clEvEUlS6_S6_E_S6_EEDaPvRmT3_T4_T5_mT6_P12ihipStream_tbENKUlT_T0_E_clISt17integral_constantIbLb0EESY_EEDaST_SU_EUlST_E0_NS1_11comp_targetILNS1_3genE10ELNS1_11target_archE1201ELNS1_3gpuE5ELNS1_3repE0EEENS1_30default_config_static_selectorELNS0_4arch9wavefront6targetE0EEEvT1_.has_dyn_sized_stack, 0
	.set _ZN7rocprim17ROCPRIM_400000_NS6detail17trampoline_kernelINS0_14default_configENS1_20scan_config_selectorIN3c108BFloat16EEEZZNS1_9scan_implILNS1_25lookback_scan_determinismE0ELb0ELb0ES3_PKS6_PS6_S6_ZZZN2at6native31launch_logcumsumexp_cuda_kernelERKNSD_10TensorBaseESH_lENKUlvE_clEvENKUlvE4_clEvEUlS6_S6_E_S6_EEDaPvRmT3_T4_T5_mT6_P12ihipStream_tbENKUlT_T0_E_clISt17integral_constantIbLb0EESY_EEDaST_SU_EUlST_E0_NS1_11comp_targetILNS1_3genE10ELNS1_11target_archE1201ELNS1_3gpuE5ELNS1_3repE0EEENS1_30default_config_static_selectorELNS0_4arch9wavefront6targetE0EEEvT1_.has_recursion, 0
	.set _ZN7rocprim17ROCPRIM_400000_NS6detail17trampoline_kernelINS0_14default_configENS1_20scan_config_selectorIN3c108BFloat16EEEZZNS1_9scan_implILNS1_25lookback_scan_determinismE0ELb0ELb0ES3_PKS6_PS6_S6_ZZZN2at6native31launch_logcumsumexp_cuda_kernelERKNSD_10TensorBaseESH_lENKUlvE_clEvENKUlvE4_clEvEUlS6_S6_E_S6_EEDaPvRmT3_T4_T5_mT6_P12ihipStream_tbENKUlT_T0_E_clISt17integral_constantIbLb0EESY_EEDaST_SU_EUlST_E0_NS1_11comp_targetILNS1_3genE10ELNS1_11target_archE1201ELNS1_3gpuE5ELNS1_3repE0EEENS1_30default_config_static_selectorELNS0_4arch9wavefront6targetE0EEEvT1_.has_indirect_call, 0
	.section	.AMDGPU.csdata,"",@progbits
; Kernel info:
; codeLenInByte = 46580
; TotalNumSgprs: 32
; NumVgprs: 49
; ScratchSize: 0
; MemoryBound: 0
; FloatMode: 240
; IeeeMode: 1
; LDSByteSize: 6144 bytes/workgroup (compile time only)
; SGPRBlocks: 0
; VGPRBlocks: 6
; NumSGPRsForWavesPerEU: 32
; NumVGPRsForWavesPerEU: 49
; Occupancy: 16
; WaveLimiterHint : 0
; COMPUTE_PGM_RSRC2:SCRATCH_EN: 0
; COMPUTE_PGM_RSRC2:USER_SGPR: 2
; COMPUTE_PGM_RSRC2:TRAP_HANDLER: 0
; COMPUTE_PGM_RSRC2:TGID_X_EN: 1
; COMPUTE_PGM_RSRC2:TGID_Y_EN: 0
; COMPUTE_PGM_RSRC2:TGID_Z_EN: 0
; COMPUTE_PGM_RSRC2:TIDIG_COMP_CNT: 0
	.section	.text._ZN7rocprim17ROCPRIM_400000_NS6detail17trampoline_kernelINS0_14default_configENS1_20scan_config_selectorIN3c108BFloat16EEEZZNS1_9scan_implILNS1_25lookback_scan_determinismE0ELb0ELb0ES3_PKS6_PS6_S6_ZZZN2at6native31launch_logcumsumexp_cuda_kernelERKNSD_10TensorBaseESH_lENKUlvE_clEvENKUlvE4_clEvEUlS6_S6_E_S6_EEDaPvRmT3_T4_T5_mT6_P12ihipStream_tbENKUlT_T0_E_clISt17integral_constantIbLb0EESY_EEDaST_SU_EUlST_E0_NS1_11comp_targetILNS1_3genE10ELNS1_11target_archE1200ELNS1_3gpuE4ELNS1_3repE0EEENS1_30default_config_static_selectorELNS0_4arch9wavefront6targetE0EEEvT1_,"axG",@progbits,_ZN7rocprim17ROCPRIM_400000_NS6detail17trampoline_kernelINS0_14default_configENS1_20scan_config_selectorIN3c108BFloat16EEEZZNS1_9scan_implILNS1_25lookback_scan_determinismE0ELb0ELb0ES3_PKS6_PS6_S6_ZZZN2at6native31launch_logcumsumexp_cuda_kernelERKNSD_10TensorBaseESH_lENKUlvE_clEvENKUlvE4_clEvEUlS6_S6_E_S6_EEDaPvRmT3_T4_T5_mT6_P12ihipStream_tbENKUlT_T0_E_clISt17integral_constantIbLb0EESY_EEDaST_SU_EUlST_E0_NS1_11comp_targetILNS1_3genE10ELNS1_11target_archE1200ELNS1_3gpuE4ELNS1_3repE0EEENS1_30default_config_static_selectorELNS0_4arch9wavefront6targetE0EEEvT1_,comdat
	.globl	_ZN7rocprim17ROCPRIM_400000_NS6detail17trampoline_kernelINS0_14default_configENS1_20scan_config_selectorIN3c108BFloat16EEEZZNS1_9scan_implILNS1_25lookback_scan_determinismE0ELb0ELb0ES3_PKS6_PS6_S6_ZZZN2at6native31launch_logcumsumexp_cuda_kernelERKNSD_10TensorBaseESH_lENKUlvE_clEvENKUlvE4_clEvEUlS6_S6_E_S6_EEDaPvRmT3_T4_T5_mT6_P12ihipStream_tbENKUlT_T0_E_clISt17integral_constantIbLb0EESY_EEDaST_SU_EUlST_E0_NS1_11comp_targetILNS1_3genE10ELNS1_11target_archE1200ELNS1_3gpuE4ELNS1_3repE0EEENS1_30default_config_static_selectorELNS0_4arch9wavefront6targetE0EEEvT1_ ; -- Begin function _ZN7rocprim17ROCPRIM_400000_NS6detail17trampoline_kernelINS0_14default_configENS1_20scan_config_selectorIN3c108BFloat16EEEZZNS1_9scan_implILNS1_25lookback_scan_determinismE0ELb0ELb0ES3_PKS6_PS6_S6_ZZZN2at6native31launch_logcumsumexp_cuda_kernelERKNSD_10TensorBaseESH_lENKUlvE_clEvENKUlvE4_clEvEUlS6_S6_E_S6_EEDaPvRmT3_T4_T5_mT6_P12ihipStream_tbENKUlT_T0_E_clISt17integral_constantIbLb0EESY_EEDaST_SU_EUlST_E0_NS1_11comp_targetILNS1_3genE10ELNS1_11target_archE1200ELNS1_3gpuE4ELNS1_3repE0EEENS1_30default_config_static_selectorELNS0_4arch9wavefront6targetE0EEEvT1_
	.p2align	8
	.type	_ZN7rocprim17ROCPRIM_400000_NS6detail17trampoline_kernelINS0_14default_configENS1_20scan_config_selectorIN3c108BFloat16EEEZZNS1_9scan_implILNS1_25lookback_scan_determinismE0ELb0ELb0ES3_PKS6_PS6_S6_ZZZN2at6native31launch_logcumsumexp_cuda_kernelERKNSD_10TensorBaseESH_lENKUlvE_clEvENKUlvE4_clEvEUlS6_S6_E_S6_EEDaPvRmT3_T4_T5_mT6_P12ihipStream_tbENKUlT_T0_E_clISt17integral_constantIbLb0EESY_EEDaST_SU_EUlST_E0_NS1_11comp_targetILNS1_3genE10ELNS1_11target_archE1200ELNS1_3gpuE4ELNS1_3repE0EEENS1_30default_config_static_selectorELNS0_4arch9wavefront6targetE0EEEvT1_,@function
_ZN7rocprim17ROCPRIM_400000_NS6detail17trampoline_kernelINS0_14default_configENS1_20scan_config_selectorIN3c108BFloat16EEEZZNS1_9scan_implILNS1_25lookback_scan_determinismE0ELb0ELb0ES3_PKS6_PS6_S6_ZZZN2at6native31launch_logcumsumexp_cuda_kernelERKNSD_10TensorBaseESH_lENKUlvE_clEvENKUlvE4_clEvEUlS6_S6_E_S6_EEDaPvRmT3_T4_T5_mT6_P12ihipStream_tbENKUlT_T0_E_clISt17integral_constantIbLb0EESY_EEDaST_SU_EUlST_E0_NS1_11comp_targetILNS1_3genE10ELNS1_11target_archE1200ELNS1_3gpuE4ELNS1_3repE0EEENS1_30default_config_static_selectorELNS0_4arch9wavefront6targetE0EEEvT1_: ; @_ZN7rocprim17ROCPRIM_400000_NS6detail17trampoline_kernelINS0_14default_configENS1_20scan_config_selectorIN3c108BFloat16EEEZZNS1_9scan_implILNS1_25lookback_scan_determinismE0ELb0ELb0ES3_PKS6_PS6_S6_ZZZN2at6native31launch_logcumsumexp_cuda_kernelERKNSD_10TensorBaseESH_lENKUlvE_clEvENKUlvE4_clEvEUlS6_S6_E_S6_EEDaPvRmT3_T4_T5_mT6_P12ihipStream_tbENKUlT_T0_E_clISt17integral_constantIbLb0EESY_EEDaST_SU_EUlST_E0_NS1_11comp_targetILNS1_3genE10ELNS1_11target_archE1200ELNS1_3gpuE4ELNS1_3repE0EEENS1_30default_config_static_selectorELNS0_4arch9wavefront6targetE0EEEvT1_
; %bb.0:
	.section	.rodata,"a",@progbits
	.p2align	6, 0x0
	.amdhsa_kernel _ZN7rocprim17ROCPRIM_400000_NS6detail17trampoline_kernelINS0_14default_configENS1_20scan_config_selectorIN3c108BFloat16EEEZZNS1_9scan_implILNS1_25lookback_scan_determinismE0ELb0ELb0ES3_PKS6_PS6_S6_ZZZN2at6native31launch_logcumsumexp_cuda_kernelERKNSD_10TensorBaseESH_lENKUlvE_clEvENKUlvE4_clEvEUlS6_S6_E_S6_EEDaPvRmT3_T4_T5_mT6_P12ihipStream_tbENKUlT_T0_E_clISt17integral_constantIbLb0EESY_EEDaST_SU_EUlST_E0_NS1_11comp_targetILNS1_3genE10ELNS1_11target_archE1200ELNS1_3gpuE4ELNS1_3repE0EEENS1_30default_config_static_selectorELNS0_4arch9wavefront6targetE0EEEvT1_
		.amdhsa_group_segment_fixed_size 0
		.amdhsa_private_segment_fixed_size 0
		.amdhsa_kernarg_size 32
		.amdhsa_user_sgpr_count 2
		.amdhsa_user_sgpr_dispatch_ptr 0
		.amdhsa_user_sgpr_queue_ptr 0
		.amdhsa_user_sgpr_kernarg_segment_ptr 1
		.amdhsa_user_sgpr_dispatch_id 0
		.amdhsa_user_sgpr_private_segment_size 0
		.amdhsa_wavefront_size32 1
		.amdhsa_uses_dynamic_stack 0
		.amdhsa_enable_private_segment 0
		.amdhsa_system_sgpr_workgroup_id_x 1
		.amdhsa_system_sgpr_workgroup_id_y 0
		.amdhsa_system_sgpr_workgroup_id_z 0
		.amdhsa_system_sgpr_workgroup_info 0
		.amdhsa_system_vgpr_workitem_id 0
		.amdhsa_next_free_vgpr 1
		.amdhsa_next_free_sgpr 1
		.amdhsa_reserve_vcc 0
		.amdhsa_float_round_mode_32 0
		.amdhsa_float_round_mode_16_64 0
		.amdhsa_float_denorm_mode_32 3
		.amdhsa_float_denorm_mode_16_64 3
		.amdhsa_fp16_overflow 0
		.amdhsa_workgroup_processor_mode 1
		.amdhsa_memory_ordered 1
		.amdhsa_forward_progress 1
		.amdhsa_inst_pref_size 0
		.amdhsa_round_robin_scheduling 0
		.amdhsa_exception_fp_ieee_invalid_op 0
		.amdhsa_exception_fp_denorm_src 0
		.amdhsa_exception_fp_ieee_div_zero 0
		.amdhsa_exception_fp_ieee_overflow 0
		.amdhsa_exception_fp_ieee_underflow 0
		.amdhsa_exception_fp_ieee_inexact 0
		.amdhsa_exception_int_div_zero 0
	.end_amdhsa_kernel
	.section	.text._ZN7rocprim17ROCPRIM_400000_NS6detail17trampoline_kernelINS0_14default_configENS1_20scan_config_selectorIN3c108BFloat16EEEZZNS1_9scan_implILNS1_25lookback_scan_determinismE0ELb0ELb0ES3_PKS6_PS6_S6_ZZZN2at6native31launch_logcumsumexp_cuda_kernelERKNSD_10TensorBaseESH_lENKUlvE_clEvENKUlvE4_clEvEUlS6_S6_E_S6_EEDaPvRmT3_T4_T5_mT6_P12ihipStream_tbENKUlT_T0_E_clISt17integral_constantIbLb0EESY_EEDaST_SU_EUlST_E0_NS1_11comp_targetILNS1_3genE10ELNS1_11target_archE1200ELNS1_3gpuE4ELNS1_3repE0EEENS1_30default_config_static_selectorELNS0_4arch9wavefront6targetE0EEEvT1_,"axG",@progbits,_ZN7rocprim17ROCPRIM_400000_NS6detail17trampoline_kernelINS0_14default_configENS1_20scan_config_selectorIN3c108BFloat16EEEZZNS1_9scan_implILNS1_25lookback_scan_determinismE0ELb0ELb0ES3_PKS6_PS6_S6_ZZZN2at6native31launch_logcumsumexp_cuda_kernelERKNSD_10TensorBaseESH_lENKUlvE_clEvENKUlvE4_clEvEUlS6_S6_E_S6_EEDaPvRmT3_T4_T5_mT6_P12ihipStream_tbENKUlT_T0_E_clISt17integral_constantIbLb0EESY_EEDaST_SU_EUlST_E0_NS1_11comp_targetILNS1_3genE10ELNS1_11target_archE1200ELNS1_3gpuE4ELNS1_3repE0EEENS1_30default_config_static_selectorELNS0_4arch9wavefront6targetE0EEEvT1_,comdat
.Lfunc_end461:
	.size	_ZN7rocprim17ROCPRIM_400000_NS6detail17trampoline_kernelINS0_14default_configENS1_20scan_config_selectorIN3c108BFloat16EEEZZNS1_9scan_implILNS1_25lookback_scan_determinismE0ELb0ELb0ES3_PKS6_PS6_S6_ZZZN2at6native31launch_logcumsumexp_cuda_kernelERKNSD_10TensorBaseESH_lENKUlvE_clEvENKUlvE4_clEvEUlS6_S6_E_S6_EEDaPvRmT3_T4_T5_mT6_P12ihipStream_tbENKUlT_T0_E_clISt17integral_constantIbLb0EESY_EEDaST_SU_EUlST_E0_NS1_11comp_targetILNS1_3genE10ELNS1_11target_archE1200ELNS1_3gpuE4ELNS1_3repE0EEENS1_30default_config_static_selectorELNS0_4arch9wavefront6targetE0EEEvT1_, .Lfunc_end461-_ZN7rocprim17ROCPRIM_400000_NS6detail17trampoline_kernelINS0_14default_configENS1_20scan_config_selectorIN3c108BFloat16EEEZZNS1_9scan_implILNS1_25lookback_scan_determinismE0ELb0ELb0ES3_PKS6_PS6_S6_ZZZN2at6native31launch_logcumsumexp_cuda_kernelERKNSD_10TensorBaseESH_lENKUlvE_clEvENKUlvE4_clEvEUlS6_S6_E_S6_EEDaPvRmT3_T4_T5_mT6_P12ihipStream_tbENKUlT_T0_E_clISt17integral_constantIbLb0EESY_EEDaST_SU_EUlST_E0_NS1_11comp_targetILNS1_3genE10ELNS1_11target_archE1200ELNS1_3gpuE4ELNS1_3repE0EEENS1_30default_config_static_selectorELNS0_4arch9wavefront6targetE0EEEvT1_
                                        ; -- End function
	.set _ZN7rocprim17ROCPRIM_400000_NS6detail17trampoline_kernelINS0_14default_configENS1_20scan_config_selectorIN3c108BFloat16EEEZZNS1_9scan_implILNS1_25lookback_scan_determinismE0ELb0ELb0ES3_PKS6_PS6_S6_ZZZN2at6native31launch_logcumsumexp_cuda_kernelERKNSD_10TensorBaseESH_lENKUlvE_clEvENKUlvE4_clEvEUlS6_S6_E_S6_EEDaPvRmT3_T4_T5_mT6_P12ihipStream_tbENKUlT_T0_E_clISt17integral_constantIbLb0EESY_EEDaST_SU_EUlST_E0_NS1_11comp_targetILNS1_3genE10ELNS1_11target_archE1200ELNS1_3gpuE4ELNS1_3repE0EEENS1_30default_config_static_selectorELNS0_4arch9wavefront6targetE0EEEvT1_.num_vgpr, 0
	.set _ZN7rocprim17ROCPRIM_400000_NS6detail17trampoline_kernelINS0_14default_configENS1_20scan_config_selectorIN3c108BFloat16EEEZZNS1_9scan_implILNS1_25lookback_scan_determinismE0ELb0ELb0ES3_PKS6_PS6_S6_ZZZN2at6native31launch_logcumsumexp_cuda_kernelERKNSD_10TensorBaseESH_lENKUlvE_clEvENKUlvE4_clEvEUlS6_S6_E_S6_EEDaPvRmT3_T4_T5_mT6_P12ihipStream_tbENKUlT_T0_E_clISt17integral_constantIbLb0EESY_EEDaST_SU_EUlST_E0_NS1_11comp_targetILNS1_3genE10ELNS1_11target_archE1200ELNS1_3gpuE4ELNS1_3repE0EEENS1_30default_config_static_selectorELNS0_4arch9wavefront6targetE0EEEvT1_.num_agpr, 0
	.set _ZN7rocprim17ROCPRIM_400000_NS6detail17trampoline_kernelINS0_14default_configENS1_20scan_config_selectorIN3c108BFloat16EEEZZNS1_9scan_implILNS1_25lookback_scan_determinismE0ELb0ELb0ES3_PKS6_PS6_S6_ZZZN2at6native31launch_logcumsumexp_cuda_kernelERKNSD_10TensorBaseESH_lENKUlvE_clEvENKUlvE4_clEvEUlS6_S6_E_S6_EEDaPvRmT3_T4_T5_mT6_P12ihipStream_tbENKUlT_T0_E_clISt17integral_constantIbLb0EESY_EEDaST_SU_EUlST_E0_NS1_11comp_targetILNS1_3genE10ELNS1_11target_archE1200ELNS1_3gpuE4ELNS1_3repE0EEENS1_30default_config_static_selectorELNS0_4arch9wavefront6targetE0EEEvT1_.numbered_sgpr, 0
	.set _ZN7rocprim17ROCPRIM_400000_NS6detail17trampoline_kernelINS0_14default_configENS1_20scan_config_selectorIN3c108BFloat16EEEZZNS1_9scan_implILNS1_25lookback_scan_determinismE0ELb0ELb0ES3_PKS6_PS6_S6_ZZZN2at6native31launch_logcumsumexp_cuda_kernelERKNSD_10TensorBaseESH_lENKUlvE_clEvENKUlvE4_clEvEUlS6_S6_E_S6_EEDaPvRmT3_T4_T5_mT6_P12ihipStream_tbENKUlT_T0_E_clISt17integral_constantIbLb0EESY_EEDaST_SU_EUlST_E0_NS1_11comp_targetILNS1_3genE10ELNS1_11target_archE1200ELNS1_3gpuE4ELNS1_3repE0EEENS1_30default_config_static_selectorELNS0_4arch9wavefront6targetE0EEEvT1_.num_named_barrier, 0
	.set _ZN7rocprim17ROCPRIM_400000_NS6detail17trampoline_kernelINS0_14default_configENS1_20scan_config_selectorIN3c108BFloat16EEEZZNS1_9scan_implILNS1_25lookback_scan_determinismE0ELb0ELb0ES3_PKS6_PS6_S6_ZZZN2at6native31launch_logcumsumexp_cuda_kernelERKNSD_10TensorBaseESH_lENKUlvE_clEvENKUlvE4_clEvEUlS6_S6_E_S6_EEDaPvRmT3_T4_T5_mT6_P12ihipStream_tbENKUlT_T0_E_clISt17integral_constantIbLb0EESY_EEDaST_SU_EUlST_E0_NS1_11comp_targetILNS1_3genE10ELNS1_11target_archE1200ELNS1_3gpuE4ELNS1_3repE0EEENS1_30default_config_static_selectorELNS0_4arch9wavefront6targetE0EEEvT1_.private_seg_size, 0
	.set _ZN7rocprim17ROCPRIM_400000_NS6detail17trampoline_kernelINS0_14default_configENS1_20scan_config_selectorIN3c108BFloat16EEEZZNS1_9scan_implILNS1_25lookback_scan_determinismE0ELb0ELb0ES3_PKS6_PS6_S6_ZZZN2at6native31launch_logcumsumexp_cuda_kernelERKNSD_10TensorBaseESH_lENKUlvE_clEvENKUlvE4_clEvEUlS6_S6_E_S6_EEDaPvRmT3_T4_T5_mT6_P12ihipStream_tbENKUlT_T0_E_clISt17integral_constantIbLb0EESY_EEDaST_SU_EUlST_E0_NS1_11comp_targetILNS1_3genE10ELNS1_11target_archE1200ELNS1_3gpuE4ELNS1_3repE0EEENS1_30default_config_static_selectorELNS0_4arch9wavefront6targetE0EEEvT1_.uses_vcc, 0
	.set _ZN7rocprim17ROCPRIM_400000_NS6detail17trampoline_kernelINS0_14default_configENS1_20scan_config_selectorIN3c108BFloat16EEEZZNS1_9scan_implILNS1_25lookback_scan_determinismE0ELb0ELb0ES3_PKS6_PS6_S6_ZZZN2at6native31launch_logcumsumexp_cuda_kernelERKNSD_10TensorBaseESH_lENKUlvE_clEvENKUlvE4_clEvEUlS6_S6_E_S6_EEDaPvRmT3_T4_T5_mT6_P12ihipStream_tbENKUlT_T0_E_clISt17integral_constantIbLb0EESY_EEDaST_SU_EUlST_E0_NS1_11comp_targetILNS1_3genE10ELNS1_11target_archE1200ELNS1_3gpuE4ELNS1_3repE0EEENS1_30default_config_static_selectorELNS0_4arch9wavefront6targetE0EEEvT1_.uses_flat_scratch, 0
	.set _ZN7rocprim17ROCPRIM_400000_NS6detail17trampoline_kernelINS0_14default_configENS1_20scan_config_selectorIN3c108BFloat16EEEZZNS1_9scan_implILNS1_25lookback_scan_determinismE0ELb0ELb0ES3_PKS6_PS6_S6_ZZZN2at6native31launch_logcumsumexp_cuda_kernelERKNSD_10TensorBaseESH_lENKUlvE_clEvENKUlvE4_clEvEUlS6_S6_E_S6_EEDaPvRmT3_T4_T5_mT6_P12ihipStream_tbENKUlT_T0_E_clISt17integral_constantIbLb0EESY_EEDaST_SU_EUlST_E0_NS1_11comp_targetILNS1_3genE10ELNS1_11target_archE1200ELNS1_3gpuE4ELNS1_3repE0EEENS1_30default_config_static_selectorELNS0_4arch9wavefront6targetE0EEEvT1_.has_dyn_sized_stack, 0
	.set _ZN7rocprim17ROCPRIM_400000_NS6detail17trampoline_kernelINS0_14default_configENS1_20scan_config_selectorIN3c108BFloat16EEEZZNS1_9scan_implILNS1_25lookback_scan_determinismE0ELb0ELb0ES3_PKS6_PS6_S6_ZZZN2at6native31launch_logcumsumexp_cuda_kernelERKNSD_10TensorBaseESH_lENKUlvE_clEvENKUlvE4_clEvEUlS6_S6_E_S6_EEDaPvRmT3_T4_T5_mT6_P12ihipStream_tbENKUlT_T0_E_clISt17integral_constantIbLb0EESY_EEDaST_SU_EUlST_E0_NS1_11comp_targetILNS1_3genE10ELNS1_11target_archE1200ELNS1_3gpuE4ELNS1_3repE0EEENS1_30default_config_static_selectorELNS0_4arch9wavefront6targetE0EEEvT1_.has_recursion, 0
	.set _ZN7rocprim17ROCPRIM_400000_NS6detail17trampoline_kernelINS0_14default_configENS1_20scan_config_selectorIN3c108BFloat16EEEZZNS1_9scan_implILNS1_25lookback_scan_determinismE0ELb0ELb0ES3_PKS6_PS6_S6_ZZZN2at6native31launch_logcumsumexp_cuda_kernelERKNSD_10TensorBaseESH_lENKUlvE_clEvENKUlvE4_clEvEUlS6_S6_E_S6_EEDaPvRmT3_T4_T5_mT6_P12ihipStream_tbENKUlT_T0_E_clISt17integral_constantIbLb0EESY_EEDaST_SU_EUlST_E0_NS1_11comp_targetILNS1_3genE10ELNS1_11target_archE1200ELNS1_3gpuE4ELNS1_3repE0EEENS1_30default_config_static_selectorELNS0_4arch9wavefront6targetE0EEEvT1_.has_indirect_call, 0
	.section	.AMDGPU.csdata,"",@progbits
; Kernel info:
; codeLenInByte = 0
; TotalNumSgprs: 0
; NumVgprs: 0
; ScratchSize: 0
; MemoryBound: 0
; FloatMode: 240
; IeeeMode: 1
; LDSByteSize: 0 bytes/workgroup (compile time only)
; SGPRBlocks: 0
; VGPRBlocks: 0
; NumSGPRsForWavesPerEU: 1
; NumVGPRsForWavesPerEU: 1
; Occupancy: 16
; WaveLimiterHint : 0
; COMPUTE_PGM_RSRC2:SCRATCH_EN: 0
; COMPUTE_PGM_RSRC2:USER_SGPR: 2
; COMPUTE_PGM_RSRC2:TRAP_HANDLER: 0
; COMPUTE_PGM_RSRC2:TGID_X_EN: 1
; COMPUTE_PGM_RSRC2:TGID_Y_EN: 0
; COMPUTE_PGM_RSRC2:TGID_Z_EN: 0
; COMPUTE_PGM_RSRC2:TIDIG_COMP_CNT: 0
	.section	.text._ZN7rocprim17ROCPRIM_400000_NS6detail17trampoline_kernelINS0_14default_configENS1_20scan_config_selectorIN3c108BFloat16EEEZZNS1_9scan_implILNS1_25lookback_scan_determinismE0ELb0ELb0ES3_PKS6_PS6_S6_ZZZN2at6native31launch_logcumsumexp_cuda_kernelERKNSD_10TensorBaseESH_lENKUlvE_clEvENKUlvE4_clEvEUlS6_S6_E_S6_EEDaPvRmT3_T4_T5_mT6_P12ihipStream_tbENKUlT_T0_E_clISt17integral_constantIbLb0EESY_EEDaST_SU_EUlST_E0_NS1_11comp_targetILNS1_3genE9ELNS1_11target_archE1100ELNS1_3gpuE3ELNS1_3repE0EEENS1_30default_config_static_selectorELNS0_4arch9wavefront6targetE0EEEvT1_,"axG",@progbits,_ZN7rocprim17ROCPRIM_400000_NS6detail17trampoline_kernelINS0_14default_configENS1_20scan_config_selectorIN3c108BFloat16EEEZZNS1_9scan_implILNS1_25lookback_scan_determinismE0ELb0ELb0ES3_PKS6_PS6_S6_ZZZN2at6native31launch_logcumsumexp_cuda_kernelERKNSD_10TensorBaseESH_lENKUlvE_clEvENKUlvE4_clEvEUlS6_S6_E_S6_EEDaPvRmT3_T4_T5_mT6_P12ihipStream_tbENKUlT_T0_E_clISt17integral_constantIbLb0EESY_EEDaST_SU_EUlST_E0_NS1_11comp_targetILNS1_3genE9ELNS1_11target_archE1100ELNS1_3gpuE3ELNS1_3repE0EEENS1_30default_config_static_selectorELNS0_4arch9wavefront6targetE0EEEvT1_,comdat
	.globl	_ZN7rocprim17ROCPRIM_400000_NS6detail17trampoline_kernelINS0_14default_configENS1_20scan_config_selectorIN3c108BFloat16EEEZZNS1_9scan_implILNS1_25lookback_scan_determinismE0ELb0ELb0ES3_PKS6_PS6_S6_ZZZN2at6native31launch_logcumsumexp_cuda_kernelERKNSD_10TensorBaseESH_lENKUlvE_clEvENKUlvE4_clEvEUlS6_S6_E_S6_EEDaPvRmT3_T4_T5_mT6_P12ihipStream_tbENKUlT_T0_E_clISt17integral_constantIbLb0EESY_EEDaST_SU_EUlST_E0_NS1_11comp_targetILNS1_3genE9ELNS1_11target_archE1100ELNS1_3gpuE3ELNS1_3repE0EEENS1_30default_config_static_selectorELNS0_4arch9wavefront6targetE0EEEvT1_ ; -- Begin function _ZN7rocprim17ROCPRIM_400000_NS6detail17trampoline_kernelINS0_14default_configENS1_20scan_config_selectorIN3c108BFloat16EEEZZNS1_9scan_implILNS1_25lookback_scan_determinismE0ELb0ELb0ES3_PKS6_PS6_S6_ZZZN2at6native31launch_logcumsumexp_cuda_kernelERKNSD_10TensorBaseESH_lENKUlvE_clEvENKUlvE4_clEvEUlS6_S6_E_S6_EEDaPvRmT3_T4_T5_mT6_P12ihipStream_tbENKUlT_T0_E_clISt17integral_constantIbLb0EESY_EEDaST_SU_EUlST_E0_NS1_11comp_targetILNS1_3genE9ELNS1_11target_archE1100ELNS1_3gpuE3ELNS1_3repE0EEENS1_30default_config_static_selectorELNS0_4arch9wavefront6targetE0EEEvT1_
	.p2align	8
	.type	_ZN7rocprim17ROCPRIM_400000_NS6detail17trampoline_kernelINS0_14default_configENS1_20scan_config_selectorIN3c108BFloat16EEEZZNS1_9scan_implILNS1_25lookback_scan_determinismE0ELb0ELb0ES3_PKS6_PS6_S6_ZZZN2at6native31launch_logcumsumexp_cuda_kernelERKNSD_10TensorBaseESH_lENKUlvE_clEvENKUlvE4_clEvEUlS6_S6_E_S6_EEDaPvRmT3_T4_T5_mT6_P12ihipStream_tbENKUlT_T0_E_clISt17integral_constantIbLb0EESY_EEDaST_SU_EUlST_E0_NS1_11comp_targetILNS1_3genE9ELNS1_11target_archE1100ELNS1_3gpuE3ELNS1_3repE0EEENS1_30default_config_static_selectorELNS0_4arch9wavefront6targetE0EEEvT1_,@function
_ZN7rocprim17ROCPRIM_400000_NS6detail17trampoline_kernelINS0_14default_configENS1_20scan_config_selectorIN3c108BFloat16EEEZZNS1_9scan_implILNS1_25lookback_scan_determinismE0ELb0ELb0ES3_PKS6_PS6_S6_ZZZN2at6native31launch_logcumsumexp_cuda_kernelERKNSD_10TensorBaseESH_lENKUlvE_clEvENKUlvE4_clEvEUlS6_S6_E_S6_EEDaPvRmT3_T4_T5_mT6_P12ihipStream_tbENKUlT_T0_E_clISt17integral_constantIbLb0EESY_EEDaST_SU_EUlST_E0_NS1_11comp_targetILNS1_3genE9ELNS1_11target_archE1100ELNS1_3gpuE3ELNS1_3repE0EEENS1_30default_config_static_selectorELNS0_4arch9wavefront6targetE0EEEvT1_: ; @_ZN7rocprim17ROCPRIM_400000_NS6detail17trampoline_kernelINS0_14default_configENS1_20scan_config_selectorIN3c108BFloat16EEEZZNS1_9scan_implILNS1_25lookback_scan_determinismE0ELb0ELb0ES3_PKS6_PS6_S6_ZZZN2at6native31launch_logcumsumexp_cuda_kernelERKNSD_10TensorBaseESH_lENKUlvE_clEvENKUlvE4_clEvEUlS6_S6_E_S6_EEDaPvRmT3_T4_T5_mT6_P12ihipStream_tbENKUlT_T0_E_clISt17integral_constantIbLb0EESY_EEDaST_SU_EUlST_E0_NS1_11comp_targetILNS1_3genE9ELNS1_11target_archE1100ELNS1_3gpuE3ELNS1_3repE0EEENS1_30default_config_static_selectorELNS0_4arch9wavefront6targetE0EEEvT1_
; %bb.0:
	.section	.rodata,"a",@progbits
	.p2align	6, 0x0
	.amdhsa_kernel _ZN7rocprim17ROCPRIM_400000_NS6detail17trampoline_kernelINS0_14default_configENS1_20scan_config_selectorIN3c108BFloat16EEEZZNS1_9scan_implILNS1_25lookback_scan_determinismE0ELb0ELb0ES3_PKS6_PS6_S6_ZZZN2at6native31launch_logcumsumexp_cuda_kernelERKNSD_10TensorBaseESH_lENKUlvE_clEvENKUlvE4_clEvEUlS6_S6_E_S6_EEDaPvRmT3_T4_T5_mT6_P12ihipStream_tbENKUlT_T0_E_clISt17integral_constantIbLb0EESY_EEDaST_SU_EUlST_E0_NS1_11comp_targetILNS1_3genE9ELNS1_11target_archE1100ELNS1_3gpuE3ELNS1_3repE0EEENS1_30default_config_static_selectorELNS0_4arch9wavefront6targetE0EEEvT1_
		.amdhsa_group_segment_fixed_size 0
		.amdhsa_private_segment_fixed_size 0
		.amdhsa_kernarg_size 32
		.amdhsa_user_sgpr_count 2
		.amdhsa_user_sgpr_dispatch_ptr 0
		.amdhsa_user_sgpr_queue_ptr 0
		.amdhsa_user_sgpr_kernarg_segment_ptr 1
		.amdhsa_user_sgpr_dispatch_id 0
		.amdhsa_user_sgpr_private_segment_size 0
		.amdhsa_wavefront_size32 1
		.amdhsa_uses_dynamic_stack 0
		.amdhsa_enable_private_segment 0
		.amdhsa_system_sgpr_workgroup_id_x 1
		.amdhsa_system_sgpr_workgroup_id_y 0
		.amdhsa_system_sgpr_workgroup_id_z 0
		.amdhsa_system_sgpr_workgroup_info 0
		.amdhsa_system_vgpr_workitem_id 0
		.amdhsa_next_free_vgpr 1
		.amdhsa_next_free_sgpr 1
		.amdhsa_reserve_vcc 0
		.amdhsa_float_round_mode_32 0
		.amdhsa_float_round_mode_16_64 0
		.amdhsa_float_denorm_mode_32 3
		.amdhsa_float_denorm_mode_16_64 3
		.amdhsa_fp16_overflow 0
		.amdhsa_workgroup_processor_mode 1
		.amdhsa_memory_ordered 1
		.amdhsa_forward_progress 1
		.amdhsa_inst_pref_size 0
		.amdhsa_round_robin_scheduling 0
		.amdhsa_exception_fp_ieee_invalid_op 0
		.amdhsa_exception_fp_denorm_src 0
		.amdhsa_exception_fp_ieee_div_zero 0
		.amdhsa_exception_fp_ieee_overflow 0
		.amdhsa_exception_fp_ieee_underflow 0
		.amdhsa_exception_fp_ieee_inexact 0
		.amdhsa_exception_int_div_zero 0
	.end_amdhsa_kernel
	.section	.text._ZN7rocprim17ROCPRIM_400000_NS6detail17trampoline_kernelINS0_14default_configENS1_20scan_config_selectorIN3c108BFloat16EEEZZNS1_9scan_implILNS1_25lookback_scan_determinismE0ELb0ELb0ES3_PKS6_PS6_S6_ZZZN2at6native31launch_logcumsumexp_cuda_kernelERKNSD_10TensorBaseESH_lENKUlvE_clEvENKUlvE4_clEvEUlS6_S6_E_S6_EEDaPvRmT3_T4_T5_mT6_P12ihipStream_tbENKUlT_T0_E_clISt17integral_constantIbLb0EESY_EEDaST_SU_EUlST_E0_NS1_11comp_targetILNS1_3genE9ELNS1_11target_archE1100ELNS1_3gpuE3ELNS1_3repE0EEENS1_30default_config_static_selectorELNS0_4arch9wavefront6targetE0EEEvT1_,"axG",@progbits,_ZN7rocprim17ROCPRIM_400000_NS6detail17trampoline_kernelINS0_14default_configENS1_20scan_config_selectorIN3c108BFloat16EEEZZNS1_9scan_implILNS1_25lookback_scan_determinismE0ELb0ELb0ES3_PKS6_PS6_S6_ZZZN2at6native31launch_logcumsumexp_cuda_kernelERKNSD_10TensorBaseESH_lENKUlvE_clEvENKUlvE4_clEvEUlS6_S6_E_S6_EEDaPvRmT3_T4_T5_mT6_P12ihipStream_tbENKUlT_T0_E_clISt17integral_constantIbLb0EESY_EEDaST_SU_EUlST_E0_NS1_11comp_targetILNS1_3genE9ELNS1_11target_archE1100ELNS1_3gpuE3ELNS1_3repE0EEENS1_30default_config_static_selectorELNS0_4arch9wavefront6targetE0EEEvT1_,comdat
.Lfunc_end462:
	.size	_ZN7rocprim17ROCPRIM_400000_NS6detail17trampoline_kernelINS0_14default_configENS1_20scan_config_selectorIN3c108BFloat16EEEZZNS1_9scan_implILNS1_25lookback_scan_determinismE0ELb0ELb0ES3_PKS6_PS6_S6_ZZZN2at6native31launch_logcumsumexp_cuda_kernelERKNSD_10TensorBaseESH_lENKUlvE_clEvENKUlvE4_clEvEUlS6_S6_E_S6_EEDaPvRmT3_T4_T5_mT6_P12ihipStream_tbENKUlT_T0_E_clISt17integral_constantIbLb0EESY_EEDaST_SU_EUlST_E0_NS1_11comp_targetILNS1_3genE9ELNS1_11target_archE1100ELNS1_3gpuE3ELNS1_3repE0EEENS1_30default_config_static_selectorELNS0_4arch9wavefront6targetE0EEEvT1_, .Lfunc_end462-_ZN7rocprim17ROCPRIM_400000_NS6detail17trampoline_kernelINS0_14default_configENS1_20scan_config_selectorIN3c108BFloat16EEEZZNS1_9scan_implILNS1_25lookback_scan_determinismE0ELb0ELb0ES3_PKS6_PS6_S6_ZZZN2at6native31launch_logcumsumexp_cuda_kernelERKNSD_10TensorBaseESH_lENKUlvE_clEvENKUlvE4_clEvEUlS6_S6_E_S6_EEDaPvRmT3_T4_T5_mT6_P12ihipStream_tbENKUlT_T0_E_clISt17integral_constantIbLb0EESY_EEDaST_SU_EUlST_E0_NS1_11comp_targetILNS1_3genE9ELNS1_11target_archE1100ELNS1_3gpuE3ELNS1_3repE0EEENS1_30default_config_static_selectorELNS0_4arch9wavefront6targetE0EEEvT1_
                                        ; -- End function
	.set _ZN7rocprim17ROCPRIM_400000_NS6detail17trampoline_kernelINS0_14default_configENS1_20scan_config_selectorIN3c108BFloat16EEEZZNS1_9scan_implILNS1_25lookback_scan_determinismE0ELb0ELb0ES3_PKS6_PS6_S6_ZZZN2at6native31launch_logcumsumexp_cuda_kernelERKNSD_10TensorBaseESH_lENKUlvE_clEvENKUlvE4_clEvEUlS6_S6_E_S6_EEDaPvRmT3_T4_T5_mT6_P12ihipStream_tbENKUlT_T0_E_clISt17integral_constantIbLb0EESY_EEDaST_SU_EUlST_E0_NS1_11comp_targetILNS1_3genE9ELNS1_11target_archE1100ELNS1_3gpuE3ELNS1_3repE0EEENS1_30default_config_static_selectorELNS0_4arch9wavefront6targetE0EEEvT1_.num_vgpr, 0
	.set _ZN7rocprim17ROCPRIM_400000_NS6detail17trampoline_kernelINS0_14default_configENS1_20scan_config_selectorIN3c108BFloat16EEEZZNS1_9scan_implILNS1_25lookback_scan_determinismE0ELb0ELb0ES3_PKS6_PS6_S6_ZZZN2at6native31launch_logcumsumexp_cuda_kernelERKNSD_10TensorBaseESH_lENKUlvE_clEvENKUlvE4_clEvEUlS6_S6_E_S6_EEDaPvRmT3_T4_T5_mT6_P12ihipStream_tbENKUlT_T0_E_clISt17integral_constantIbLb0EESY_EEDaST_SU_EUlST_E0_NS1_11comp_targetILNS1_3genE9ELNS1_11target_archE1100ELNS1_3gpuE3ELNS1_3repE0EEENS1_30default_config_static_selectorELNS0_4arch9wavefront6targetE0EEEvT1_.num_agpr, 0
	.set _ZN7rocprim17ROCPRIM_400000_NS6detail17trampoline_kernelINS0_14default_configENS1_20scan_config_selectorIN3c108BFloat16EEEZZNS1_9scan_implILNS1_25lookback_scan_determinismE0ELb0ELb0ES3_PKS6_PS6_S6_ZZZN2at6native31launch_logcumsumexp_cuda_kernelERKNSD_10TensorBaseESH_lENKUlvE_clEvENKUlvE4_clEvEUlS6_S6_E_S6_EEDaPvRmT3_T4_T5_mT6_P12ihipStream_tbENKUlT_T0_E_clISt17integral_constantIbLb0EESY_EEDaST_SU_EUlST_E0_NS1_11comp_targetILNS1_3genE9ELNS1_11target_archE1100ELNS1_3gpuE3ELNS1_3repE0EEENS1_30default_config_static_selectorELNS0_4arch9wavefront6targetE0EEEvT1_.numbered_sgpr, 0
	.set _ZN7rocprim17ROCPRIM_400000_NS6detail17trampoline_kernelINS0_14default_configENS1_20scan_config_selectorIN3c108BFloat16EEEZZNS1_9scan_implILNS1_25lookback_scan_determinismE0ELb0ELb0ES3_PKS6_PS6_S6_ZZZN2at6native31launch_logcumsumexp_cuda_kernelERKNSD_10TensorBaseESH_lENKUlvE_clEvENKUlvE4_clEvEUlS6_S6_E_S6_EEDaPvRmT3_T4_T5_mT6_P12ihipStream_tbENKUlT_T0_E_clISt17integral_constantIbLb0EESY_EEDaST_SU_EUlST_E0_NS1_11comp_targetILNS1_3genE9ELNS1_11target_archE1100ELNS1_3gpuE3ELNS1_3repE0EEENS1_30default_config_static_selectorELNS0_4arch9wavefront6targetE0EEEvT1_.num_named_barrier, 0
	.set _ZN7rocprim17ROCPRIM_400000_NS6detail17trampoline_kernelINS0_14default_configENS1_20scan_config_selectorIN3c108BFloat16EEEZZNS1_9scan_implILNS1_25lookback_scan_determinismE0ELb0ELb0ES3_PKS6_PS6_S6_ZZZN2at6native31launch_logcumsumexp_cuda_kernelERKNSD_10TensorBaseESH_lENKUlvE_clEvENKUlvE4_clEvEUlS6_S6_E_S6_EEDaPvRmT3_T4_T5_mT6_P12ihipStream_tbENKUlT_T0_E_clISt17integral_constantIbLb0EESY_EEDaST_SU_EUlST_E0_NS1_11comp_targetILNS1_3genE9ELNS1_11target_archE1100ELNS1_3gpuE3ELNS1_3repE0EEENS1_30default_config_static_selectorELNS0_4arch9wavefront6targetE0EEEvT1_.private_seg_size, 0
	.set _ZN7rocprim17ROCPRIM_400000_NS6detail17trampoline_kernelINS0_14default_configENS1_20scan_config_selectorIN3c108BFloat16EEEZZNS1_9scan_implILNS1_25lookback_scan_determinismE0ELb0ELb0ES3_PKS6_PS6_S6_ZZZN2at6native31launch_logcumsumexp_cuda_kernelERKNSD_10TensorBaseESH_lENKUlvE_clEvENKUlvE4_clEvEUlS6_S6_E_S6_EEDaPvRmT3_T4_T5_mT6_P12ihipStream_tbENKUlT_T0_E_clISt17integral_constantIbLb0EESY_EEDaST_SU_EUlST_E0_NS1_11comp_targetILNS1_3genE9ELNS1_11target_archE1100ELNS1_3gpuE3ELNS1_3repE0EEENS1_30default_config_static_selectorELNS0_4arch9wavefront6targetE0EEEvT1_.uses_vcc, 0
	.set _ZN7rocprim17ROCPRIM_400000_NS6detail17trampoline_kernelINS0_14default_configENS1_20scan_config_selectorIN3c108BFloat16EEEZZNS1_9scan_implILNS1_25lookback_scan_determinismE0ELb0ELb0ES3_PKS6_PS6_S6_ZZZN2at6native31launch_logcumsumexp_cuda_kernelERKNSD_10TensorBaseESH_lENKUlvE_clEvENKUlvE4_clEvEUlS6_S6_E_S6_EEDaPvRmT3_T4_T5_mT6_P12ihipStream_tbENKUlT_T0_E_clISt17integral_constantIbLb0EESY_EEDaST_SU_EUlST_E0_NS1_11comp_targetILNS1_3genE9ELNS1_11target_archE1100ELNS1_3gpuE3ELNS1_3repE0EEENS1_30default_config_static_selectorELNS0_4arch9wavefront6targetE0EEEvT1_.uses_flat_scratch, 0
	.set _ZN7rocprim17ROCPRIM_400000_NS6detail17trampoline_kernelINS0_14default_configENS1_20scan_config_selectorIN3c108BFloat16EEEZZNS1_9scan_implILNS1_25lookback_scan_determinismE0ELb0ELb0ES3_PKS6_PS6_S6_ZZZN2at6native31launch_logcumsumexp_cuda_kernelERKNSD_10TensorBaseESH_lENKUlvE_clEvENKUlvE4_clEvEUlS6_S6_E_S6_EEDaPvRmT3_T4_T5_mT6_P12ihipStream_tbENKUlT_T0_E_clISt17integral_constantIbLb0EESY_EEDaST_SU_EUlST_E0_NS1_11comp_targetILNS1_3genE9ELNS1_11target_archE1100ELNS1_3gpuE3ELNS1_3repE0EEENS1_30default_config_static_selectorELNS0_4arch9wavefront6targetE0EEEvT1_.has_dyn_sized_stack, 0
	.set _ZN7rocprim17ROCPRIM_400000_NS6detail17trampoline_kernelINS0_14default_configENS1_20scan_config_selectorIN3c108BFloat16EEEZZNS1_9scan_implILNS1_25lookback_scan_determinismE0ELb0ELb0ES3_PKS6_PS6_S6_ZZZN2at6native31launch_logcumsumexp_cuda_kernelERKNSD_10TensorBaseESH_lENKUlvE_clEvENKUlvE4_clEvEUlS6_S6_E_S6_EEDaPvRmT3_T4_T5_mT6_P12ihipStream_tbENKUlT_T0_E_clISt17integral_constantIbLb0EESY_EEDaST_SU_EUlST_E0_NS1_11comp_targetILNS1_3genE9ELNS1_11target_archE1100ELNS1_3gpuE3ELNS1_3repE0EEENS1_30default_config_static_selectorELNS0_4arch9wavefront6targetE0EEEvT1_.has_recursion, 0
	.set _ZN7rocprim17ROCPRIM_400000_NS6detail17trampoline_kernelINS0_14default_configENS1_20scan_config_selectorIN3c108BFloat16EEEZZNS1_9scan_implILNS1_25lookback_scan_determinismE0ELb0ELb0ES3_PKS6_PS6_S6_ZZZN2at6native31launch_logcumsumexp_cuda_kernelERKNSD_10TensorBaseESH_lENKUlvE_clEvENKUlvE4_clEvEUlS6_S6_E_S6_EEDaPvRmT3_T4_T5_mT6_P12ihipStream_tbENKUlT_T0_E_clISt17integral_constantIbLb0EESY_EEDaST_SU_EUlST_E0_NS1_11comp_targetILNS1_3genE9ELNS1_11target_archE1100ELNS1_3gpuE3ELNS1_3repE0EEENS1_30default_config_static_selectorELNS0_4arch9wavefront6targetE0EEEvT1_.has_indirect_call, 0
	.section	.AMDGPU.csdata,"",@progbits
; Kernel info:
; codeLenInByte = 0
; TotalNumSgprs: 0
; NumVgprs: 0
; ScratchSize: 0
; MemoryBound: 0
; FloatMode: 240
; IeeeMode: 1
; LDSByteSize: 0 bytes/workgroup (compile time only)
; SGPRBlocks: 0
; VGPRBlocks: 0
; NumSGPRsForWavesPerEU: 1
; NumVGPRsForWavesPerEU: 1
; Occupancy: 16
; WaveLimiterHint : 0
; COMPUTE_PGM_RSRC2:SCRATCH_EN: 0
; COMPUTE_PGM_RSRC2:USER_SGPR: 2
; COMPUTE_PGM_RSRC2:TRAP_HANDLER: 0
; COMPUTE_PGM_RSRC2:TGID_X_EN: 1
; COMPUTE_PGM_RSRC2:TGID_Y_EN: 0
; COMPUTE_PGM_RSRC2:TGID_Z_EN: 0
; COMPUTE_PGM_RSRC2:TIDIG_COMP_CNT: 0
	.section	.text._ZN7rocprim17ROCPRIM_400000_NS6detail17trampoline_kernelINS0_14default_configENS1_20scan_config_selectorIN3c108BFloat16EEEZZNS1_9scan_implILNS1_25lookback_scan_determinismE0ELb0ELb0ES3_PKS6_PS6_S6_ZZZN2at6native31launch_logcumsumexp_cuda_kernelERKNSD_10TensorBaseESH_lENKUlvE_clEvENKUlvE4_clEvEUlS6_S6_E_S6_EEDaPvRmT3_T4_T5_mT6_P12ihipStream_tbENKUlT_T0_E_clISt17integral_constantIbLb0EESY_EEDaST_SU_EUlST_E0_NS1_11comp_targetILNS1_3genE8ELNS1_11target_archE1030ELNS1_3gpuE2ELNS1_3repE0EEENS1_30default_config_static_selectorELNS0_4arch9wavefront6targetE0EEEvT1_,"axG",@progbits,_ZN7rocprim17ROCPRIM_400000_NS6detail17trampoline_kernelINS0_14default_configENS1_20scan_config_selectorIN3c108BFloat16EEEZZNS1_9scan_implILNS1_25lookback_scan_determinismE0ELb0ELb0ES3_PKS6_PS6_S6_ZZZN2at6native31launch_logcumsumexp_cuda_kernelERKNSD_10TensorBaseESH_lENKUlvE_clEvENKUlvE4_clEvEUlS6_S6_E_S6_EEDaPvRmT3_T4_T5_mT6_P12ihipStream_tbENKUlT_T0_E_clISt17integral_constantIbLb0EESY_EEDaST_SU_EUlST_E0_NS1_11comp_targetILNS1_3genE8ELNS1_11target_archE1030ELNS1_3gpuE2ELNS1_3repE0EEENS1_30default_config_static_selectorELNS0_4arch9wavefront6targetE0EEEvT1_,comdat
	.globl	_ZN7rocprim17ROCPRIM_400000_NS6detail17trampoline_kernelINS0_14default_configENS1_20scan_config_selectorIN3c108BFloat16EEEZZNS1_9scan_implILNS1_25lookback_scan_determinismE0ELb0ELb0ES3_PKS6_PS6_S6_ZZZN2at6native31launch_logcumsumexp_cuda_kernelERKNSD_10TensorBaseESH_lENKUlvE_clEvENKUlvE4_clEvEUlS6_S6_E_S6_EEDaPvRmT3_T4_T5_mT6_P12ihipStream_tbENKUlT_T0_E_clISt17integral_constantIbLb0EESY_EEDaST_SU_EUlST_E0_NS1_11comp_targetILNS1_3genE8ELNS1_11target_archE1030ELNS1_3gpuE2ELNS1_3repE0EEENS1_30default_config_static_selectorELNS0_4arch9wavefront6targetE0EEEvT1_ ; -- Begin function _ZN7rocprim17ROCPRIM_400000_NS6detail17trampoline_kernelINS0_14default_configENS1_20scan_config_selectorIN3c108BFloat16EEEZZNS1_9scan_implILNS1_25lookback_scan_determinismE0ELb0ELb0ES3_PKS6_PS6_S6_ZZZN2at6native31launch_logcumsumexp_cuda_kernelERKNSD_10TensorBaseESH_lENKUlvE_clEvENKUlvE4_clEvEUlS6_S6_E_S6_EEDaPvRmT3_T4_T5_mT6_P12ihipStream_tbENKUlT_T0_E_clISt17integral_constantIbLb0EESY_EEDaST_SU_EUlST_E0_NS1_11comp_targetILNS1_3genE8ELNS1_11target_archE1030ELNS1_3gpuE2ELNS1_3repE0EEENS1_30default_config_static_selectorELNS0_4arch9wavefront6targetE0EEEvT1_
	.p2align	8
	.type	_ZN7rocprim17ROCPRIM_400000_NS6detail17trampoline_kernelINS0_14default_configENS1_20scan_config_selectorIN3c108BFloat16EEEZZNS1_9scan_implILNS1_25lookback_scan_determinismE0ELb0ELb0ES3_PKS6_PS6_S6_ZZZN2at6native31launch_logcumsumexp_cuda_kernelERKNSD_10TensorBaseESH_lENKUlvE_clEvENKUlvE4_clEvEUlS6_S6_E_S6_EEDaPvRmT3_T4_T5_mT6_P12ihipStream_tbENKUlT_T0_E_clISt17integral_constantIbLb0EESY_EEDaST_SU_EUlST_E0_NS1_11comp_targetILNS1_3genE8ELNS1_11target_archE1030ELNS1_3gpuE2ELNS1_3repE0EEENS1_30default_config_static_selectorELNS0_4arch9wavefront6targetE0EEEvT1_,@function
_ZN7rocprim17ROCPRIM_400000_NS6detail17trampoline_kernelINS0_14default_configENS1_20scan_config_selectorIN3c108BFloat16EEEZZNS1_9scan_implILNS1_25lookback_scan_determinismE0ELb0ELb0ES3_PKS6_PS6_S6_ZZZN2at6native31launch_logcumsumexp_cuda_kernelERKNSD_10TensorBaseESH_lENKUlvE_clEvENKUlvE4_clEvEUlS6_S6_E_S6_EEDaPvRmT3_T4_T5_mT6_P12ihipStream_tbENKUlT_T0_E_clISt17integral_constantIbLb0EESY_EEDaST_SU_EUlST_E0_NS1_11comp_targetILNS1_3genE8ELNS1_11target_archE1030ELNS1_3gpuE2ELNS1_3repE0EEENS1_30default_config_static_selectorELNS0_4arch9wavefront6targetE0EEEvT1_: ; @_ZN7rocprim17ROCPRIM_400000_NS6detail17trampoline_kernelINS0_14default_configENS1_20scan_config_selectorIN3c108BFloat16EEEZZNS1_9scan_implILNS1_25lookback_scan_determinismE0ELb0ELb0ES3_PKS6_PS6_S6_ZZZN2at6native31launch_logcumsumexp_cuda_kernelERKNSD_10TensorBaseESH_lENKUlvE_clEvENKUlvE4_clEvEUlS6_S6_E_S6_EEDaPvRmT3_T4_T5_mT6_P12ihipStream_tbENKUlT_T0_E_clISt17integral_constantIbLb0EESY_EEDaST_SU_EUlST_E0_NS1_11comp_targetILNS1_3genE8ELNS1_11target_archE1030ELNS1_3gpuE2ELNS1_3repE0EEENS1_30default_config_static_selectorELNS0_4arch9wavefront6targetE0EEEvT1_
; %bb.0:
	.section	.rodata,"a",@progbits
	.p2align	6, 0x0
	.amdhsa_kernel _ZN7rocprim17ROCPRIM_400000_NS6detail17trampoline_kernelINS0_14default_configENS1_20scan_config_selectorIN3c108BFloat16EEEZZNS1_9scan_implILNS1_25lookback_scan_determinismE0ELb0ELb0ES3_PKS6_PS6_S6_ZZZN2at6native31launch_logcumsumexp_cuda_kernelERKNSD_10TensorBaseESH_lENKUlvE_clEvENKUlvE4_clEvEUlS6_S6_E_S6_EEDaPvRmT3_T4_T5_mT6_P12ihipStream_tbENKUlT_T0_E_clISt17integral_constantIbLb0EESY_EEDaST_SU_EUlST_E0_NS1_11comp_targetILNS1_3genE8ELNS1_11target_archE1030ELNS1_3gpuE2ELNS1_3repE0EEENS1_30default_config_static_selectorELNS0_4arch9wavefront6targetE0EEEvT1_
		.amdhsa_group_segment_fixed_size 0
		.amdhsa_private_segment_fixed_size 0
		.amdhsa_kernarg_size 32
		.amdhsa_user_sgpr_count 2
		.amdhsa_user_sgpr_dispatch_ptr 0
		.amdhsa_user_sgpr_queue_ptr 0
		.amdhsa_user_sgpr_kernarg_segment_ptr 1
		.amdhsa_user_sgpr_dispatch_id 0
		.amdhsa_user_sgpr_private_segment_size 0
		.amdhsa_wavefront_size32 1
		.amdhsa_uses_dynamic_stack 0
		.amdhsa_enable_private_segment 0
		.amdhsa_system_sgpr_workgroup_id_x 1
		.amdhsa_system_sgpr_workgroup_id_y 0
		.amdhsa_system_sgpr_workgroup_id_z 0
		.amdhsa_system_sgpr_workgroup_info 0
		.amdhsa_system_vgpr_workitem_id 0
		.amdhsa_next_free_vgpr 1
		.amdhsa_next_free_sgpr 1
		.amdhsa_reserve_vcc 0
		.amdhsa_float_round_mode_32 0
		.amdhsa_float_round_mode_16_64 0
		.amdhsa_float_denorm_mode_32 3
		.amdhsa_float_denorm_mode_16_64 3
		.amdhsa_fp16_overflow 0
		.amdhsa_workgroup_processor_mode 1
		.amdhsa_memory_ordered 1
		.amdhsa_forward_progress 1
		.amdhsa_inst_pref_size 0
		.amdhsa_round_robin_scheduling 0
		.amdhsa_exception_fp_ieee_invalid_op 0
		.amdhsa_exception_fp_denorm_src 0
		.amdhsa_exception_fp_ieee_div_zero 0
		.amdhsa_exception_fp_ieee_overflow 0
		.amdhsa_exception_fp_ieee_underflow 0
		.amdhsa_exception_fp_ieee_inexact 0
		.amdhsa_exception_int_div_zero 0
	.end_amdhsa_kernel
	.section	.text._ZN7rocprim17ROCPRIM_400000_NS6detail17trampoline_kernelINS0_14default_configENS1_20scan_config_selectorIN3c108BFloat16EEEZZNS1_9scan_implILNS1_25lookback_scan_determinismE0ELb0ELb0ES3_PKS6_PS6_S6_ZZZN2at6native31launch_logcumsumexp_cuda_kernelERKNSD_10TensorBaseESH_lENKUlvE_clEvENKUlvE4_clEvEUlS6_S6_E_S6_EEDaPvRmT3_T4_T5_mT6_P12ihipStream_tbENKUlT_T0_E_clISt17integral_constantIbLb0EESY_EEDaST_SU_EUlST_E0_NS1_11comp_targetILNS1_3genE8ELNS1_11target_archE1030ELNS1_3gpuE2ELNS1_3repE0EEENS1_30default_config_static_selectorELNS0_4arch9wavefront6targetE0EEEvT1_,"axG",@progbits,_ZN7rocprim17ROCPRIM_400000_NS6detail17trampoline_kernelINS0_14default_configENS1_20scan_config_selectorIN3c108BFloat16EEEZZNS1_9scan_implILNS1_25lookback_scan_determinismE0ELb0ELb0ES3_PKS6_PS6_S6_ZZZN2at6native31launch_logcumsumexp_cuda_kernelERKNSD_10TensorBaseESH_lENKUlvE_clEvENKUlvE4_clEvEUlS6_S6_E_S6_EEDaPvRmT3_T4_T5_mT6_P12ihipStream_tbENKUlT_T0_E_clISt17integral_constantIbLb0EESY_EEDaST_SU_EUlST_E0_NS1_11comp_targetILNS1_3genE8ELNS1_11target_archE1030ELNS1_3gpuE2ELNS1_3repE0EEENS1_30default_config_static_selectorELNS0_4arch9wavefront6targetE0EEEvT1_,comdat
.Lfunc_end463:
	.size	_ZN7rocprim17ROCPRIM_400000_NS6detail17trampoline_kernelINS0_14default_configENS1_20scan_config_selectorIN3c108BFloat16EEEZZNS1_9scan_implILNS1_25lookback_scan_determinismE0ELb0ELb0ES3_PKS6_PS6_S6_ZZZN2at6native31launch_logcumsumexp_cuda_kernelERKNSD_10TensorBaseESH_lENKUlvE_clEvENKUlvE4_clEvEUlS6_S6_E_S6_EEDaPvRmT3_T4_T5_mT6_P12ihipStream_tbENKUlT_T0_E_clISt17integral_constantIbLb0EESY_EEDaST_SU_EUlST_E0_NS1_11comp_targetILNS1_3genE8ELNS1_11target_archE1030ELNS1_3gpuE2ELNS1_3repE0EEENS1_30default_config_static_selectorELNS0_4arch9wavefront6targetE0EEEvT1_, .Lfunc_end463-_ZN7rocprim17ROCPRIM_400000_NS6detail17trampoline_kernelINS0_14default_configENS1_20scan_config_selectorIN3c108BFloat16EEEZZNS1_9scan_implILNS1_25lookback_scan_determinismE0ELb0ELb0ES3_PKS6_PS6_S6_ZZZN2at6native31launch_logcumsumexp_cuda_kernelERKNSD_10TensorBaseESH_lENKUlvE_clEvENKUlvE4_clEvEUlS6_S6_E_S6_EEDaPvRmT3_T4_T5_mT6_P12ihipStream_tbENKUlT_T0_E_clISt17integral_constantIbLb0EESY_EEDaST_SU_EUlST_E0_NS1_11comp_targetILNS1_3genE8ELNS1_11target_archE1030ELNS1_3gpuE2ELNS1_3repE0EEENS1_30default_config_static_selectorELNS0_4arch9wavefront6targetE0EEEvT1_
                                        ; -- End function
	.set _ZN7rocprim17ROCPRIM_400000_NS6detail17trampoline_kernelINS0_14default_configENS1_20scan_config_selectorIN3c108BFloat16EEEZZNS1_9scan_implILNS1_25lookback_scan_determinismE0ELb0ELb0ES3_PKS6_PS6_S6_ZZZN2at6native31launch_logcumsumexp_cuda_kernelERKNSD_10TensorBaseESH_lENKUlvE_clEvENKUlvE4_clEvEUlS6_S6_E_S6_EEDaPvRmT3_T4_T5_mT6_P12ihipStream_tbENKUlT_T0_E_clISt17integral_constantIbLb0EESY_EEDaST_SU_EUlST_E0_NS1_11comp_targetILNS1_3genE8ELNS1_11target_archE1030ELNS1_3gpuE2ELNS1_3repE0EEENS1_30default_config_static_selectorELNS0_4arch9wavefront6targetE0EEEvT1_.num_vgpr, 0
	.set _ZN7rocprim17ROCPRIM_400000_NS6detail17trampoline_kernelINS0_14default_configENS1_20scan_config_selectorIN3c108BFloat16EEEZZNS1_9scan_implILNS1_25lookback_scan_determinismE0ELb0ELb0ES3_PKS6_PS6_S6_ZZZN2at6native31launch_logcumsumexp_cuda_kernelERKNSD_10TensorBaseESH_lENKUlvE_clEvENKUlvE4_clEvEUlS6_S6_E_S6_EEDaPvRmT3_T4_T5_mT6_P12ihipStream_tbENKUlT_T0_E_clISt17integral_constantIbLb0EESY_EEDaST_SU_EUlST_E0_NS1_11comp_targetILNS1_3genE8ELNS1_11target_archE1030ELNS1_3gpuE2ELNS1_3repE0EEENS1_30default_config_static_selectorELNS0_4arch9wavefront6targetE0EEEvT1_.num_agpr, 0
	.set _ZN7rocprim17ROCPRIM_400000_NS6detail17trampoline_kernelINS0_14default_configENS1_20scan_config_selectorIN3c108BFloat16EEEZZNS1_9scan_implILNS1_25lookback_scan_determinismE0ELb0ELb0ES3_PKS6_PS6_S6_ZZZN2at6native31launch_logcumsumexp_cuda_kernelERKNSD_10TensorBaseESH_lENKUlvE_clEvENKUlvE4_clEvEUlS6_S6_E_S6_EEDaPvRmT3_T4_T5_mT6_P12ihipStream_tbENKUlT_T0_E_clISt17integral_constantIbLb0EESY_EEDaST_SU_EUlST_E0_NS1_11comp_targetILNS1_3genE8ELNS1_11target_archE1030ELNS1_3gpuE2ELNS1_3repE0EEENS1_30default_config_static_selectorELNS0_4arch9wavefront6targetE0EEEvT1_.numbered_sgpr, 0
	.set _ZN7rocprim17ROCPRIM_400000_NS6detail17trampoline_kernelINS0_14default_configENS1_20scan_config_selectorIN3c108BFloat16EEEZZNS1_9scan_implILNS1_25lookback_scan_determinismE0ELb0ELb0ES3_PKS6_PS6_S6_ZZZN2at6native31launch_logcumsumexp_cuda_kernelERKNSD_10TensorBaseESH_lENKUlvE_clEvENKUlvE4_clEvEUlS6_S6_E_S6_EEDaPvRmT3_T4_T5_mT6_P12ihipStream_tbENKUlT_T0_E_clISt17integral_constantIbLb0EESY_EEDaST_SU_EUlST_E0_NS1_11comp_targetILNS1_3genE8ELNS1_11target_archE1030ELNS1_3gpuE2ELNS1_3repE0EEENS1_30default_config_static_selectorELNS0_4arch9wavefront6targetE0EEEvT1_.num_named_barrier, 0
	.set _ZN7rocprim17ROCPRIM_400000_NS6detail17trampoline_kernelINS0_14default_configENS1_20scan_config_selectorIN3c108BFloat16EEEZZNS1_9scan_implILNS1_25lookback_scan_determinismE0ELb0ELb0ES3_PKS6_PS6_S6_ZZZN2at6native31launch_logcumsumexp_cuda_kernelERKNSD_10TensorBaseESH_lENKUlvE_clEvENKUlvE4_clEvEUlS6_S6_E_S6_EEDaPvRmT3_T4_T5_mT6_P12ihipStream_tbENKUlT_T0_E_clISt17integral_constantIbLb0EESY_EEDaST_SU_EUlST_E0_NS1_11comp_targetILNS1_3genE8ELNS1_11target_archE1030ELNS1_3gpuE2ELNS1_3repE0EEENS1_30default_config_static_selectorELNS0_4arch9wavefront6targetE0EEEvT1_.private_seg_size, 0
	.set _ZN7rocprim17ROCPRIM_400000_NS6detail17trampoline_kernelINS0_14default_configENS1_20scan_config_selectorIN3c108BFloat16EEEZZNS1_9scan_implILNS1_25lookback_scan_determinismE0ELb0ELb0ES3_PKS6_PS6_S6_ZZZN2at6native31launch_logcumsumexp_cuda_kernelERKNSD_10TensorBaseESH_lENKUlvE_clEvENKUlvE4_clEvEUlS6_S6_E_S6_EEDaPvRmT3_T4_T5_mT6_P12ihipStream_tbENKUlT_T0_E_clISt17integral_constantIbLb0EESY_EEDaST_SU_EUlST_E0_NS1_11comp_targetILNS1_3genE8ELNS1_11target_archE1030ELNS1_3gpuE2ELNS1_3repE0EEENS1_30default_config_static_selectorELNS0_4arch9wavefront6targetE0EEEvT1_.uses_vcc, 0
	.set _ZN7rocprim17ROCPRIM_400000_NS6detail17trampoline_kernelINS0_14default_configENS1_20scan_config_selectorIN3c108BFloat16EEEZZNS1_9scan_implILNS1_25lookback_scan_determinismE0ELb0ELb0ES3_PKS6_PS6_S6_ZZZN2at6native31launch_logcumsumexp_cuda_kernelERKNSD_10TensorBaseESH_lENKUlvE_clEvENKUlvE4_clEvEUlS6_S6_E_S6_EEDaPvRmT3_T4_T5_mT6_P12ihipStream_tbENKUlT_T0_E_clISt17integral_constantIbLb0EESY_EEDaST_SU_EUlST_E0_NS1_11comp_targetILNS1_3genE8ELNS1_11target_archE1030ELNS1_3gpuE2ELNS1_3repE0EEENS1_30default_config_static_selectorELNS0_4arch9wavefront6targetE0EEEvT1_.uses_flat_scratch, 0
	.set _ZN7rocprim17ROCPRIM_400000_NS6detail17trampoline_kernelINS0_14default_configENS1_20scan_config_selectorIN3c108BFloat16EEEZZNS1_9scan_implILNS1_25lookback_scan_determinismE0ELb0ELb0ES3_PKS6_PS6_S6_ZZZN2at6native31launch_logcumsumexp_cuda_kernelERKNSD_10TensorBaseESH_lENKUlvE_clEvENKUlvE4_clEvEUlS6_S6_E_S6_EEDaPvRmT3_T4_T5_mT6_P12ihipStream_tbENKUlT_T0_E_clISt17integral_constantIbLb0EESY_EEDaST_SU_EUlST_E0_NS1_11comp_targetILNS1_3genE8ELNS1_11target_archE1030ELNS1_3gpuE2ELNS1_3repE0EEENS1_30default_config_static_selectorELNS0_4arch9wavefront6targetE0EEEvT1_.has_dyn_sized_stack, 0
	.set _ZN7rocprim17ROCPRIM_400000_NS6detail17trampoline_kernelINS0_14default_configENS1_20scan_config_selectorIN3c108BFloat16EEEZZNS1_9scan_implILNS1_25lookback_scan_determinismE0ELb0ELb0ES3_PKS6_PS6_S6_ZZZN2at6native31launch_logcumsumexp_cuda_kernelERKNSD_10TensorBaseESH_lENKUlvE_clEvENKUlvE4_clEvEUlS6_S6_E_S6_EEDaPvRmT3_T4_T5_mT6_P12ihipStream_tbENKUlT_T0_E_clISt17integral_constantIbLb0EESY_EEDaST_SU_EUlST_E0_NS1_11comp_targetILNS1_3genE8ELNS1_11target_archE1030ELNS1_3gpuE2ELNS1_3repE0EEENS1_30default_config_static_selectorELNS0_4arch9wavefront6targetE0EEEvT1_.has_recursion, 0
	.set _ZN7rocprim17ROCPRIM_400000_NS6detail17trampoline_kernelINS0_14default_configENS1_20scan_config_selectorIN3c108BFloat16EEEZZNS1_9scan_implILNS1_25lookback_scan_determinismE0ELb0ELb0ES3_PKS6_PS6_S6_ZZZN2at6native31launch_logcumsumexp_cuda_kernelERKNSD_10TensorBaseESH_lENKUlvE_clEvENKUlvE4_clEvEUlS6_S6_E_S6_EEDaPvRmT3_T4_T5_mT6_P12ihipStream_tbENKUlT_T0_E_clISt17integral_constantIbLb0EESY_EEDaST_SU_EUlST_E0_NS1_11comp_targetILNS1_3genE8ELNS1_11target_archE1030ELNS1_3gpuE2ELNS1_3repE0EEENS1_30default_config_static_selectorELNS0_4arch9wavefront6targetE0EEEvT1_.has_indirect_call, 0
	.section	.AMDGPU.csdata,"",@progbits
; Kernel info:
; codeLenInByte = 0
; TotalNumSgprs: 0
; NumVgprs: 0
; ScratchSize: 0
; MemoryBound: 0
; FloatMode: 240
; IeeeMode: 1
; LDSByteSize: 0 bytes/workgroup (compile time only)
; SGPRBlocks: 0
; VGPRBlocks: 0
; NumSGPRsForWavesPerEU: 1
; NumVGPRsForWavesPerEU: 1
; Occupancy: 16
; WaveLimiterHint : 0
; COMPUTE_PGM_RSRC2:SCRATCH_EN: 0
; COMPUTE_PGM_RSRC2:USER_SGPR: 2
; COMPUTE_PGM_RSRC2:TRAP_HANDLER: 0
; COMPUTE_PGM_RSRC2:TGID_X_EN: 1
; COMPUTE_PGM_RSRC2:TGID_Y_EN: 0
; COMPUTE_PGM_RSRC2:TGID_Z_EN: 0
; COMPUTE_PGM_RSRC2:TIDIG_COMP_CNT: 0
	.section	.text._ZN7rocprim17ROCPRIM_400000_NS6detail31init_lookback_scan_state_kernelINS1_19lookback_scan_stateIN3c108BFloat16ELb1ELb1EEENS1_16block_id_wrapperIjLb1EEEEEvT_jT0_jPNS9_10value_typeE,"axG",@progbits,_ZN7rocprim17ROCPRIM_400000_NS6detail31init_lookback_scan_state_kernelINS1_19lookback_scan_stateIN3c108BFloat16ELb1ELb1EEENS1_16block_id_wrapperIjLb1EEEEEvT_jT0_jPNS9_10value_typeE,comdat
	.protected	_ZN7rocprim17ROCPRIM_400000_NS6detail31init_lookback_scan_state_kernelINS1_19lookback_scan_stateIN3c108BFloat16ELb1ELb1EEENS1_16block_id_wrapperIjLb1EEEEEvT_jT0_jPNS9_10value_typeE ; -- Begin function _ZN7rocprim17ROCPRIM_400000_NS6detail31init_lookback_scan_state_kernelINS1_19lookback_scan_stateIN3c108BFloat16ELb1ELb1EEENS1_16block_id_wrapperIjLb1EEEEEvT_jT0_jPNS9_10value_typeE
	.globl	_ZN7rocprim17ROCPRIM_400000_NS6detail31init_lookback_scan_state_kernelINS1_19lookback_scan_stateIN3c108BFloat16ELb1ELb1EEENS1_16block_id_wrapperIjLb1EEEEEvT_jT0_jPNS9_10value_typeE
	.p2align	8
	.type	_ZN7rocprim17ROCPRIM_400000_NS6detail31init_lookback_scan_state_kernelINS1_19lookback_scan_stateIN3c108BFloat16ELb1ELb1EEENS1_16block_id_wrapperIjLb1EEEEEvT_jT0_jPNS9_10value_typeE,@function
_ZN7rocprim17ROCPRIM_400000_NS6detail31init_lookback_scan_state_kernelINS1_19lookback_scan_stateIN3c108BFloat16ELb1ELb1EEENS1_16block_id_wrapperIjLb1EEEEEvT_jT0_jPNS9_10value_typeE: ; @_ZN7rocprim17ROCPRIM_400000_NS6detail31init_lookback_scan_state_kernelINS1_19lookback_scan_stateIN3c108BFloat16ELb1ELb1EEENS1_16block_id_wrapperIjLb1EEEEEvT_jT0_jPNS9_10value_typeE
; %bb.0:
	s_clause 0x2
	s_load_b32 s7, s[0:1], 0x34
	s_load_b64 s[2:3], s[0:1], 0x20
	s_load_b96 s[4:6], s[0:1], 0x0
	s_wait_kmcnt 0x0
	s_and_b32 s7, s7, 0xffff
	s_cmp_eq_u64 s[2:3], 0
	v_mad_co_u64_u32 v[0:1], null, ttmp9, s7, v[0:1]
	s_cbranch_scc1 .LBB464_9
; %bb.1:
	s_load_b32 s8, s[0:1], 0x18
	s_mov_b32 s9, 0
	s_wait_kmcnt 0x0
	s_cmp_lt_u32 s8, s6
	s_cselect_b32 s7, s8, 0
	s_wait_alu 0xfffe
	v_cmp_eq_u32_e32 vcc_lo, s7, v0
	s_and_saveexec_b32 s7, vcc_lo
	s_cbranch_execz .LBB464_8
; %bb.2:
	s_add_co_i32 s8, s8, 32
	v_mov_b32_e32 v1, 0
	s_lshl_b64 s[8:9], s[8:9], 2
	s_delay_alu instid0(SALU_CYCLE_1) | instskip(SKIP_3) | instid1(VALU_DEP_1)
	s_add_nc_u64 s[8:9], s[4:5], s[8:9]
	global_load_b32 v2, v1, s[8:9] scope:SCOPE_DEV
	s_wait_loadcnt 0x0
	v_and_b32_e32 v3, 0xff0000, v2
	v_cmp_ne_u32_e32 vcc_lo, 0, v3
	s_cbranch_vccnz .LBB464_7
; %bb.3:
	s_mov_b32 s10, 1
.LBB464_4:                              ; =>This Loop Header: Depth=1
                                        ;     Child Loop BB464_5 Depth 2
	s_delay_alu instid0(SALU_CYCLE_1)
	s_mov_b32 s11, s10
.LBB464_5:                              ;   Parent Loop BB464_4 Depth=1
                                        ; =>  This Inner Loop Header: Depth=2
	s_delay_alu instid0(SALU_CYCLE_1)
	s_add_co_i32 s11, s11, -1
	s_sleep 1
	s_cmp_eq_u32 s11, 0
	s_cbranch_scc0 .LBB464_5
; %bb.6:                                ;   in Loop: Header=BB464_4 Depth=1
	global_load_b32 v2, v1, s[8:9] scope:SCOPE_DEV
	s_cmp_lt_u32 s10, 32
	s_cselect_b32 s11, -1, 0
	s_delay_alu instid0(SALU_CYCLE_1) | instskip(SKIP_3) | instid1(VALU_DEP_1)
	s_cmp_lg_u32 s11, 0
	s_add_co_ci_u32 s10, s10, 0
	s_wait_loadcnt 0x0
	v_and_b32_e32 v3, 0xff0000, v2
	v_cmp_ne_u32_e32 vcc_lo, 0, v3
	s_cbranch_vccz .LBB464_4
.LBB464_7:
	v_mov_b32_e32 v1, 0
	global_store_b16 v1, v2, s[2:3]
.LBB464_8:
	s_wait_alu 0xfffe
	s_or_b32 exec_lo, exec_lo, s7
.LBB464_9:
	s_delay_alu instid0(SALU_CYCLE_1)
	s_mov_b32 s2, exec_lo
	v_cmpx_eq_u32_e32 0, v0
	s_cbranch_execz .LBB464_11
; %bb.10:
	s_load_b64 s[0:1], s[0:1], 0x10
	v_mov_b32_e32 v1, 0
	s_wait_kmcnt 0x0
	global_store_b32 v1, v1, s[0:1]
.LBB464_11:
	s_or_b32 exec_lo, exec_lo, s2
	s_delay_alu instid0(SALU_CYCLE_1)
	s_mov_b32 s0, exec_lo
	v_cmpx_gt_u32_e64 s6, v0
	s_cbranch_execz .LBB464_13
; %bb.12:
	v_dual_mov_b32 v2, 0 :: v_dual_add_nc_u32 v1, 32, v0
	s_delay_alu instid0(VALU_DEP_1) | instskip(NEXT) | instid1(VALU_DEP_1)
	v_lshlrev_b64_e32 v[3:4], 2, v[1:2]
	v_add_co_u32 v3, vcc_lo, s4, v3
	s_delay_alu instid0(VALU_DEP_1)
	v_add_co_ci_u32_e64 v4, null, s5, v4, vcc_lo
	global_store_b32 v[3:4], v2, off
.LBB464_13:
	s_wait_alu 0xfffe
	s_or_b32 exec_lo, exec_lo, s0
	s_delay_alu instid0(SALU_CYCLE_1)
	s_mov_b32 s0, exec_lo
	v_cmpx_gt_u32_e32 32, v0
	s_cbranch_execz .LBB464_15
; %bb.14:
	v_dual_mov_b32 v1, 0 :: v_dual_mov_b32 v2, 0xff0000
	s_delay_alu instid0(VALU_DEP_1) | instskip(NEXT) | instid1(VALU_DEP_1)
	v_lshlrev_b64_e32 v[0:1], 2, v[0:1]
	v_add_co_u32 v0, vcc_lo, s4, v0
	s_wait_alu 0xfffd
	s_delay_alu instid0(VALU_DEP_2)
	v_add_co_ci_u32_e64 v1, null, s5, v1, vcc_lo
	global_store_b32 v[0:1], v2, off
.LBB464_15:
	s_endpgm
	.section	.rodata,"a",@progbits
	.p2align	6, 0x0
	.amdhsa_kernel _ZN7rocprim17ROCPRIM_400000_NS6detail31init_lookback_scan_state_kernelINS1_19lookback_scan_stateIN3c108BFloat16ELb1ELb1EEENS1_16block_id_wrapperIjLb1EEEEEvT_jT0_jPNS9_10value_typeE
		.amdhsa_group_segment_fixed_size 0
		.amdhsa_private_segment_fixed_size 0
		.amdhsa_kernarg_size 296
		.amdhsa_user_sgpr_count 2
		.amdhsa_user_sgpr_dispatch_ptr 0
		.amdhsa_user_sgpr_queue_ptr 0
		.amdhsa_user_sgpr_kernarg_segment_ptr 1
		.amdhsa_user_sgpr_dispatch_id 0
		.amdhsa_user_sgpr_private_segment_size 0
		.amdhsa_wavefront_size32 1
		.amdhsa_uses_dynamic_stack 0
		.amdhsa_enable_private_segment 0
		.amdhsa_system_sgpr_workgroup_id_x 1
		.amdhsa_system_sgpr_workgroup_id_y 0
		.amdhsa_system_sgpr_workgroup_id_z 0
		.amdhsa_system_sgpr_workgroup_info 0
		.amdhsa_system_vgpr_workitem_id 0
		.amdhsa_next_free_vgpr 5
		.amdhsa_next_free_sgpr 12
		.amdhsa_reserve_vcc 1
		.amdhsa_float_round_mode_32 0
		.amdhsa_float_round_mode_16_64 0
		.amdhsa_float_denorm_mode_32 3
		.amdhsa_float_denorm_mode_16_64 3
		.amdhsa_fp16_overflow 0
		.amdhsa_workgroup_processor_mode 1
		.amdhsa_memory_ordered 1
		.amdhsa_forward_progress 1
		.amdhsa_inst_pref_size 4
		.amdhsa_round_robin_scheduling 0
		.amdhsa_exception_fp_ieee_invalid_op 0
		.amdhsa_exception_fp_denorm_src 0
		.amdhsa_exception_fp_ieee_div_zero 0
		.amdhsa_exception_fp_ieee_overflow 0
		.amdhsa_exception_fp_ieee_underflow 0
		.amdhsa_exception_fp_ieee_inexact 0
		.amdhsa_exception_int_div_zero 0
	.end_amdhsa_kernel
	.section	.text._ZN7rocprim17ROCPRIM_400000_NS6detail31init_lookback_scan_state_kernelINS1_19lookback_scan_stateIN3c108BFloat16ELb1ELb1EEENS1_16block_id_wrapperIjLb1EEEEEvT_jT0_jPNS9_10value_typeE,"axG",@progbits,_ZN7rocprim17ROCPRIM_400000_NS6detail31init_lookback_scan_state_kernelINS1_19lookback_scan_stateIN3c108BFloat16ELb1ELb1EEENS1_16block_id_wrapperIjLb1EEEEEvT_jT0_jPNS9_10value_typeE,comdat
.Lfunc_end464:
	.size	_ZN7rocprim17ROCPRIM_400000_NS6detail31init_lookback_scan_state_kernelINS1_19lookback_scan_stateIN3c108BFloat16ELb1ELb1EEENS1_16block_id_wrapperIjLb1EEEEEvT_jT0_jPNS9_10value_typeE, .Lfunc_end464-_ZN7rocprim17ROCPRIM_400000_NS6detail31init_lookback_scan_state_kernelINS1_19lookback_scan_stateIN3c108BFloat16ELb1ELb1EEENS1_16block_id_wrapperIjLb1EEEEEvT_jT0_jPNS9_10value_typeE
                                        ; -- End function
	.set _ZN7rocprim17ROCPRIM_400000_NS6detail31init_lookback_scan_state_kernelINS1_19lookback_scan_stateIN3c108BFloat16ELb1ELb1EEENS1_16block_id_wrapperIjLb1EEEEEvT_jT0_jPNS9_10value_typeE.num_vgpr, 5
	.set _ZN7rocprim17ROCPRIM_400000_NS6detail31init_lookback_scan_state_kernelINS1_19lookback_scan_stateIN3c108BFloat16ELb1ELb1EEENS1_16block_id_wrapperIjLb1EEEEEvT_jT0_jPNS9_10value_typeE.num_agpr, 0
	.set _ZN7rocprim17ROCPRIM_400000_NS6detail31init_lookback_scan_state_kernelINS1_19lookback_scan_stateIN3c108BFloat16ELb1ELb1EEENS1_16block_id_wrapperIjLb1EEEEEvT_jT0_jPNS9_10value_typeE.numbered_sgpr, 12
	.set _ZN7rocprim17ROCPRIM_400000_NS6detail31init_lookback_scan_state_kernelINS1_19lookback_scan_stateIN3c108BFloat16ELb1ELb1EEENS1_16block_id_wrapperIjLb1EEEEEvT_jT0_jPNS9_10value_typeE.num_named_barrier, 0
	.set _ZN7rocprim17ROCPRIM_400000_NS6detail31init_lookback_scan_state_kernelINS1_19lookback_scan_stateIN3c108BFloat16ELb1ELb1EEENS1_16block_id_wrapperIjLb1EEEEEvT_jT0_jPNS9_10value_typeE.private_seg_size, 0
	.set _ZN7rocprim17ROCPRIM_400000_NS6detail31init_lookback_scan_state_kernelINS1_19lookback_scan_stateIN3c108BFloat16ELb1ELb1EEENS1_16block_id_wrapperIjLb1EEEEEvT_jT0_jPNS9_10value_typeE.uses_vcc, 1
	.set _ZN7rocprim17ROCPRIM_400000_NS6detail31init_lookback_scan_state_kernelINS1_19lookback_scan_stateIN3c108BFloat16ELb1ELb1EEENS1_16block_id_wrapperIjLb1EEEEEvT_jT0_jPNS9_10value_typeE.uses_flat_scratch, 0
	.set _ZN7rocprim17ROCPRIM_400000_NS6detail31init_lookback_scan_state_kernelINS1_19lookback_scan_stateIN3c108BFloat16ELb1ELb1EEENS1_16block_id_wrapperIjLb1EEEEEvT_jT0_jPNS9_10value_typeE.has_dyn_sized_stack, 0
	.set _ZN7rocprim17ROCPRIM_400000_NS6detail31init_lookback_scan_state_kernelINS1_19lookback_scan_stateIN3c108BFloat16ELb1ELb1EEENS1_16block_id_wrapperIjLb1EEEEEvT_jT0_jPNS9_10value_typeE.has_recursion, 0
	.set _ZN7rocprim17ROCPRIM_400000_NS6detail31init_lookback_scan_state_kernelINS1_19lookback_scan_stateIN3c108BFloat16ELb1ELb1EEENS1_16block_id_wrapperIjLb1EEEEEvT_jT0_jPNS9_10value_typeE.has_indirect_call, 0
	.section	.AMDGPU.csdata,"",@progbits
; Kernel info:
; codeLenInByte = 456
; TotalNumSgprs: 14
; NumVgprs: 5
; ScratchSize: 0
; MemoryBound: 0
; FloatMode: 240
; IeeeMode: 1
; LDSByteSize: 0 bytes/workgroup (compile time only)
; SGPRBlocks: 0
; VGPRBlocks: 0
; NumSGPRsForWavesPerEU: 14
; NumVGPRsForWavesPerEU: 5
; Occupancy: 16
; WaveLimiterHint : 0
; COMPUTE_PGM_RSRC2:SCRATCH_EN: 0
; COMPUTE_PGM_RSRC2:USER_SGPR: 2
; COMPUTE_PGM_RSRC2:TRAP_HANDLER: 0
; COMPUTE_PGM_RSRC2:TGID_X_EN: 1
; COMPUTE_PGM_RSRC2:TGID_Y_EN: 0
; COMPUTE_PGM_RSRC2:TGID_Z_EN: 0
; COMPUTE_PGM_RSRC2:TIDIG_COMP_CNT: 0
	.section	.text._ZN7rocprim17ROCPRIM_400000_NS6detail17trampoline_kernelINS0_14default_configENS1_20scan_config_selectorIN3c108BFloat16EEEZZNS1_9scan_implILNS1_25lookback_scan_determinismE0ELb0ELb0ES3_PKS6_PS6_S6_ZZZN2at6native31launch_logcumsumexp_cuda_kernelERKNSD_10TensorBaseESH_lENKUlvE_clEvENKUlvE4_clEvEUlS6_S6_E_S6_EEDaPvRmT3_T4_T5_mT6_P12ihipStream_tbENKUlT_T0_E_clISt17integral_constantIbLb1EESY_EEDaST_SU_EUlST_E_NS1_11comp_targetILNS1_3genE0ELNS1_11target_archE4294967295ELNS1_3gpuE0ELNS1_3repE0EEENS1_30default_config_static_selectorELNS0_4arch9wavefront6targetE0EEEvT1_,"axG",@progbits,_ZN7rocprim17ROCPRIM_400000_NS6detail17trampoline_kernelINS0_14default_configENS1_20scan_config_selectorIN3c108BFloat16EEEZZNS1_9scan_implILNS1_25lookback_scan_determinismE0ELb0ELb0ES3_PKS6_PS6_S6_ZZZN2at6native31launch_logcumsumexp_cuda_kernelERKNSD_10TensorBaseESH_lENKUlvE_clEvENKUlvE4_clEvEUlS6_S6_E_S6_EEDaPvRmT3_T4_T5_mT6_P12ihipStream_tbENKUlT_T0_E_clISt17integral_constantIbLb1EESY_EEDaST_SU_EUlST_E_NS1_11comp_targetILNS1_3genE0ELNS1_11target_archE4294967295ELNS1_3gpuE0ELNS1_3repE0EEENS1_30default_config_static_selectorELNS0_4arch9wavefront6targetE0EEEvT1_,comdat
	.globl	_ZN7rocprim17ROCPRIM_400000_NS6detail17trampoline_kernelINS0_14default_configENS1_20scan_config_selectorIN3c108BFloat16EEEZZNS1_9scan_implILNS1_25lookback_scan_determinismE0ELb0ELb0ES3_PKS6_PS6_S6_ZZZN2at6native31launch_logcumsumexp_cuda_kernelERKNSD_10TensorBaseESH_lENKUlvE_clEvENKUlvE4_clEvEUlS6_S6_E_S6_EEDaPvRmT3_T4_T5_mT6_P12ihipStream_tbENKUlT_T0_E_clISt17integral_constantIbLb1EESY_EEDaST_SU_EUlST_E_NS1_11comp_targetILNS1_3genE0ELNS1_11target_archE4294967295ELNS1_3gpuE0ELNS1_3repE0EEENS1_30default_config_static_selectorELNS0_4arch9wavefront6targetE0EEEvT1_ ; -- Begin function _ZN7rocprim17ROCPRIM_400000_NS6detail17trampoline_kernelINS0_14default_configENS1_20scan_config_selectorIN3c108BFloat16EEEZZNS1_9scan_implILNS1_25lookback_scan_determinismE0ELb0ELb0ES3_PKS6_PS6_S6_ZZZN2at6native31launch_logcumsumexp_cuda_kernelERKNSD_10TensorBaseESH_lENKUlvE_clEvENKUlvE4_clEvEUlS6_S6_E_S6_EEDaPvRmT3_T4_T5_mT6_P12ihipStream_tbENKUlT_T0_E_clISt17integral_constantIbLb1EESY_EEDaST_SU_EUlST_E_NS1_11comp_targetILNS1_3genE0ELNS1_11target_archE4294967295ELNS1_3gpuE0ELNS1_3repE0EEENS1_30default_config_static_selectorELNS0_4arch9wavefront6targetE0EEEvT1_
	.p2align	8
	.type	_ZN7rocprim17ROCPRIM_400000_NS6detail17trampoline_kernelINS0_14default_configENS1_20scan_config_selectorIN3c108BFloat16EEEZZNS1_9scan_implILNS1_25lookback_scan_determinismE0ELb0ELb0ES3_PKS6_PS6_S6_ZZZN2at6native31launch_logcumsumexp_cuda_kernelERKNSD_10TensorBaseESH_lENKUlvE_clEvENKUlvE4_clEvEUlS6_S6_E_S6_EEDaPvRmT3_T4_T5_mT6_P12ihipStream_tbENKUlT_T0_E_clISt17integral_constantIbLb1EESY_EEDaST_SU_EUlST_E_NS1_11comp_targetILNS1_3genE0ELNS1_11target_archE4294967295ELNS1_3gpuE0ELNS1_3repE0EEENS1_30default_config_static_selectorELNS0_4arch9wavefront6targetE0EEEvT1_,@function
_ZN7rocprim17ROCPRIM_400000_NS6detail17trampoline_kernelINS0_14default_configENS1_20scan_config_selectorIN3c108BFloat16EEEZZNS1_9scan_implILNS1_25lookback_scan_determinismE0ELb0ELb0ES3_PKS6_PS6_S6_ZZZN2at6native31launch_logcumsumexp_cuda_kernelERKNSD_10TensorBaseESH_lENKUlvE_clEvENKUlvE4_clEvEUlS6_S6_E_S6_EEDaPvRmT3_T4_T5_mT6_P12ihipStream_tbENKUlT_T0_E_clISt17integral_constantIbLb1EESY_EEDaST_SU_EUlST_E_NS1_11comp_targetILNS1_3genE0ELNS1_11target_archE4294967295ELNS1_3gpuE0ELNS1_3repE0EEENS1_30default_config_static_selectorELNS0_4arch9wavefront6targetE0EEEvT1_: ; @_ZN7rocprim17ROCPRIM_400000_NS6detail17trampoline_kernelINS0_14default_configENS1_20scan_config_selectorIN3c108BFloat16EEEZZNS1_9scan_implILNS1_25lookback_scan_determinismE0ELb0ELb0ES3_PKS6_PS6_S6_ZZZN2at6native31launch_logcumsumexp_cuda_kernelERKNSD_10TensorBaseESH_lENKUlvE_clEvENKUlvE4_clEvEUlS6_S6_E_S6_EEDaPvRmT3_T4_T5_mT6_P12ihipStream_tbENKUlT_T0_E_clISt17integral_constantIbLb1EESY_EEDaST_SU_EUlST_E_NS1_11comp_targetILNS1_3genE0ELNS1_11target_archE4294967295ELNS1_3gpuE0ELNS1_3repE0EEENS1_30default_config_static_selectorELNS0_4arch9wavefront6targetE0EEEvT1_
; %bb.0:
	.section	.rodata,"a",@progbits
	.p2align	6, 0x0
	.amdhsa_kernel _ZN7rocprim17ROCPRIM_400000_NS6detail17trampoline_kernelINS0_14default_configENS1_20scan_config_selectorIN3c108BFloat16EEEZZNS1_9scan_implILNS1_25lookback_scan_determinismE0ELb0ELb0ES3_PKS6_PS6_S6_ZZZN2at6native31launch_logcumsumexp_cuda_kernelERKNSD_10TensorBaseESH_lENKUlvE_clEvENKUlvE4_clEvEUlS6_S6_E_S6_EEDaPvRmT3_T4_T5_mT6_P12ihipStream_tbENKUlT_T0_E_clISt17integral_constantIbLb1EESY_EEDaST_SU_EUlST_E_NS1_11comp_targetILNS1_3genE0ELNS1_11target_archE4294967295ELNS1_3gpuE0ELNS1_3repE0EEENS1_30default_config_static_selectorELNS0_4arch9wavefront6targetE0EEEvT1_
		.amdhsa_group_segment_fixed_size 0
		.amdhsa_private_segment_fixed_size 0
		.amdhsa_kernarg_size 96
		.amdhsa_user_sgpr_count 2
		.amdhsa_user_sgpr_dispatch_ptr 0
		.amdhsa_user_sgpr_queue_ptr 0
		.amdhsa_user_sgpr_kernarg_segment_ptr 1
		.amdhsa_user_sgpr_dispatch_id 0
		.amdhsa_user_sgpr_private_segment_size 0
		.amdhsa_wavefront_size32 1
		.amdhsa_uses_dynamic_stack 0
		.amdhsa_enable_private_segment 0
		.amdhsa_system_sgpr_workgroup_id_x 1
		.amdhsa_system_sgpr_workgroup_id_y 0
		.amdhsa_system_sgpr_workgroup_id_z 0
		.amdhsa_system_sgpr_workgroup_info 0
		.amdhsa_system_vgpr_workitem_id 0
		.amdhsa_next_free_vgpr 1
		.amdhsa_next_free_sgpr 1
		.amdhsa_reserve_vcc 0
		.amdhsa_float_round_mode_32 0
		.amdhsa_float_round_mode_16_64 0
		.amdhsa_float_denorm_mode_32 3
		.amdhsa_float_denorm_mode_16_64 3
		.amdhsa_fp16_overflow 0
		.amdhsa_workgroup_processor_mode 1
		.amdhsa_memory_ordered 1
		.amdhsa_forward_progress 1
		.amdhsa_inst_pref_size 0
		.amdhsa_round_robin_scheduling 0
		.amdhsa_exception_fp_ieee_invalid_op 0
		.amdhsa_exception_fp_denorm_src 0
		.amdhsa_exception_fp_ieee_div_zero 0
		.amdhsa_exception_fp_ieee_overflow 0
		.amdhsa_exception_fp_ieee_underflow 0
		.amdhsa_exception_fp_ieee_inexact 0
		.amdhsa_exception_int_div_zero 0
	.end_amdhsa_kernel
	.section	.text._ZN7rocprim17ROCPRIM_400000_NS6detail17trampoline_kernelINS0_14default_configENS1_20scan_config_selectorIN3c108BFloat16EEEZZNS1_9scan_implILNS1_25lookback_scan_determinismE0ELb0ELb0ES3_PKS6_PS6_S6_ZZZN2at6native31launch_logcumsumexp_cuda_kernelERKNSD_10TensorBaseESH_lENKUlvE_clEvENKUlvE4_clEvEUlS6_S6_E_S6_EEDaPvRmT3_T4_T5_mT6_P12ihipStream_tbENKUlT_T0_E_clISt17integral_constantIbLb1EESY_EEDaST_SU_EUlST_E_NS1_11comp_targetILNS1_3genE0ELNS1_11target_archE4294967295ELNS1_3gpuE0ELNS1_3repE0EEENS1_30default_config_static_selectorELNS0_4arch9wavefront6targetE0EEEvT1_,"axG",@progbits,_ZN7rocprim17ROCPRIM_400000_NS6detail17trampoline_kernelINS0_14default_configENS1_20scan_config_selectorIN3c108BFloat16EEEZZNS1_9scan_implILNS1_25lookback_scan_determinismE0ELb0ELb0ES3_PKS6_PS6_S6_ZZZN2at6native31launch_logcumsumexp_cuda_kernelERKNSD_10TensorBaseESH_lENKUlvE_clEvENKUlvE4_clEvEUlS6_S6_E_S6_EEDaPvRmT3_T4_T5_mT6_P12ihipStream_tbENKUlT_T0_E_clISt17integral_constantIbLb1EESY_EEDaST_SU_EUlST_E_NS1_11comp_targetILNS1_3genE0ELNS1_11target_archE4294967295ELNS1_3gpuE0ELNS1_3repE0EEENS1_30default_config_static_selectorELNS0_4arch9wavefront6targetE0EEEvT1_,comdat
.Lfunc_end465:
	.size	_ZN7rocprim17ROCPRIM_400000_NS6detail17trampoline_kernelINS0_14default_configENS1_20scan_config_selectorIN3c108BFloat16EEEZZNS1_9scan_implILNS1_25lookback_scan_determinismE0ELb0ELb0ES3_PKS6_PS6_S6_ZZZN2at6native31launch_logcumsumexp_cuda_kernelERKNSD_10TensorBaseESH_lENKUlvE_clEvENKUlvE4_clEvEUlS6_S6_E_S6_EEDaPvRmT3_T4_T5_mT6_P12ihipStream_tbENKUlT_T0_E_clISt17integral_constantIbLb1EESY_EEDaST_SU_EUlST_E_NS1_11comp_targetILNS1_3genE0ELNS1_11target_archE4294967295ELNS1_3gpuE0ELNS1_3repE0EEENS1_30default_config_static_selectorELNS0_4arch9wavefront6targetE0EEEvT1_, .Lfunc_end465-_ZN7rocprim17ROCPRIM_400000_NS6detail17trampoline_kernelINS0_14default_configENS1_20scan_config_selectorIN3c108BFloat16EEEZZNS1_9scan_implILNS1_25lookback_scan_determinismE0ELb0ELb0ES3_PKS6_PS6_S6_ZZZN2at6native31launch_logcumsumexp_cuda_kernelERKNSD_10TensorBaseESH_lENKUlvE_clEvENKUlvE4_clEvEUlS6_S6_E_S6_EEDaPvRmT3_T4_T5_mT6_P12ihipStream_tbENKUlT_T0_E_clISt17integral_constantIbLb1EESY_EEDaST_SU_EUlST_E_NS1_11comp_targetILNS1_3genE0ELNS1_11target_archE4294967295ELNS1_3gpuE0ELNS1_3repE0EEENS1_30default_config_static_selectorELNS0_4arch9wavefront6targetE0EEEvT1_
                                        ; -- End function
	.set _ZN7rocprim17ROCPRIM_400000_NS6detail17trampoline_kernelINS0_14default_configENS1_20scan_config_selectorIN3c108BFloat16EEEZZNS1_9scan_implILNS1_25lookback_scan_determinismE0ELb0ELb0ES3_PKS6_PS6_S6_ZZZN2at6native31launch_logcumsumexp_cuda_kernelERKNSD_10TensorBaseESH_lENKUlvE_clEvENKUlvE4_clEvEUlS6_S6_E_S6_EEDaPvRmT3_T4_T5_mT6_P12ihipStream_tbENKUlT_T0_E_clISt17integral_constantIbLb1EESY_EEDaST_SU_EUlST_E_NS1_11comp_targetILNS1_3genE0ELNS1_11target_archE4294967295ELNS1_3gpuE0ELNS1_3repE0EEENS1_30default_config_static_selectorELNS0_4arch9wavefront6targetE0EEEvT1_.num_vgpr, 0
	.set _ZN7rocprim17ROCPRIM_400000_NS6detail17trampoline_kernelINS0_14default_configENS1_20scan_config_selectorIN3c108BFloat16EEEZZNS1_9scan_implILNS1_25lookback_scan_determinismE0ELb0ELb0ES3_PKS6_PS6_S6_ZZZN2at6native31launch_logcumsumexp_cuda_kernelERKNSD_10TensorBaseESH_lENKUlvE_clEvENKUlvE4_clEvEUlS6_S6_E_S6_EEDaPvRmT3_T4_T5_mT6_P12ihipStream_tbENKUlT_T0_E_clISt17integral_constantIbLb1EESY_EEDaST_SU_EUlST_E_NS1_11comp_targetILNS1_3genE0ELNS1_11target_archE4294967295ELNS1_3gpuE0ELNS1_3repE0EEENS1_30default_config_static_selectorELNS0_4arch9wavefront6targetE0EEEvT1_.num_agpr, 0
	.set _ZN7rocprim17ROCPRIM_400000_NS6detail17trampoline_kernelINS0_14default_configENS1_20scan_config_selectorIN3c108BFloat16EEEZZNS1_9scan_implILNS1_25lookback_scan_determinismE0ELb0ELb0ES3_PKS6_PS6_S6_ZZZN2at6native31launch_logcumsumexp_cuda_kernelERKNSD_10TensorBaseESH_lENKUlvE_clEvENKUlvE4_clEvEUlS6_S6_E_S6_EEDaPvRmT3_T4_T5_mT6_P12ihipStream_tbENKUlT_T0_E_clISt17integral_constantIbLb1EESY_EEDaST_SU_EUlST_E_NS1_11comp_targetILNS1_3genE0ELNS1_11target_archE4294967295ELNS1_3gpuE0ELNS1_3repE0EEENS1_30default_config_static_selectorELNS0_4arch9wavefront6targetE0EEEvT1_.numbered_sgpr, 0
	.set _ZN7rocprim17ROCPRIM_400000_NS6detail17trampoline_kernelINS0_14default_configENS1_20scan_config_selectorIN3c108BFloat16EEEZZNS1_9scan_implILNS1_25lookback_scan_determinismE0ELb0ELb0ES3_PKS6_PS6_S6_ZZZN2at6native31launch_logcumsumexp_cuda_kernelERKNSD_10TensorBaseESH_lENKUlvE_clEvENKUlvE4_clEvEUlS6_S6_E_S6_EEDaPvRmT3_T4_T5_mT6_P12ihipStream_tbENKUlT_T0_E_clISt17integral_constantIbLb1EESY_EEDaST_SU_EUlST_E_NS1_11comp_targetILNS1_3genE0ELNS1_11target_archE4294967295ELNS1_3gpuE0ELNS1_3repE0EEENS1_30default_config_static_selectorELNS0_4arch9wavefront6targetE0EEEvT1_.num_named_barrier, 0
	.set _ZN7rocprim17ROCPRIM_400000_NS6detail17trampoline_kernelINS0_14default_configENS1_20scan_config_selectorIN3c108BFloat16EEEZZNS1_9scan_implILNS1_25lookback_scan_determinismE0ELb0ELb0ES3_PKS6_PS6_S6_ZZZN2at6native31launch_logcumsumexp_cuda_kernelERKNSD_10TensorBaseESH_lENKUlvE_clEvENKUlvE4_clEvEUlS6_S6_E_S6_EEDaPvRmT3_T4_T5_mT6_P12ihipStream_tbENKUlT_T0_E_clISt17integral_constantIbLb1EESY_EEDaST_SU_EUlST_E_NS1_11comp_targetILNS1_3genE0ELNS1_11target_archE4294967295ELNS1_3gpuE0ELNS1_3repE0EEENS1_30default_config_static_selectorELNS0_4arch9wavefront6targetE0EEEvT1_.private_seg_size, 0
	.set _ZN7rocprim17ROCPRIM_400000_NS6detail17trampoline_kernelINS0_14default_configENS1_20scan_config_selectorIN3c108BFloat16EEEZZNS1_9scan_implILNS1_25lookback_scan_determinismE0ELb0ELb0ES3_PKS6_PS6_S6_ZZZN2at6native31launch_logcumsumexp_cuda_kernelERKNSD_10TensorBaseESH_lENKUlvE_clEvENKUlvE4_clEvEUlS6_S6_E_S6_EEDaPvRmT3_T4_T5_mT6_P12ihipStream_tbENKUlT_T0_E_clISt17integral_constantIbLb1EESY_EEDaST_SU_EUlST_E_NS1_11comp_targetILNS1_3genE0ELNS1_11target_archE4294967295ELNS1_3gpuE0ELNS1_3repE0EEENS1_30default_config_static_selectorELNS0_4arch9wavefront6targetE0EEEvT1_.uses_vcc, 0
	.set _ZN7rocprim17ROCPRIM_400000_NS6detail17trampoline_kernelINS0_14default_configENS1_20scan_config_selectorIN3c108BFloat16EEEZZNS1_9scan_implILNS1_25lookback_scan_determinismE0ELb0ELb0ES3_PKS6_PS6_S6_ZZZN2at6native31launch_logcumsumexp_cuda_kernelERKNSD_10TensorBaseESH_lENKUlvE_clEvENKUlvE4_clEvEUlS6_S6_E_S6_EEDaPvRmT3_T4_T5_mT6_P12ihipStream_tbENKUlT_T0_E_clISt17integral_constantIbLb1EESY_EEDaST_SU_EUlST_E_NS1_11comp_targetILNS1_3genE0ELNS1_11target_archE4294967295ELNS1_3gpuE0ELNS1_3repE0EEENS1_30default_config_static_selectorELNS0_4arch9wavefront6targetE0EEEvT1_.uses_flat_scratch, 0
	.set _ZN7rocprim17ROCPRIM_400000_NS6detail17trampoline_kernelINS0_14default_configENS1_20scan_config_selectorIN3c108BFloat16EEEZZNS1_9scan_implILNS1_25lookback_scan_determinismE0ELb0ELb0ES3_PKS6_PS6_S6_ZZZN2at6native31launch_logcumsumexp_cuda_kernelERKNSD_10TensorBaseESH_lENKUlvE_clEvENKUlvE4_clEvEUlS6_S6_E_S6_EEDaPvRmT3_T4_T5_mT6_P12ihipStream_tbENKUlT_T0_E_clISt17integral_constantIbLb1EESY_EEDaST_SU_EUlST_E_NS1_11comp_targetILNS1_3genE0ELNS1_11target_archE4294967295ELNS1_3gpuE0ELNS1_3repE0EEENS1_30default_config_static_selectorELNS0_4arch9wavefront6targetE0EEEvT1_.has_dyn_sized_stack, 0
	.set _ZN7rocprim17ROCPRIM_400000_NS6detail17trampoline_kernelINS0_14default_configENS1_20scan_config_selectorIN3c108BFloat16EEEZZNS1_9scan_implILNS1_25lookback_scan_determinismE0ELb0ELb0ES3_PKS6_PS6_S6_ZZZN2at6native31launch_logcumsumexp_cuda_kernelERKNSD_10TensorBaseESH_lENKUlvE_clEvENKUlvE4_clEvEUlS6_S6_E_S6_EEDaPvRmT3_T4_T5_mT6_P12ihipStream_tbENKUlT_T0_E_clISt17integral_constantIbLb1EESY_EEDaST_SU_EUlST_E_NS1_11comp_targetILNS1_3genE0ELNS1_11target_archE4294967295ELNS1_3gpuE0ELNS1_3repE0EEENS1_30default_config_static_selectorELNS0_4arch9wavefront6targetE0EEEvT1_.has_recursion, 0
	.set _ZN7rocprim17ROCPRIM_400000_NS6detail17trampoline_kernelINS0_14default_configENS1_20scan_config_selectorIN3c108BFloat16EEEZZNS1_9scan_implILNS1_25lookback_scan_determinismE0ELb0ELb0ES3_PKS6_PS6_S6_ZZZN2at6native31launch_logcumsumexp_cuda_kernelERKNSD_10TensorBaseESH_lENKUlvE_clEvENKUlvE4_clEvEUlS6_S6_E_S6_EEDaPvRmT3_T4_T5_mT6_P12ihipStream_tbENKUlT_T0_E_clISt17integral_constantIbLb1EESY_EEDaST_SU_EUlST_E_NS1_11comp_targetILNS1_3genE0ELNS1_11target_archE4294967295ELNS1_3gpuE0ELNS1_3repE0EEENS1_30default_config_static_selectorELNS0_4arch9wavefront6targetE0EEEvT1_.has_indirect_call, 0
	.section	.AMDGPU.csdata,"",@progbits
; Kernel info:
; codeLenInByte = 0
; TotalNumSgprs: 0
; NumVgprs: 0
; ScratchSize: 0
; MemoryBound: 0
; FloatMode: 240
; IeeeMode: 1
; LDSByteSize: 0 bytes/workgroup (compile time only)
; SGPRBlocks: 0
; VGPRBlocks: 0
; NumSGPRsForWavesPerEU: 1
; NumVGPRsForWavesPerEU: 1
; Occupancy: 16
; WaveLimiterHint : 0
; COMPUTE_PGM_RSRC2:SCRATCH_EN: 0
; COMPUTE_PGM_RSRC2:USER_SGPR: 2
; COMPUTE_PGM_RSRC2:TRAP_HANDLER: 0
; COMPUTE_PGM_RSRC2:TGID_X_EN: 1
; COMPUTE_PGM_RSRC2:TGID_Y_EN: 0
; COMPUTE_PGM_RSRC2:TGID_Z_EN: 0
; COMPUTE_PGM_RSRC2:TIDIG_COMP_CNT: 0
	.section	.text._ZN7rocprim17ROCPRIM_400000_NS6detail17trampoline_kernelINS0_14default_configENS1_20scan_config_selectorIN3c108BFloat16EEEZZNS1_9scan_implILNS1_25lookback_scan_determinismE0ELb0ELb0ES3_PKS6_PS6_S6_ZZZN2at6native31launch_logcumsumexp_cuda_kernelERKNSD_10TensorBaseESH_lENKUlvE_clEvENKUlvE4_clEvEUlS6_S6_E_S6_EEDaPvRmT3_T4_T5_mT6_P12ihipStream_tbENKUlT_T0_E_clISt17integral_constantIbLb1EESY_EEDaST_SU_EUlST_E_NS1_11comp_targetILNS1_3genE5ELNS1_11target_archE942ELNS1_3gpuE9ELNS1_3repE0EEENS1_30default_config_static_selectorELNS0_4arch9wavefront6targetE0EEEvT1_,"axG",@progbits,_ZN7rocprim17ROCPRIM_400000_NS6detail17trampoline_kernelINS0_14default_configENS1_20scan_config_selectorIN3c108BFloat16EEEZZNS1_9scan_implILNS1_25lookback_scan_determinismE0ELb0ELb0ES3_PKS6_PS6_S6_ZZZN2at6native31launch_logcumsumexp_cuda_kernelERKNSD_10TensorBaseESH_lENKUlvE_clEvENKUlvE4_clEvEUlS6_S6_E_S6_EEDaPvRmT3_T4_T5_mT6_P12ihipStream_tbENKUlT_T0_E_clISt17integral_constantIbLb1EESY_EEDaST_SU_EUlST_E_NS1_11comp_targetILNS1_3genE5ELNS1_11target_archE942ELNS1_3gpuE9ELNS1_3repE0EEENS1_30default_config_static_selectorELNS0_4arch9wavefront6targetE0EEEvT1_,comdat
	.globl	_ZN7rocprim17ROCPRIM_400000_NS6detail17trampoline_kernelINS0_14default_configENS1_20scan_config_selectorIN3c108BFloat16EEEZZNS1_9scan_implILNS1_25lookback_scan_determinismE0ELb0ELb0ES3_PKS6_PS6_S6_ZZZN2at6native31launch_logcumsumexp_cuda_kernelERKNSD_10TensorBaseESH_lENKUlvE_clEvENKUlvE4_clEvEUlS6_S6_E_S6_EEDaPvRmT3_T4_T5_mT6_P12ihipStream_tbENKUlT_T0_E_clISt17integral_constantIbLb1EESY_EEDaST_SU_EUlST_E_NS1_11comp_targetILNS1_3genE5ELNS1_11target_archE942ELNS1_3gpuE9ELNS1_3repE0EEENS1_30default_config_static_selectorELNS0_4arch9wavefront6targetE0EEEvT1_ ; -- Begin function _ZN7rocprim17ROCPRIM_400000_NS6detail17trampoline_kernelINS0_14default_configENS1_20scan_config_selectorIN3c108BFloat16EEEZZNS1_9scan_implILNS1_25lookback_scan_determinismE0ELb0ELb0ES3_PKS6_PS6_S6_ZZZN2at6native31launch_logcumsumexp_cuda_kernelERKNSD_10TensorBaseESH_lENKUlvE_clEvENKUlvE4_clEvEUlS6_S6_E_S6_EEDaPvRmT3_T4_T5_mT6_P12ihipStream_tbENKUlT_T0_E_clISt17integral_constantIbLb1EESY_EEDaST_SU_EUlST_E_NS1_11comp_targetILNS1_3genE5ELNS1_11target_archE942ELNS1_3gpuE9ELNS1_3repE0EEENS1_30default_config_static_selectorELNS0_4arch9wavefront6targetE0EEEvT1_
	.p2align	8
	.type	_ZN7rocprim17ROCPRIM_400000_NS6detail17trampoline_kernelINS0_14default_configENS1_20scan_config_selectorIN3c108BFloat16EEEZZNS1_9scan_implILNS1_25lookback_scan_determinismE0ELb0ELb0ES3_PKS6_PS6_S6_ZZZN2at6native31launch_logcumsumexp_cuda_kernelERKNSD_10TensorBaseESH_lENKUlvE_clEvENKUlvE4_clEvEUlS6_S6_E_S6_EEDaPvRmT3_T4_T5_mT6_P12ihipStream_tbENKUlT_T0_E_clISt17integral_constantIbLb1EESY_EEDaST_SU_EUlST_E_NS1_11comp_targetILNS1_3genE5ELNS1_11target_archE942ELNS1_3gpuE9ELNS1_3repE0EEENS1_30default_config_static_selectorELNS0_4arch9wavefront6targetE0EEEvT1_,@function
_ZN7rocprim17ROCPRIM_400000_NS6detail17trampoline_kernelINS0_14default_configENS1_20scan_config_selectorIN3c108BFloat16EEEZZNS1_9scan_implILNS1_25lookback_scan_determinismE0ELb0ELb0ES3_PKS6_PS6_S6_ZZZN2at6native31launch_logcumsumexp_cuda_kernelERKNSD_10TensorBaseESH_lENKUlvE_clEvENKUlvE4_clEvEUlS6_S6_E_S6_EEDaPvRmT3_T4_T5_mT6_P12ihipStream_tbENKUlT_T0_E_clISt17integral_constantIbLb1EESY_EEDaST_SU_EUlST_E_NS1_11comp_targetILNS1_3genE5ELNS1_11target_archE942ELNS1_3gpuE9ELNS1_3repE0EEENS1_30default_config_static_selectorELNS0_4arch9wavefront6targetE0EEEvT1_: ; @_ZN7rocprim17ROCPRIM_400000_NS6detail17trampoline_kernelINS0_14default_configENS1_20scan_config_selectorIN3c108BFloat16EEEZZNS1_9scan_implILNS1_25lookback_scan_determinismE0ELb0ELb0ES3_PKS6_PS6_S6_ZZZN2at6native31launch_logcumsumexp_cuda_kernelERKNSD_10TensorBaseESH_lENKUlvE_clEvENKUlvE4_clEvEUlS6_S6_E_S6_EEDaPvRmT3_T4_T5_mT6_P12ihipStream_tbENKUlT_T0_E_clISt17integral_constantIbLb1EESY_EEDaST_SU_EUlST_E_NS1_11comp_targetILNS1_3genE5ELNS1_11target_archE942ELNS1_3gpuE9ELNS1_3repE0EEENS1_30default_config_static_selectorELNS0_4arch9wavefront6targetE0EEEvT1_
; %bb.0:
	.section	.rodata,"a",@progbits
	.p2align	6, 0x0
	.amdhsa_kernel _ZN7rocprim17ROCPRIM_400000_NS6detail17trampoline_kernelINS0_14default_configENS1_20scan_config_selectorIN3c108BFloat16EEEZZNS1_9scan_implILNS1_25lookback_scan_determinismE0ELb0ELb0ES3_PKS6_PS6_S6_ZZZN2at6native31launch_logcumsumexp_cuda_kernelERKNSD_10TensorBaseESH_lENKUlvE_clEvENKUlvE4_clEvEUlS6_S6_E_S6_EEDaPvRmT3_T4_T5_mT6_P12ihipStream_tbENKUlT_T0_E_clISt17integral_constantIbLb1EESY_EEDaST_SU_EUlST_E_NS1_11comp_targetILNS1_3genE5ELNS1_11target_archE942ELNS1_3gpuE9ELNS1_3repE0EEENS1_30default_config_static_selectorELNS0_4arch9wavefront6targetE0EEEvT1_
		.amdhsa_group_segment_fixed_size 0
		.amdhsa_private_segment_fixed_size 0
		.amdhsa_kernarg_size 96
		.amdhsa_user_sgpr_count 2
		.amdhsa_user_sgpr_dispatch_ptr 0
		.amdhsa_user_sgpr_queue_ptr 0
		.amdhsa_user_sgpr_kernarg_segment_ptr 1
		.amdhsa_user_sgpr_dispatch_id 0
		.amdhsa_user_sgpr_private_segment_size 0
		.amdhsa_wavefront_size32 1
		.amdhsa_uses_dynamic_stack 0
		.amdhsa_enable_private_segment 0
		.amdhsa_system_sgpr_workgroup_id_x 1
		.amdhsa_system_sgpr_workgroup_id_y 0
		.amdhsa_system_sgpr_workgroup_id_z 0
		.amdhsa_system_sgpr_workgroup_info 0
		.amdhsa_system_vgpr_workitem_id 0
		.amdhsa_next_free_vgpr 1
		.amdhsa_next_free_sgpr 1
		.amdhsa_reserve_vcc 0
		.amdhsa_float_round_mode_32 0
		.amdhsa_float_round_mode_16_64 0
		.amdhsa_float_denorm_mode_32 3
		.amdhsa_float_denorm_mode_16_64 3
		.amdhsa_fp16_overflow 0
		.amdhsa_workgroup_processor_mode 1
		.amdhsa_memory_ordered 1
		.amdhsa_forward_progress 1
		.amdhsa_inst_pref_size 0
		.amdhsa_round_robin_scheduling 0
		.amdhsa_exception_fp_ieee_invalid_op 0
		.amdhsa_exception_fp_denorm_src 0
		.amdhsa_exception_fp_ieee_div_zero 0
		.amdhsa_exception_fp_ieee_overflow 0
		.amdhsa_exception_fp_ieee_underflow 0
		.amdhsa_exception_fp_ieee_inexact 0
		.amdhsa_exception_int_div_zero 0
	.end_amdhsa_kernel
	.section	.text._ZN7rocprim17ROCPRIM_400000_NS6detail17trampoline_kernelINS0_14default_configENS1_20scan_config_selectorIN3c108BFloat16EEEZZNS1_9scan_implILNS1_25lookback_scan_determinismE0ELb0ELb0ES3_PKS6_PS6_S6_ZZZN2at6native31launch_logcumsumexp_cuda_kernelERKNSD_10TensorBaseESH_lENKUlvE_clEvENKUlvE4_clEvEUlS6_S6_E_S6_EEDaPvRmT3_T4_T5_mT6_P12ihipStream_tbENKUlT_T0_E_clISt17integral_constantIbLb1EESY_EEDaST_SU_EUlST_E_NS1_11comp_targetILNS1_3genE5ELNS1_11target_archE942ELNS1_3gpuE9ELNS1_3repE0EEENS1_30default_config_static_selectorELNS0_4arch9wavefront6targetE0EEEvT1_,"axG",@progbits,_ZN7rocprim17ROCPRIM_400000_NS6detail17trampoline_kernelINS0_14default_configENS1_20scan_config_selectorIN3c108BFloat16EEEZZNS1_9scan_implILNS1_25lookback_scan_determinismE0ELb0ELb0ES3_PKS6_PS6_S6_ZZZN2at6native31launch_logcumsumexp_cuda_kernelERKNSD_10TensorBaseESH_lENKUlvE_clEvENKUlvE4_clEvEUlS6_S6_E_S6_EEDaPvRmT3_T4_T5_mT6_P12ihipStream_tbENKUlT_T0_E_clISt17integral_constantIbLb1EESY_EEDaST_SU_EUlST_E_NS1_11comp_targetILNS1_3genE5ELNS1_11target_archE942ELNS1_3gpuE9ELNS1_3repE0EEENS1_30default_config_static_selectorELNS0_4arch9wavefront6targetE0EEEvT1_,comdat
.Lfunc_end466:
	.size	_ZN7rocprim17ROCPRIM_400000_NS6detail17trampoline_kernelINS0_14default_configENS1_20scan_config_selectorIN3c108BFloat16EEEZZNS1_9scan_implILNS1_25lookback_scan_determinismE0ELb0ELb0ES3_PKS6_PS6_S6_ZZZN2at6native31launch_logcumsumexp_cuda_kernelERKNSD_10TensorBaseESH_lENKUlvE_clEvENKUlvE4_clEvEUlS6_S6_E_S6_EEDaPvRmT3_T4_T5_mT6_P12ihipStream_tbENKUlT_T0_E_clISt17integral_constantIbLb1EESY_EEDaST_SU_EUlST_E_NS1_11comp_targetILNS1_3genE5ELNS1_11target_archE942ELNS1_3gpuE9ELNS1_3repE0EEENS1_30default_config_static_selectorELNS0_4arch9wavefront6targetE0EEEvT1_, .Lfunc_end466-_ZN7rocprim17ROCPRIM_400000_NS6detail17trampoline_kernelINS0_14default_configENS1_20scan_config_selectorIN3c108BFloat16EEEZZNS1_9scan_implILNS1_25lookback_scan_determinismE0ELb0ELb0ES3_PKS6_PS6_S6_ZZZN2at6native31launch_logcumsumexp_cuda_kernelERKNSD_10TensorBaseESH_lENKUlvE_clEvENKUlvE4_clEvEUlS6_S6_E_S6_EEDaPvRmT3_T4_T5_mT6_P12ihipStream_tbENKUlT_T0_E_clISt17integral_constantIbLb1EESY_EEDaST_SU_EUlST_E_NS1_11comp_targetILNS1_3genE5ELNS1_11target_archE942ELNS1_3gpuE9ELNS1_3repE0EEENS1_30default_config_static_selectorELNS0_4arch9wavefront6targetE0EEEvT1_
                                        ; -- End function
	.set _ZN7rocprim17ROCPRIM_400000_NS6detail17trampoline_kernelINS0_14default_configENS1_20scan_config_selectorIN3c108BFloat16EEEZZNS1_9scan_implILNS1_25lookback_scan_determinismE0ELb0ELb0ES3_PKS6_PS6_S6_ZZZN2at6native31launch_logcumsumexp_cuda_kernelERKNSD_10TensorBaseESH_lENKUlvE_clEvENKUlvE4_clEvEUlS6_S6_E_S6_EEDaPvRmT3_T4_T5_mT6_P12ihipStream_tbENKUlT_T0_E_clISt17integral_constantIbLb1EESY_EEDaST_SU_EUlST_E_NS1_11comp_targetILNS1_3genE5ELNS1_11target_archE942ELNS1_3gpuE9ELNS1_3repE0EEENS1_30default_config_static_selectorELNS0_4arch9wavefront6targetE0EEEvT1_.num_vgpr, 0
	.set _ZN7rocprim17ROCPRIM_400000_NS6detail17trampoline_kernelINS0_14default_configENS1_20scan_config_selectorIN3c108BFloat16EEEZZNS1_9scan_implILNS1_25lookback_scan_determinismE0ELb0ELb0ES3_PKS6_PS6_S6_ZZZN2at6native31launch_logcumsumexp_cuda_kernelERKNSD_10TensorBaseESH_lENKUlvE_clEvENKUlvE4_clEvEUlS6_S6_E_S6_EEDaPvRmT3_T4_T5_mT6_P12ihipStream_tbENKUlT_T0_E_clISt17integral_constantIbLb1EESY_EEDaST_SU_EUlST_E_NS1_11comp_targetILNS1_3genE5ELNS1_11target_archE942ELNS1_3gpuE9ELNS1_3repE0EEENS1_30default_config_static_selectorELNS0_4arch9wavefront6targetE0EEEvT1_.num_agpr, 0
	.set _ZN7rocprim17ROCPRIM_400000_NS6detail17trampoline_kernelINS0_14default_configENS1_20scan_config_selectorIN3c108BFloat16EEEZZNS1_9scan_implILNS1_25lookback_scan_determinismE0ELb0ELb0ES3_PKS6_PS6_S6_ZZZN2at6native31launch_logcumsumexp_cuda_kernelERKNSD_10TensorBaseESH_lENKUlvE_clEvENKUlvE4_clEvEUlS6_S6_E_S6_EEDaPvRmT3_T4_T5_mT6_P12ihipStream_tbENKUlT_T0_E_clISt17integral_constantIbLb1EESY_EEDaST_SU_EUlST_E_NS1_11comp_targetILNS1_3genE5ELNS1_11target_archE942ELNS1_3gpuE9ELNS1_3repE0EEENS1_30default_config_static_selectorELNS0_4arch9wavefront6targetE0EEEvT1_.numbered_sgpr, 0
	.set _ZN7rocprim17ROCPRIM_400000_NS6detail17trampoline_kernelINS0_14default_configENS1_20scan_config_selectorIN3c108BFloat16EEEZZNS1_9scan_implILNS1_25lookback_scan_determinismE0ELb0ELb0ES3_PKS6_PS6_S6_ZZZN2at6native31launch_logcumsumexp_cuda_kernelERKNSD_10TensorBaseESH_lENKUlvE_clEvENKUlvE4_clEvEUlS6_S6_E_S6_EEDaPvRmT3_T4_T5_mT6_P12ihipStream_tbENKUlT_T0_E_clISt17integral_constantIbLb1EESY_EEDaST_SU_EUlST_E_NS1_11comp_targetILNS1_3genE5ELNS1_11target_archE942ELNS1_3gpuE9ELNS1_3repE0EEENS1_30default_config_static_selectorELNS0_4arch9wavefront6targetE0EEEvT1_.num_named_barrier, 0
	.set _ZN7rocprim17ROCPRIM_400000_NS6detail17trampoline_kernelINS0_14default_configENS1_20scan_config_selectorIN3c108BFloat16EEEZZNS1_9scan_implILNS1_25lookback_scan_determinismE0ELb0ELb0ES3_PKS6_PS6_S6_ZZZN2at6native31launch_logcumsumexp_cuda_kernelERKNSD_10TensorBaseESH_lENKUlvE_clEvENKUlvE4_clEvEUlS6_S6_E_S6_EEDaPvRmT3_T4_T5_mT6_P12ihipStream_tbENKUlT_T0_E_clISt17integral_constantIbLb1EESY_EEDaST_SU_EUlST_E_NS1_11comp_targetILNS1_3genE5ELNS1_11target_archE942ELNS1_3gpuE9ELNS1_3repE0EEENS1_30default_config_static_selectorELNS0_4arch9wavefront6targetE0EEEvT1_.private_seg_size, 0
	.set _ZN7rocprim17ROCPRIM_400000_NS6detail17trampoline_kernelINS0_14default_configENS1_20scan_config_selectorIN3c108BFloat16EEEZZNS1_9scan_implILNS1_25lookback_scan_determinismE0ELb0ELb0ES3_PKS6_PS6_S6_ZZZN2at6native31launch_logcumsumexp_cuda_kernelERKNSD_10TensorBaseESH_lENKUlvE_clEvENKUlvE4_clEvEUlS6_S6_E_S6_EEDaPvRmT3_T4_T5_mT6_P12ihipStream_tbENKUlT_T0_E_clISt17integral_constantIbLb1EESY_EEDaST_SU_EUlST_E_NS1_11comp_targetILNS1_3genE5ELNS1_11target_archE942ELNS1_3gpuE9ELNS1_3repE0EEENS1_30default_config_static_selectorELNS0_4arch9wavefront6targetE0EEEvT1_.uses_vcc, 0
	.set _ZN7rocprim17ROCPRIM_400000_NS6detail17trampoline_kernelINS0_14default_configENS1_20scan_config_selectorIN3c108BFloat16EEEZZNS1_9scan_implILNS1_25lookback_scan_determinismE0ELb0ELb0ES3_PKS6_PS6_S6_ZZZN2at6native31launch_logcumsumexp_cuda_kernelERKNSD_10TensorBaseESH_lENKUlvE_clEvENKUlvE4_clEvEUlS6_S6_E_S6_EEDaPvRmT3_T4_T5_mT6_P12ihipStream_tbENKUlT_T0_E_clISt17integral_constantIbLb1EESY_EEDaST_SU_EUlST_E_NS1_11comp_targetILNS1_3genE5ELNS1_11target_archE942ELNS1_3gpuE9ELNS1_3repE0EEENS1_30default_config_static_selectorELNS0_4arch9wavefront6targetE0EEEvT1_.uses_flat_scratch, 0
	.set _ZN7rocprim17ROCPRIM_400000_NS6detail17trampoline_kernelINS0_14default_configENS1_20scan_config_selectorIN3c108BFloat16EEEZZNS1_9scan_implILNS1_25lookback_scan_determinismE0ELb0ELb0ES3_PKS6_PS6_S6_ZZZN2at6native31launch_logcumsumexp_cuda_kernelERKNSD_10TensorBaseESH_lENKUlvE_clEvENKUlvE4_clEvEUlS6_S6_E_S6_EEDaPvRmT3_T4_T5_mT6_P12ihipStream_tbENKUlT_T0_E_clISt17integral_constantIbLb1EESY_EEDaST_SU_EUlST_E_NS1_11comp_targetILNS1_3genE5ELNS1_11target_archE942ELNS1_3gpuE9ELNS1_3repE0EEENS1_30default_config_static_selectorELNS0_4arch9wavefront6targetE0EEEvT1_.has_dyn_sized_stack, 0
	.set _ZN7rocprim17ROCPRIM_400000_NS6detail17trampoline_kernelINS0_14default_configENS1_20scan_config_selectorIN3c108BFloat16EEEZZNS1_9scan_implILNS1_25lookback_scan_determinismE0ELb0ELb0ES3_PKS6_PS6_S6_ZZZN2at6native31launch_logcumsumexp_cuda_kernelERKNSD_10TensorBaseESH_lENKUlvE_clEvENKUlvE4_clEvEUlS6_S6_E_S6_EEDaPvRmT3_T4_T5_mT6_P12ihipStream_tbENKUlT_T0_E_clISt17integral_constantIbLb1EESY_EEDaST_SU_EUlST_E_NS1_11comp_targetILNS1_3genE5ELNS1_11target_archE942ELNS1_3gpuE9ELNS1_3repE0EEENS1_30default_config_static_selectorELNS0_4arch9wavefront6targetE0EEEvT1_.has_recursion, 0
	.set _ZN7rocprim17ROCPRIM_400000_NS6detail17trampoline_kernelINS0_14default_configENS1_20scan_config_selectorIN3c108BFloat16EEEZZNS1_9scan_implILNS1_25lookback_scan_determinismE0ELb0ELb0ES3_PKS6_PS6_S6_ZZZN2at6native31launch_logcumsumexp_cuda_kernelERKNSD_10TensorBaseESH_lENKUlvE_clEvENKUlvE4_clEvEUlS6_S6_E_S6_EEDaPvRmT3_T4_T5_mT6_P12ihipStream_tbENKUlT_T0_E_clISt17integral_constantIbLb1EESY_EEDaST_SU_EUlST_E_NS1_11comp_targetILNS1_3genE5ELNS1_11target_archE942ELNS1_3gpuE9ELNS1_3repE0EEENS1_30default_config_static_selectorELNS0_4arch9wavefront6targetE0EEEvT1_.has_indirect_call, 0
	.section	.AMDGPU.csdata,"",@progbits
; Kernel info:
; codeLenInByte = 0
; TotalNumSgprs: 0
; NumVgprs: 0
; ScratchSize: 0
; MemoryBound: 0
; FloatMode: 240
; IeeeMode: 1
; LDSByteSize: 0 bytes/workgroup (compile time only)
; SGPRBlocks: 0
; VGPRBlocks: 0
; NumSGPRsForWavesPerEU: 1
; NumVGPRsForWavesPerEU: 1
; Occupancy: 16
; WaveLimiterHint : 0
; COMPUTE_PGM_RSRC2:SCRATCH_EN: 0
; COMPUTE_PGM_RSRC2:USER_SGPR: 2
; COMPUTE_PGM_RSRC2:TRAP_HANDLER: 0
; COMPUTE_PGM_RSRC2:TGID_X_EN: 1
; COMPUTE_PGM_RSRC2:TGID_Y_EN: 0
; COMPUTE_PGM_RSRC2:TGID_Z_EN: 0
; COMPUTE_PGM_RSRC2:TIDIG_COMP_CNT: 0
	.section	.text._ZN7rocprim17ROCPRIM_400000_NS6detail17trampoline_kernelINS0_14default_configENS1_20scan_config_selectorIN3c108BFloat16EEEZZNS1_9scan_implILNS1_25lookback_scan_determinismE0ELb0ELb0ES3_PKS6_PS6_S6_ZZZN2at6native31launch_logcumsumexp_cuda_kernelERKNSD_10TensorBaseESH_lENKUlvE_clEvENKUlvE4_clEvEUlS6_S6_E_S6_EEDaPvRmT3_T4_T5_mT6_P12ihipStream_tbENKUlT_T0_E_clISt17integral_constantIbLb1EESY_EEDaST_SU_EUlST_E_NS1_11comp_targetILNS1_3genE4ELNS1_11target_archE910ELNS1_3gpuE8ELNS1_3repE0EEENS1_30default_config_static_selectorELNS0_4arch9wavefront6targetE0EEEvT1_,"axG",@progbits,_ZN7rocprim17ROCPRIM_400000_NS6detail17trampoline_kernelINS0_14default_configENS1_20scan_config_selectorIN3c108BFloat16EEEZZNS1_9scan_implILNS1_25lookback_scan_determinismE0ELb0ELb0ES3_PKS6_PS6_S6_ZZZN2at6native31launch_logcumsumexp_cuda_kernelERKNSD_10TensorBaseESH_lENKUlvE_clEvENKUlvE4_clEvEUlS6_S6_E_S6_EEDaPvRmT3_T4_T5_mT6_P12ihipStream_tbENKUlT_T0_E_clISt17integral_constantIbLb1EESY_EEDaST_SU_EUlST_E_NS1_11comp_targetILNS1_3genE4ELNS1_11target_archE910ELNS1_3gpuE8ELNS1_3repE0EEENS1_30default_config_static_selectorELNS0_4arch9wavefront6targetE0EEEvT1_,comdat
	.globl	_ZN7rocprim17ROCPRIM_400000_NS6detail17trampoline_kernelINS0_14default_configENS1_20scan_config_selectorIN3c108BFloat16EEEZZNS1_9scan_implILNS1_25lookback_scan_determinismE0ELb0ELb0ES3_PKS6_PS6_S6_ZZZN2at6native31launch_logcumsumexp_cuda_kernelERKNSD_10TensorBaseESH_lENKUlvE_clEvENKUlvE4_clEvEUlS6_S6_E_S6_EEDaPvRmT3_T4_T5_mT6_P12ihipStream_tbENKUlT_T0_E_clISt17integral_constantIbLb1EESY_EEDaST_SU_EUlST_E_NS1_11comp_targetILNS1_3genE4ELNS1_11target_archE910ELNS1_3gpuE8ELNS1_3repE0EEENS1_30default_config_static_selectorELNS0_4arch9wavefront6targetE0EEEvT1_ ; -- Begin function _ZN7rocprim17ROCPRIM_400000_NS6detail17trampoline_kernelINS0_14default_configENS1_20scan_config_selectorIN3c108BFloat16EEEZZNS1_9scan_implILNS1_25lookback_scan_determinismE0ELb0ELb0ES3_PKS6_PS6_S6_ZZZN2at6native31launch_logcumsumexp_cuda_kernelERKNSD_10TensorBaseESH_lENKUlvE_clEvENKUlvE4_clEvEUlS6_S6_E_S6_EEDaPvRmT3_T4_T5_mT6_P12ihipStream_tbENKUlT_T0_E_clISt17integral_constantIbLb1EESY_EEDaST_SU_EUlST_E_NS1_11comp_targetILNS1_3genE4ELNS1_11target_archE910ELNS1_3gpuE8ELNS1_3repE0EEENS1_30default_config_static_selectorELNS0_4arch9wavefront6targetE0EEEvT1_
	.p2align	8
	.type	_ZN7rocprim17ROCPRIM_400000_NS6detail17trampoline_kernelINS0_14default_configENS1_20scan_config_selectorIN3c108BFloat16EEEZZNS1_9scan_implILNS1_25lookback_scan_determinismE0ELb0ELb0ES3_PKS6_PS6_S6_ZZZN2at6native31launch_logcumsumexp_cuda_kernelERKNSD_10TensorBaseESH_lENKUlvE_clEvENKUlvE4_clEvEUlS6_S6_E_S6_EEDaPvRmT3_T4_T5_mT6_P12ihipStream_tbENKUlT_T0_E_clISt17integral_constantIbLb1EESY_EEDaST_SU_EUlST_E_NS1_11comp_targetILNS1_3genE4ELNS1_11target_archE910ELNS1_3gpuE8ELNS1_3repE0EEENS1_30default_config_static_selectorELNS0_4arch9wavefront6targetE0EEEvT1_,@function
_ZN7rocprim17ROCPRIM_400000_NS6detail17trampoline_kernelINS0_14default_configENS1_20scan_config_selectorIN3c108BFloat16EEEZZNS1_9scan_implILNS1_25lookback_scan_determinismE0ELb0ELb0ES3_PKS6_PS6_S6_ZZZN2at6native31launch_logcumsumexp_cuda_kernelERKNSD_10TensorBaseESH_lENKUlvE_clEvENKUlvE4_clEvEUlS6_S6_E_S6_EEDaPvRmT3_T4_T5_mT6_P12ihipStream_tbENKUlT_T0_E_clISt17integral_constantIbLb1EESY_EEDaST_SU_EUlST_E_NS1_11comp_targetILNS1_3genE4ELNS1_11target_archE910ELNS1_3gpuE8ELNS1_3repE0EEENS1_30default_config_static_selectorELNS0_4arch9wavefront6targetE0EEEvT1_: ; @_ZN7rocprim17ROCPRIM_400000_NS6detail17trampoline_kernelINS0_14default_configENS1_20scan_config_selectorIN3c108BFloat16EEEZZNS1_9scan_implILNS1_25lookback_scan_determinismE0ELb0ELb0ES3_PKS6_PS6_S6_ZZZN2at6native31launch_logcumsumexp_cuda_kernelERKNSD_10TensorBaseESH_lENKUlvE_clEvENKUlvE4_clEvEUlS6_S6_E_S6_EEDaPvRmT3_T4_T5_mT6_P12ihipStream_tbENKUlT_T0_E_clISt17integral_constantIbLb1EESY_EEDaST_SU_EUlST_E_NS1_11comp_targetILNS1_3genE4ELNS1_11target_archE910ELNS1_3gpuE8ELNS1_3repE0EEENS1_30default_config_static_selectorELNS0_4arch9wavefront6targetE0EEEvT1_
; %bb.0:
	.section	.rodata,"a",@progbits
	.p2align	6, 0x0
	.amdhsa_kernel _ZN7rocprim17ROCPRIM_400000_NS6detail17trampoline_kernelINS0_14default_configENS1_20scan_config_selectorIN3c108BFloat16EEEZZNS1_9scan_implILNS1_25lookback_scan_determinismE0ELb0ELb0ES3_PKS6_PS6_S6_ZZZN2at6native31launch_logcumsumexp_cuda_kernelERKNSD_10TensorBaseESH_lENKUlvE_clEvENKUlvE4_clEvEUlS6_S6_E_S6_EEDaPvRmT3_T4_T5_mT6_P12ihipStream_tbENKUlT_T0_E_clISt17integral_constantIbLb1EESY_EEDaST_SU_EUlST_E_NS1_11comp_targetILNS1_3genE4ELNS1_11target_archE910ELNS1_3gpuE8ELNS1_3repE0EEENS1_30default_config_static_selectorELNS0_4arch9wavefront6targetE0EEEvT1_
		.amdhsa_group_segment_fixed_size 0
		.amdhsa_private_segment_fixed_size 0
		.amdhsa_kernarg_size 96
		.amdhsa_user_sgpr_count 2
		.amdhsa_user_sgpr_dispatch_ptr 0
		.amdhsa_user_sgpr_queue_ptr 0
		.amdhsa_user_sgpr_kernarg_segment_ptr 1
		.amdhsa_user_sgpr_dispatch_id 0
		.amdhsa_user_sgpr_private_segment_size 0
		.amdhsa_wavefront_size32 1
		.amdhsa_uses_dynamic_stack 0
		.amdhsa_enable_private_segment 0
		.amdhsa_system_sgpr_workgroup_id_x 1
		.amdhsa_system_sgpr_workgroup_id_y 0
		.amdhsa_system_sgpr_workgroup_id_z 0
		.amdhsa_system_sgpr_workgroup_info 0
		.amdhsa_system_vgpr_workitem_id 0
		.amdhsa_next_free_vgpr 1
		.amdhsa_next_free_sgpr 1
		.amdhsa_reserve_vcc 0
		.amdhsa_float_round_mode_32 0
		.amdhsa_float_round_mode_16_64 0
		.amdhsa_float_denorm_mode_32 3
		.amdhsa_float_denorm_mode_16_64 3
		.amdhsa_fp16_overflow 0
		.amdhsa_workgroup_processor_mode 1
		.amdhsa_memory_ordered 1
		.amdhsa_forward_progress 1
		.amdhsa_inst_pref_size 0
		.amdhsa_round_robin_scheduling 0
		.amdhsa_exception_fp_ieee_invalid_op 0
		.amdhsa_exception_fp_denorm_src 0
		.amdhsa_exception_fp_ieee_div_zero 0
		.amdhsa_exception_fp_ieee_overflow 0
		.amdhsa_exception_fp_ieee_underflow 0
		.amdhsa_exception_fp_ieee_inexact 0
		.amdhsa_exception_int_div_zero 0
	.end_amdhsa_kernel
	.section	.text._ZN7rocprim17ROCPRIM_400000_NS6detail17trampoline_kernelINS0_14default_configENS1_20scan_config_selectorIN3c108BFloat16EEEZZNS1_9scan_implILNS1_25lookback_scan_determinismE0ELb0ELb0ES3_PKS6_PS6_S6_ZZZN2at6native31launch_logcumsumexp_cuda_kernelERKNSD_10TensorBaseESH_lENKUlvE_clEvENKUlvE4_clEvEUlS6_S6_E_S6_EEDaPvRmT3_T4_T5_mT6_P12ihipStream_tbENKUlT_T0_E_clISt17integral_constantIbLb1EESY_EEDaST_SU_EUlST_E_NS1_11comp_targetILNS1_3genE4ELNS1_11target_archE910ELNS1_3gpuE8ELNS1_3repE0EEENS1_30default_config_static_selectorELNS0_4arch9wavefront6targetE0EEEvT1_,"axG",@progbits,_ZN7rocprim17ROCPRIM_400000_NS6detail17trampoline_kernelINS0_14default_configENS1_20scan_config_selectorIN3c108BFloat16EEEZZNS1_9scan_implILNS1_25lookback_scan_determinismE0ELb0ELb0ES3_PKS6_PS6_S6_ZZZN2at6native31launch_logcumsumexp_cuda_kernelERKNSD_10TensorBaseESH_lENKUlvE_clEvENKUlvE4_clEvEUlS6_S6_E_S6_EEDaPvRmT3_T4_T5_mT6_P12ihipStream_tbENKUlT_T0_E_clISt17integral_constantIbLb1EESY_EEDaST_SU_EUlST_E_NS1_11comp_targetILNS1_3genE4ELNS1_11target_archE910ELNS1_3gpuE8ELNS1_3repE0EEENS1_30default_config_static_selectorELNS0_4arch9wavefront6targetE0EEEvT1_,comdat
.Lfunc_end467:
	.size	_ZN7rocprim17ROCPRIM_400000_NS6detail17trampoline_kernelINS0_14default_configENS1_20scan_config_selectorIN3c108BFloat16EEEZZNS1_9scan_implILNS1_25lookback_scan_determinismE0ELb0ELb0ES3_PKS6_PS6_S6_ZZZN2at6native31launch_logcumsumexp_cuda_kernelERKNSD_10TensorBaseESH_lENKUlvE_clEvENKUlvE4_clEvEUlS6_S6_E_S6_EEDaPvRmT3_T4_T5_mT6_P12ihipStream_tbENKUlT_T0_E_clISt17integral_constantIbLb1EESY_EEDaST_SU_EUlST_E_NS1_11comp_targetILNS1_3genE4ELNS1_11target_archE910ELNS1_3gpuE8ELNS1_3repE0EEENS1_30default_config_static_selectorELNS0_4arch9wavefront6targetE0EEEvT1_, .Lfunc_end467-_ZN7rocprim17ROCPRIM_400000_NS6detail17trampoline_kernelINS0_14default_configENS1_20scan_config_selectorIN3c108BFloat16EEEZZNS1_9scan_implILNS1_25lookback_scan_determinismE0ELb0ELb0ES3_PKS6_PS6_S6_ZZZN2at6native31launch_logcumsumexp_cuda_kernelERKNSD_10TensorBaseESH_lENKUlvE_clEvENKUlvE4_clEvEUlS6_S6_E_S6_EEDaPvRmT3_T4_T5_mT6_P12ihipStream_tbENKUlT_T0_E_clISt17integral_constantIbLb1EESY_EEDaST_SU_EUlST_E_NS1_11comp_targetILNS1_3genE4ELNS1_11target_archE910ELNS1_3gpuE8ELNS1_3repE0EEENS1_30default_config_static_selectorELNS0_4arch9wavefront6targetE0EEEvT1_
                                        ; -- End function
	.set _ZN7rocprim17ROCPRIM_400000_NS6detail17trampoline_kernelINS0_14default_configENS1_20scan_config_selectorIN3c108BFloat16EEEZZNS1_9scan_implILNS1_25lookback_scan_determinismE0ELb0ELb0ES3_PKS6_PS6_S6_ZZZN2at6native31launch_logcumsumexp_cuda_kernelERKNSD_10TensorBaseESH_lENKUlvE_clEvENKUlvE4_clEvEUlS6_S6_E_S6_EEDaPvRmT3_T4_T5_mT6_P12ihipStream_tbENKUlT_T0_E_clISt17integral_constantIbLb1EESY_EEDaST_SU_EUlST_E_NS1_11comp_targetILNS1_3genE4ELNS1_11target_archE910ELNS1_3gpuE8ELNS1_3repE0EEENS1_30default_config_static_selectorELNS0_4arch9wavefront6targetE0EEEvT1_.num_vgpr, 0
	.set _ZN7rocprim17ROCPRIM_400000_NS6detail17trampoline_kernelINS0_14default_configENS1_20scan_config_selectorIN3c108BFloat16EEEZZNS1_9scan_implILNS1_25lookback_scan_determinismE0ELb0ELb0ES3_PKS6_PS6_S6_ZZZN2at6native31launch_logcumsumexp_cuda_kernelERKNSD_10TensorBaseESH_lENKUlvE_clEvENKUlvE4_clEvEUlS6_S6_E_S6_EEDaPvRmT3_T4_T5_mT6_P12ihipStream_tbENKUlT_T0_E_clISt17integral_constantIbLb1EESY_EEDaST_SU_EUlST_E_NS1_11comp_targetILNS1_3genE4ELNS1_11target_archE910ELNS1_3gpuE8ELNS1_3repE0EEENS1_30default_config_static_selectorELNS0_4arch9wavefront6targetE0EEEvT1_.num_agpr, 0
	.set _ZN7rocprim17ROCPRIM_400000_NS6detail17trampoline_kernelINS0_14default_configENS1_20scan_config_selectorIN3c108BFloat16EEEZZNS1_9scan_implILNS1_25lookback_scan_determinismE0ELb0ELb0ES3_PKS6_PS6_S6_ZZZN2at6native31launch_logcumsumexp_cuda_kernelERKNSD_10TensorBaseESH_lENKUlvE_clEvENKUlvE4_clEvEUlS6_S6_E_S6_EEDaPvRmT3_T4_T5_mT6_P12ihipStream_tbENKUlT_T0_E_clISt17integral_constantIbLb1EESY_EEDaST_SU_EUlST_E_NS1_11comp_targetILNS1_3genE4ELNS1_11target_archE910ELNS1_3gpuE8ELNS1_3repE0EEENS1_30default_config_static_selectorELNS0_4arch9wavefront6targetE0EEEvT1_.numbered_sgpr, 0
	.set _ZN7rocprim17ROCPRIM_400000_NS6detail17trampoline_kernelINS0_14default_configENS1_20scan_config_selectorIN3c108BFloat16EEEZZNS1_9scan_implILNS1_25lookback_scan_determinismE0ELb0ELb0ES3_PKS6_PS6_S6_ZZZN2at6native31launch_logcumsumexp_cuda_kernelERKNSD_10TensorBaseESH_lENKUlvE_clEvENKUlvE4_clEvEUlS6_S6_E_S6_EEDaPvRmT3_T4_T5_mT6_P12ihipStream_tbENKUlT_T0_E_clISt17integral_constantIbLb1EESY_EEDaST_SU_EUlST_E_NS1_11comp_targetILNS1_3genE4ELNS1_11target_archE910ELNS1_3gpuE8ELNS1_3repE0EEENS1_30default_config_static_selectorELNS0_4arch9wavefront6targetE0EEEvT1_.num_named_barrier, 0
	.set _ZN7rocprim17ROCPRIM_400000_NS6detail17trampoline_kernelINS0_14default_configENS1_20scan_config_selectorIN3c108BFloat16EEEZZNS1_9scan_implILNS1_25lookback_scan_determinismE0ELb0ELb0ES3_PKS6_PS6_S6_ZZZN2at6native31launch_logcumsumexp_cuda_kernelERKNSD_10TensorBaseESH_lENKUlvE_clEvENKUlvE4_clEvEUlS6_S6_E_S6_EEDaPvRmT3_T4_T5_mT6_P12ihipStream_tbENKUlT_T0_E_clISt17integral_constantIbLb1EESY_EEDaST_SU_EUlST_E_NS1_11comp_targetILNS1_3genE4ELNS1_11target_archE910ELNS1_3gpuE8ELNS1_3repE0EEENS1_30default_config_static_selectorELNS0_4arch9wavefront6targetE0EEEvT1_.private_seg_size, 0
	.set _ZN7rocprim17ROCPRIM_400000_NS6detail17trampoline_kernelINS0_14default_configENS1_20scan_config_selectorIN3c108BFloat16EEEZZNS1_9scan_implILNS1_25lookback_scan_determinismE0ELb0ELb0ES3_PKS6_PS6_S6_ZZZN2at6native31launch_logcumsumexp_cuda_kernelERKNSD_10TensorBaseESH_lENKUlvE_clEvENKUlvE4_clEvEUlS6_S6_E_S6_EEDaPvRmT3_T4_T5_mT6_P12ihipStream_tbENKUlT_T0_E_clISt17integral_constantIbLb1EESY_EEDaST_SU_EUlST_E_NS1_11comp_targetILNS1_3genE4ELNS1_11target_archE910ELNS1_3gpuE8ELNS1_3repE0EEENS1_30default_config_static_selectorELNS0_4arch9wavefront6targetE0EEEvT1_.uses_vcc, 0
	.set _ZN7rocprim17ROCPRIM_400000_NS6detail17trampoline_kernelINS0_14default_configENS1_20scan_config_selectorIN3c108BFloat16EEEZZNS1_9scan_implILNS1_25lookback_scan_determinismE0ELb0ELb0ES3_PKS6_PS6_S6_ZZZN2at6native31launch_logcumsumexp_cuda_kernelERKNSD_10TensorBaseESH_lENKUlvE_clEvENKUlvE4_clEvEUlS6_S6_E_S6_EEDaPvRmT3_T4_T5_mT6_P12ihipStream_tbENKUlT_T0_E_clISt17integral_constantIbLb1EESY_EEDaST_SU_EUlST_E_NS1_11comp_targetILNS1_3genE4ELNS1_11target_archE910ELNS1_3gpuE8ELNS1_3repE0EEENS1_30default_config_static_selectorELNS0_4arch9wavefront6targetE0EEEvT1_.uses_flat_scratch, 0
	.set _ZN7rocprim17ROCPRIM_400000_NS6detail17trampoline_kernelINS0_14default_configENS1_20scan_config_selectorIN3c108BFloat16EEEZZNS1_9scan_implILNS1_25lookback_scan_determinismE0ELb0ELb0ES3_PKS6_PS6_S6_ZZZN2at6native31launch_logcumsumexp_cuda_kernelERKNSD_10TensorBaseESH_lENKUlvE_clEvENKUlvE4_clEvEUlS6_S6_E_S6_EEDaPvRmT3_T4_T5_mT6_P12ihipStream_tbENKUlT_T0_E_clISt17integral_constantIbLb1EESY_EEDaST_SU_EUlST_E_NS1_11comp_targetILNS1_3genE4ELNS1_11target_archE910ELNS1_3gpuE8ELNS1_3repE0EEENS1_30default_config_static_selectorELNS0_4arch9wavefront6targetE0EEEvT1_.has_dyn_sized_stack, 0
	.set _ZN7rocprim17ROCPRIM_400000_NS6detail17trampoline_kernelINS0_14default_configENS1_20scan_config_selectorIN3c108BFloat16EEEZZNS1_9scan_implILNS1_25lookback_scan_determinismE0ELb0ELb0ES3_PKS6_PS6_S6_ZZZN2at6native31launch_logcumsumexp_cuda_kernelERKNSD_10TensorBaseESH_lENKUlvE_clEvENKUlvE4_clEvEUlS6_S6_E_S6_EEDaPvRmT3_T4_T5_mT6_P12ihipStream_tbENKUlT_T0_E_clISt17integral_constantIbLb1EESY_EEDaST_SU_EUlST_E_NS1_11comp_targetILNS1_3genE4ELNS1_11target_archE910ELNS1_3gpuE8ELNS1_3repE0EEENS1_30default_config_static_selectorELNS0_4arch9wavefront6targetE0EEEvT1_.has_recursion, 0
	.set _ZN7rocprim17ROCPRIM_400000_NS6detail17trampoline_kernelINS0_14default_configENS1_20scan_config_selectorIN3c108BFloat16EEEZZNS1_9scan_implILNS1_25lookback_scan_determinismE0ELb0ELb0ES3_PKS6_PS6_S6_ZZZN2at6native31launch_logcumsumexp_cuda_kernelERKNSD_10TensorBaseESH_lENKUlvE_clEvENKUlvE4_clEvEUlS6_S6_E_S6_EEDaPvRmT3_T4_T5_mT6_P12ihipStream_tbENKUlT_T0_E_clISt17integral_constantIbLb1EESY_EEDaST_SU_EUlST_E_NS1_11comp_targetILNS1_3genE4ELNS1_11target_archE910ELNS1_3gpuE8ELNS1_3repE0EEENS1_30default_config_static_selectorELNS0_4arch9wavefront6targetE0EEEvT1_.has_indirect_call, 0
	.section	.AMDGPU.csdata,"",@progbits
; Kernel info:
; codeLenInByte = 0
; TotalNumSgprs: 0
; NumVgprs: 0
; ScratchSize: 0
; MemoryBound: 0
; FloatMode: 240
; IeeeMode: 1
; LDSByteSize: 0 bytes/workgroup (compile time only)
; SGPRBlocks: 0
; VGPRBlocks: 0
; NumSGPRsForWavesPerEU: 1
; NumVGPRsForWavesPerEU: 1
; Occupancy: 16
; WaveLimiterHint : 0
; COMPUTE_PGM_RSRC2:SCRATCH_EN: 0
; COMPUTE_PGM_RSRC2:USER_SGPR: 2
; COMPUTE_PGM_RSRC2:TRAP_HANDLER: 0
; COMPUTE_PGM_RSRC2:TGID_X_EN: 1
; COMPUTE_PGM_RSRC2:TGID_Y_EN: 0
; COMPUTE_PGM_RSRC2:TGID_Z_EN: 0
; COMPUTE_PGM_RSRC2:TIDIG_COMP_CNT: 0
	.section	.text._ZN7rocprim17ROCPRIM_400000_NS6detail17trampoline_kernelINS0_14default_configENS1_20scan_config_selectorIN3c108BFloat16EEEZZNS1_9scan_implILNS1_25lookback_scan_determinismE0ELb0ELb0ES3_PKS6_PS6_S6_ZZZN2at6native31launch_logcumsumexp_cuda_kernelERKNSD_10TensorBaseESH_lENKUlvE_clEvENKUlvE4_clEvEUlS6_S6_E_S6_EEDaPvRmT3_T4_T5_mT6_P12ihipStream_tbENKUlT_T0_E_clISt17integral_constantIbLb1EESY_EEDaST_SU_EUlST_E_NS1_11comp_targetILNS1_3genE3ELNS1_11target_archE908ELNS1_3gpuE7ELNS1_3repE0EEENS1_30default_config_static_selectorELNS0_4arch9wavefront6targetE0EEEvT1_,"axG",@progbits,_ZN7rocprim17ROCPRIM_400000_NS6detail17trampoline_kernelINS0_14default_configENS1_20scan_config_selectorIN3c108BFloat16EEEZZNS1_9scan_implILNS1_25lookback_scan_determinismE0ELb0ELb0ES3_PKS6_PS6_S6_ZZZN2at6native31launch_logcumsumexp_cuda_kernelERKNSD_10TensorBaseESH_lENKUlvE_clEvENKUlvE4_clEvEUlS6_S6_E_S6_EEDaPvRmT3_T4_T5_mT6_P12ihipStream_tbENKUlT_T0_E_clISt17integral_constantIbLb1EESY_EEDaST_SU_EUlST_E_NS1_11comp_targetILNS1_3genE3ELNS1_11target_archE908ELNS1_3gpuE7ELNS1_3repE0EEENS1_30default_config_static_selectorELNS0_4arch9wavefront6targetE0EEEvT1_,comdat
	.globl	_ZN7rocprim17ROCPRIM_400000_NS6detail17trampoline_kernelINS0_14default_configENS1_20scan_config_selectorIN3c108BFloat16EEEZZNS1_9scan_implILNS1_25lookback_scan_determinismE0ELb0ELb0ES3_PKS6_PS6_S6_ZZZN2at6native31launch_logcumsumexp_cuda_kernelERKNSD_10TensorBaseESH_lENKUlvE_clEvENKUlvE4_clEvEUlS6_S6_E_S6_EEDaPvRmT3_T4_T5_mT6_P12ihipStream_tbENKUlT_T0_E_clISt17integral_constantIbLb1EESY_EEDaST_SU_EUlST_E_NS1_11comp_targetILNS1_3genE3ELNS1_11target_archE908ELNS1_3gpuE7ELNS1_3repE0EEENS1_30default_config_static_selectorELNS0_4arch9wavefront6targetE0EEEvT1_ ; -- Begin function _ZN7rocprim17ROCPRIM_400000_NS6detail17trampoline_kernelINS0_14default_configENS1_20scan_config_selectorIN3c108BFloat16EEEZZNS1_9scan_implILNS1_25lookback_scan_determinismE0ELb0ELb0ES3_PKS6_PS6_S6_ZZZN2at6native31launch_logcumsumexp_cuda_kernelERKNSD_10TensorBaseESH_lENKUlvE_clEvENKUlvE4_clEvEUlS6_S6_E_S6_EEDaPvRmT3_T4_T5_mT6_P12ihipStream_tbENKUlT_T0_E_clISt17integral_constantIbLb1EESY_EEDaST_SU_EUlST_E_NS1_11comp_targetILNS1_3genE3ELNS1_11target_archE908ELNS1_3gpuE7ELNS1_3repE0EEENS1_30default_config_static_selectorELNS0_4arch9wavefront6targetE0EEEvT1_
	.p2align	8
	.type	_ZN7rocprim17ROCPRIM_400000_NS6detail17trampoline_kernelINS0_14default_configENS1_20scan_config_selectorIN3c108BFloat16EEEZZNS1_9scan_implILNS1_25lookback_scan_determinismE0ELb0ELb0ES3_PKS6_PS6_S6_ZZZN2at6native31launch_logcumsumexp_cuda_kernelERKNSD_10TensorBaseESH_lENKUlvE_clEvENKUlvE4_clEvEUlS6_S6_E_S6_EEDaPvRmT3_T4_T5_mT6_P12ihipStream_tbENKUlT_T0_E_clISt17integral_constantIbLb1EESY_EEDaST_SU_EUlST_E_NS1_11comp_targetILNS1_3genE3ELNS1_11target_archE908ELNS1_3gpuE7ELNS1_3repE0EEENS1_30default_config_static_selectorELNS0_4arch9wavefront6targetE0EEEvT1_,@function
_ZN7rocprim17ROCPRIM_400000_NS6detail17trampoline_kernelINS0_14default_configENS1_20scan_config_selectorIN3c108BFloat16EEEZZNS1_9scan_implILNS1_25lookback_scan_determinismE0ELb0ELb0ES3_PKS6_PS6_S6_ZZZN2at6native31launch_logcumsumexp_cuda_kernelERKNSD_10TensorBaseESH_lENKUlvE_clEvENKUlvE4_clEvEUlS6_S6_E_S6_EEDaPvRmT3_T4_T5_mT6_P12ihipStream_tbENKUlT_T0_E_clISt17integral_constantIbLb1EESY_EEDaST_SU_EUlST_E_NS1_11comp_targetILNS1_3genE3ELNS1_11target_archE908ELNS1_3gpuE7ELNS1_3repE0EEENS1_30default_config_static_selectorELNS0_4arch9wavefront6targetE0EEEvT1_: ; @_ZN7rocprim17ROCPRIM_400000_NS6detail17trampoline_kernelINS0_14default_configENS1_20scan_config_selectorIN3c108BFloat16EEEZZNS1_9scan_implILNS1_25lookback_scan_determinismE0ELb0ELb0ES3_PKS6_PS6_S6_ZZZN2at6native31launch_logcumsumexp_cuda_kernelERKNSD_10TensorBaseESH_lENKUlvE_clEvENKUlvE4_clEvEUlS6_S6_E_S6_EEDaPvRmT3_T4_T5_mT6_P12ihipStream_tbENKUlT_T0_E_clISt17integral_constantIbLb1EESY_EEDaST_SU_EUlST_E_NS1_11comp_targetILNS1_3genE3ELNS1_11target_archE908ELNS1_3gpuE7ELNS1_3repE0EEENS1_30default_config_static_selectorELNS0_4arch9wavefront6targetE0EEEvT1_
; %bb.0:
	.section	.rodata,"a",@progbits
	.p2align	6, 0x0
	.amdhsa_kernel _ZN7rocprim17ROCPRIM_400000_NS6detail17trampoline_kernelINS0_14default_configENS1_20scan_config_selectorIN3c108BFloat16EEEZZNS1_9scan_implILNS1_25lookback_scan_determinismE0ELb0ELb0ES3_PKS6_PS6_S6_ZZZN2at6native31launch_logcumsumexp_cuda_kernelERKNSD_10TensorBaseESH_lENKUlvE_clEvENKUlvE4_clEvEUlS6_S6_E_S6_EEDaPvRmT3_T4_T5_mT6_P12ihipStream_tbENKUlT_T0_E_clISt17integral_constantIbLb1EESY_EEDaST_SU_EUlST_E_NS1_11comp_targetILNS1_3genE3ELNS1_11target_archE908ELNS1_3gpuE7ELNS1_3repE0EEENS1_30default_config_static_selectorELNS0_4arch9wavefront6targetE0EEEvT1_
		.amdhsa_group_segment_fixed_size 0
		.amdhsa_private_segment_fixed_size 0
		.amdhsa_kernarg_size 96
		.amdhsa_user_sgpr_count 2
		.amdhsa_user_sgpr_dispatch_ptr 0
		.amdhsa_user_sgpr_queue_ptr 0
		.amdhsa_user_sgpr_kernarg_segment_ptr 1
		.amdhsa_user_sgpr_dispatch_id 0
		.amdhsa_user_sgpr_private_segment_size 0
		.amdhsa_wavefront_size32 1
		.amdhsa_uses_dynamic_stack 0
		.amdhsa_enable_private_segment 0
		.amdhsa_system_sgpr_workgroup_id_x 1
		.amdhsa_system_sgpr_workgroup_id_y 0
		.amdhsa_system_sgpr_workgroup_id_z 0
		.amdhsa_system_sgpr_workgroup_info 0
		.amdhsa_system_vgpr_workitem_id 0
		.amdhsa_next_free_vgpr 1
		.amdhsa_next_free_sgpr 1
		.amdhsa_reserve_vcc 0
		.amdhsa_float_round_mode_32 0
		.amdhsa_float_round_mode_16_64 0
		.amdhsa_float_denorm_mode_32 3
		.amdhsa_float_denorm_mode_16_64 3
		.amdhsa_fp16_overflow 0
		.amdhsa_workgroup_processor_mode 1
		.amdhsa_memory_ordered 1
		.amdhsa_forward_progress 1
		.amdhsa_inst_pref_size 0
		.amdhsa_round_robin_scheduling 0
		.amdhsa_exception_fp_ieee_invalid_op 0
		.amdhsa_exception_fp_denorm_src 0
		.amdhsa_exception_fp_ieee_div_zero 0
		.amdhsa_exception_fp_ieee_overflow 0
		.amdhsa_exception_fp_ieee_underflow 0
		.amdhsa_exception_fp_ieee_inexact 0
		.amdhsa_exception_int_div_zero 0
	.end_amdhsa_kernel
	.section	.text._ZN7rocprim17ROCPRIM_400000_NS6detail17trampoline_kernelINS0_14default_configENS1_20scan_config_selectorIN3c108BFloat16EEEZZNS1_9scan_implILNS1_25lookback_scan_determinismE0ELb0ELb0ES3_PKS6_PS6_S6_ZZZN2at6native31launch_logcumsumexp_cuda_kernelERKNSD_10TensorBaseESH_lENKUlvE_clEvENKUlvE4_clEvEUlS6_S6_E_S6_EEDaPvRmT3_T4_T5_mT6_P12ihipStream_tbENKUlT_T0_E_clISt17integral_constantIbLb1EESY_EEDaST_SU_EUlST_E_NS1_11comp_targetILNS1_3genE3ELNS1_11target_archE908ELNS1_3gpuE7ELNS1_3repE0EEENS1_30default_config_static_selectorELNS0_4arch9wavefront6targetE0EEEvT1_,"axG",@progbits,_ZN7rocprim17ROCPRIM_400000_NS6detail17trampoline_kernelINS0_14default_configENS1_20scan_config_selectorIN3c108BFloat16EEEZZNS1_9scan_implILNS1_25lookback_scan_determinismE0ELb0ELb0ES3_PKS6_PS6_S6_ZZZN2at6native31launch_logcumsumexp_cuda_kernelERKNSD_10TensorBaseESH_lENKUlvE_clEvENKUlvE4_clEvEUlS6_S6_E_S6_EEDaPvRmT3_T4_T5_mT6_P12ihipStream_tbENKUlT_T0_E_clISt17integral_constantIbLb1EESY_EEDaST_SU_EUlST_E_NS1_11comp_targetILNS1_3genE3ELNS1_11target_archE908ELNS1_3gpuE7ELNS1_3repE0EEENS1_30default_config_static_selectorELNS0_4arch9wavefront6targetE0EEEvT1_,comdat
.Lfunc_end468:
	.size	_ZN7rocprim17ROCPRIM_400000_NS6detail17trampoline_kernelINS0_14default_configENS1_20scan_config_selectorIN3c108BFloat16EEEZZNS1_9scan_implILNS1_25lookback_scan_determinismE0ELb0ELb0ES3_PKS6_PS6_S6_ZZZN2at6native31launch_logcumsumexp_cuda_kernelERKNSD_10TensorBaseESH_lENKUlvE_clEvENKUlvE4_clEvEUlS6_S6_E_S6_EEDaPvRmT3_T4_T5_mT6_P12ihipStream_tbENKUlT_T0_E_clISt17integral_constantIbLb1EESY_EEDaST_SU_EUlST_E_NS1_11comp_targetILNS1_3genE3ELNS1_11target_archE908ELNS1_3gpuE7ELNS1_3repE0EEENS1_30default_config_static_selectorELNS0_4arch9wavefront6targetE0EEEvT1_, .Lfunc_end468-_ZN7rocprim17ROCPRIM_400000_NS6detail17trampoline_kernelINS0_14default_configENS1_20scan_config_selectorIN3c108BFloat16EEEZZNS1_9scan_implILNS1_25lookback_scan_determinismE0ELb0ELb0ES3_PKS6_PS6_S6_ZZZN2at6native31launch_logcumsumexp_cuda_kernelERKNSD_10TensorBaseESH_lENKUlvE_clEvENKUlvE4_clEvEUlS6_S6_E_S6_EEDaPvRmT3_T4_T5_mT6_P12ihipStream_tbENKUlT_T0_E_clISt17integral_constantIbLb1EESY_EEDaST_SU_EUlST_E_NS1_11comp_targetILNS1_3genE3ELNS1_11target_archE908ELNS1_3gpuE7ELNS1_3repE0EEENS1_30default_config_static_selectorELNS0_4arch9wavefront6targetE0EEEvT1_
                                        ; -- End function
	.set _ZN7rocprim17ROCPRIM_400000_NS6detail17trampoline_kernelINS0_14default_configENS1_20scan_config_selectorIN3c108BFloat16EEEZZNS1_9scan_implILNS1_25lookback_scan_determinismE0ELb0ELb0ES3_PKS6_PS6_S6_ZZZN2at6native31launch_logcumsumexp_cuda_kernelERKNSD_10TensorBaseESH_lENKUlvE_clEvENKUlvE4_clEvEUlS6_S6_E_S6_EEDaPvRmT3_T4_T5_mT6_P12ihipStream_tbENKUlT_T0_E_clISt17integral_constantIbLb1EESY_EEDaST_SU_EUlST_E_NS1_11comp_targetILNS1_3genE3ELNS1_11target_archE908ELNS1_3gpuE7ELNS1_3repE0EEENS1_30default_config_static_selectorELNS0_4arch9wavefront6targetE0EEEvT1_.num_vgpr, 0
	.set _ZN7rocprim17ROCPRIM_400000_NS6detail17trampoline_kernelINS0_14default_configENS1_20scan_config_selectorIN3c108BFloat16EEEZZNS1_9scan_implILNS1_25lookback_scan_determinismE0ELb0ELb0ES3_PKS6_PS6_S6_ZZZN2at6native31launch_logcumsumexp_cuda_kernelERKNSD_10TensorBaseESH_lENKUlvE_clEvENKUlvE4_clEvEUlS6_S6_E_S6_EEDaPvRmT3_T4_T5_mT6_P12ihipStream_tbENKUlT_T0_E_clISt17integral_constantIbLb1EESY_EEDaST_SU_EUlST_E_NS1_11comp_targetILNS1_3genE3ELNS1_11target_archE908ELNS1_3gpuE7ELNS1_3repE0EEENS1_30default_config_static_selectorELNS0_4arch9wavefront6targetE0EEEvT1_.num_agpr, 0
	.set _ZN7rocprim17ROCPRIM_400000_NS6detail17trampoline_kernelINS0_14default_configENS1_20scan_config_selectorIN3c108BFloat16EEEZZNS1_9scan_implILNS1_25lookback_scan_determinismE0ELb0ELb0ES3_PKS6_PS6_S6_ZZZN2at6native31launch_logcumsumexp_cuda_kernelERKNSD_10TensorBaseESH_lENKUlvE_clEvENKUlvE4_clEvEUlS6_S6_E_S6_EEDaPvRmT3_T4_T5_mT6_P12ihipStream_tbENKUlT_T0_E_clISt17integral_constantIbLb1EESY_EEDaST_SU_EUlST_E_NS1_11comp_targetILNS1_3genE3ELNS1_11target_archE908ELNS1_3gpuE7ELNS1_3repE0EEENS1_30default_config_static_selectorELNS0_4arch9wavefront6targetE0EEEvT1_.numbered_sgpr, 0
	.set _ZN7rocprim17ROCPRIM_400000_NS6detail17trampoline_kernelINS0_14default_configENS1_20scan_config_selectorIN3c108BFloat16EEEZZNS1_9scan_implILNS1_25lookback_scan_determinismE0ELb0ELb0ES3_PKS6_PS6_S6_ZZZN2at6native31launch_logcumsumexp_cuda_kernelERKNSD_10TensorBaseESH_lENKUlvE_clEvENKUlvE4_clEvEUlS6_S6_E_S6_EEDaPvRmT3_T4_T5_mT6_P12ihipStream_tbENKUlT_T0_E_clISt17integral_constantIbLb1EESY_EEDaST_SU_EUlST_E_NS1_11comp_targetILNS1_3genE3ELNS1_11target_archE908ELNS1_3gpuE7ELNS1_3repE0EEENS1_30default_config_static_selectorELNS0_4arch9wavefront6targetE0EEEvT1_.num_named_barrier, 0
	.set _ZN7rocprim17ROCPRIM_400000_NS6detail17trampoline_kernelINS0_14default_configENS1_20scan_config_selectorIN3c108BFloat16EEEZZNS1_9scan_implILNS1_25lookback_scan_determinismE0ELb0ELb0ES3_PKS6_PS6_S6_ZZZN2at6native31launch_logcumsumexp_cuda_kernelERKNSD_10TensorBaseESH_lENKUlvE_clEvENKUlvE4_clEvEUlS6_S6_E_S6_EEDaPvRmT3_T4_T5_mT6_P12ihipStream_tbENKUlT_T0_E_clISt17integral_constantIbLb1EESY_EEDaST_SU_EUlST_E_NS1_11comp_targetILNS1_3genE3ELNS1_11target_archE908ELNS1_3gpuE7ELNS1_3repE0EEENS1_30default_config_static_selectorELNS0_4arch9wavefront6targetE0EEEvT1_.private_seg_size, 0
	.set _ZN7rocprim17ROCPRIM_400000_NS6detail17trampoline_kernelINS0_14default_configENS1_20scan_config_selectorIN3c108BFloat16EEEZZNS1_9scan_implILNS1_25lookback_scan_determinismE0ELb0ELb0ES3_PKS6_PS6_S6_ZZZN2at6native31launch_logcumsumexp_cuda_kernelERKNSD_10TensorBaseESH_lENKUlvE_clEvENKUlvE4_clEvEUlS6_S6_E_S6_EEDaPvRmT3_T4_T5_mT6_P12ihipStream_tbENKUlT_T0_E_clISt17integral_constantIbLb1EESY_EEDaST_SU_EUlST_E_NS1_11comp_targetILNS1_3genE3ELNS1_11target_archE908ELNS1_3gpuE7ELNS1_3repE0EEENS1_30default_config_static_selectorELNS0_4arch9wavefront6targetE0EEEvT1_.uses_vcc, 0
	.set _ZN7rocprim17ROCPRIM_400000_NS6detail17trampoline_kernelINS0_14default_configENS1_20scan_config_selectorIN3c108BFloat16EEEZZNS1_9scan_implILNS1_25lookback_scan_determinismE0ELb0ELb0ES3_PKS6_PS6_S6_ZZZN2at6native31launch_logcumsumexp_cuda_kernelERKNSD_10TensorBaseESH_lENKUlvE_clEvENKUlvE4_clEvEUlS6_S6_E_S6_EEDaPvRmT3_T4_T5_mT6_P12ihipStream_tbENKUlT_T0_E_clISt17integral_constantIbLb1EESY_EEDaST_SU_EUlST_E_NS1_11comp_targetILNS1_3genE3ELNS1_11target_archE908ELNS1_3gpuE7ELNS1_3repE0EEENS1_30default_config_static_selectorELNS0_4arch9wavefront6targetE0EEEvT1_.uses_flat_scratch, 0
	.set _ZN7rocprim17ROCPRIM_400000_NS6detail17trampoline_kernelINS0_14default_configENS1_20scan_config_selectorIN3c108BFloat16EEEZZNS1_9scan_implILNS1_25lookback_scan_determinismE0ELb0ELb0ES3_PKS6_PS6_S6_ZZZN2at6native31launch_logcumsumexp_cuda_kernelERKNSD_10TensorBaseESH_lENKUlvE_clEvENKUlvE4_clEvEUlS6_S6_E_S6_EEDaPvRmT3_T4_T5_mT6_P12ihipStream_tbENKUlT_T0_E_clISt17integral_constantIbLb1EESY_EEDaST_SU_EUlST_E_NS1_11comp_targetILNS1_3genE3ELNS1_11target_archE908ELNS1_3gpuE7ELNS1_3repE0EEENS1_30default_config_static_selectorELNS0_4arch9wavefront6targetE0EEEvT1_.has_dyn_sized_stack, 0
	.set _ZN7rocprim17ROCPRIM_400000_NS6detail17trampoline_kernelINS0_14default_configENS1_20scan_config_selectorIN3c108BFloat16EEEZZNS1_9scan_implILNS1_25lookback_scan_determinismE0ELb0ELb0ES3_PKS6_PS6_S6_ZZZN2at6native31launch_logcumsumexp_cuda_kernelERKNSD_10TensorBaseESH_lENKUlvE_clEvENKUlvE4_clEvEUlS6_S6_E_S6_EEDaPvRmT3_T4_T5_mT6_P12ihipStream_tbENKUlT_T0_E_clISt17integral_constantIbLb1EESY_EEDaST_SU_EUlST_E_NS1_11comp_targetILNS1_3genE3ELNS1_11target_archE908ELNS1_3gpuE7ELNS1_3repE0EEENS1_30default_config_static_selectorELNS0_4arch9wavefront6targetE0EEEvT1_.has_recursion, 0
	.set _ZN7rocprim17ROCPRIM_400000_NS6detail17trampoline_kernelINS0_14default_configENS1_20scan_config_selectorIN3c108BFloat16EEEZZNS1_9scan_implILNS1_25lookback_scan_determinismE0ELb0ELb0ES3_PKS6_PS6_S6_ZZZN2at6native31launch_logcumsumexp_cuda_kernelERKNSD_10TensorBaseESH_lENKUlvE_clEvENKUlvE4_clEvEUlS6_S6_E_S6_EEDaPvRmT3_T4_T5_mT6_P12ihipStream_tbENKUlT_T0_E_clISt17integral_constantIbLb1EESY_EEDaST_SU_EUlST_E_NS1_11comp_targetILNS1_3genE3ELNS1_11target_archE908ELNS1_3gpuE7ELNS1_3repE0EEENS1_30default_config_static_selectorELNS0_4arch9wavefront6targetE0EEEvT1_.has_indirect_call, 0
	.section	.AMDGPU.csdata,"",@progbits
; Kernel info:
; codeLenInByte = 0
; TotalNumSgprs: 0
; NumVgprs: 0
; ScratchSize: 0
; MemoryBound: 0
; FloatMode: 240
; IeeeMode: 1
; LDSByteSize: 0 bytes/workgroup (compile time only)
; SGPRBlocks: 0
; VGPRBlocks: 0
; NumSGPRsForWavesPerEU: 1
; NumVGPRsForWavesPerEU: 1
; Occupancy: 16
; WaveLimiterHint : 0
; COMPUTE_PGM_RSRC2:SCRATCH_EN: 0
; COMPUTE_PGM_RSRC2:USER_SGPR: 2
; COMPUTE_PGM_RSRC2:TRAP_HANDLER: 0
; COMPUTE_PGM_RSRC2:TGID_X_EN: 1
; COMPUTE_PGM_RSRC2:TGID_Y_EN: 0
; COMPUTE_PGM_RSRC2:TGID_Z_EN: 0
; COMPUTE_PGM_RSRC2:TIDIG_COMP_CNT: 0
	.section	.text._ZN7rocprim17ROCPRIM_400000_NS6detail17trampoline_kernelINS0_14default_configENS1_20scan_config_selectorIN3c108BFloat16EEEZZNS1_9scan_implILNS1_25lookback_scan_determinismE0ELb0ELb0ES3_PKS6_PS6_S6_ZZZN2at6native31launch_logcumsumexp_cuda_kernelERKNSD_10TensorBaseESH_lENKUlvE_clEvENKUlvE4_clEvEUlS6_S6_E_S6_EEDaPvRmT3_T4_T5_mT6_P12ihipStream_tbENKUlT_T0_E_clISt17integral_constantIbLb1EESY_EEDaST_SU_EUlST_E_NS1_11comp_targetILNS1_3genE2ELNS1_11target_archE906ELNS1_3gpuE6ELNS1_3repE0EEENS1_30default_config_static_selectorELNS0_4arch9wavefront6targetE0EEEvT1_,"axG",@progbits,_ZN7rocprim17ROCPRIM_400000_NS6detail17trampoline_kernelINS0_14default_configENS1_20scan_config_selectorIN3c108BFloat16EEEZZNS1_9scan_implILNS1_25lookback_scan_determinismE0ELb0ELb0ES3_PKS6_PS6_S6_ZZZN2at6native31launch_logcumsumexp_cuda_kernelERKNSD_10TensorBaseESH_lENKUlvE_clEvENKUlvE4_clEvEUlS6_S6_E_S6_EEDaPvRmT3_T4_T5_mT6_P12ihipStream_tbENKUlT_T0_E_clISt17integral_constantIbLb1EESY_EEDaST_SU_EUlST_E_NS1_11comp_targetILNS1_3genE2ELNS1_11target_archE906ELNS1_3gpuE6ELNS1_3repE0EEENS1_30default_config_static_selectorELNS0_4arch9wavefront6targetE0EEEvT1_,comdat
	.globl	_ZN7rocprim17ROCPRIM_400000_NS6detail17trampoline_kernelINS0_14default_configENS1_20scan_config_selectorIN3c108BFloat16EEEZZNS1_9scan_implILNS1_25lookback_scan_determinismE0ELb0ELb0ES3_PKS6_PS6_S6_ZZZN2at6native31launch_logcumsumexp_cuda_kernelERKNSD_10TensorBaseESH_lENKUlvE_clEvENKUlvE4_clEvEUlS6_S6_E_S6_EEDaPvRmT3_T4_T5_mT6_P12ihipStream_tbENKUlT_T0_E_clISt17integral_constantIbLb1EESY_EEDaST_SU_EUlST_E_NS1_11comp_targetILNS1_3genE2ELNS1_11target_archE906ELNS1_3gpuE6ELNS1_3repE0EEENS1_30default_config_static_selectorELNS0_4arch9wavefront6targetE0EEEvT1_ ; -- Begin function _ZN7rocprim17ROCPRIM_400000_NS6detail17trampoline_kernelINS0_14default_configENS1_20scan_config_selectorIN3c108BFloat16EEEZZNS1_9scan_implILNS1_25lookback_scan_determinismE0ELb0ELb0ES3_PKS6_PS6_S6_ZZZN2at6native31launch_logcumsumexp_cuda_kernelERKNSD_10TensorBaseESH_lENKUlvE_clEvENKUlvE4_clEvEUlS6_S6_E_S6_EEDaPvRmT3_T4_T5_mT6_P12ihipStream_tbENKUlT_T0_E_clISt17integral_constantIbLb1EESY_EEDaST_SU_EUlST_E_NS1_11comp_targetILNS1_3genE2ELNS1_11target_archE906ELNS1_3gpuE6ELNS1_3repE0EEENS1_30default_config_static_selectorELNS0_4arch9wavefront6targetE0EEEvT1_
	.p2align	8
	.type	_ZN7rocprim17ROCPRIM_400000_NS6detail17trampoline_kernelINS0_14default_configENS1_20scan_config_selectorIN3c108BFloat16EEEZZNS1_9scan_implILNS1_25lookback_scan_determinismE0ELb0ELb0ES3_PKS6_PS6_S6_ZZZN2at6native31launch_logcumsumexp_cuda_kernelERKNSD_10TensorBaseESH_lENKUlvE_clEvENKUlvE4_clEvEUlS6_S6_E_S6_EEDaPvRmT3_T4_T5_mT6_P12ihipStream_tbENKUlT_T0_E_clISt17integral_constantIbLb1EESY_EEDaST_SU_EUlST_E_NS1_11comp_targetILNS1_3genE2ELNS1_11target_archE906ELNS1_3gpuE6ELNS1_3repE0EEENS1_30default_config_static_selectorELNS0_4arch9wavefront6targetE0EEEvT1_,@function
_ZN7rocprim17ROCPRIM_400000_NS6detail17trampoline_kernelINS0_14default_configENS1_20scan_config_selectorIN3c108BFloat16EEEZZNS1_9scan_implILNS1_25lookback_scan_determinismE0ELb0ELb0ES3_PKS6_PS6_S6_ZZZN2at6native31launch_logcumsumexp_cuda_kernelERKNSD_10TensorBaseESH_lENKUlvE_clEvENKUlvE4_clEvEUlS6_S6_E_S6_EEDaPvRmT3_T4_T5_mT6_P12ihipStream_tbENKUlT_T0_E_clISt17integral_constantIbLb1EESY_EEDaST_SU_EUlST_E_NS1_11comp_targetILNS1_3genE2ELNS1_11target_archE906ELNS1_3gpuE6ELNS1_3repE0EEENS1_30default_config_static_selectorELNS0_4arch9wavefront6targetE0EEEvT1_: ; @_ZN7rocprim17ROCPRIM_400000_NS6detail17trampoline_kernelINS0_14default_configENS1_20scan_config_selectorIN3c108BFloat16EEEZZNS1_9scan_implILNS1_25lookback_scan_determinismE0ELb0ELb0ES3_PKS6_PS6_S6_ZZZN2at6native31launch_logcumsumexp_cuda_kernelERKNSD_10TensorBaseESH_lENKUlvE_clEvENKUlvE4_clEvEUlS6_S6_E_S6_EEDaPvRmT3_T4_T5_mT6_P12ihipStream_tbENKUlT_T0_E_clISt17integral_constantIbLb1EESY_EEDaST_SU_EUlST_E_NS1_11comp_targetILNS1_3genE2ELNS1_11target_archE906ELNS1_3gpuE6ELNS1_3repE0EEENS1_30default_config_static_selectorELNS0_4arch9wavefront6targetE0EEEvT1_
; %bb.0:
	.section	.rodata,"a",@progbits
	.p2align	6, 0x0
	.amdhsa_kernel _ZN7rocprim17ROCPRIM_400000_NS6detail17trampoline_kernelINS0_14default_configENS1_20scan_config_selectorIN3c108BFloat16EEEZZNS1_9scan_implILNS1_25lookback_scan_determinismE0ELb0ELb0ES3_PKS6_PS6_S6_ZZZN2at6native31launch_logcumsumexp_cuda_kernelERKNSD_10TensorBaseESH_lENKUlvE_clEvENKUlvE4_clEvEUlS6_S6_E_S6_EEDaPvRmT3_T4_T5_mT6_P12ihipStream_tbENKUlT_T0_E_clISt17integral_constantIbLb1EESY_EEDaST_SU_EUlST_E_NS1_11comp_targetILNS1_3genE2ELNS1_11target_archE906ELNS1_3gpuE6ELNS1_3repE0EEENS1_30default_config_static_selectorELNS0_4arch9wavefront6targetE0EEEvT1_
		.amdhsa_group_segment_fixed_size 0
		.amdhsa_private_segment_fixed_size 0
		.amdhsa_kernarg_size 96
		.amdhsa_user_sgpr_count 2
		.amdhsa_user_sgpr_dispatch_ptr 0
		.amdhsa_user_sgpr_queue_ptr 0
		.amdhsa_user_sgpr_kernarg_segment_ptr 1
		.amdhsa_user_sgpr_dispatch_id 0
		.amdhsa_user_sgpr_private_segment_size 0
		.amdhsa_wavefront_size32 1
		.amdhsa_uses_dynamic_stack 0
		.amdhsa_enable_private_segment 0
		.amdhsa_system_sgpr_workgroup_id_x 1
		.amdhsa_system_sgpr_workgroup_id_y 0
		.amdhsa_system_sgpr_workgroup_id_z 0
		.amdhsa_system_sgpr_workgroup_info 0
		.amdhsa_system_vgpr_workitem_id 0
		.amdhsa_next_free_vgpr 1
		.amdhsa_next_free_sgpr 1
		.amdhsa_reserve_vcc 0
		.amdhsa_float_round_mode_32 0
		.amdhsa_float_round_mode_16_64 0
		.amdhsa_float_denorm_mode_32 3
		.amdhsa_float_denorm_mode_16_64 3
		.amdhsa_fp16_overflow 0
		.amdhsa_workgroup_processor_mode 1
		.amdhsa_memory_ordered 1
		.amdhsa_forward_progress 1
		.amdhsa_inst_pref_size 0
		.amdhsa_round_robin_scheduling 0
		.amdhsa_exception_fp_ieee_invalid_op 0
		.amdhsa_exception_fp_denorm_src 0
		.amdhsa_exception_fp_ieee_div_zero 0
		.amdhsa_exception_fp_ieee_overflow 0
		.amdhsa_exception_fp_ieee_underflow 0
		.amdhsa_exception_fp_ieee_inexact 0
		.amdhsa_exception_int_div_zero 0
	.end_amdhsa_kernel
	.section	.text._ZN7rocprim17ROCPRIM_400000_NS6detail17trampoline_kernelINS0_14default_configENS1_20scan_config_selectorIN3c108BFloat16EEEZZNS1_9scan_implILNS1_25lookback_scan_determinismE0ELb0ELb0ES3_PKS6_PS6_S6_ZZZN2at6native31launch_logcumsumexp_cuda_kernelERKNSD_10TensorBaseESH_lENKUlvE_clEvENKUlvE4_clEvEUlS6_S6_E_S6_EEDaPvRmT3_T4_T5_mT6_P12ihipStream_tbENKUlT_T0_E_clISt17integral_constantIbLb1EESY_EEDaST_SU_EUlST_E_NS1_11comp_targetILNS1_3genE2ELNS1_11target_archE906ELNS1_3gpuE6ELNS1_3repE0EEENS1_30default_config_static_selectorELNS0_4arch9wavefront6targetE0EEEvT1_,"axG",@progbits,_ZN7rocprim17ROCPRIM_400000_NS6detail17trampoline_kernelINS0_14default_configENS1_20scan_config_selectorIN3c108BFloat16EEEZZNS1_9scan_implILNS1_25lookback_scan_determinismE0ELb0ELb0ES3_PKS6_PS6_S6_ZZZN2at6native31launch_logcumsumexp_cuda_kernelERKNSD_10TensorBaseESH_lENKUlvE_clEvENKUlvE4_clEvEUlS6_S6_E_S6_EEDaPvRmT3_T4_T5_mT6_P12ihipStream_tbENKUlT_T0_E_clISt17integral_constantIbLb1EESY_EEDaST_SU_EUlST_E_NS1_11comp_targetILNS1_3genE2ELNS1_11target_archE906ELNS1_3gpuE6ELNS1_3repE0EEENS1_30default_config_static_selectorELNS0_4arch9wavefront6targetE0EEEvT1_,comdat
.Lfunc_end469:
	.size	_ZN7rocprim17ROCPRIM_400000_NS6detail17trampoline_kernelINS0_14default_configENS1_20scan_config_selectorIN3c108BFloat16EEEZZNS1_9scan_implILNS1_25lookback_scan_determinismE0ELb0ELb0ES3_PKS6_PS6_S6_ZZZN2at6native31launch_logcumsumexp_cuda_kernelERKNSD_10TensorBaseESH_lENKUlvE_clEvENKUlvE4_clEvEUlS6_S6_E_S6_EEDaPvRmT3_T4_T5_mT6_P12ihipStream_tbENKUlT_T0_E_clISt17integral_constantIbLb1EESY_EEDaST_SU_EUlST_E_NS1_11comp_targetILNS1_3genE2ELNS1_11target_archE906ELNS1_3gpuE6ELNS1_3repE0EEENS1_30default_config_static_selectorELNS0_4arch9wavefront6targetE0EEEvT1_, .Lfunc_end469-_ZN7rocprim17ROCPRIM_400000_NS6detail17trampoline_kernelINS0_14default_configENS1_20scan_config_selectorIN3c108BFloat16EEEZZNS1_9scan_implILNS1_25lookback_scan_determinismE0ELb0ELb0ES3_PKS6_PS6_S6_ZZZN2at6native31launch_logcumsumexp_cuda_kernelERKNSD_10TensorBaseESH_lENKUlvE_clEvENKUlvE4_clEvEUlS6_S6_E_S6_EEDaPvRmT3_T4_T5_mT6_P12ihipStream_tbENKUlT_T0_E_clISt17integral_constantIbLb1EESY_EEDaST_SU_EUlST_E_NS1_11comp_targetILNS1_3genE2ELNS1_11target_archE906ELNS1_3gpuE6ELNS1_3repE0EEENS1_30default_config_static_selectorELNS0_4arch9wavefront6targetE0EEEvT1_
                                        ; -- End function
	.set _ZN7rocprim17ROCPRIM_400000_NS6detail17trampoline_kernelINS0_14default_configENS1_20scan_config_selectorIN3c108BFloat16EEEZZNS1_9scan_implILNS1_25lookback_scan_determinismE0ELb0ELb0ES3_PKS6_PS6_S6_ZZZN2at6native31launch_logcumsumexp_cuda_kernelERKNSD_10TensorBaseESH_lENKUlvE_clEvENKUlvE4_clEvEUlS6_S6_E_S6_EEDaPvRmT3_T4_T5_mT6_P12ihipStream_tbENKUlT_T0_E_clISt17integral_constantIbLb1EESY_EEDaST_SU_EUlST_E_NS1_11comp_targetILNS1_3genE2ELNS1_11target_archE906ELNS1_3gpuE6ELNS1_3repE0EEENS1_30default_config_static_selectorELNS0_4arch9wavefront6targetE0EEEvT1_.num_vgpr, 0
	.set _ZN7rocprim17ROCPRIM_400000_NS6detail17trampoline_kernelINS0_14default_configENS1_20scan_config_selectorIN3c108BFloat16EEEZZNS1_9scan_implILNS1_25lookback_scan_determinismE0ELb0ELb0ES3_PKS6_PS6_S6_ZZZN2at6native31launch_logcumsumexp_cuda_kernelERKNSD_10TensorBaseESH_lENKUlvE_clEvENKUlvE4_clEvEUlS6_S6_E_S6_EEDaPvRmT3_T4_T5_mT6_P12ihipStream_tbENKUlT_T0_E_clISt17integral_constantIbLb1EESY_EEDaST_SU_EUlST_E_NS1_11comp_targetILNS1_3genE2ELNS1_11target_archE906ELNS1_3gpuE6ELNS1_3repE0EEENS1_30default_config_static_selectorELNS0_4arch9wavefront6targetE0EEEvT1_.num_agpr, 0
	.set _ZN7rocprim17ROCPRIM_400000_NS6detail17trampoline_kernelINS0_14default_configENS1_20scan_config_selectorIN3c108BFloat16EEEZZNS1_9scan_implILNS1_25lookback_scan_determinismE0ELb0ELb0ES3_PKS6_PS6_S6_ZZZN2at6native31launch_logcumsumexp_cuda_kernelERKNSD_10TensorBaseESH_lENKUlvE_clEvENKUlvE4_clEvEUlS6_S6_E_S6_EEDaPvRmT3_T4_T5_mT6_P12ihipStream_tbENKUlT_T0_E_clISt17integral_constantIbLb1EESY_EEDaST_SU_EUlST_E_NS1_11comp_targetILNS1_3genE2ELNS1_11target_archE906ELNS1_3gpuE6ELNS1_3repE0EEENS1_30default_config_static_selectorELNS0_4arch9wavefront6targetE0EEEvT1_.numbered_sgpr, 0
	.set _ZN7rocprim17ROCPRIM_400000_NS6detail17trampoline_kernelINS0_14default_configENS1_20scan_config_selectorIN3c108BFloat16EEEZZNS1_9scan_implILNS1_25lookback_scan_determinismE0ELb0ELb0ES3_PKS6_PS6_S6_ZZZN2at6native31launch_logcumsumexp_cuda_kernelERKNSD_10TensorBaseESH_lENKUlvE_clEvENKUlvE4_clEvEUlS6_S6_E_S6_EEDaPvRmT3_T4_T5_mT6_P12ihipStream_tbENKUlT_T0_E_clISt17integral_constantIbLb1EESY_EEDaST_SU_EUlST_E_NS1_11comp_targetILNS1_3genE2ELNS1_11target_archE906ELNS1_3gpuE6ELNS1_3repE0EEENS1_30default_config_static_selectorELNS0_4arch9wavefront6targetE0EEEvT1_.num_named_barrier, 0
	.set _ZN7rocprim17ROCPRIM_400000_NS6detail17trampoline_kernelINS0_14default_configENS1_20scan_config_selectorIN3c108BFloat16EEEZZNS1_9scan_implILNS1_25lookback_scan_determinismE0ELb0ELb0ES3_PKS6_PS6_S6_ZZZN2at6native31launch_logcumsumexp_cuda_kernelERKNSD_10TensorBaseESH_lENKUlvE_clEvENKUlvE4_clEvEUlS6_S6_E_S6_EEDaPvRmT3_T4_T5_mT6_P12ihipStream_tbENKUlT_T0_E_clISt17integral_constantIbLb1EESY_EEDaST_SU_EUlST_E_NS1_11comp_targetILNS1_3genE2ELNS1_11target_archE906ELNS1_3gpuE6ELNS1_3repE0EEENS1_30default_config_static_selectorELNS0_4arch9wavefront6targetE0EEEvT1_.private_seg_size, 0
	.set _ZN7rocprim17ROCPRIM_400000_NS6detail17trampoline_kernelINS0_14default_configENS1_20scan_config_selectorIN3c108BFloat16EEEZZNS1_9scan_implILNS1_25lookback_scan_determinismE0ELb0ELb0ES3_PKS6_PS6_S6_ZZZN2at6native31launch_logcumsumexp_cuda_kernelERKNSD_10TensorBaseESH_lENKUlvE_clEvENKUlvE4_clEvEUlS6_S6_E_S6_EEDaPvRmT3_T4_T5_mT6_P12ihipStream_tbENKUlT_T0_E_clISt17integral_constantIbLb1EESY_EEDaST_SU_EUlST_E_NS1_11comp_targetILNS1_3genE2ELNS1_11target_archE906ELNS1_3gpuE6ELNS1_3repE0EEENS1_30default_config_static_selectorELNS0_4arch9wavefront6targetE0EEEvT1_.uses_vcc, 0
	.set _ZN7rocprim17ROCPRIM_400000_NS6detail17trampoline_kernelINS0_14default_configENS1_20scan_config_selectorIN3c108BFloat16EEEZZNS1_9scan_implILNS1_25lookback_scan_determinismE0ELb0ELb0ES3_PKS6_PS6_S6_ZZZN2at6native31launch_logcumsumexp_cuda_kernelERKNSD_10TensorBaseESH_lENKUlvE_clEvENKUlvE4_clEvEUlS6_S6_E_S6_EEDaPvRmT3_T4_T5_mT6_P12ihipStream_tbENKUlT_T0_E_clISt17integral_constantIbLb1EESY_EEDaST_SU_EUlST_E_NS1_11comp_targetILNS1_3genE2ELNS1_11target_archE906ELNS1_3gpuE6ELNS1_3repE0EEENS1_30default_config_static_selectorELNS0_4arch9wavefront6targetE0EEEvT1_.uses_flat_scratch, 0
	.set _ZN7rocprim17ROCPRIM_400000_NS6detail17trampoline_kernelINS0_14default_configENS1_20scan_config_selectorIN3c108BFloat16EEEZZNS1_9scan_implILNS1_25lookback_scan_determinismE0ELb0ELb0ES3_PKS6_PS6_S6_ZZZN2at6native31launch_logcumsumexp_cuda_kernelERKNSD_10TensorBaseESH_lENKUlvE_clEvENKUlvE4_clEvEUlS6_S6_E_S6_EEDaPvRmT3_T4_T5_mT6_P12ihipStream_tbENKUlT_T0_E_clISt17integral_constantIbLb1EESY_EEDaST_SU_EUlST_E_NS1_11comp_targetILNS1_3genE2ELNS1_11target_archE906ELNS1_3gpuE6ELNS1_3repE0EEENS1_30default_config_static_selectorELNS0_4arch9wavefront6targetE0EEEvT1_.has_dyn_sized_stack, 0
	.set _ZN7rocprim17ROCPRIM_400000_NS6detail17trampoline_kernelINS0_14default_configENS1_20scan_config_selectorIN3c108BFloat16EEEZZNS1_9scan_implILNS1_25lookback_scan_determinismE0ELb0ELb0ES3_PKS6_PS6_S6_ZZZN2at6native31launch_logcumsumexp_cuda_kernelERKNSD_10TensorBaseESH_lENKUlvE_clEvENKUlvE4_clEvEUlS6_S6_E_S6_EEDaPvRmT3_T4_T5_mT6_P12ihipStream_tbENKUlT_T0_E_clISt17integral_constantIbLb1EESY_EEDaST_SU_EUlST_E_NS1_11comp_targetILNS1_3genE2ELNS1_11target_archE906ELNS1_3gpuE6ELNS1_3repE0EEENS1_30default_config_static_selectorELNS0_4arch9wavefront6targetE0EEEvT1_.has_recursion, 0
	.set _ZN7rocprim17ROCPRIM_400000_NS6detail17trampoline_kernelINS0_14default_configENS1_20scan_config_selectorIN3c108BFloat16EEEZZNS1_9scan_implILNS1_25lookback_scan_determinismE0ELb0ELb0ES3_PKS6_PS6_S6_ZZZN2at6native31launch_logcumsumexp_cuda_kernelERKNSD_10TensorBaseESH_lENKUlvE_clEvENKUlvE4_clEvEUlS6_S6_E_S6_EEDaPvRmT3_T4_T5_mT6_P12ihipStream_tbENKUlT_T0_E_clISt17integral_constantIbLb1EESY_EEDaST_SU_EUlST_E_NS1_11comp_targetILNS1_3genE2ELNS1_11target_archE906ELNS1_3gpuE6ELNS1_3repE0EEENS1_30default_config_static_selectorELNS0_4arch9wavefront6targetE0EEEvT1_.has_indirect_call, 0
	.section	.AMDGPU.csdata,"",@progbits
; Kernel info:
; codeLenInByte = 0
; TotalNumSgprs: 0
; NumVgprs: 0
; ScratchSize: 0
; MemoryBound: 0
; FloatMode: 240
; IeeeMode: 1
; LDSByteSize: 0 bytes/workgroup (compile time only)
; SGPRBlocks: 0
; VGPRBlocks: 0
; NumSGPRsForWavesPerEU: 1
; NumVGPRsForWavesPerEU: 1
; Occupancy: 16
; WaveLimiterHint : 0
; COMPUTE_PGM_RSRC2:SCRATCH_EN: 0
; COMPUTE_PGM_RSRC2:USER_SGPR: 2
; COMPUTE_PGM_RSRC2:TRAP_HANDLER: 0
; COMPUTE_PGM_RSRC2:TGID_X_EN: 1
; COMPUTE_PGM_RSRC2:TGID_Y_EN: 0
; COMPUTE_PGM_RSRC2:TGID_Z_EN: 0
; COMPUTE_PGM_RSRC2:TIDIG_COMP_CNT: 0
	.section	.text._ZN7rocprim17ROCPRIM_400000_NS6detail17trampoline_kernelINS0_14default_configENS1_20scan_config_selectorIN3c108BFloat16EEEZZNS1_9scan_implILNS1_25lookback_scan_determinismE0ELb0ELb0ES3_PKS6_PS6_S6_ZZZN2at6native31launch_logcumsumexp_cuda_kernelERKNSD_10TensorBaseESH_lENKUlvE_clEvENKUlvE4_clEvEUlS6_S6_E_S6_EEDaPvRmT3_T4_T5_mT6_P12ihipStream_tbENKUlT_T0_E_clISt17integral_constantIbLb1EESY_EEDaST_SU_EUlST_E_NS1_11comp_targetILNS1_3genE10ELNS1_11target_archE1201ELNS1_3gpuE5ELNS1_3repE0EEENS1_30default_config_static_selectorELNS0_4arch9wavefront6targetE0EEEvT1_,"axG",@progbits,_ZN7rocprim17ROCPRIM_400000_NS6detail17trampoline_kernelINS0_14default_configENS1_20scan_config_selectorIN3c108BFloat16EEEZZNS1_9scan_implILNS1_25lookback_scan_determinismE0ELb0ELb0ES3_PKS6_PS6_S6_ZZZN2at6native31launch_logcumsumexp_cuda_kernelERKNSD_10TensorBaseESH_lENKUlvE_clEvENKUlvE4_clEvEUlS6_S6_E_S6_EEDaPvRmT3_T4_T5_mT6_P12ihipStream_tbENKUlT_T0_E_clISt17integral_constantIbLb1EESY_EEDaST_SU_EUlST_E_NS1_11comp_targetILNS1_3genE10ELNS1_11target_archE1201ELNS1_3gpuE5ELNS1_3repE0EEENS1_30default_config_static_selectorELNS0_4arch9wavefront6targetE0EEEvT1_,comdat
	.globl	_ZN7rocprim17ROCPRIM_400000_NS6detail17trampoline_kernelINS0_14default_configENS1_20scan_config_selectorIN3c108BFloat16EEEZZNS1_9scan_implILNS1_25lookback_scan_determinismE0ELb0ELb0ES3_PKS6_PS6_S6_ZZZN2at6native31launch_logcumsumexp_cuda_kernelERKNSD_10TensorBaseESH_lENKUlvE_clEvENKUlvE4_clEvEUlS6_S6_E_S6_EEDaPvRmT3_T4_T5_mT6_P12ihipStream_tbENKUlT_T0_E_clISt17integral_constantIbLb1EESY_EEDaST_SU_EUlST_E_NS1_11comp_targetILNS1_3genE10ELNS1_11target_archE1201ELNS1_3gpuE5ELNS1_3repE0EEENS1_30default_config_static_selectorELNS0_4arch9wavefront6targetE0EEEvT1_ ; -- Begin function _ZN7rocprim17ROCPRIM_400000_NS6detail17trampoline_kernelINS0_14default_configENS1_20scan_config_selectorIN3c108BFloat16EEEZZNS1_9scan_implILNS1_25lookback_scan_determinismE0ELb0ELb0ES3_PKS6_PS6_S6_ZZZN2at6native31launch_logcumsumexp_cuda_kernelERKNSD_10TensorBaseESH_lENKUlvE_clEvENKUlvE4_clEvEUlS6_S6_E_S6_EEDaPvRmT3_T4_T5_mT6_P12ihipStream_tbENKUlT_T0_E_clISt17integral_constantIbLb1EESY_EEDaST_SU_EUlST_E_NS1_11comp_targetILNS1_3genE10ELNS1_11target_archE1201ELNS1_3gpuE5ELNS1_3repE0EEENS1_30default_config_static_selectorELNS0_4arch9wavefront6targetE0EEEvT1_
	.p2align	8
	.type	_ZN7rocprim17ROCPRIM_400000_NS6detail17trampoline_kernelINS0_14default_configENS1_20scan_config_selectorIN3c108BFloat16EEEZZNS1_9scan_implILNS1_25lookback_scan_determinismE0ELb0ELb0ES3_PKS6_PS6_S6_ZZZN2at6native31launch_logcumsumexp_cuda_kernelERKNSD_10TensorBaseESH_lENKUlvE_clEvENKUlvE4_clEvEUlS6_S6_E_S6_EEDaPvRmT3_T4_T5_mT6_P12ihipStream_tbENKUlT_T0_E_clISt17integral_constantIbLb1EESY_EEDaST_SU_EUlST_E_NS1_11comp_targetILNS1_3genE10ELNS1_11target_archE1201ELNS1_3gpuE5ELNS1_3repE0EEENS1_30default_config_static_selectorELNS0_4arch9wavefront6targetE0EEEvT1_,@function
_ZN7rocprim17ROCPRIM_400000_NS6detail17trampoline_kernelINS0_14default_configENS1_20scan_config_selectorIN3c108BFloat16EEEZZNS1_9scan_implILNS1_25lookback_scan_determinismE0ELb0ELb0ES3_PKS6_PS6_S6_ZZZN2at6native31launch_logcumsumexp_cuda_kernelERKNSD_10TensorBaseESH_lENKUlvE_clEvENKUlvE4_clEvEUlS6_S6_E_S6_EEDaPvRmT3_T4_T5_mT6_P12ihipStream_tbENKUlT_T0_E_clISt17integral_constantIbLb1EESY_EEDaST_SU_EUlST_E_NS1_11comp_targetILNS1_3genE10ELNS1_11target_archE1201ELNS1_3gpuE5ELNS1_3repE0EEENS1_30default_config_static_selectorELNS0_4arch9wavefront6targetE0EEEvT1_: ; @_ZN7rocprim17ROCPRIM_400000_NS6detail17trampoline_kernelINS0_14default_configENS1_20scan_config_selectorIN3c108BFloat16EEEZZNS1_9scan_implILNS1_25lookback_scan_determinismE0ELb0ELb0ES3_PKS6_PS6_S6_ZZZN2at6native31launch_logcumsumexp_cuda_kernelERKNSD_10TensorBaseESH_lENKUlvE_clEvENKUlvE4_clEvEUlS6_S6_E_S6_EEDaPvRmT3_T4_T5_mT6_P12ihipStream_tbENKUlT_T0_E_clISt17integral_constantIbLb1EESY_EEDaST_SU_EUlST_E_NS1_11comp_targetILNS1_3genE10ELNS1_11target_archE1201ELNS1_3gpuE5ELNS1_3repE0EEENS1_30default_config_static_selectorELNS0_4arch9wavefront6targetE0EEEvT1_
; %bb.0:
	s_endpgm
	.section	.rodata,"a",@progbits
	.p2align	6, 0x0
	.amdhsa_kernel _ZN7rocprim17ROCPRIM_400000_NS6detail17trampoline_kernelINS0_14default_configENS1_20scan_config_selectorIN3c108BFloat16EEEZZNS1_9scan_implILNS1_25lookback_scan_determinismE0ELb0ELb0ES3_PKS6_PS6_S6_ZZZN2at6native31launch_logcumsumexp_cuda_kernelERKNSD_10TensorBaseESH_lENKUlvE_clEvENKUlvE4_clEvEUlS6_S6_E_S6_EEDaPvRmT3_T4_T5_mT6_P12ihipStream_tbENKUlT_T0_E_clISt17integral_constantIbLb1EESY_EEDaST_SU_EUlST_E_NS1_11comp_targetILNS1_3genE10ELNS1_11target_archE1201ELNS1_3gpuE5ELNS1_3repE0EEENS1_30default_config_static_selectorELNS0_4arch9wavefront6targetE0EEEvT1_
		.amdhsa_group_segment_fixed_size 0
		.amdhsa_private_segment_fixed_size 0
		.amdhsa_kernarg_size 96
		.amdhsa_user_sgpr_count 2
		.amdhsa_user_sgpr_dispatch_ptr 0
		.amdhsa_user_sgpr_queue_ptr 0
		.amdhsa_user_sgpr_kernarg_segment_ptr 1
		.amdhsa_user_sgpr_dispatch_id 0
		.amdhsa_user_sgpr_private_segment_size 0
		.amdhsa_wavefront_size32 1
		.amdhsa_uses_dynamic_stack 0
		.amdhsa_enable_private_segment 0
		.amdhsa_system_sgpr_workgroup_id_x 1
		.amdhsa_system_sgpr_workgroup_id_y 0
		.amdhsa_system_sgpr_workgroup_id_z 0
		.amdhsa_system_sgpr_workgroup_info 0
		.amdhsa_system_vgpr_workitem_id 0
		.amdhsa_next_free_vgpr 1
		.amdhsa_next_free_sgpr 1
		.amdhsa_reserve_vcc 0
		.amdhsa_float_round_mode_32 0
		.amdhsa_float_round_mode_16_64 0
		.amdhsa_float_denorm_mode_32 3
		.amdhsa_float_denorm_mode_16_64 3
		.amdhsa_fp16_overflow 0
		.amdhsa_workgroup_processor_mode 1
		.amdhsa_memory_ordered 1
		.amdhsa_forward_progress 1
		.amdhsa_inst_pref_size 1
		.amdhsa_round_robin_scheduling 0
		.amdhsa_exception_fp_ieee_invalid_op 0
		.amdhsa_exception_fp_denorm_src 0
		.amdhsa_exception_fp_ieee_div_zero 0
		.amdhsa_exception_fp_ieee_overflow 0
		.amdhsa_exception_fp_ieee_underflow 0
		.amdhsa_exception_fp_ieee_inexact 0
		.amdhsa_exception_int_div_zero 0
	.end_amdhsa_kernel
	.section	.text._ZN7rocprim17ROCPRIM_400000_NS6detail17trampoline_kernelINS0_14default_configENS1_20scan_config_selectorIN3c108BFloat16EEEZZNS1_9scan_implILNS1_25lookback_scan_determinismE0ELb0ELb0ES3_PKS6_PS6_S6_ZZZN2at6native31launch_logcumsumexp_cuda_kernelERKNSD_10TensorBaseESH_lENKUlvE_clEvENKUlvE4_clEvEUlS6_S6_E_S6_EEDaPvRmT3_T4_T5_mT6_P12ihipStream_tbENKUlT_T0_E_clISt17integral_constantIbLb1EESY_EEDaST_SU_EUlST_E_NS1_11comp_targetILNS1_3genE10ELNS1_11target_archE1201ELNS1_3gpuE5ELNS1_3repE0EEENS1_30default_config_static_selectorELNS0_4arch9wavefront6targetE0EEEvT1_,"axG",@progbits,_ZN7rocprim17ROCPRIM_400000_NS6detail17trampoline_kernelINS0_14default_configENS1_20scan_config_selectorIN3c108BFloat16EEEZZNS1_9scan_implILNS1_25lookback_scan_determinismE0ELb0ELb0ES3_PKS6_PS6_S6_ZZZN2at6native31launch_logcumsumexp_cuda_kernelERKNSD_10TensorBaseESH_lENKUlvE_clEvENKUlvE4_clEvEUlS6_S6_E_S6_EEDaPvRmT3_T4_T5_mT6_P12ihipStream_tbENKUlT_T0_E_clISt17integral_constantIbLb1EESY_EEDaST_SU_EUlST_E_NS1_11comp_targetILNS1_3genE10ELNS1_11target_archE1201ELNS1_3gpuE5ELNS1_3repE0EEENS1_30default_config_static_selectorELNS0_4arch9wavefront6targetE0EEEvT1_,comdat
.Lfunc_end470:
	.size	_ZN7rocprim17ROCPRIM_400000_NS6detail17trampoline_kernelINS0_14default_configENS1_20scan_config_selectorIN3c108BFloat16EEEZZNS1_9scan_implILNS1_25lookback_scan_determinismE0ELb0ELb0ES3_PKS6_PS6_S6_ZZZN2at6native31launch_logcumsumexp_cuda_kernelERKNSD_10TensorBaseESH_lENKUlvE_clEvENKUlvE4_clEvEUlS6_S6_E_S6_EEDaPvRmT3_T4_T5_mT6_P12ihipStream_tbENKUlT_T0_E_clISt17integral_constantIbLb1EESY_EEDaST_SU_EUlST_E_NS1_11comp_targetILNS1_3genE10ELNS1_11target_archE1201ELNS1_3gpuE5ELNS1_3repE0EEENS1_30default_config_static_selectorELNS0_4arch9wavefront6targetE0EEEvT1_, .Lfunc_end470-_ZN7rocprim17ROCPRIM_400000_NS6detail17trampoline_kernelINS0_14default_configENS1_20scan_config_selectorIN3c108BFloat16EEEZZNS1_9scan_implILNS1_25lookback_scan_determinismE0ELb0ELb0ES3_PKS6_PS6_S6_ZZZN2at6native31launch_logcumsumexp_cuda_kernelERKNSD_10TensorBaseESH_lENKUlvE_clEvENKUlvE4_clEvEUlS6_S6_E_S6_EEDaPvRmT3_T4_T5_mT6_P12ihipStream_tbENKUlT_T0_E_clISt17integral_constantIbLb1EESY_EEDaST_SU_EUlST_E_NS1_11comp_targetILNS1_3genE10ELNS1_11target_archE1201ELNS1_3gpuE5ELNS1_3repE0EEENS1_30default_config_static_selectorELNS0_4arch9wavefront6targetE0EEEvT1_
                                        ; -- End function
	.set _ZN7rocprim17ROCPRIM_400000_NS6detail17trampoline_kernelINS0_14default_configENS1_20scan_config_selectorIN3c108BFloat16EEEZZNS1_9scan_implILNS1_25lookback_scan_determinismE0ELb0ELb0ES3_PKS6_PS6_S6_ZZZN2at6native31launch_logcumsumexp_cuda_kernelERKNSD_10TensorBaseESH_lENKUlvE_clEvENKUlvE4_clEvEUlS6_S6_E_S6_EEDaPvRmT3_T4_T5_mT6_P12ihipStream_tbENKUlT_T0_E_clISt17integral_constantIbLb1EESY_EEDaST_SU_EUlST_E_NS1_11comp_targetILNS1_3genE10ELNS1_11target_archE1201ELNS1_3gpuE5ELNS1_3repE0EEENS1_30default_config_static_selectorELNS0_4arch9wavefront6targetE0EEEvT1_.num_vgpr, 0
	.set _ZN7rocprim17ROCPRIM_400000_NS6detail17trampoline_kernelINS0_14default_configENS1_20scan_config_selectorIN3c108BFloat16EEEZZNS1_9scan_implILNS1_25lookback_scan_determinismE0ELb0ELb0ES3_PKS6_PS6_S6_ZZZN2at6native31launch_logcumsumexp_cuda_kernelERKNSD_10TensorBaseESH_lENKUlvE_clEvENKUlvE4_clEvEUlS6_S6_E_S6_EEDaPvRmT3_T4_T5_mT6_P12ihipStream_tbENKUlT_T0_E_clISt17integral_constantIbLb1EESY_EEDaST_SU_EUlST_E_NS1_11comp_targetILNS1_3genE10ELNS1_11target_archE1201ELNS1_3gpuE5ELNS1_3repE0EEENS1_30default_config_static_selectorELNS0_4arch9wavefront6targetE0EEEvT1_.num_agpr, 0
	.set _ZN7rocprim17ROCPRIM_400000_NS6detail17trampoline_kernelINS0_14default_configENS1_20scan_config_selectorIN3c108BFloat16EEEZZNS1_9scan_implILNS1_25lookback_scan_determinismE0ELb0ELb0ES3_PKS6_PS6_S6_ZZZN2at6native31launch_logcumsumexp_cuda_kernelERKNSD_10TensorBaseESH_lENKUlvE_clEvENKUlvE4_clEvEUlS6_S6_E_S6_EEDaPvRmT3_T4_T5_mT6_P12ihipStream_tbENKUlT_T0_E_clISt17integral_constantIbLb1EESY_EEDaST_SU_EUlST_E_NS1_11comp_targetILNS1_3genE10ELNS1_11target_archE1201ELNS1_3gpuE5ELNS1_3repE0EEENS1_30default_config_static_selectorELNS0_4arch9wavefront6targetE0EEEvT1_.numbered_sgpr, 0
	.set _ZN7rocprim17ROCPRIM_400000_NS6detail17trampoline_kernelINS0_14default_configENS1_20scan_config_selectorIN3c108BFloat16EEEZZNS1_9scan_implILNS1_25lookback_scan_determinismE0ELb0ELb0ES3_PKS6_PS6_S6_ZZZN2at6native31launch_logcumsumexp_cuda_kernelERKNSD_10TensorBaseESH_lENKUlvE_clEvENKUlvE4_clEvEUlS6_S6_E_S6_EEDaPvRmT3_T4_T5_mT6_P12ihipStream_tbENKUlT_T0_E_clISt17integral_constantIbLb1EESY_EEDaST_SU_EUlST_E_NS1_11comp_targetILNS1_3genE10ELNS1_11target_archE1201ELNS1_3gpuE5ELNS1_3repE0EEENS1_30default_config_static_selectorELNS0_4arch9wavefront6targetE0EEEvT1_.num_named_barrier, 0
	.set _ZN7rocprim17ROCPRIM_400000_NS6detail17trampoline_kernelINS0_14default_configENS1_20scan_config_selectorIN3c108BFloat16EEEZZNS1_9scan_implILNS1_25lookback_scan_determinismE0ELb0ELb0ES3_PKS6_PS6_S6_ZZZN2at6native31launch_logcumsumexp_cuda_kernelERKNSD_10TensorBaseESH_lENKUlvE_clEvENKUlvE4_clEvEUlS6_S6_E_S6_EEDaPvRmT3_T4_T5_mT6_P12ihipStream_tbENKUlT_T0_E_clISt17integral_constantIbLb1EESY_EEDaST_SU_EUlST_E_NS1_11comp_targetILNS1_3genE10ELNS1_11target_archE1201ELNS1_3gpuE5ELNS1_3repE0EEENS1_30default_config_static_selectorELNS0_4arch9wavefront6targetE0EEEvT1_.private_seg_size, 0
	.set _ZN7rocprim17ROCPRIM_400000_NS6detail17trampoline_kernelINS0_14default_configENS1_20scan_config_selectorIN3c108BFloat16EEEZZNS1_9scan_implILNS1_25lookback_scan_determinismE0ELb0ELb0ES3_PKS6_PS6_S6_ZZZN2at6native31launch_logcumsumexp_cuda_kernelERKNSD_10TensorBaseESH_lENKUlvE_clEvENKUlvE4_clEvEUlS6_S6_E_S6_EEDaPvRmT3_T4_T5_mT6_P12ihipStream_tbENKUlT_T0_E_clISt17integral_constantIbLb1EESY_EEDaST_SU_EUlST_E_NS1_11comp_targetILNS1_3genE10ELNS1_11target_archE1201ELNS1_3gpuE5ELNS1_3repE0EEENS1_30default_config_static_selectorELNS0_4arch9wavefront6targetE0EEEvT1_.uses_vcc, 0
	.set _ZN7rocprim17ROCPRIM_400000_NS6detail17trampoline_kernelINS0_14default_configENS1_20scan_config_selectorIN3c108BFloat16EEEZZNS1_9scan_implILNS1_25lookback_scan_determinismE0ELb0ELb0ES3_PKS6_PS6_S6_ZZZN2at6native31launch_logcumsumexp_cuda_kernelERKNSD_10TensorBaseESH_lENKUlvE_clEvENKUlvE4_clEvEUlS6_S6_E_S6_EEDaPvRmT3_T4_T5_mT6_P12ihipStream_tbENKUlT_T0_E_clISt17integral_constantIbLb1EESY_EEDaST_SU_EUlST_E_NS1_11comp_targetILNS1_3genE10ELNS1_11target_archE1201ELNS1_3gpuE5ELNS1_3repE0EEENS1_30default_config_static_selectorELNS0_4arch9wavefront6targetE0EEEvT1_.uses_flat_scratch, 0
	.set _ZN7rocprim17ROCPRIM_400000_NS6detail17trampoline_kernelINS0_14default_configENS1_20scan_config_selectorIN3c108BFloat16EEEZZNS1_9scan_implILNS1_25lookback_scan_determinismE0ELb0ELb0ES3_PKS6_PS6_S6_ZZZN2at6native31launch_logcumsumexp_cuda_kernelERKNSD_10TensorBaseESH_lENKUlvE_clEvENKUlvE4_clEvEUlS6_S6_E_S6_EEDaPvRmT3_T4_T5_mT6_P12ihipStream_tbENKUlT_T0_E_clISt17integral_constantIbLb1EESY_EEDaST_SU_EUlST_E_NS1_11comp_targetILNS1_3genE10ELNS1_11target_archE1201ELNS1_3gpuE5ELNS1_3repE0EEENS1_30default_config_static_selectorELNS0_4arch9wavefront6targetE0EEEvT1_.has_dyn_sized_stack, 0
	.set _ZN7rocprim17ROCPRIM_400000_NS6detail17trampoline_kernelINS0_14default_configENS1_20scan_config_selectorIN3c108BFloat16EEEZZNS1_9scan_implILNS1_25lookback_scan_determinismE0ELb0ELb0ES3_PKS6_PS6_S6_ZZZN2at6native31launch_logcumsumexp_cuda_kernelERKNSD_10TensorBaseESH_lENKUlvE_clEvENKUlvE4_clEvEUlS6_S6_E_S6_EEDaPvRmT3_T4_T5_mT6_P12ihipStream_tbENKUlT_T0_E_clISt17integral_constantIbLb1EESY_EEDaST_SU_EUlST_E_NS1_11comp_targetILNS1_3genE10ELNS1_11target_archE1201ELNS1_3gpuE5ELNS1_3repE0EEENS1_30default_config_static_selectorELNS0_4arch9wavefront6targetE0EEEvT1_.has_recursion, 0
	.set _ZN7rocprim17ROCPRIM_400000_NS6detail17trampoline_kernelINS0_14default_configENS1_20scan_config_selectorIN3c108BFloat16EEEZZNS1_9scan_implILNS1_25lookback_scan_determinismE0ELb0ELb0ES3_PKS6_PS6_S6_ZZZN2at6native31launch_logcumsumexp_cuda_kernelERKNSD_10TensorBaseESH_lENKUlvE_clEvENKUlvE4_clEvEUlS6_S6_E_S6_EEDaPvRmT3_T4_T5_mT6_P12ihipStream_tbENKUlT_T0_E_clISt17integral_constantIbLb1EESY_EEDaST_SU_EUlST_E_NS1_11comp_targetILNS1_3genE10ELNS1_11target_archE1201ELNS1_3gpuE5ELNS1_3repE0EEENS1_30default_config_static_selectorELNS0_4arch9wavefront6targetE0EEEvT1_.has_indirect_call, 0
	.section	.AMDGPU.csdata,"",@progbits
; Kernel info:
; codeLenInByte = 4
; TotalNumSgprs: 0
; NumVgprs: 0
; ScratchSize: 0
; MemoryBound: 0
; FloatMode: 240
; IeeeMode: 1
; LDSByteSize: 0 bytes/workgroup (compile time only)
; SGPRBlocks: 0
; VGPRBlocks: 0
; NumSGPRsForWavesPerEU: 1
; NumVGPRsForWavesPerEU: 1
; Occupancy: 16
; WaveLimiterHint : 0
; COMPUTE_PGM_RSRC2:SCRATCH_EN: 0
; COMPUTE_PGM_RSRC2:USER_SGPR: 2
; COMPUTE_PGM_RSRC2:TRAP_HANDLER: 0
; COMPUTE_PGM_RSRC2:TGID_X_EN: 1
; COMPUTE_PGM_RSRC2:TGID_Y_EN: 0
; COMPUTE_PGM_RSRC2:TGID_Z_EN: 0
; COMPUTE_PGM_RSRC2:TIDIG_COMP_CNT: 0
	.section	.text._ZN7rocprim17ROCPRIM_400000_NS6detail17trampoline_kernelINS0_14default_configENS1_20scan_config_selectorIN3c108BFloat16EEEZZNS1_9scan_implILNS1_25lookback_scan_determinismE0ELb0ELb0ES3_PKS6_PS6_S6_ZZZN2at6native31launch_logcumsumexp_cuda_kernelERKNSD_10TensorBaseESH_lENKUlvE_clEvENKUlvE4_clEvEUlS6_S6_E_S6_EEDaPvRmT3_T4_T5_mT6_P12ihipStream_tbENKUlT_T0_E_clISt17integral_constantIbLb1EESY_EEDaST_SU_EUlST_E_NS1_11comp_targetILNS1_3genE10ELNS1_11target_archE1200ELNS1_3gpuE4ELNS1_3repE0EEENS1_30default_config_static_selectorELNS0_4arch9wavefront6targetE0EEEvT1_,"axG",@progbits,_ZN7rocprim17ROCPRIM_400000_NS6detail17trampoline_kernelINS0_14default_configENS1_20scan_config_selectorIN3c108BFloat16EEEZZNS1_9scan_implILNS1_25lookback_scan_determinismE0ELb0ELb0ES3_PKS6_PS6_S6_ZZZN2at6native31launch_logcumsumexp_cuda_kernelERKNSD_10TensorBaseESH_lENKUlvE_clEvENKUlvE4_clEvEUlS6_S6_E_S6_EEDaPvRmT3_T4_T5_mT6_P12ihipStream_tbENKUlT_T0_E_clISt17integral_constantIbLb1EESY_EEDaST_SU_EUlST_E_NS1_11comp_targetILNS1_3genE10ELNS1_11target_archE1200ELNS1_3gpuE4ELNS1_3repE0EEENS1_30default_config_static_selectorELNS0_4arch9wavefront6targetE0EEEvT1_,comdat
	.globl	_ZN7rocprim17ROCPRIM_400000_NS6detail17trampoline_kernelINS0_14default_configENS1_20scan_config_selectorIN3c108BFloat16EEEZZNS1_9scan_implILNS1_25lookback_scan_determinismE0ELb0ELb0ES3_PKS6_PS6_S6_ZZZN2at6native31launch_logcumsumexp_cuda_kernelERKNSD_10TensorBaseESH_lENKUlvE_clEvENKUlvE4_clEvEUlS6_S6_E_S6_EEDaPvRmT3_T4_T5_mT6_P12ihipStream_tbENKUlT_T0_E_clISt17integral_constantIbLb1EESY_EEDaST_SU_EUlST_E_NS1_11comp_targetILNS1_3genE10ELNS1_11target_archE1200ELNS1_3gpuE4ELNS1_3repE0EEENS1_30default_config_static_selectorELNS0_4arch9wavefront6targetE0EEEvT1_ ; -- Begin function _ZN7rocprim17ROCPRIM_400000_NS6detail17trampoline_kernelINS0_14default_configENS1_20scan_config_selectorIN3c108BFloat16EEEZZNS1_9scan_implILNS1_25lookback_scan_determinismE0ELb0ELb0ES3_PKS6_PS6_S6_ZZZN2at6native31launch_logcumsumexp_cuda_kernelERKNSD_10TensorBaseESH_lENKUlvE_clEvENKUlvE4_clEvEUlS6_S6_E_S6_EEDaPvRmT3_T4_T5_mT6_P12ihipStream_tbENKUlT_T0_E_clISt17integral_constantIbLb1EESY_EEDaST_SU_EUlST_E_NS1_11comp_targetILNS1_3genE10ELNS1_11target_archE1200ELNS1_3gpuE4ELNS1_3repE0EEENS1_30default_config_static_selectorELNS0_4arch9wavefront6targetE0EEEvT1_
	.p2align	8
	.type	_ZN7rocprim17ROCPRIM_400000_NS6detail17trampoline_kernelINS0_14default_configENS1_20scan_config_selectorIN3c108BFloat16EEEZZNS1_9scan_implILNS1_25lookback_scan_determinismE0ELb0ELb0ES3_PKS6_PS6_S6_ZZZN2at6native31launch_logcumsumexp_cuda_kernelERKNSD_10TensorBaseESH_lENKUlvE_clEvENKUlvE4_clEvEUlS6_S6_E_S6_EEDaPvRmT3_T4_T5_mT6_P12ihipStream_tbENKUlT_T0_E_clISt17integral_constantIbLb1EESY_EEDaST_SU_EUlST_E_NS1_11comp_targetILNS1_3genE10ELNS1_11target_archE1200ELNS1_3gpuE4ELNS1_3repE0EEENS1_30default_config_static_selectorELNS0_4arch9wavefront6targetE0EEEvT1_,@function
_ZN7rocprim17ROCPRIM_400000_NS6detail17trampoline_kernelINS0_14default_configENS1_20scan_config_selectorIN3c108BFloat16EEEZZNS1_9scan_implILNS1_25lookback_scan_determinismE0ELb0ELb0ES3_PKS6_PS6_S6_ZZZN2at6native31launch_logcumsumexp_cuda_kernelERKNSD_10TensorBaseESH_lENKUlvE_clEvENKUlvE4_clEvEUlS6_S6_E_S6_EEDaPvRmT3_T4_T5_mT6_P12ihipStream_tbENKUlT_T0_E_clISt17integral_constantIbLb1EESY_EEDaST_SU_EUlST_E_NS1_11comp_targetILNS1_3genE10ELNS1_11target_archE1200ELNS1_3gpuE4ELNS1_3repE0EEENS1_30default_config_static_selectorELNS0_4arch9wavefront6targetE0EEEvT1_: ; @_ZN7rocprim17ROCPRIM_400000_NS6detail17trampoline_kernelINS0_14default_configENS1_20scan_config_selectorIN3c108BFloat16EEEZZNS1_9scan_implILNS1_25lookback_scan_determinismE0ELb0ELb0ES3_PKS6_PS6_S6_ZZZN2at6native31launch_logcumsumexp_cuda_kernelERKNSD_10TensorBaseESH_lENKUlvE_clEvENKUlvE4_clEvEUlS6_S6_E_S6_EEDaPvRmT3_T4_T5_mT6_P12ihipStream_tbENKUlT_T0_E_clISt17integral_constantIbLb1EESY_EEDaST_SU_EUlST_E_NS1_11comp_targetILNS1_3genE10ELNS1_11target_archE1200ELNS1_3gpuE4ELNS1_3repE0EEENS1_30default_config_static_selectorELNS0_4arch9wavefront6targetE0EEEvT1_
; %bb.0:
	.section	.rodata,"a",@progbits
	.p2align	6, 0x0
	.amdhsa_kernel _ZN7rocprim17ROCPRIM_400000_NS6detail17trampoline_kernelINS0_14default_configENS1_20scan_config_selectorIN3c108BFloat16EEEZZNS1_9scan_implILNS1_25lookback_scan_determinismE0ELb0ELb0ES3_PKS6_PS6_S6_ZZZN2at6native31launch_logcumsumexp_cuda_kernelERKNSD_10TensorBaseESH_lENKUlvE_clEvENKUlvE4_clEvEUlS6_S6_E_S6_EEDaPvRmT3_T4_T5_mT6_P12ihipStream_tbENKUlT_T0_E_clISt17integral_constantIbLb1EESY_EEDaST_SU_EUlST_E_NS1_11comp_targetILNS1_3genE10ELNS1_11target_archE1200ELNS1_3gpuE4ELNS1_3repE0EEENS1_30default_config_static_selectorELNS0_4arch9wavefront6targetE0EEEvT1_
		.amdhsa_group_segment_fixed_size 0
		.amdhsa_private_segment_fixed_size 0
		.amdhsa_kernarg_size 96
		.amdhsa_user_sgpr_count 2
		.amdhsa_user_sgpr_dispatch_ptr 0
		.amdhsa_user_sgpr_queue_ptr 0
		.amdhsa_user_sgpr_kernarg_segment_ptr 1
		.amdhsa_user_sgpr_dispatch_id 0
		.amdhsa_user_sgpr_private_segment_size 0
		.amdhsa_wavefront_size32 1
		.amdhsa_uses_dynamic_stack 0
		.amdhsa_enable_private_segment 0
		.amdhsa_system_sgpr_workgroup_id_x 1
		.amdhsa_system_sgpr_workgroup_id_y 0
		.amdhsa_system_sgpr_workgroup_id_z 0
		.amdhsa_system_sgpr_workgroup_info 0
		.amdhsa_system_vgpr_workitem_id 0
		.amdhsa_next_free_vgpr 1
		.amdhsa_next_free_sgpr 1
		.amdhsa_reserve_vcc 0
		.amdhsa_float_round_mode_32 0
		.amdhsa_float_round_mode_16_64 0
		.amdhsa_float_denorm_mode_32 3
		.amdhsa_float_denorm_mode_16_64 3
		.amdhsa_fp16_overflow 0
		.amdhsa_workgroup_processor_mode 1
		.amdhsa_memory_ordered 1
		.amdhsa_forward_progress 1
		.amdhsa_inst_pref_size 0
		.amdhsa_round_robin_scheduling 0
		.amdhsa_exception_fp_ieee_invalid_op 0
		.amdhsa_exception_fp_denorm_src 0
		.amdhsa_exception_fp_ieee_div_zero 0
		.amdhsa_exception_fp_ieee_overflow 0
		.amdhsa_exception_fp_ieee_underflow 0
		.amdhsa_exception_fp_ieee_inexact 0
		.amdhsa_exception_int_div_zero 0
	.end_amdhsa_kernel
	.section	.text._ZN7rocprim17ROCPRIM_400000_NS6detail17trampoline_kernelINS0_14default_configENS1_20scan_config_selectorIN3c108BFloat16EEEZZNS1_9scan_implILNS1_25lookback_scan_determinismE0ELb0ELb0ES3_PKS6_PS6_S6_ZZZN2at6native31launch_logcumsumexp_cuda_kernelERKNSD_10TensorBaseESH_lENKUlvE_clEvENKUlvE4_clEvEUlS6_S6_E_S6_EEDaPvRmT3_T4_T5_mT6_P12ihipStream_tbENKUlT_T0_E_clISt17integral_constantIbLb1EESY_EEDaST_SU_EUlST_E_NS1_11comp_targetILNS1_3genE10ELNS1_11target_archE1200ELNS1_3gpuE4ELNS1_3repE0EEENS1_30default_config_static_selectorELNS0_4arch9wavefront6targetE0EEEvT1_,"axG",@progbits,_ZN7rocprim17ROCPRIM_400000_NS6detail17trampoline_kernelINS0_14default_configENS1_20scan_config_selectorIN3c108BFloat16EEEZZNS1_9scan_implILNS1_25lookback_scan_determinismE0ELb0ELb0ES3_PKS6_PS6_S6_ZZZN2at6native31launch_logcumsumexp_cuda_kernelERKNSD_10TensorBaseESH_lENKUlvE_clEvENKUlvE4_clEvEUlS6_S6_E_S6_EEDaPvRmT3_T4_T5_mT6_P12ihipStream_tbENKUlT_T0_E_clISt17integral_constantIbLb1EESY_EEDaST_SU_EUlST_E_NS1_11comp_targetILNS1_3genE10ELNS1_11target_archE1200ELNS1_3gpuE4ELNS1_3repE0EEENS1_30default_config_static_selectorELNS0_4arch9wavefront6targetE0EEEvT1_,comdat
.Lfunc_end471:
	.size	_ZN7rocprim17ROCPRIM_400000_NS6detail17trampoline_kernelINS0_14default_configENS1_20scan_config_selectorIN3c108BFloat16EEEZZNS1_9scan_implILNS1_25lookback_scan_determinismE0ELb0ELb0ES3_PKS6_PS6_S6_ZZZN2at6native31launch_logcumsumexp_cuda_kernelERKNSD_10TensorBaseESH_lENKUlvE_clEvENKUlvE4_clEvEUlS6_S6_E_S6_EEDaPvRmT3_T4_T5_mT6_P12ihipStream_tbENKUlT_T0_E_clISt17integral_constantIbLb1EESY_EEDaST_SU_EUlST_E_NS1_11comp_targetILNS1_3genE10ELNS1_11target_archE1200ELNS1_3gpuE4ELNS1_3repE0EEENS1_30default_config_static_selectorELNS0_4arch9wavefront6targetE0EEEvT1_, .Lfunc_end471-_ZN7rocprim17ROCPRIM_400000_NS6detail17trampoline_kernelINS0_14default_configENS1_20scan_config_selectorIN3c108BFloat16EEEZZNS1_9scan_implILNS1_25lookback_scan_determinismE0ELb0ELb0ES3_PKS6_PS6_S6_ZZZN2at6native31launch_logcumsumexp_cuda_kernelERKNSD_10TensorBaseESH_lENKUlvE_clEvENKUlvE4_clEvEUlS6_S6_E_S6_EEDaPvRmT3_T4_T5_mT6_P12ihipStream_tbENKUlT_T0_E_clISt17integral_constantIbLb1EESY_EEDaST_SU_EUlST_E_NS1_11comp_targetILNS1_3genE10ELNS1_11target_archE1200ELNS1_3gpuE4ELNS1_3repE0EEENS1_30default_config_static_selectorELNS0_4arch9wavefront6targetE0EEEvT1_
                                        ; -- End function
	.set _ZN7rocprim17ROCPRIM_400000_NS6detail17trampoline_kernelINS0_14default_configENS1_20scan_config_selectorIN3c108BFloat16EEEZZNS1_9scan_implILNS1_25lookback_scan_determinismE0ELb0ELb0ES3_PKS6_PS6_S6_ZZZN2at6native31launch_logcumsumexp_cuda_kernelERKNSD_10TensorBaseESH_lENKUlvE_clEvENKUlvE4_clEvEUlS6_S6_E_S6_EEDaPvRmT3_T4_T5_mT6_P12ihipStream_tbENKUlT_T0_E_clISt17integral_constantIbLb1EESY_EEDaST_SU_EUlST_E_NS1_11comp_targetILNS1_3genE10ELNS1_11target_archE1200ELNS1_3gpuE4ELNS1_3repE0EEENS1_30default_config_static_selectorELNS0_4arch9wavefront6targetE0EEEvT1_.num_vgpr, 0
	.set _ZN7rocprim17ROCPRIM_400000_NS6detail17trampoline_kernelINS0_14default_configENS1_20scan_config_selectorIN3c108BFloat16EEEZZNS1_9scan_implILNS1_25lookback_scan_determinismE0ELb0ELb0ES3_PKS6_PS6_S6_ZZZN2at6native31launch_logcumsumexp_cuda_kernelERKNSD_10TensorBaseESH_lENKUlvE_clEvENKUlvE4_clEvEUlS6_S6_E_S6_EEDaPvRmT3_T4_T5_mT6_P12ihipStream_tbENKUlT_T0_E_clISt17integral_constantIbLb1EESY_EEDaST_SU_EUlST_E_NS1_11comp_targetILNS1_3genE10ELNS1_11target_archE1200ELNS1_3gpuE4ELNS1_3repE0EEENS1_30default_config_static_selectorELNS0_4arch9wavefront6targetE0EEEvT1_.num_agpr, 0
	.set _ZN7rocprim17ROCPRIM_400000_NS6detail17trampoline_kernelINS0_14default_configENS1_20scan_config_selectorIN3c108BFloat16EEEZZNS1_9scan_implILNS1_25lookback_scan_determinismE0ELb0ELb0ES3_PKS6_PS6_S6_ZZZN2at6native31launch_logcumsumexp_cuda_kernelERKNSD_10TensorBaseESH_lENKUlvE_clEvENKUlvE4_clEvEUlS6_S6_E_S6_EEDaPvRmT3_T4_T5_mT6_P12ihipStream_tbENKUlT_T0_E_clISt17integral_constantIbLb1EESY_EEDaST_SU_EUlST_E_NS1_11comp_targetILNS1_3genE10ELNS1_11target_archE1200ELNS1_3gpuE4ELNS1_3repE0EEENS1_30default_config_static_selectorELNS0_4arch9wavefront6targetE0EEEvT1_.numbered_sgpr, 0
	.set _ZN7rocprim17ROCPRIM_400000_NS6detail17trampoline_kernelINS0_14default_configENS1_20scan_config_selectorIN3c108BFloat16EEEZZNS1_9scan_implILNS1_25lookback_scan_determinismE0ELb0ELb0ES3_PKS6_PS6_S6_ZZZN2at6native31launch_logcumsumexp_cuda_kernelERKNSD_10TensorBaseESH_lENKUlvE_clEvENKUlvE4_clEvEUlS6_S6_E_S6_EEDaPvRmT3_T4_T5_mT6_P12ihipStream_tbENKUlT_T0_E_clISt17integral_constantIbLb1EESY_EEDaST_SU_EUlST_E_NS1_11comp_targetILNS1_3genE10ELNS1_11target_archE1200ELNS1_3gpuE4ELNS1_3repE0EEENS1_30default_config_static_selectorELNS0_4arch9wavefront6targetE0EEEvT1_.num_named_barrier, 0
	.set _ZN7rocprim17ROCPRIM_400000_NS6detail17trampoline_kernelINS0_14default_configENS1_20scan_config_selectorIN3c108BFloat16EEEZZNS1_9scan_implILNS1_25lookback_scan_determinismE0ELb0ELb0ES3_PKS6_PS6_S6_ZZZN2at6native31launch_logcumsumexp_cuda_kernelERKNSD_10TensorBaseESH_lENKUlvE_clEvENKUlvE4_clEvEUlS6_S6_E_S6_EEDaPvRmT3_T4_T5_mT6_P12ihipStream_tbENKUlT_T0_E_clISt17integral_constantIbLb1EESY_EEDaST_SU_EUlST_E_NS1_11comp_targetILNS1_3genE10ELNS1_11target_archE1200ELNS1_3gpuE4ELNS1_3repE0EEENS1_30default_config_static_selectorELNS0_4arch9wavefront6targetE0EEEvT1_.private_seg_size, 0
	.set _ZN7rocprim17ROCPRIM_400000_NS6detail17trampoline_kernelINS0_14default_configENS1_20scan_config_selectorIN3c108BFloat16EEEZZNS1_9scan_implILNS1_25lookback_scan_determinismE0ELb0ELb0ES3_PKS6_PS6_S6_ZZZN2at6native31launch_logcumsumexp_cuda_kernelERKNSD_10TensorBaseESH_lENKUlvE_clEvENKUlvE4_clEvEUlS6_S6_E_S6_EEDaPvRmT3_T4_T5_mT6_P12ihipStream_tbENKUlT_T0_E_clISt17integral_constantIbLb1EESY_EEDaST_SU_EUlST_E_NS1_11comp_targetILNS1_3genE10ELNS1_11target_archE1200ELNS1_3gpuE4ELNS1_3repE0EEENS1_30default_config_static_selectorELNS0_4arch9wavefront6targetE0EEEvT1_.uses_vcc, 0
	.set _ZN7rocprim17ROCPRIM_400000_NS6detail17trampoline_kernelINS0_14default_configENS1_20scan_config_selectorIN3c108BFloat16EEEZZNS1_9scan_implILNS1_25lookback_scan_determinismE0ELb0ELb0ES3_PKS6_PS6_S6_ZZZN2at6native31launch_logcumsumexp_cuda_kernelERKNSD_10TensorBaseESH_lENKUlvE_clEvENKUlvE4_clEvEUlS6_S6_E_S6_EEDaPvRmT3_T4_T5_mT6_P12ihipStream_tbENKUlT_T0_E_clISt17integral_constantIbLb1EESY_EEDaST_SU_EUlST_E_NS1_11comp_targetILNS1_3genE10ELNS1_11target_archE1200ELNS1_3gpuE4ELNS1_3repE0EEENS1_30default_config_static_selectorELNS0_4arch9wavefront6targetE0EEEvT1_.uses_flat_scratch, 0
	.set _ZN7rocprim17ROCPRIM_400000_NS6detail17trampoline_kernelINS0_14default_configENS1_20scan_config_selectorIN3c108BFloat16EEEZZNS1_9scan_implILNS1_25lookback_scan_determinismE0ELb0ELb0ES3_PKS6_PS6_S6_ZZZN2at6native31launch_logcumsumexp_cuda_kernelERKNSD_10TensorBaseESH_lENKUlvE_clEvENKUlvE4_clEvEUlS6_S6_E_S6_EEDaPvRmT3_T4_T5_mT6_P12ihipStream_tbENKUlT_T0_E_clISt17integral_constantIbLb1EESY_EEDaST_SU_EUlST_E_NS1_11comp_targetILNS1_3genE10ELNS1_11target_archE1200ELNS1_3gpuE4ELNS1_3repE0EEENS1_30default_config_static_selectorELNS0_4arch9wavefront6targetE0EEEvT1_.has_dyn_sized_stack, 0
	.set _ZN7rocprim17ROCPRIM_400000_NS6detail17trampoline_kernelINS0_14default_configENS1_20scan_config_selectorIN3c108BFloat16EEEZZNS1_9scan_implILNS1_25lookback_scan_determinismE0ELb0ELb0ES3_PKS6_PS6_S6_ZZZN2at6native31launch_logcumsumexp_cuda_kernelERKNSD_10TensorBaseESH_lENKUlvE_clEvENKUlvE4_clEvEUlS6_S6_E_S6_EEDaPvRmT3_T4_T5_mT6_P12ihipStream_tbENKUlT_T0_E_clISt17integral_constantIbLb1EESY_EEDaST_SU_EUlST_E_NS1_11comp_targetILNS1_3genE10ELNS1_11target_archE1200ELNS1_3gpuE4ELNS1_3repE0EEENS1_30default_config_static_selectorELNS0_4arch9wavefront6targetE0EEEvT1_.has_recursion, 0
	.set _ZN7rocprim17ROCPRIM_400000_NS6detail17trampoline_kernelINS0_14default_configENS1_20scan_config_selectorIN3c108BFloat16EEEZZNS1_9scan_implILNS1_25lookback_scan_determinismE0ELb0ELb0ES3_PKS6_PS6_S6_ZZZN2at6native31launch_logcumsumexp_cuda_kernelERKNSD_10TensorBaseESH_lENKUlvE_clEvENKUlvE4_clEvEUlS6_S6_E_S6_EEDaPvRmT3_T4_T5_mT6_P12ihipStream_tbENKUlT_T0_E_clISt17integral_constantIbLb1EESY_EEDaST_SU_EUlST_E_NS1_11comp_targetILNS1_3genE10ELNS1_11target_archE1200ELNS1_3gpuE4ELNS1_3repE0EEENS1_30default_config_static_selectorELNS0_4arch9wavefront6targetE0EEEvT1_.has_indirect_call, 0
	.section	.AMDGPU.csdata,"",@progbits
; Kernel info:
; codeLenInByte = 0
; TotalNumSgprs: 0
; NumVgprs: 0
; ScratchSize: 0
; MemoryBound: 0
; FloatMode: 240
; IeeeMode: 1
; LDSByteSize: 0 bytes/workgroup (compile time only)
; SGPRBlocks: 0
; VGPRBlocks: 0
; NumSGPRsForWavesPerEU: 1
; NumVGPRsForWavesPerEU: 1
; Occupancy: 16
; WaveLimiterHint : 0
; COMPUTE_PGM_RSRC2:SCRATCH_EN: 0
; COMPUTE_PGM_RSRC2:USER_SGPR: 2
; COMPUTE_PGM_RSRC2:TRAP_HANDLER: 0
; COMPUTE_PGM_RSRC2:TGID_X_EN: 1
; COMPUTE_PGM_RSRC2:TGID_Y_EN: 0
; COMPUTE_PGM_RSRC2:TGID_Z_EN: 0
; COMPUTE_PGM_RSRC2:TIDIG_COMP_CNT: 0
	.section	.text._ZN7rocprim17ROCPRIM_400000_NS6detail17trampoline_kernelINS0_14default_configENS1_20scan_config_selectorIN3c108BFloat16EEEZZNS1_9scan_implILNS1_25lookback_scan_determinismE0ELb0ELb0ES3_PKS6_PS6_S6_ZZZN2at6native31launch_logcumsumexp_cuda_kernelERKNSD_10TensorBaseESH_lENKUlvE_clEvENKUlvE4_clEvEUlS6_S6_E_S6_EEDaPvRmT3_T4_T5_mT6_P12ihipStream_tbENKUlT_T0_E_clISt17integral_constantIbLb1EESY_EEDaST_SU_EUlST_E_NS1_11comp_targetILNS1_3genE9ELNS1_11target_archE1100ELNS1_3gpuE3ELNS1_3repE0EEENS1_30default_config_static_selectorELNS0_4arch9wavefront6targetE0EEEvT1_,"axG",@progbits,_ZN7rocprim17ROCPRIM_400000_NS6detail17trampoline_kernelINS0_14default_configENS1_20scan_config_selectorIN3c108BFloat16EEEZZNS1_9scan_implILNS1_25lookback_scan_determinismE0ELb0ELb0ES3_PKS6_PS6_S6_ZZZN2at6native31launch_logcumsumexp_cuda_kernelERKNSD_10TensorBaseESH_lENKUlvE_clEvENKUlvE4_clEvEUlS6_S6_E_S6_EEDaPvRmT3_T4_T5_mT6_P12ihipStream_tbENKUlT_T0_E_clISt17integral_constantIbLb1EESY_EEDaST_SU_EUlST_E_NS1_11comp_targetILNS1_3genE9ELNS1_11target_archE1100ELNS1_3gpuE3ELNS1_3repE0EEENS1_30default_config_static_selectorELNS0_4arch9wavefront6targetE0EEEvT1_,comdat
	.globl	_ZN7rocprim17ROCPRIM_400000_NS6detail17trampoline_kernelINS0_14default_configENS1_20scan_config_selectorIN3c108BFloat16EEEZZNS1_9scan_implILNS1_25lookback_scan_determinismE0ELb0ELb0ES3_PKS6_PS6_S6_ZZZN2at6native31launch_logcumsumexp_cuda_kernelERKNSD_10TensorBaseESH_lENKUlvE_clEvENKUlvE4_clEvEUlS6_S6_E_S6_EEDaPvRmT3_T4_T5_mT6_P12ihipStream_tbENKUlT_T0_E_clISt17integral_constantIbLb1EESY_EEDaST_SU_EUlST_E_NS1_11comp_targetILNS1_3genE9ELNS1_11target_archE1100ELNS1_3gpuE3ELNS1_3repE0EEENS1_30default_config_static_selectorELNS0_4arch9wavefront6targetE0EEEvT1_ ; -- Begin function _ZN7rocprim17ROCPRIM_400000_NS6detail17trampoline_kernelINS0_14default_configENS1_20scan_config_selectorIN3c108BFloat16EEEZZNS1_9scan_implILNS1_25lookback_scan_determinismE0ELb0ELb0ES3_PKS6_PS6_S6_ZZZN2at6native31launch_logcumsumexp_cuda_kernelERKNSD_10TensorBaseESH_lENKUlvE_clEvENKUlvE4_clEvEUlS6_S6_E_S6_EEDaPvRmT3_T4_T5_mT6_P12ihipStream_tbENKUlT_T0_E_clISt17integral_constantIbLb1EESY_EEDaST_SU_EUlST_E_NS1_11comp_targetILNS1_3genE9ELNS1_11target_archE1100ELNS1_3gpuE3ELNS1_3repE0EEENS1_30default_config_static_selectorELNS0_4arch9wavefront6targetE0EEEvT1_
	.p2align	8
	.type	_ZN7rocprim17ROCPRIM_400000_NS6detail17trampoline_kernelINS0_14default_configENS1_20scan_config_selectorIN3c108BFloat16EEEZZNS1_9scan_implILNS1_25lookback_scan_determinismE0ELb0ELb0ES3_PKS6_PS6_S6_ZZZN2at6native31launch_logcumsumexp_cuda_kernelERKNSD_10TensorBaseESH_lENKUlvE_clEvENKUlvE4_clEvEUlS6_S6_E_S6_EEDaPvRmT3_T4_T5_mT6_P12ihipStream_tbENKUlT_T0_E_clISt17integral_constantIbLb1EESY_EEDaST_SU_EUlST_E_NS1_11comp_targetILNS1_3genE9ELNS1_11target_archE1100ELNS1_3gpuE3ELNS1_3repE0EEENS1_30default_config_static_selectorELNS0_4arch9wavefront6targetE0EEEvT1_,@function
_ZN7rocprim17ROCPRIM_400000_NS6detail17trampoline_kernelINS0_14default_configENS1_20scan_config_selectorIN3c108BFloat16EEEZZNS1_9scan_implILNS1_25lookback_scan_determinismE0ELb0ELb0ES3_PKS6_PS6_S6_ZZZN2at6native31launch_logcumsumexp_cuda_kernelERKNSD_10TensorBaseESH_lENKUlvE_clEvENKUlvE4_clEvEUlS6_S6_E_S6_EEDaPvRmT3_T4_T5_mT6_P12ihipStream_tbENKUlT_T0_E_clISt17integral_constantIbLb1EESY_EEDaST_SU_EUlST_E_NS1_11comp_targetILNS1_3genE9ELNS1_11target_archE1100ELNS1_3gpuE3ELNS1_3repE0EEENS1_30default_config_static_selectorELNS0_4arch9wavefront6targetE0EEEvT1_: ; @_ZN7rocprim17ROCPRIM_400000_NS6detail17trampoline_kernelINS0_14default_configENS1_20scan_config_selectorIN3c108BFloat16EEEZZNS1_9scan_implILNS1_25lookback_scan_determinismE0ELb0ELb0ES3_PKS6_PS6_S6_ZZZN2at6native31launch_logcumsumexp_cuda_kernelERKNSD_10TensorBaseESH_lENKUlvE_clEvENKUlvE4_clEvEUlS6_S6_E_S6_EEDaPvRmT3_T4_T5_mT6_P12ihipStream_tbENKUlT_T0_E_clISt17integral_constantIbLb1EESY_EEDaST_SU_EUlST_E_NS1_11comp_targetILNS1_3genE9ELNS1_11target_archE1100ELNS1_3gpuE3ELNS1_3repE0EEENS1_30default_config_static_selectorELNS0_4arch9wavefront6targetE0EEEvT1_
; %bb.0:
	.section	.rodata,"a",@progbits
	.p2align	6, 0x0
	.amdhsa_kernel _ZN7rocprim17ROCPRIM_400000_NS6detail17trampoline_kernelINS0_14default_configENS1_20scan_config_selectorIN3c108BFloat16EEEZZNS1_9scan_implILNS1_25lookback_scan_determinismE0ELb0ELb0ES3_PKS6_PS6_S6_ZZZN2at6native31launch_logcumsumexp_cuda_kernelERKNSD_10TensorBaseESH_lENKUlvE_clEvENKUlvE4_clEvEUlS6_S6_E_S6_EEDaPvRmT3_T4_T5_mT6_P12ihipStream_tbENKUlT_T0_E_clISt17integral_constantIbLb1EESY_EEDaST_SU_EUlST_E_NS1_11comp_targetILNS1_3genE9ELNS1_11target_archE1100ELNS1_3gpuE3ELNS1_3repE0EEENS1_30default_config_static_selectorELNS0_4arch9wavefront6targetE0EEEvT1_
		.amdhsa_group_segment_fixed_size 0
		.amdhsa_private_segment_fixed_size 0
		.amdhsa_kernarg_size 96
		.amdhsa_user_sgpr_count 2
		.amdhsa_user_sgpr_dispatch_ptr 0
		.amdhsa_user_sgpr_queue_ptr 0
		.amdhsa_user_sgpr_kernarg_segment_ptr 1
		.amdhsa_user_sgpr_dispatch_id 0
		.amdhsa_user_sgpr_private_segment_size 0
		.amdhsa_wavefront_size32 1
		.amdhsa_uses_dynamic_stack 0
		.amdhsa_enable_private_segment 0
		.amdhsa_system_sgpr_workgroup_id_x 1
		.amdhsa_system_sgpr_workgroup_id_y 0
		.amdhsa_system_sgpr_workgroup_id_z 0
		.amdhsa_system_sgpr_workgroup_info 0
		.amdhsa_system_vgpr_workitem_id 0
		.amdhsa_next_free_vgpr 1
		.amdhsa_next_free_sgpr 1
		.amdhsa_reserve_vcc 0
		.amdhsa_float_round_mode_32 0
		.amdhsa_float_round_mode_16_64 0
		.amdhsa_float_denorm_mode_32 3
		.amdhsa_float_denorm_mode_16_64 3
		.amdhsa_fp16_overflow 0
		.amdhsa_workgroup_processor_mode 1
		.amdhsa_memory_ordered 1
		.amdhsa_forward_progress 1
		.amdhsa_inst_pref_size 0
		.amdhsa_round_robin_scheduling 0
		.amdhsa_exception_fp_ieee_invalid_op 0
		.amdhsa_exception_fp_denorm_src 0
		.amdhsa_exception_fp_ieee_div_zero 0
		.amdhsa_exception_fp_ieee_overflow 0
		.amdhsa_exception_fp_ieee_underflow 0
		.amdhsa_exception_fp_ieee_inexact 0
		.amdhsa_exception_int_div_zero 0
	.end_amdhsa_kernel
	.section	.text._ZN7rocprim17ROCPRIM_400000_NS6detail17trampoline_kernelINS0_14default_configENS1_20scan_config_selectorIN3c108BFloat16EEEZZNS1_9scan_implILNS1_25lookback_scan_determinismE0ELb0ELb0ES3_PKS6_PS6_S6_ZZZN2at6native31launch_logcumsumexp_cuda_kernelERKNSD_10TensorBaseESH_lENKUlvE_clEvENKUlvE4_clEvEUlS6_S6_E_S6_EEDaPvRmT3_T4_T5_mT6_P12ihipStream_tbENKUlT_T0_E_clISt17integral_constantIbLb1EESY_EEDaST_SU_EUlST_E_NS1_11comp_targetILNS1_3genE9ELNS1_11target_archE1100ELNS1_3gpuE3ELNS1_3repE0EEENS1_30default_config_static_selectorELNS0_4arch9wavefront6targetE0EEEvT1_,"axG",@progbits,_ZN7rocprim17ROCPRIM_400000_NS6detail17trampoline_kernelINS0_14default_configENS1_20scan_config_selectorIN3c108BFloat16EEEZZNS1_9scan_implILNS1_25lookback_scan_determinismE0ELb0ELb0ES3_PKS6_PS6_S6_ZZZN2at6native31launch_logcumsumexp_cuda_kernelERKNSD_10TensorBaseESH_lENKUlvE_clEvENKUlvE4_clEvEUlS6_S6_E_S6_EEDaPvRmT3_T4_T5_mT6_P12ihipStream_tbENKUlT_T0_E_clISt17integral_constantIbLb1EESY_EEDaST_SU_EUlST_E_NS1_11comp_targetILNS1_3genE9ELNS1_11target_archE1100ELNS1_3gpuE3ELNS1_3repE0EEENS1_30default_config_static_selectorELNS0_4arch9wavefront6targetE0EEEvT1_,comdat
.Lfunc_end472:
	.size	_ZN7rocprim17ROCPRIM_400000_NS6detail17trampoline_kernelINS0_14default_configENS1_20scan_config_selectorIN3c108BFloat16EEEZZNS1_9scan_implILNS1_25lookback_scan_determinismE0ELb0ELb0ES3_PKS6_PS6_S6_ZZZN2at6native31launch_logcumsumexp_cuda_kernelERKNSD_10TensorBaseESH_lENKUlvE_clEvENKUlvE4_clEvEUlS6_S6_E_S6_EEDaPvRmT3_T4_T5_mT6_P12ihipStream_tbENKUlT_T0_E_clISt17integral_constantIbLb1EESY_EEDaST_SU_EUlST_E_NS1_11comp_targetILNS1_3genE9ELNS1_11target_archE1100ELNS1_3gpuE3ELNS1_3repE0EEENS1_30default_config_static_selectorELNS0_4arch9wavefront6targetE0EEEvT1_, .Lfunc_end472-_ZN7rocprim17ROCPRIM_400000_NS6detail17trampoline_kernelINS0_14default_configENS1_20scan_config_selectorIN3c108BFloat16EEEZZNS1_9scan_implILNS1_25lookback_scan_determinismE0ELb0ELb0ES3_PKS6_PS6_S6_ZZZN2at6native31launch_logcumsumexp_cuda_kernelERKNSD_10TensorBaseESH_lENKUlvE_clEvENKUlvE4_clEvEUlS6_S6_E_S6_EEDaPvRmT3_T4_T5_mT6_P12ihipStream_tbENKUlT_T0_E_clISt17integral_constantIbLb1EESY_EEDaST_SU_EUlST_E_NS1_11comp_targetILNS1_3genE9ELNS1_11target_archE1100ELNS1_3gpuE3ELNS1_3repE0EEENS1_30default_config_static_selectorELNS0_4arch9wavefront6targetE0EEEvT1_
                                        ; -- End function
	.set _ZN7rocprim17ROCPRIM_400000_NS6detail17trampoline_kernelINS0_14default_configENS1_20scan_config_selectorIN3c108BFloat16EEEZZNS1_9scan_implILNS1_25lookback_scan_determinismE0ELb0ELb0ES3_PKS6_PS6_S6_ZZZN2at6native31launch_logcumsumexp_cuda_kernelERKNSD_10TensorBaseESH_lENKUlvE_clEvENKUlvE4_clEvEUlS6_S6_E_S6_EEDaPvRmT3_T4_T5_mT6_P12ihipStream_tbENKUlT_T0_E_clISt17integral_constantIbLb1EESY_EEDaST_SU_EUlST_E_NS1_11comp_targetILNS1_3genE9ELNS1_11target_archE1100ELNS1_3gpuE3ELNS1_3repE0EEENS1_30default_config_static_selectorELNS0_4arch9wavefront6targetE0EEEvT1_.num_vgpr, 0
	.set _ZN7rocprim17ROCPRIM_400000_NS6detail17trampoline_kernelINS0_14default_configENS1_20scan_config_selectorIN3c108BFloat16EEEZZNS1_9scan_implILNS1_25lookback_scan_determinismE0ELb0ELb0ES3_PKS6_PS6_S6_ZZZN2at6native31launch_logcumsumexp_cuda_kernelERKNSD_10TensorBaseESH_lENKUlvE_clEvENKUlvE4_clEvEUlS6_S6_E_S6_EEDaPvRmT3_T4_T5_mT6_P12ihipStream_tbENKUlT_T0_E_clISt17integral_constantIbLb1EESY_EEDaST_SU_EUlST_E_NS1_11comp_targetILNS1_3genE9ELNS1_11target_archE1100ELNS1_3gpuE3ELNS1_3repE0EEENS1_30default_config_static_selectorELNS0_4arch9wavefront6targetE0EEEvT1_.num_agpr, 0
	.set _ZN7rocprim17ROCPRIM_400000_NS6detail17trampoline_kernelINS0_14default_configENS1_20scan_config_selectorIN3c108BFloat16EEEZZNS1_9scan_implILNS1_25lookback_scan_determinismE0ELb0ELb0ES3_PKS6_PS6_S6_ZZZN2at6native31launch_logcumsumexp_cuda_kernelERKNSD_10TensorBaseESH_lENKUlvE_clEvENKUlvE4_clEvEUlS6_S6_E_S6_EEDaPvRmT3_T4_T5_mT6_P12ihipStream_tbENKUlT_T0_E_clISt17integral_constantIbLb1EESY_EEDaST_SU_EUlST_E_NS1_11comp_targetILNS1_3genE9ELNS1_11target_archE1100ELNS1_3gpuE3ELNS1_3repE0EEENS1_30default_config_static_selectorELNS0_4arch9wavefront6targetE0EEEvT1_.numbered_sgpr, 0
	.set _ZN7rocprim17ROCPRIM_400000_NS6detail17trampoline_kernelINS0_14default_configENS1_20scan_config_selectorIN3c108BFloat16EEEZZNS1_9scan_implILNS1_25lookback_scan_determinismE0ELb0ELb0ES3_PKS6_PS6_S6_ZZZN2at6native31launch_logcumsumexp_cuda_kernelERKNSD_10TensorBaseESH_lENKUlvE_clEvENKUlvE4_clEvEUlS6_S6_E_S6_EEDaPvRmT3_T4_T5_mT6_P12ihipStream_tbENKUlT_T0_E_clISt17integral_constantIbLb1EESY_EEDaST_SU_EUlST_E_NS1_11comp_targetILNS1_3genE9ELNS1_11target_archE1100ELNS1_3gpuE3ELNS1_3repE0EEENS1_30default_config_static_selectorELNS0_4arch9wavefront6targetE0EEEvT1_.num_named_barrier, 0
	.set _ZN7rocprim17ROCPRIM_400000_NS6detail17trampoline_kernelINS0_14default_configENS1_20scan_config_selectorIN3c108BFloat16EEEZZNS1_9scan_implILNS1_25lookback_scan_determinismE0ELb0ELb0ES3_PKS6_PS6_S6_ZZZN2at6native31launch_logcumsumexp_cuda_kernelERKNSD_10TensorBaseESH_lENKUlvE_clEvENKUlvE4_clEvEUlS6_S6_E_S6_EEDaPvRmT3_T4_T5_mT6_P12ihipStream_tbENKUlT_T0_E_clISt17integral_constantIbLb1EESY_EEDaST_SU_EUlST_E_NS1_11comp_targetILNS1_3genE9ELNS1_11target_archE1100ELNS1_3gpuE3ELNS1_3repE0EEENS1_30default_config_static_selectorELNS0_4arch9wavefront6targetE0EEEvT1_.private_seg_size, 0
	.set _ZN7rocprim17ROCPRIM_400000_NS6detail17trampoline_kernelINS0_14default_configENS1_20scan_config_selectorIN3c108BFloat16EEEZZNS1_9scan_implILNS1_25lookback_scan_determinismE0ELb0ELb0ES3_PKS6_PS6_S6_ZZZN2at6native31launch_logcumsumexp_cuda_kernelERKNSD_10TensorBaseESH_lENKUlvE_clEvENKUlvE4_clEvEUlS6_S6_E_S6_EEDaPvRmT3_T4_T5_mT6_P12ihipStream_tbENKUlT_T0_E_clISt17integral_constantIbLb1EESY_EEDaST_SU_EUlST_E_NS1_11comp_targetILNS1_3genE9ELNS1_11target_archE1100ELNS1_3gpuE3ELNS1_3repE0EEENS1_30default_config_static_selectorELNS0_4arch9wavefront6targetE0EEEvT1_.uses_vcc, 0
	.set _ZN7rocprim17ROCPRIM_400000_NS6detail17trampoline_kernelINS0_14default_configENS1_20scan_config_selectorIN3c108BFloat16EEEZZNS1_9scan_implILNS1_25lookback_scan_determinismE0ELb0ELb0ES3_PKS6_PS6_S6_ZZZN2at6native31launch_logcumsumexp_cuda_kernelERKNSD_10TensorBaseESH_lENKUlvE_clEvENKUlvE4_clEvEUlS6_S6_E_S6_EEDaPvRmT3_T4_T5_mT6_P12ihipStream_tbENKUlT_T0_E_clISt17integral_constantIbLb1EESY_EEDaST_SU_EUlST_E_NS1_11comp_targetILNS1_3genE9ELNS1_11target_archE1100ELNS1_3gpuE3ELNS1_3repE0EEENS1_30default_config_static_selectorELNS0_4arch9wavefront6targetE0EEEvT1_.uses_flat_scratch, 0
	.set _ZN7rocprim17ROCPRIM_400000_NS6detail17trampoline_kernelINS0_14default_configENS1_20scan_config_selectorIN3c108BFloat16EEEZZNS1_9scan_implILNS1_25lookback_scan_determinismE0ELb0ELb0ES3_PKS6_PS6_S6_ZZZN2at6native31launch_logcumsumexp_cuda_kernelERKNSD_10TensorBaseESH_lENKUlvE_clEvENKUlvE4_clEvEUlS6_S6_E_S6_EEDaPvRmT3_T4_T5_mT6_P12ihipStream_tbENKUlT_T0_E_clISt17integral_constantIbLb1EESY_EEDaST_SU_EUlST_E_NS1_11comp_targetILNS1_3genE9ELNS1_11target_archE1100ELNS1_3gpuE3ELNS1_3repE0EEENS1_30default_config_static_selectorELNS0_4arch9wavefront6targetE0EEEvT1_.has_dyn_sized_stack, 0
	.set _ZN7rocprim17ROCPRIM_400000_NS6detail17trampoline_kernelINS0_14default_configENS1_20scan_config_selectorIN3c108BFloat16EEEZZNS1_9scan_implILNS1_25lookback_scan_determinismE0ELb0ELb0ES3_PKS6_PS6_S6_ZZZN2at6native31launch_logcumsumexp_cuda_kernelERKNSD_10TensorBaseESH_lENKUlvE_clEvENKUlvE4_clEvEUlS6_S6_E_S6_EEDaPvRmT3_T4_T5_mT6_P12ihipStream_tbENKUlT_T0_E_clISt17integral_constantIbLb1EESY_EEDaST_SU_EUlST_E_NS1_11comp_targetILNS1_3genE9ELNS1_11target_archE1100ELNS1_3gpuE3ELNS1_3repE0EEENS1_30default_config_static_selectorELNS0_4arch9wavefront6targetE0EEEvT1_.has_recursion, 0
	.set _ZN7rocprim17ROCPRIM_400000_NS6detail17trampoline_kernelINS0_14default_configENS1_20scan_config_selectorIN3c108BFloat16EEEZZNS1_9scan_implILNS1_25lookback_scan_determinismE0ELb0ELb0ES3_PKS6_PS6_S6_ZZZN2at6native31launch_logcumsumexp_cuda_kernelERKNSD_10TensorBaseESH_lENKUlvE_clEvENKUlvE4_clEvEUlS6_S6_E_S6_EEDaPvRmT3_T4_T5_mT6_P12ihipStream_tbENKUlT_T0_E_clISt17integral_constantIbLb1EESY_EEDaST_SU_EUlST_E_NS1_11comp_targetILNS1_3genE9ELNS1_11target_archE1100ELNS1_3gpuE3ELNS1_3repE0EEENS1_30default_config_static_selectorELNS0_4arch9wavefront6targetE0EEEvT1_.has_indirect_call, 0
	.section	.AMDGPU.csdata,"",@progbits
; Kernel info:
; codeLenInByte = 0
; TotalNumSgprs: 0
; NumVgprs: 0
; ScratchSize: 0
; MemoryBound: 0
; FloatMode: 240
; IeeeMode: 1
; LDSByteSize: 0 bytes/workgroup (compile time only)
; SGPRBlocks: 0
; VGPRBlocks: 0
; NumSGPRsForWavesPerEU: 1
; NumVGPRsForWavesPerEU: 1
; Occupancy: 16
; WaveLimiterHint : 0
; COMPUTE_PGM_RSRC2:SCRATCH_EN: 0
; COMPUTE_PGM_RSRC2:USER_SGPR: 2
; COMPUTE_PGM_RSRC2:TRAP_HANDLER: 0
; COMPUTE_PGM_RSRC2:TGID_X_EN: 1
; COMPUTE_PGM_RSRC2:TGID_Y_EN: 0
; COMPUTE_PGM_RSRC2:TGID_Z_EN: 0
; COMPUTE_PGM_RSRC2:TIDIG_COMP_CNT: 0
	.section	.text._ZN7rocprim17ROCPRIM_400000_NS6detail17trampoline_kernelINS0_14default_configENS1_20scan_config_selectorIN3c108BFloat16EEEZZNS1_9scan_implILNS1_25lookback_scan_determinismE0ELb0ELb0ES3_PKS6_PS6_S6_ZZZN2at6native31launch_logcumsumexp_cuda_kernelERKNSD_10TensorBaseESH_lENKUlvE_clEvENKUlvE4_clEvEUlS6_S6_E_S6_EEDaPvRmT3_T4_T5_mT6_P12ihipStream_tbENKUlT_T0_E_clISt17integral_constantIbLb1EESY_EEDaST_SU_EUlST_E_NS1_11comp_targetILNS1_3genE8ELNS1_11target_archE1030ELNS1_3gpuE2ELNS1_3repE0EEENS1_30default_config_static_selectorELNS0_4arch9wavefront6targetE0EEEvT1_,"axG",@progbits,_ZN7rocprim17ROCPRIM_400000_NS6detail17trampoline_kernelINS0_14default_configENS1_20scan_config_selectorIN3c108BFloat16EEEZZNS1_9scan_implILNS1_25lookback_scan_determinismE0ELb0ELb0ES3_PKS6_PS6_S6_ZZZN2at6native31launch_logcumsumexp_cuda_kernelERKNSD_10TensorBaseESH_lENKUlvE_clEvENKUlvE4_clEvEUlS6_S6_E_S6_EEDaPvRmT3_T4_T5_mT6_P12ihipStream_tbENKUlT_T0_E_clISt17integral_constantIbLb1EESY_EEDaST_SU_EUlST_E_NS1_11comp_targetILNS1_3genE8ELNS1_11target_archE1030ELNS1_3gpuE2ELNS1_3repE0EEENS1_30default_config_static_selectorELNS0_4arch9wavefront6targetE0EEEvT1_,comdat
	.globl	_ZN7rocprim17ROCPRIM_400000_NS6detail17trampoline_kernelINS0_14default_configENS1_20scan_config_selectorIN3c108BFloat16EEEZZNS1_9scan_implILNS1_25lookback_scan_determinismE0ELb0ELb0ES3_PKS6_PS6_S6_ZZZN2at6native31launch_logcumsumexp_cuda_kernelERKNSD_10TensorBaseESH_lENKUlvE_clEvENKUlvE4_clEvEUlS6_S6_E_S6_EEDaPvRmT3_T4_T5_mT6_P12ihipStream_tbENKUlT_T0_E_clISt17integral_constantIbLb1EESY_EEDaST_SU_EUlST_E_NS1_11comp_targetILNS1_3genE8ELNS1_11target_archE1030ELNS1_3gpuE2ELNS1_3repE0EEENS1_30default_config_static_selectorELNS0_4arch9wavefront6targetE0EEEvT1_ ; -- Begin function _ZN7rocprim17ROCPRIM_400000_NS6detail17trampoline_kernelINS0_14default_configENS1_20scan_config_selectorIN3c108BFloat16EEEZZNS1_9scan_implILNS1_25lookback_scan_determinismE0ELb0ELb0ES3_PKS6_PS6_S6_ZZZN2at6native31launch_logcumsumexp_cuda_kernelERKNSD_10TensorBaseESH_lENKUlvE_clEvENKUlvE4_clEvEUlS6_S6_E_S6_EEDaPvRmT3_T4_T5_mT6_P12ihipStream_tbENKUlT_T0_E_clISt17integral_constantIbLb1EESY_EEDaST_SU_EUlST_E_NS1_11comp_targetILNS1_3genE8ELNS1_11target_archE1030ELNS1_3gpuE2ELNS1_3repE0EEENS1_30default_config_static_selectorELNS0_4arch9wavefront6targetE0EEEvT1_
	.p2align	8
	.type	_ZN7rocprim17ROCPRIM_400000_NS6detail17trampoline_kernelINS0_14default_configENS1_20scan_config_selectorIN3c108BFloat16EEEZZNS1_9scan_implILNS1_25lookback_scan_determinismE0ELb0ELb0ES3_PKS6_PS6_S6_ZZZN2at6native31launch_logcumsumexp_cuda_kernelERKNSD_10TensorBaseESH_lENKUlvE_clEvENKUlvE4_clEvEUlS6_S6_E_S6_EEDaPvRmT3_T4_T5_mT6_P12ihipStream_tbENKUlT_T0_E_clISt17integral_constantIbLb1EESY_EEDaST_SU_EUlST_E_NS1_11comp_targetILNS1_3genE8ELNS1_11target_archE1030ELNS1_3gpuE2ELNS1_3repE0EEENS1_30default_config_static_selectorELNS0_4arch9wavefront6targetE0EEEvT1_,@function
_ZN7rocprim17ROCPRIM_400000_NS6detail17trampoline_kernelINS0_14default_configENS1_20scan_config_selectorIN3c108BFloat16EEEZZNS1_9scan_implILNS1_25lookback_scan_determinismE0ELb0ELb0ES3_PKS6_PS6_S6_ZZZN2at6native31launch_logcumsumexp_cuda_kernelERKNSD_10TensorBaseESH_lENKUlvE_clEvENKUlvE4_clEvEUlS6_S6_E_S6_EEDaPvRmT3_T4_T5_mT6_P12ihipStream_tbENKUlT_T0_E_clISt17integral_constantIbLb1EESY_EEDaST_SU_EUlST_E_NS1_11comp_targetILNS1_3genE8ELNS1_11target_archE1030ELNS1_3gpuE2ELNS1_3repE0EEENS1_30default_config_static_selectorELNS0_4arch9wavefront6targetE0EEEvT1_: ; @_ZN7rocprim17ROCPRIM_400000_NS6detail17trampoline_kernelINS0_14default_configENS1_20scan_config_selectorIN3c108BFloat16EEEZZNS1_9scan_implILNS1_25lookback_scan_determinismE0ELb0ELb0ES3_PKS6_PS6_S6_ZZZN2at6native31launch_logcumsumexp_cuda_kernelERKNSD_10TensorBaseESH_lENKUlvE_clEvENKUlvE4_clEvEUlS6_S6_E_S6_EEDaPvRmT3_T4_T5_mT6_P12ihipStream_tbENKUlT_T0_E_clISt17integral_constantIbLb1EESY_EEDaST_SU_EUlST_E_NS1_11comp_targetILNS1_3genE8ELNS1_11target_archE1030ELNS1_3gpuE2ELNS1_3repE0EEENS1_30default_config_static_selectorELNS0_4arch9wavefront6targetE0EEEvT1_
; %bb.0:
	.section	.rodata,"a",@progbits
	.p2align	6, 0x0
	.amdhsa_kernel _ZN7rocprim17ROCPRIM_400000_NS6detail17trampoline_kernelINS0_14default_configENS1_20scan_config_selectorIN3c108BFloat16EEEZZNS1_9scan_implILNS1_25lookback_scan_determinismE0ELb0ELb0ES3_PKS6_PS6_S6_ZZZN2at6native31launch_logcumsumexp_cuda_kernelERKNSD_10TensorBaseESH_lENKUlvE_clEvENKUlvE4_clEvEUlS6_S6_E_S6_EEDaPvRmT3_T4_T5_mT6_P12ihipStream_tbENKUlT_T0_E_clISt17integral_constantIbLb1EESY_EEDaST_SU_EUlST_E_NS1_11comp_targetILNS1_3genE8ELNS1_11target_archE1030ELNS1_3gpuE2ELNS1_3repE0EEENS1_30default_config_static_selectorELNS0_4arch9wavefront6targetE0EEEvT1_
		.amdhsa_group_segment_fixed_size 0
		.amdhsa_private_segment_fixed_size 0
		.amdhsa_kernarg_size 96
		.amdhsa_user_sgpr_count 2
		.amdhsa_user_sgpr_dispatch_ptr 0
		.amdhsa_user_sgpr_queue_ptr 0
		.amdhsa_user_sgpr_kernarg_segment_ptr 1
		.amdhsa_user_sgpr_dispatch_id 0
		.amdhsa_user_sgpr_private_segment_size 0
		.amdhsa_wavefront_size32 1
		.amdhsa_uses_dynamic_stack 0
		.amdhsa_enable_private_segment 0
		.amdhsa_system_sgpr_workgroup_id_x 1
		.amdhsa_system_sgpr_workgroup_id_y 0
		.amdhsa_system_sgpr_workgroup_id_z 0
		.amdhsa_system_sgpr_workgroup_info 0
		.amdhsa_system_vgpr_workitem_id 0
		.amdhsa_next_free_vgpr 1
		.amdhsa_next_free_sgpr 1
		.amdhsa_reserve_vcc 0
		.amdhsa_float_round_mode_32 0
		.amdhsa_float_round_mode_16_64 0
		.amdhsa_float_denorm_mode_32 3
		.amdhsa_float_denorm_mode_16_64 3
		.amdhsa_fp16_overflow 0
		.amdhsa_workgroup_processor_mode 1
		.amdhsa_memory_ordered 1
		.amdhsa_forward_progress 1
		.amdhsa_inst_pref_size 0
		.amdhsa_round_robin_scheduling 0
		.amdhsa_exception_fp_ieee_invalid_op 0
		.amdhsa_exception_fp_denorm_src 0
		.amdhsa_exception_fp_ieee_div_zero 0
		.amdhsa_exception_fp_ieee_overflow 0
		.amdhsa_exception_fp_ieee_underflow 0
		.amdhsa_exception_fp_ieee_inexact 0
		.amdhsa_exception_int_div_zero 0
	.end_amdhsa_kernel
	.section	.text._ZN7rocprim17ROCPRIM_400000_NS6detail17trampoline_kernelINS0_14default_configENS1_20scan_config_selectorIN3c108BFloat16EEEZZNS1_9scan_implILNS1_25lookback_scan_determinismE0ELb0ELb0ES3_PKS6_PS6_S6_ZZZN2at6native31launch_logcumsumexp_cuda_kernelERKNSD_10TensorBaseESH_lENKUlvE_clEvENKUlvE4_clEvEUlS6_S6_E_S6_EEDaPvRmT3_T4_T5_mT6_P12ihipStream_tbENKUlT_T0_E_clISt17integral_constantIbLb1EESY_EEDaST_SU_EUlST_E_NS1_11comp_targetILNS1_3genE8ELNS1_11target_archE1030ELNS1_3gpuE2ELNS1_3repE0EEENS1_30default_config_static_selectorELNS0_4arch9wavefront6targetE0EEEvT1_,"axG",@progbits,_ZN7rocprim17ROCPRIM_400000_NS6detail17trampoline_kernelINS0_14default_configENS1_20scan_config_selectorIN3c108BFloat16EEEZZNS1_9scan_implILNS1_25lookback_scan_determinismE0ELb0ELb0ES3_PKS6_PS6_S6_ZZZN2at6native31launch_logcumsumexp_cuda_kernelERKNSD_10TensorBaseESH_lENKUlvE_clEvENKUlvE4_clEvEUlS6_S6_E_S6_EEDaPvRmT3_T4_T5_mT6_P12ihipStream_tbENKUlT_T0_E_clISt17integral_constantIbLb1EESY_EEDaST_SU_EUlST_E_NS1_11comp_targetILNS1_3genE8ELNS1_11target_archE1030ELNS1_3gpuE2ELNS1_3repE0EEENS1_30default_config_static_selectorELNS0_4arch9wavefront6targetE0EEEvT1_,comdat
.Lfunc_end473:
	.size	_ZN7rocprim17ROCPRIM_400000_NS6detail17trampoline_kernelINS0_14default_configENS1_20scan_config_selectorIN3c108BFloat16EEEZZNS1_9scan_implILNS1_25lookback_scan_determinismE0ELb0ELb0ES3_PKS6_PS6_S6_ZZZN2at6native31launch_logcumsumexp_cuda_kernelERKNSD_10TensorBaseESH_lENKUlvE_clEvENKUlvE4_clEvEUlS6_S6_E_S6_EEDaPvRmT3_T4_T5_mT6_P12ihipStream_tbENKUlT_T0_E_clISt17integral_constantIbLb1EESY_EEDaST_SU_EUlST_E_NS1_11comp_targetILNS1_3genE8ELNS1_11target_archE1030ELNS1_3gpuE2ELNS1_3repE0EEENS1_30default_config_static_selectorELNS0_4arch9wavefront6targetE0EEEvT1_, .Lfunc_end473-_ZN7rocprim17ROCPRIM_400000_NS6detail17trampoline_kernelINS0_14default_configENS1_20scan_config_selectorIN3c108BFloat16EEEZZNS1_9scan_implILNS1_25lookback_scan_determinismE0ELb0ELb0ES3_PKS6_PS6_S6_ZZZN2at6native31launch_logcumsumexp_cuda_kernelERKNSD_10TensorBaseESH_lENKUlvE_clEvENKUlvE4_clEvEUlS6_S6_E_S6_EEDaPvRmT3_T4_T5_mT6_P12ihipStream_tbENKUlT_T0_E_clISt17integral_constantIbLb1EESY_EEDaST_SU_EUlST_E_NS1_11comp_targetILNS1_3genE8ELNS1_11target_archE1030ELNS1_3gpuE2ELNS1_3repE0EEENS1_30default_config_static_selectorELNS0_4arch9wavefront6targetE0EEEvT1_
                                        ; -- End function
	.set _ZN7rocprim17ROCPRIM_400000_NS6detail17trampoline_kernelINS0_14default_configENS1_20scan_config_selectorIN3c108BFloat16EEEZZNS1_9scan_implILNS1_25lookback_scan_determinismE0ELb0ELb0ES3_PKS6_PS6_S6_ZZZN2at6native31launch_logcumsumexp_cuda_kernelERKNSD_10TensorBaseESH_lENKUlvE_clEvENKUlvE4_clEvEUlS6_S6_E_S6_EEDaPvRmT3_T4_T5_mT6_P12ihipStream_tbENKUlT_T0_E_clISt17integral_constantIbLb1EESY_EEDaST_SU_EUlST_E_NS1_11comp_targetILNS1_3genE8ELNS1_11target_archE1030ELNS1_3gpuE2ELNS1_3repE0EEENS1_30default_config_static_selectorELNS0_4arch9wavefront6targetE0EEEvT1_.num_vgpr, 0
	.set _ZN7rocprim17ROCPRIM_400000_NS6detail17trampoline_kernelINS0_14default_configENS1_20scan_config_selectorIN3c108BFloat16EEEZZNS1_9scan_implILNS1_25lookback_scan_determinismE0ELb0ELb0ES3_PKS6_PS6_S6_ZZZN2at6native31launch_logcumsumexp_cuda_kernelERKNSD_10TensorBaseESH_lENKUlvE_clEvENKUlvE4_clEvEUlS6_S6_E_S6_EEDaPvRmT3_T4_T5_mT6_P12ihipStream_tbENKUlT_T0_E_clISt17integral_constantIbLb1EESY_EEDaST_SU_EUlST_E_NS1_11comp_targetILNS1_3genE8ELNS1_11target_archE1030ELNS1_3gpuE2ELNS1_3repE0EEENS1_30default_config_static_selectorELNS0_4arch9wavefront6targetE0EEEvT1_.num_agpr, 0
	.set _ZN7rocprim17ROCPRIM_400000_NS6detail17trampoline_kernelINS0_14default_configENS1_20scan_config_selectorIN3c108BFloat16EEEZZNS1_9scan_implILNS1_25lookback_scan_determinismE0ELb0ELb0ES3_PKS6_PS6_S6_ZZZN2at6native31launch_logcumsumexp_cuda_kernelERKNSD_10TensorBaseESH_lENKUlvE_clEvENKUlvE4_clEvEUlS6_S6_E_S6_EEDaPvRmT3_T4_T5_mT6_P12ihipStream_tbENKUlT_T0_E_clISt17integral_constantIbLb1EESY_EEDaST_SU_EUlST_E_NS1_11comp_targetILNS1_3genE8ELNS1_11target_archE1030ELNS1_3gpuE2ELNS1_3repE0EEENS1_30default_config_static_selectorELNS0_4arch9wavefront6targetE0EEEvT1_.numbered_sgpr, 0
	.set _ZN7rocprim17ROCPRIM_400000_NS6detail17trampoline_kernelINS0_14default_configENS1_20scan_config_selectorIN3c108BFloat16EEEZZNS1_9scan_implILNS1_25lookback_scan_determinismE0ELb0ELb0ES3_PKS6_PS6_S6_ZZZN2at6native31launch_logcumsumexp_cuda_kernelERKNSD_10TensorBaseESH_lENKUlvE_clEvENKUlvE4_clEvEUlS6_S6_E_S6_EEDaPvRmT3_T4_T5_mT6_P12ihipStream_tbENKUlT_T0_E_clISt17integral_constantIbLb1EESY_EEDaST_SU_EUlST_E_NS1_11comp_targetILNS1_3genE8ELNS1_11target_archE1030ELNS1_3gpuE2ELNS1_3repE0EEENS1_30default_config_static_selectorELNS0_4arch9wavefront6targetE0EEEvT1_.num_named_barrier, 0
	.set _ZN7rocprim17ROCPRIM_400000_NS6detail17trampoline_kernelINS0_14default_configENS1_20scan_config_selectorIN3c108BFloat16EEEZZNS1_9scan_implILNS1_25lookback_scan_determinismE0ELb0ELb0ES3_PKS6_PS6_S6_ZZZN2at6native31launch_logcumsumexp_cuda_kernelERKNSD_10TensorBaseESH_lENKUlvE_clEvENKUlvE4_clEvEUlS6_S6_E_S6_EEDaPvRmT3_T4_T5_mT6_P12ihipStream_tbENKUlT_T0_E_clISt17integral_constantIbLb1EESY_EEDaST_SU_EUlST_E_NS1_11comp_targetILNS1_3genE8ELNS1_11target_archE1030ELNS1_3gpuE2ELNS1_3repE0EEENS1_30default_config_static_selectorELNS0_4arch9wavefront6targetE0EEEvT1_.private_seg_size, 0
	.set _ZN7rocprim17ROCPRIM_400000_NS6detail17trampoline_kernelINS0_14default_configENS1_20scan_config_selectorIN3c108BFloat16EEEZZNS1_9scan_implILNS1_25lookback_scan_determinismE0ELb0ELb0ES3_PKS6_PS6_S6_ZZZN2at6native31launch_logcumsumexp_cuda_kernelERKNSD_10TensorBaseESH_lENKUlvE_clEvENKUlvE4_clEvEUlS6_S6_E_S6_EEDaPvRmT3_T4_T5_mT6_P12ihipStream_tbENKUlT_T0_E_clISt17integral_constantIbLb1EESY_EEDaST_SU_EUlST_E_NS1_11comp_targetILNS1_3genE8ELNS1_11target_archE1030ELNS1_3gpuE2ELNS1_3repE0EEENS1_30default_config_static_selectorELNS0_4arch9wavefront6targetE0EEEvT1_.uses_vcc, 0
	.set _ZN7rocprim17ROCPRIM_400000_NS6detail17trampoline_kernelINS0_14default_configENS1_20scan_config_selectorIN3c108BFloat16EEEZZNS1_9scan_implILNS1_25lookback_scan_determinismE0ELb0ELb0ES3_PKS6_PS6_S6_ZZZN2at6native31launch_logcumsumexp_cuda_kernelERKNSD_10TensorBaseESH_lENKUlvE_clEvENKUlvE4_clEvEUlS6_S6_E_S6_EEDaPvRmT3_T4_T5_mT6_P12ihipStream_tbENKUlT_T0_E_clISt17integral_constantIbLb1EESY_EEDaST_SU_EUlST_E_NS1_11comp_targetILNS1_3genE8ELNS1_11target_archE1030ELNS1_3gpuE2ELNS1_3repE0EEENS1_30default_config_static_selectorELNS0_4arch9wavefront6targetE0EEEvT1_.uses_flat_scratch, 0
	.set _ZN7rocprim17ROCPRIM_400000_NS6detail17trampoline_kernelINS0_14default_configENS1_20scan_config_selectorIN3c108BFloat16EEEZZNS1_9scan_implILNS1_25lookback_scan_determinismE0ELb0ELb0ES3_PKS6_PS6_S6_ZZZN2at6native31launch_logcumsumexp_cuda_kernelERKNSD_10TensorBaseESH_lENKUlvE_clEvENKUlvE4_clEvEUlS6_S6_E_S6_EEDaPvRmT3_T4_T5_mT6_P12ihipStream_tbENKUlT_T0_E_clISt17integral_constantIbLb1EESY_EEDaST_SU_EUlST_E_NS1_11comp_targetILNS1_3genE8ELNS1_11target_archE1030ELNS1_3gpuE2ELNS1_3repE0EEENS1_30default_config_static_selectorELNS0_4arch9wavefront6targetE0EEEvT1_.has_dyn_sized_stack, 0
	.set _ZN7rocprim17ROCPRIM_400000_NS6detail17trampoline_kernelINS0_14default_configENS1_20scan_config_selectorIN3c108BFloat16EEEZZNS1_9scan_implILNS1_25lookback_scan_determinismE0ELb0ELb0ES3_PKS6_PS6_S6_ZZZN2at6native31launch_logcumsumexp_cuda_kernelERKNSD_10TensorBaseESH_lENKUlvE_clEvENKUlvE4_clEvEUlS6_S6_E_S6_EEDaPvRmT3_T4_T5_mT6_P12ihipStream_tbENKUlT_T0_E_clISt17integral_constantIbLb1EESY_EEDaST_SU_EUlST_E_NS1_11comp_targetILNS1_3genE8ELNS1_11target_archE1030ELNS1_3gpuE2ELNS1_3repE0EEENS1_30default_config_static_selectorELNS0_4arch9wavefront6targetE0EEEvT1_.has_recursion, 0
	.set _ZN7rocprim17ROCPRIM_400000_NS6detail17trampoline_kernelINS0_14default_configENS1_20scan_config_selectorIN3c108BFloat16EEEZZNS1_9scan_implILNS1_25lookback_scan_determinismE0ELb0ELb0ES3_PKS6_PS6_S6_ZZZN2at6native31launch_logcumsumexp_cuda_kernelERKNSD_10TensorBaseESH_lENKUlvE_clEvENKUlvE4_clEvEUlS6_S6_E_S6_EEDaPvRmT3_T4_T5_mT6_P12ihipStream_tbENKUlT_T0_E_clISt17integral_constantIbLb1EESY_EEDaST_SU_EUlST_E_NS1_11comp_targetILNS1_3genE8ELNS1_11target_archE1030ELNS1_3gpuE2ELNS1_3repE0EEENS1_30default_config_static_selectorELNS0_4arch9wavefront6targetE0EEEvT1_.has_indirect_call, 0
	.section	.AMDGPU.csdata,"",@progbits
; Kernel info:
; codeLenInByte = 0
; TotalNumSgprs: 0
; NumVgprs: 0
; ScratchSize: 0
; MemoryBound: 0
; FloatMode: 240
; IeeeMode: 1
; LDSByteSize: 0 bytes/workgroup (compile time only)
; SGPRBlocks: 0
; VGPRBlocks: 0
; NumSGPRsForWavesPerEU: 1
; NumVGPRsForWavesPerEU: 1
; Occupancy: 16
; WaveLimiterHint : 0
; COMPUTE_PGM_RSRC2:SCRATCH_EN: 0
; COMPUTE_PGM_RSRC2:USER_SGPR: 2
; COMPUTE_PGM_RSRC2:TRAP_HANDLER: 0
; COMPUTE_PGM_RSRC2:TGID_X_EN: 1
; COMPUTE_PGM_RSRC2:TGID_Y_EN: 0
; COMPUTE_PGM_RSRC2:TGID_Z_EN: 0
; COMPUTE_PGM_RSRC2:TIDIG_COMP_CNT: 0
	.section	.text._ZN7rocprim17ROCPRIM_400000_NS6detail17trampoline_kernelINS0_14default_configENS1_20scan_config_selectorIN3c108BFloat16EEEZZNS1_9scan_implILNS1_25lookback_scan_determinismE0ELb0ELb0ES3_PKS6_PS6_S6_ZZZN2at6native31launch_logcumsumexp_cuda_kernelERKNSD_10TensorBaseESH_lENKUlvE_clEvENKUlvE4_clEvEUlS6_S6_E_S6_EEDaPvRmT3_T4_T5_mT6_P12ihipStream_tbENKUlT_T0_E_clISt17integral_constantIbLb1EESY_EEDaST_SU_EUlST_E0_NS1_11comp_targetILNS1_3genE0ELNS1_11target_archE4294967295ELNS1_3gpuE0ELNS1_3repE0EEENS1_30default_config_static_selectorELNS0_4arch9wavefront6targetE0EEEvT1_,"axG",@progbits,_ZN7rocprim17ROCPRIM_400000_NS6detail17trampoline_kernelINS0_14default_configENS1_20scan_config_selectorIN3c108BFloat16EEEZZNS1_9scan_implILNS1_25lookback_scan_determinismE0ELb0ELb0ES3_PKS6_PS6_S6_ZZZN2at6native31launch_logcumsumexp_cuda_kernelERKNSD_10TensorBaseESH_lENKUlvE_clEvENKUlvE4_clEvEUlS6_S6_E_S6_EEDaPvRmT3_T4_T5_mT6_P12ihipStream_tbENKUlT_T0_E_clISt17integral_constantIbLb1EESY_EEDaST_SU_EUlST_E0_NS1_11comp_targetILNS1_3genE0ELNS1_11target_archE4294967295ELNS1_3gpuE0ELNS1_3repE0EEENS1_30default_config_static_selectorELNS0_4arch9wavefront6targetE0EEEvT1_,comdat
	.globl	_ZN7rocprim17ROCPRIM_400000_NS6detail17trampoline_kernelINS0_14default_configENS1_20scan_config_selectorIN3c108BFloat16EEEZZNS1_9scan_implILNS1_25lookback_scan_determinismE0ELb0ELb0ES3_PKS6_PS6_S6_ZZZN2at6native31launch_logcumsumexp_cuda_kernelERKNSD_10TensorBaseESH_lENKUlvE_clEvENKUlvE4_clEvEUlS6_S6_E_S6_EEDaPvRmT3_T4_T5_mT6_P12ihipStream_tbENKUlT_T0_E_clISt17integral_constantIbLb1EESY_EEDaST_SU_EUlST_E0_NS1_11comp_targetILNS1_3genE0ELNS1_11target_archE4294967295ELNS1_3gpuE0ELNS1_3repE0EEENS1_30default_config_static_selectorELNS0_4arch9wavefront6targetE0EEEvT1_ ; -- Begin function _ZN7rocprim17ROCPRIM_400000_NS6detail17trampoline_kernelINS0_14default_configENS1_20scan_config_selectorIN3c108BFloat16EEEZZNS1_9scan_implILNS1_25lookback_scan_determinismE0ELb0ELb0ES3_PKS6_PS6_S6_ZZZN2at6native31launch_logcumsumexp_cuda_kernelERKNSD_10TensorBaseESH_lENKUlvE_clEvENKUlvE4_clEvEUlS6_S6_E_S6_EEDaPvRmT3_T4_T5_mT6_P12ihipStream_tbENKUlT_T0_E_clISt17integral_constantIbLb1EESY_EEDaST_SU_EUlST_E0_NS1_11comp_targetILNS1_3genE0ELNS1_11target_archE4294967295ELNS1_3gpuE0ELNS1_3repE0EEENS1_30default_config_static_selectorELNS0_4arch9wavefront6targetE0EEEvT1_
	.p2align	8
	.type	_ZN7rocprim17ROCPRIM_400000_NS6detail17trampoline_kernelINS0_14default_configENS1_20scan_config_selectorIN3c108BFloat16EEEZZNS1_9scan_implILNS1_25lookback_scan_determinismE0ELb0ELb0ES3_PKS6_PS6_S6_ZZZN2at6native31launch_logcumsumexp_cuda_kernelERKNSD_10TensorBaseESH_lENKUlvE_clEvENKUlvE4_clEvEUlS6_S6_E_S6_EEDaPvRmT3_T4_T5_mT6_P12ihipStream_tbENKUlT_T0_E_clISt17integral_constantIbLb1EESY_EEDaST_SU_EUlST_E0_NS1_11comp_targetILNS1_3genE0ELNS1_11target_archE4294967295ELNS1_3gpuE0ELNS1_3repE0EEENS1_30default_config_static_selectorELNS0_4arch9wavefront6targetE0EEEvT1_,@function
_ZN7rocprim17ROCPRIM_400000_NS6detail17trampoline_kernelINS0_14default_configENS1_20scan_config_selectorIN3c108BFloat16EEEZZNS1_9scan_implILNS1_25lookback_scan_determinismE0ELb0ELb0ES3_PKS6_PS6_S6_ZZZN2at6native31launch_logcumsumexp_cuda_kernelERKNSD_10TensorBaseESH_lENKUlvE_clEvENKUlvE4_clEvEUlS6_S6_E_S6_EEDaPvRmT3_T4_T5_mT6_P12ihipStream_tbENKUlT_T0_E_clISt17integral_constantIbLb1EESY_EEDaST_SU_EUlST_E0_NS1_11comp_targetILNS1_3genE0ELNS1_11target_archE4294967295ELNS1_3gpuE0ELNS1_3repE0EEENS1_30default_config_static_selectorELNS0_4arch9wavefront6targetE0EEEvT1_: ; @_ZN7rocprim17ROCPRIM_400000_NS6detail17trampoline_kernelINS0_14default_configENS1_20scan_config_selectorIN3c108BFloat16EEEZZNS1_9scan_implILNS1_25lookback_scan_determinismE0ELb0ELb0ES3_PKS6_PS6_S6_ZZZN2at6native31launch_logcumsumexp_cuda_kernelERKNSD_10TensorBaseESH_lENKUlvE_clEvENKUlvE4_clEvEUlS6_S6_E_S6_EEDaPvRmT3_T4_T5_mT6_P12ihipStream_tbENKUlT_T0_E_clISt17integral_constantIbLb1EESY_EEDaST_SU_EUlST_E0_NS1_11comp_targetILNS1_3genE0ELNS1_11target_archE4294967295ELNS1_3gpuE0ELNS1_3repE0EEENS1_30default_config_static_selectorELNS0_4arch9wavefront6targetE0EEEvT1_
; %bb.0:
	.section	.rodata,"a",@progbits
	.p2align	6, 0x0
	.amdhsa_kernel _ZN7rocprim17ROCPRIM_400000_NS6detail17trampoline_kernelINS0_14default_configENS1_20scan_config_selectorIN3c108BFloat16EEEZZNS1_9scan_implILNS1_25lookback_scan_determinismE0ELb0ELb0ES3_PKS6_PS6_S6_ZZZN2at6native31launch_logcumsumexp_cuda_kernelERKNSD_10TensorBaseESH_lENKUlvE_clEvENKUlvE4_clEvEUlS6_S6_E_S6_EEDaPvRmT3_T4_T5_mT6_P12ihipStream_tbENKUlT_T0_E_clISt17integral_constantIbLb1EESY_EEDaST_SU_EUlST_E0_NS1_11comp_targetILNS1_3genE0ELNS1_11target_archE4294967295ELNS1_3gpuE0ELNS1_3repE0EEENS1_30default_config_static_selectorELNS0_4arch9wavefront6targetE0EEEvT1_
		.amdhsa_group_segment_fixed_size 0
		.amdhsa_private_segment_fixed_size 0
		.amdhsa_kernarg_size 32
		.amdhsa_user_sgpr_count 2
		.amdhsa_user_sgpr_dispatch_ptr 0
		.amdhsa_user_sgpr_queue_ptr 0
		.amdhsa_user_sgpr_kernarg_segment_ptr 1
		.amdhsa_user_sgpr_dispatch_id 0
		.amdhsa_user_sgpr_private_segment_size 0
		.amdhsa_wavefront_size32 1
		.amdhsa_uses_dynamic_stack 0
		.amdhsa_enable_private_segment 0
		.amdhsa_system_sgpr_workgroup_id_x 1
		.amdhsa_system_sgpr_workgroup_id_y 0
		.amdhsa_system_sgpr_workgroup_id_z 0
		.amdhsa_system_sgpr_workgroup_info 0
		.amdhsa_system_vgpr_workitem_id 0
		.amdhsa_next_free_vgpr 1
		.amdhsa_next_free_sgpr 1
		.amdhsa_reserve_vcc 0
		.amdhsa_float_round_mode_32 0
		.amdhsa_float_round_mode_16_64 0
		.amdhsa_float_denorm_mode_32 3
		.amdhsa_float_denorm_mode_16_64 3
		.amdhsa_fp16_overflow 0
		.amdhsa_workgroup_processor_mode 1
		.amdhsa_memory_ordered 1
		.amdhsa_forward_progress 1
		.amdhsa_inst_pref_size 0
		.amdhsa_round_robin_scheduling 0
		.amdhsa_exception_fp_ieee_invalid_op 0
		.amdhsa_exception_fp_denorm_src 0
		.amdhsa_exception_fp_ieee_div_zero 0
		.amdhsa_exception_fp_ieee_overflow 0
		.amdhsa_exception_fp_ieee_underflow 0
		.amdhsa_exception_fp_ieee_inexact 0
		.amdhsa_exception_int_div_zero 0
	.end_amdhsa_kernel
	.section	.text._ZN7rocprim17ROCPRIM_400000_NS6detail17trampoline_kernelINS0_14default_configENS1_20scan_config_selectorIN3c108BFloat16EEEZZNS1_9scan_implILNS1_25lookback_scan_determinismE0ELb0ELb0ES3_PKS6_PS6_S6_ZZZN2at6native31launch_logcumsumexp_cuda_kernelERKNSD_10TensorBaseESH_lENKUlvE_clEvENKUlvE4_clEvEUlS6_S6_E_S6_EEDaPvRmT3_T4_T5_mT6_P12ihipStream_tbENKUlT_T0_E_clISt17integral_constantIbLb1EESY_EEDaST_SU_EUlST_E0_NS1_11comp_targetILNS1_3genE0ELNS1_11target_archE4294967295ELNS1_3gpuE0ELNS1_3repE0EEENS1_30default_config_static_selectorELNS0_4arch9wavefront6targetE0EEEvT1_,"axG",@progbits,_ZN7rocprim17ROCPRIM_400000_NS6detail17trampoline_kernelINS0_14default_configENS1_20scan_config_selectorIN3c108BFloat16EEEZZNS1_9scan_implILNS1_25lookback_scan_determinismE0ELb0ELb0ES3_PKS6_PS6_S6_ZZZN2at6native31launch_logcumsumexp_cuda_kernelERKNSD_10TensorBaseESH_lENKUlvE_clEvENKUlvE4_clEvEUlS6_S6_E_S6_EEDaPvRmT3_T4_T5_mT6_P12ihipStream_tbENKUlT_T0_E_clISt17integral_constantIbLb1EESY_EEDaST_SU_EUlST_E0_NS1_11comp_targetILNS1_3genE0ELNS1_11target_archE4294967295ELNS1_3gpuE0ELNS1_3repE0EEENS1_30default_config_static_selectorELNS0_4arch9wavefront6targetE0EEEvT1_,comdat
.Lfunc_end474:
	.size	_ZN7rocprim17ROCPRIM_400000_NS6detail17trampoline_kernelINS0_14default_configENS1_20scan_config_selectorIN3c108BFloat16EEEZZNS1_9scan_implILNS1_25lookback_scan_determinismE0ELb0ELb0ES3_PKS6_PS6_S6_ZZZN2at6native31launch_logcumsumexp_cuda_kernelERKNSD_10TensorBaseESH_lENKUlvE_clEvENKUlvE4_clEvEUlS6_S6_E_S6_EEDaPvRmT3_T4_T5_mT6_P12ihipStream_tbENKUlT_T0_E_clISt17integral_constantIbLb1EESY_EEDaST_SU_EUlST_E0_NS1_11comp_targetILNS1_3genE0ELNS1_11target_archE4294967295ELNS1_3gpuE0ELNS1_3repE0EEENS1_30default_config_static_selectorELNS0_4arch9wavefront6targetE0EEEvT1_, .Lfunc_end474-_ZN7rocprim17ROCPRIM_400000_NS6detail17trampoline_kernelINS0_14default_configENS1_20scan_config_selectorIN3c108BFloat16EEEZZNS1_9scan_implILNS1_25lookback_scan_determinismE0ELb0ELb0ES3_PKS6_PS6_S6_ZZZN2at6native31launch_logcumsumexp_cuda_kernelERKNSD_10TensorBaseESH_lENKUlvE_clEvENKUlvE4_clEvEUlS6_S6_E_S6_EEDaPvRmT3_T4_T5_mT6_P12ihipStream_tbENKUlT_T0_E_clISt17integral_constantIbLb1EESY_EEDaST_SU_EUlST_E0_NS1_11comp_targetILNS1_3genE0ELNS1_11target_archE4294967295ELNS1_3gpuE0ELNS1_3repE0EEENS1_30default_config_static_selectorELNS0_4arch9wavefront6targetE0EEEvT1_
                                        ; -- End function
	.set _ZN7rocprim17ROCPRIM_400000_NS6detail17trampoline_kernelINS0_14default_configENS1_20scan_config_selectorIN3c108BFloat16EEEZZNS1_9scan_implILNS1_25lookback_scan_determinismE0ELb0ELb0ES3_PKS6_PS6_S6_ZZZN2at6native31launch_logcumsumexp_cuda_kernelERKNSD_10TensorBaseESH_lENKUlvE_clEvENKUlvE4_clEvEUlS6_S6_E_S6_EEDaPvRmT3_T4_T5_mT6_P12ihipStream_tbENKUlT_T0_E_clISt17integral_constantIbLb1EESY_EEDaST_SU_EUlST_E0_NS1_11comp_targetILNS1_3genE0ELNS1_11target_archE4294967295ELNS1_3gpuE0ELNS1_3repE0EEENS1_30default_config_static_selectorELNS0_4arch9wavefront6targetE0EEEvT1_.num_vgpr, 0
	.set _ZN7rocprim17ROCPRIM_400000_NS6detail17trampoline_kernelINS0_14default_configENS1_20scan_config_selectorIN3c108BFloat16EEEZZNS1_9scan_implILNS1_25lookback_scan_determinismE0ELb0ELb0ES3_PKS6_PS6_S6_ZZZN2at6native31launch_logcumsumexp_cuda_kernelERKNSD_10TensorBaseESH_lENKUlvE_clEvENKUlvE4_clEvEUlS6_S6_E_S6_EEDaPvRmT3_T4_T5_mT6_P12ihipStream_tbENKUlT_T0_E_clISt17integral_constantIbLb1EESY_EEDaST_SU_EUlST_E0_NS1_11comp_targetILNS1_3genE0ELNS1_11target_archE4294967295ELNS1_3gpuE0ELNS1_3repE0EEENS1_30default_config_static_selectorELNS0_4arch9wavefront6targetE0EEEvT1_.num_agpr, 0
	.set _ZN7rocprim17ROCPRIM_400000_NS6detail17trampoline_kernelINS0_14default_configENS1_20scan_config_selectorIN3c108BFloat16EEEZZNS1_9scan_implILNS1_25lookback_scan_determinismE0ELb0ELb0ES3_PKS6_PS6_S6_ZZZN2at6native31launch_logcumsumexp_cuda_kernelERKNSD_10TensorBaseESH_lENKUlvE_clEvENKUlvE4_clEvEUlS6_S6_E_S6_EEDaPvRmT3_T4_T5_mT6_P12ihipStream_tbENKUlT_T0_E_clISt17integral_constantIbLb1EESY_EEDaST_SU_EUlST_E0_NS1_11comp_targetILNS1_3genE0ELNS1_11target_archE4294967295ELNS1_3gpuE0ELNS1_3repE0EEENS1_30default_config_static_selectorELNS0_4arch9wavefront6targetE0EEEvT1_.numbered_sgpr, 0
	.set _ZN7rocprim17ROCPRIM_400000_NS6detail17trampoline_kernelINS0_14default_configENS1_20scan_config_selectorIN3c108BFloat16EEEZZNS1_9scan_implILNS1_25lookback_scan_determinismE0ELb0ELb0ES3_PKS6_PS6_S6_ZZZN2at6native31launch_logcumsumexp_cuda_kernelERKNSD_10TensorBaseESH_lENKUlvE_clEvENKUlvE4_clEvEUlS6_S6_E_S6_EEDaPvRmT3_T4_T5_mT6_P12ihipStream_tbENKUlT_T0_E_clISt17integral_constantIbLb1EESY_EEDaST_SU_EUlST_E0_NS1_11comp_targetILNS1_3genE0ELNS1_11target_archE4294967295ELNS1_3gpuE0ELNS1_3repE0EEENS1_30default_config_static_selectorELNS0_4arch9wavefront6targetE0EEEvT1_.num_named_barrier, 0
	.set _ZN7rocprim17ROCPRIM_400000_NS6detail17trampoline_kernelINS0_14default_configENS1_20scan_config_selectorIN3c108BFloat16EEEZZNS1_9scan_implILNS1_25lookback_scan_determinismE0ELb0ELb0ES3_PKS6_PS6_S6_ZZZN2at6native31launch_logcumsumexp_cuda_kernelERKNSD_10TensorBaseESH_lENKUlvE_clEvENKUlvE4_clEvEUlS6_S6_E_S6_EEDaPvRmT3_T4_T5_mT6_P12ihipStream_tbENKUlT_T0_E_clISt17integral_constantIbLb1EESY_EEDaST_SU_EUlST_E0_NS1_11comp_targetILNS1_3genE0ELNS1_11target_archE4294967295ELNS1_3gpuE0ELNS1_3repE0EEENS1_30default_config_static_selectorELNS0_4arch9wavefront6targetE0EEEvT1_.private_seg_size, 0
	.set _ZN7rocprim17ROCPRIM_400000_NS6detail17trampoline_kernelINS0_14default_configENS1_20scan_config_selectorIN3c108BFloat16EEEZZNS1_9scan_implILNS1_25lookback_scan_determinismE0ELb0ELb0ES3_PKS6_PS6_S6_ZZZN2at6native31launch_logcumsumexp_cuda_kernelERKNSD_10TensorBaseESH_lENKUlvE_clEvENKUlvE4_clEvEUlS6_S6_E_S6_EEDaPvRmT3_T4_T5_mT6_P12ihipStream_tbENKUlT_T0_E_clISt17integral_constantIbLb1EESY_EEDaST_SU_EUlST_E0_NS1_11comp_targetILNS1_3genE0ELNS1_11target_archE4294967295ELNS1_3gpuE0ELNS1_3repE0EEENS1_30default_config_static_selectorELNS0_4arch9wavefront6targetE0EEEvT1_.uses_vcc, 0
	.set _ZN7rocprim17ROCPRIM_400000_NS6detail17trampoline_kernelINS0_14default_configENS1_20scan_config_selectorIN3c108BFloat16EEEZZNS1_9scan_implILNS1_25lookback_scan_determinismE0ELb0ELb0ES3_PKS6_PS6_S6_ZZZN2at6native31launch_logcumsumexp_cuda_kernelERKNSD_10TensorBaseESH_lENKUlvE_clEvENKUlvE4_clEvEUlS6_S6_E_S6_EEDaPvRmT3_T4_T5_mT6_P12ihipStream_tbENKUlT_T0_E_clISt17integral_constantIbLb1EESY_EEDaST_SU_EUlST_E0_NS1_11comp_targetILNS1_3genE0ELNS1_11target_archE4294967295ELNS1_3gpuE0ELNS1_3repE0EEENS1_30default_config_static_selectorELNS0_4arch9wavefront6targetE0EEEvT1_.uses_flat_scratch, 0
	.set _ZN7rocprim17ROCPRIM_400000_NS6detail17trampoline_kernelINS0_14default_configENS1_20scan_config_selectorIN3c108BFloat16EEEZZNS1_9scan_implILNS1_25lookback_scan_determinismE0ELb0ELb0ES3_PKS6_PS6_S6_ZZZN2at6native31launch_logcumsumexp_cuda_kernelERKNSD_10TensorBaseESH_lENKUlvE_clEvENKUlvE4_clEvEUlS6_S6_E_S6_EEDaPvRmT3_T4_T5_mT6_P12ihipStream_tbENKUlT_T0_E_clISt17integral_constantIbLb1EESY_EEDaST_SU_EUlST_E0_NS1_11comp_targetILNS1_3genE0ELNS1_11target_archE4294967295ELNS1_3gpuE0ELNS1_3repE0EEENS1_30default_config_static_selectorELNS0_4arch9wavefront6targetE0EEEvT1_.has_dyn_sized_stack, 0
	.set _ZN7rocprim17ROCPRIM_400000_NS6detail17trampoline_kernelINS0_14default_configENS1_20scan_config_selectorIN3c108BFloat16EEEZZNS1_9scan_implILNS1_25lookback_scan_determinismE0ELb0ELb0ES3_PKS6_PS6_S6_ZZZN2at6native31launch_logcumsumexp_cuda_kernelERKNSD_10TensorBaseESH_lENKUlvE_clEvENKUlvE4_clEvEUlS6_S6_E_S6_EEDaPvRmT3_T4_T5_mT6_P12ihipStream_tbENKUlT_T0_E_clISt17integral_constantIbLb1EESY_EEDaST_SU_EUlST_E0_NS1_11comp_targetILNS1_3genE0ELNS1_11target_archE4294967295ELNS1_3gpuE0ELNS1_3repE0EEENS1_30default_config_static_selectorELNS0_4arch9wavefront6targetE0EEEvT1_.has_recursion, 0
	.set _ZN7rocprim17ROCPRIM_400000_NS6detail17trampoline_kernelINS0_14default_configENS1_20scan_config_selectorIN3c108BFloat16EEEZZNS1_9scan_implILNS1_25lookback_scan_determinismE0ELb0ELb0ES3_PKS6_PS6_S6_ZZZN2at6native31launch_logcumsumexp_cuda_kernelERKNSD_10TensorBaseESH_lENKUlvE_clEvENKUlvE4_clEvEUlS6_S6_E_S6_EEDaPvRmT3_T4_T5_mT6_P12ihipStream_tbENKUlT_T0_E_clISt17integral_constantIbLb1EESY_EEDaST_SU_EUlST_E0_NS1_11comp_targetILNS1_3genE0ELNS1_11target_archE4294967295ELNS1_3gpuE0ELNS1_3repE0EEENS1_30default_config_static_selectorELNS0_4arch9wavefront6targetE0EEEvT1_.has_indirect_call, 0
	.section	.AMDGPU.csdata,"",@progbits
; Kernel info:
; codeLenInByte = 0
; TotalNumSgprs: 0
; NumVgprs: 0
; ScratchSize: 0
; MemoryBound: 0
; FloatMode: 240
; IeeeMode: 1
; LDSByteSize: 0 bytes/workgroup (compile time only)
; SGPRBlocks: 0
; VGPRBlocks: 0
; NumSGPRsForWavesPerEU: 1
; NumVGPRsForWavesPerEU: 1
; Occupancy: 16
; WaveLimiterHint : 0
; COMPUTE_PGM_RSRC2:SCRATCH_EN: 0
; COMPUTE_PGM_RSRC2:USER_SGPR: 2
; COMPUTE_PGM_RSRC2:TRAP_HANDLER: 0
; COMPUTE_PGM_RSRC2:TGID_X_EN: 1
; COMPUTE_PGM_RSRC2:TGID_Y_EN: 0
; COMPUTE_PGM_RSRC2:TGID_Z_EN: 0
; COMPUTE_PGM_RSRC2:TIDIG_COMP_CNT: 0
	.section	.text._ZN7rocprim17ROCPRIM_400000_NS6detail17trampoline_kernelINS0_14default_configENS1_20scan_config_selectorIN3c108BFloat16EEEZZNS1_9scan_implILNS1_25lookback_scan_determinismE0ELb0ELb0ES3_PKS6_PS6_S6_ZZZN2at6native31launch_logcumsumexp_cuda_kernelERKNSD_10TensorBaseESH_lENKUlvE_clEvENKUlvE4_clEvEUlS6_S6_E_S6_EEDaPvRmT3_T4_T5_mT6_P12ihipStream_tbENKUlT_T0_E_clISt17integral_constantIbLb1EESY_EEDaST_SU_EUlST_E0_NS1_11comp_targetILNS1_3genE5ELNS1_11target_archE942ELNS1_3gpuE9ELNS1_3repE0EEENS1_30default_config_static_selectorELNS0_4arch9wavefront6targetE0EEEvT1_,"axG",@progbits,_ZN7rocprim17ROCPRIM_400000_NS6detail17trampoline_kernelINS0_14default_configENS1_20scan_config_selectorIN3c108BFloat16EEEZZNS1_9scan_implILNS1_25lookback_scan_determinismE0ELb0ELb0ES3_PKS6_PS6_S6_ZZZN2at6native31launch_logcumsumexp_cuda_kernelERKNSD_10TensorBaseESH_lENKUlvE_clEvENKUlvE4_clEvEUlS6_S6_E_S6_EEDaPvRmT3_T4_T5_mT6_P12ihipStream_tbENKUlT_T0_E_clISt17integral_constantIbLb1EESY_EEDaST_SU_EUlST_E0_NS1_11comp_targetILNS1_3genE5ELNS1_11target_archE942ELNS1_3gpuE9ELNS1_3repE0EEENS1_30default_config_static_selectorELNS0_4arch9wavefront6targetE0EEEvT1_,comdat
	.globl	_ZN7rocprim17ROCPRIM_400000_NS6detail17trampoline_kernelINS0_14default_configENS1_20scan_config_selectorIN3c108BFloat16EEEZZNS1_9scan_implILNS1_25lookback_scan_determinismE0ELb0ELb0ES3_PKS6_PS6_S6_ZZZN2at6native31launch_logcumsumexp_cuda_kernelERKNSD_10TensorBaseESH_lENKUlvE_clEvENKUlvE4_clEvEUlS6_S6_E_S6_EEDaPvRmT3_T4_T5_mT6_P12ihipStream_tbENKUlT_T0_E_clISt17integral_constantIbLb1EESY_EEDaST_SU_EUlST_E0_NS1_11comp_targetILNS1_3genE5ELNS1_11target_archE942ELNS1_3gpuE9ELNS1_3repE0EEENS1_30default_config_static_selectorELNS0_4arch9wavefront6targetE0EEEvT1_ ; -- Begin function _ZN7rocprim17ROCPRIM_400000_NS6detail17trampoline_kernelINS0_14default_configENS1_20scan_config_selectorIN3c108BFloat16EEEZZNS1_9scan_implILNS1_25lookback_scan_determinismE0ELb0ELb0ES3_PKS6_PS6_S6_ZZZN2at6native31launch_logcumsumexp_cuda_kernelERKNSD_10TensorBaseESH_lENKUlvE_clEvENKUlvE4_clEvEUlS6_S6_E_S6_EEDaPvRmT3_T4_T5_mT6_P12ihipStream_tbENKUlT_T0_E_clISt17integral_constantIbLb1EESY_EEDaST_SU_EUlST_E0_NS1_11comp_targetILNS1_3genE5ELNS1_11target_archE942ELNS1_3gpuE9ELNS1_3repE0EEENS1_30default_config_static_selectorELNS0_4arch9wavefront6targetE0EEEvT1_
	.p2align	8
	.type	_ZN7rocprim17ROCPRIM_400000_NS6detail17trampoline_kernelINS0_14default_configENS1_20scan_config_selectorIN3c108BFloat16EEEZZNS1_9scan_implILNS1_25lookback_scan_determinismE0ELb0ELb0ES3_PKS6_PS6_S6_ZZZN2at6native31launch_logcumsumexp_cuda_kernelERKNSD_10TensorBaseESH_lENKUlvE_clEvENKUlvE4_clEvEUlS6_S6_E_S6_EEDaPvRmT3_T4_T5_mT6_P12ihipStream_tbENKUlT_T0_E_clISt17integral_constantIbLb1EESY_EEDaST_SU_EUlST_E0_NS1_11comp_targetILNS1_3genE5ELNS1_11target_archE942ELNS1_3gpuE9ELNS1_3repE0EEENS1_30default_config_static_selectorELNS0_4arch9wavefront6targetE0EEEvT1_,@function
_ZN7rocprim17ROCPRIM_400000_NS6detail17trampoline_kernelINS0_14default_configENS1_20scan_config_selectorIN3c108BFloat16EEEZZNS1_9scan_implILNS1_25lookback_scan_determinismE0ELb0ELb0ES3_PKS6_PS6_S6_ZZZN2at6native31launch_logcumsumexp_cuda_kernelERKNSD_10TensorBaseESH_lENKUlvE_clEvENKUlvE4_clEvEUlS6_S6_E_S6_EEDaPvRmT3_T4_T5_mT6_P12ihipStream_tbENKUlT_T0_E_clISt17integral_constantIbLb1EESY_EEDaST_SU_EUlST_E0_NS1_11comp_targetILNS1_3genE5ELNS1_11target_archE942ELNS1_3gpuE9ELNS1_3repE0EEENS1_30default_config_static_selectorELNS0_4arch9wavefront6targetE0EEEvT1_: ; @_ZN7rocprim17ROCPRIM_400000_NS6detail17trampoline_kernelINS0_14default_configENS1_20scan_config_selectorIN3c108BFloat16EEEZZNS1_9scan_implILNS1_25lookback_scan_determinismE0ELb0ELb0ES3_PKS6_PS6_S6_ZZZN2at6native31launch_logcumsumexp_cuda_kernelERKNSD_10TensorBaseESH_lENKUlvE_clEvENKUlvE4_clEvEUlS6_S6_E_S6_EEDaPvRmT3_T4_T5_mT6_P12ihipStream_tbENKUlT_T0_E_clISt17integral_constantIbLb1EESY_EEDaST_SU_EUlST_E0_NS1_11comp_targetILNS1_3genE5ELNS1_11target_archE942ELNS1_3gpuE9ELNS1_3repE0EEENS1_30default_config_static_selectorELNS0_4arch9wavefront6targetE0EEEvT1_
; %bb.0:
	.section	.rodata,"a",@progbits
	.p2align	6, 0x0
	.amdhsa_kernel _ZN7rocprim17ROCPRIM_400000_NS6detail17trampoline_kernelINS0_14default_configENS1_20scan_config_selectorIN3c108BFloat16EEEZZNS1_9scan_implILNS1_25lookback_scan_determinismE0ELb0ELb0ES3_PKS6_PS6_S6_ZZZN2at6native31launch_logcumsumexp_cuda_kernelERKNSD_10TensorBaseESH_lENKUlvE_clEvENKUlvE4_clEvEUlS6_S6_E_S6_EEDaPvRmT3_T4_T5_mT6_P12ihipStream_tbENKUlT_T0_E_clISt17integral_constantIbLb1EESY_EEDaST_SU_EUlST_E0_NS1_11comp_targetILNS1_3genE5ELNS1_11target_archE942ELNS1_3gpuE9ELNS1_3repE0EEENS1_30default_config_static_selectorELNS0_4arch9wavefront6targetE0EEEvT1_
		.amdhsa_group_segment_fixed_size 0
		.amdhsa_private_segment_fixed_size 0
		.amdhsa_kernarg_size 32
		.amdhsa_user_sgpr_count 2
		.amdhsa_user_sgpr_dispatch_ptr 0
		.amdhsa_user_sgpr_queue_ptr 0
		.amdhsa_user_sgpr_kernarg_segment_ptr 1
		.amdhsa_user_sgpr_dispatch_id 0
		.amdhsa_user_sgpr_private_segment_size 0
		.amdhsa_wavefront_size32 1
		.amdhsa_uses_dynamic_stack 0
		.amdhsa_enable_private_segment 0
		.amdhsa_system_sgpr_workgroup_id_x 1
		.amdhsa_system_sgpr_workgroup_id_y 0
		.amdhsa_system_sgpr_workgroup_id_z 0
		.amdhsa_system_sgpr_workgroup_info 0
		.amdhsa_system_vgpr_workitem_id 0
		.amdhsa_next_free_vgpr 1
		.amdhsa_next_free_sgpr 1
		.amdhsa_reserve_vcc 0
		.amdhsa_float_round_mode_32 0
		.amdhsa_float_round_mode_16_64 0
		.amdhsa_float_denorm_mode_32 3
		.amdhsa_float_denorm_mode_16_64 3
		.amdhsa_fp16_overflow 0
		.amdhsa_workgroup_processor_mode 1
		.amdhsa_memory_ordered 1
		.amdhsa_forward_progress 1
		.amdhsa_inst_pref_size 0
		.amdhsa_round_robin_scheduling 0
		.amdhsa_exception_fp_ieee_invalid_op 0
		.amdhsa_exception_fp_denorm_src 0
		.amdhsa_exception_fp_ieee_div_zero 0
		.amdhsa_exception_fp_ieee_overflow 0
		.amdhsa_exception_fp_ieee_underflow 0
		.amdhsa_exception_fp_ieee_inexact 0
		.amdhsa_exception_int_div_zero 0
	.end_amdhsa_kernel
	.section	.text._ZN7rocprim17ROCPRIM_400000_NS6detail17trampoline_kernelINS0_14default_configENS1_20scan_config_selectorIN3c108BFloat16EEEZZNS1_9scan_implILNS1_25lookback_scan_determinismE0ELb0ELb0ES3_PKS6_PS6_S6_ZZZN2at6native31launch_logcumsumexp_cuda_kernelERKNSD_10TensorBaseESH_lENKUlvE_clEvENKUlvE4_clEvEUlS6_S6_E_S6_EEDaPvRmT3_T4_T5_mT6_P12ihipStream_tbENKUlT_T0_E_clISt17integral_constantIbLb1EESY_EEDaST_SU_EUlST_E0_NS1_11comp_targetILNS1_3genE5ELNS1_11target_archE942ELNS1_3gpuE9ELNS1_3repE0EEENS1_30default_config_static_selectorELNS0_4arch9wavefront6targetE0EEEvT1_,"axG",@progbits,_ZN7rocprim17ROCPRIM_400000_NS6detail17trampoline_kernelINS0_14default_configENS1_20scan_config_selectorIN3c108BFloat16EEEZZNS1_9scan_implILNS1_25lookback_scan_determinismE0ELb0ELb0ES3_PKS6_PS6_S6_ZZZN2at6native31launch_logcumsumexp_cuda_kernelERKNSD_10TensorBaseESH_lENKUlvE_clEvENKUlvE4_clEvEUlS6_S6_E_S6_EEDaPvRmT3_T4_T5_mT6_P12ihipStream_tbENKUlT_T0_E_clISt17integral_constantIbLb1EESY_EEDaST_SU_EUlST_E0_NS1_11comp_targetILNS1_3genE5ELNS1_11target_archE942ELNS1_3gpuE9ELNS1_3repE0EEENS1_30default_config_static_selectorELNS0_4arch9wavefront6targetE0EEEvT1_,comdat
.Lfunc_end475:
	.size	_ZN7rocprim17ROCPRIM_400000_NS6detail17trampoline_kernelINS0_14default_configENS1_20scan_config_selectorIN3c108BFloat16EEEZZNS1_9scan_implILNS1_25lookback_scan_determinismE0ELb0ELb0ES3_PKS6_PS6_S6_ZZZN2at6native31launch_logcumsumexp_cuda_kernelERKNSD_10TensorBaseESH_lENKUlvE_clEvENKUlvE4_clEvEUlS6_S6_E_S6_EEDaPvRmT3_T4_T5_mT6_P12ihipStream_tbENKUlT_T0_E_clISt17integral_constantIbLb1EESY_EEDaST_SU_EUlST_E0_NS1_11comp_targetILNS1_3genE5ELNS1_11target_archE942ELNS1_3gpuE9ELNS1_3repE0EEENS1_30default_config_static_selectorELNS0_4arch9wavefront6targetE0EEEvT1_, .Lfunc_end475-_ZN7rocprim17ROCPRIM_400000_NS6detail17trampoline_kernelINS0_14default_configENS1_20scan_config_selectorIN3c108BFloat16EEEZZNS1_9scan_implILNS1_25lookback_scan_determinismE0ELb0ELb0ES3_PKS6_PS6_S6_ZZZN2at6native31launch_logcumsumexp_cuda_kernelERKNSD_10TensorBaseESH_lENKUlvE_clEvENKUlvE4_clEvEUlS6_S6_E_S6_EEDaPvRmT3_T4_T5_mT6_P12ihipStream_tbENKUlT_T0_E_clISt17integral_constantIbLb1EESY_EEDaST_SU_EUlST_E0_NS1_11comp_targetILNS1_3genE5ELNS1_11target_archE942ELNS1_3gpuE9ELNS1_3repE0EEENS1_30default_config_static_selectorELNS0_4arch9wavefront6targetE0EEEvT1_
                                        ; -- End function
	.set _ZN7rocprim17ROCPRIM_400000_NS6detail17trampoline_kernelINS0_14default_configENS1_20scan_config_selectorIN3c108BFloat16EEEZZNS1_9scan_implILNS1_25lookback_scan_determinismE0ELb0ELb0ES3_PKS6_PS6_S6_ZZZN2at6native31launch_logcumsumexp_cuda_kernelERKNSD_10TensorBaseESH_lENKUlvE_clEvENKUlvE4_clEvEUlS6_S6_E_S6_EEDaPvRmT3_T4_T5_mT6_P12ihipStream_tbENKUlT_T0_E_clISt17integral_constantIbLb1EESY_EEDaST_SU_EUlST_E0_NS1_11comp_targetILNS1_3genE5ELNS1_11target_archE942ELNS1_3gpuE9ELNS1_3repE0EEENS1_30default_config_static_selectorELNS0_4arch9wavefront6targetE0EEEvT1_.num_vgpr, 0
	.set _ZN7rocprim17ROCPRIM_400000_NS6detail17trampoline_kernelINS0_14default_configENS1_20scan_config_selectorIN3c108BFloat16EEEZZNS1_9scan_implILNS1_25lookback_scan_determinismE0ELb0ELb0ES3_PKS6_PS6_S6_ZZZN2at6native31launch_logcumsumexp_cuda_kernelERKNSD_10TensorBaseESH_lENKUlvE_clEvENKUlvE4_clEvEUlS6_S6_E_S6_EEDaPvRmT3_T4_T5_mT6_P12ihipStream_tbENKUlT_T0_E_clISt17integral_constantIbLb1EESY_EEDaST_SU_EUlST_E0_NS1_11comp_targetILNS1_3genE5ELNS1_11target_archE942ELNS1_3gpuE9ELNS1_3repE0EEENS1_30default_config_static_selectorELNS0_4arch9wavefront6targetE0EEEvT1_.num_agpr, 0
	.set _ZN7rocprim17ROCPRIM_400000_NS6detail17trampoline_kernelINS0_14default_configENS1_20scan_config_selectorIN3c108BFloat16EEEZZNS1_9scan_implILNS1_25lookback_scan_determinismE0ELb0ELb0ES3_PKS6_PS6_S6_ZZZN2at6native31launch_logcumsumexp_cuda_kernelERKNSD_10TensorBaseESH_lENKUlvE_clEvENKUlvE4_clEvEUlS6_S6_E_S6_EEDaPvRmT3_T4_T5_mT6_P12ihipStream_tbENKUlT_T0_E_clISt17integral_constantIbLb1EESY_EEDaST_SU_EUlST_E0_NS1_11comp_targetILNS1_3genE5ELNS1_11target_archE942ELNS1_3gpuE9ELNS1_3repE0EEENS1_30default_config_static_selectorELNS0_4arch9wavefront6targetE0EEEvT1_.numbered_sgpr, 0
	.set _ZN7rocprim17ROCPRIM_400000_NS6detail17trampoline_kernelINS0_14default_configENS1_20scan_config_selectorIN3c108BFloat16EEEZZNS1_9scan_implILNS1_25lookback_scan_determinismE0ELb0ELb0ES3_PKS6_PS6_S6_ZZZN2at6native31launch_logcumsumexp_cuda_kernelERKNSD_10TensorBaseESH_lENKUlvE_clEvENKUlvE4_clEvEUlS6_S6_E_S6_EEDaPvRmT3_T4_T5_mT6_P12ihipStream_tbENKUlT_T0_E_clISt17integral_constantIbLb1EESY_EEDaST_SU_EUlST_E0_NS1_11comp_targetILNS1_3genE5ELNS1_11target_archE942ELNS1_3gpuE9ELNS1_3repE0EEENS1_30default_config_static_selectorELNS0_4arch9wavefront6targetE0EEEvT1_.num_named_barrier, 0
	.set _ZN7rocprim17ROCPRIM_400000_NS6detail17trampoline_kernelINS0_14default_configENS1_20scan_config_selectorIN3c108BFloat16EEEZZNS1_9scan_implILNS1_25lookback_scan_determinismE0ELb0ELb0ES3_PKS6_PS6_S6_ZZZN2at6native31launch_logcumsumexp_cuda_kernelERKNSD_10TensorBaseESH_lENKUlvE_clEvENKUlvE4_clEvEUlS6_S6_E_S6_EEDaPvRmT3_T4_T5_mT6_P12ihipStream_tbENKUlT_T0_E_clISt17integral_constantIbLb1EESY_EEDaST_SU_EUlST_E0_NS1_11comp_targetILNS1_3genE5ELNS1_11target_archE942ELNS1_3gpuE9ELNS1_3repE0EEENS1_30default_config_static_selectorELNS0_4arch9wavefront6targetE0EEEvT1_.private_seg_size, 0
	.set _ZN7rocprim17ROCPRIM_400000_NS6detail17trampoline_kernelINS0_14default_configENS1_20scan_config_selectorIN3c108BFloat16EEEZZNS1_9scan_implILNS1_25lookback_scan_determinismE0ELb0ELb0ES3_PKS6_PS6_S6_ZZZN2at6native31launch_logcumsumexp_cuda_kernelERKNSD_10TensorBaseESH_lENKUlvE_clEvENKUlvE4_clEvEUlS6_S6_E_S6_EEDaPvRmT3_T4_T5_mT6_P12ihipStream_tbENKUlT_T0_E_clISt17integral_constantIbLb1EESY_EEDaST_SU_EUlST_E0_NS1_11comp_targetILNS1_3genE5ELNS1_11target_archE942ELNS1_3gpuE9ELNS1_3repE0EEENS1_30default_config_static_selectorELNS0_4arch9wavefront6targetE0EEEvT1_.uses_vcc, 0
	.set _ZN7rocprim17ROCPRIM_400000_NS6detail17trampoline_kernelINS0_14default_configENS1_20scan_config_selectorIN3c108BFloat16EEEZZNS1_9scan_implILNS1_25lookback_scan_determinismE0ELb0ELb0ES3_PKS6_PS6_S6_ZZZN2at6native31launch_logcumsumexp_cuda_kernelERKNSD_10TensorBaseESH_lENKUlvE_clEvENKUlvE4_clEvEUlS6_S6_E_S6_EEDaPvRmT3_T4_T5_mT6_P12ihipStream_tbENKUlT_T0_E_clISt17integral_constantIbLb1EESY_EEDaST_SU_EUlST_E0_NS1_11comp_targetILNS1_3genE5ELNS1_11target_archE942ELNS1_3gpuE9ELNS1_3repE0EEENS1_30default_config_static_selectorELNS0_4arch9wavefront6targetE0EEEvT1_.uses_flat_scratch, 0
	.set _ZN7rocprim17ROCPRIM_400000_NS6detail17trampoline_kernelINS0_14default_configENS1_20scan_config_selectorIN3c108BFloat16EEEZZNS1_9scan_implILNS1_25lookback_scan_determinismE0ELb0ELb0ES3_PKS6_PS6_S6_ZZZN2at6native31launch_logcumsumexp_cuda_kernelERKNSD_10TensorBaseESH_lENKUlvE_clEvENKUlvE4_clEvEUlS6_S6_E_S6_EEDaPvRmT3_T4_T5_mT6_P12ihipStream_tbENKUlT_T0_E_clISt17integral_constantIbLb1EESY_EEDaST_SU_EUlST_E0_NS1_11comp_targetILNS1_3genE5ELNS1_11target_archE942ELNS1_3gpuE9ELNS1_3repE0EEENS1_30default_config_static_selectorELNS0_4arch9wavefront6targetE0EEEvT1_.has_dyn_sized_stack, 0
	.set _ZN7rocprim17ROCPRIM_400000_NS6detail17trampoline_kernelINS0_14default_configENS1_20scan_config_selectorIN3c108BFloat16EEEZZNS1_9scan_implILNS1_25lookback_scan_determinismE0ELb0ELb0ES3_PKS6_PS6_S6_ZZZN2at6native31launch_logcumsumexp_cuda_kernelERKNSD_10TensorBaseESH_lENKUlvE_clEvENKUlvE4_clEvEUlS6_S6_E_S6_EEDaPvRmT3_T4_T5_mT6_P12ihipStream_tbENKUlT_T0_E_clISt17integral_constantIbLb1EESY_EEDaST_SU_EUlST_E0_NS1_11comp_targetILNS1_3genE5ELNS1_11target_archE942ELNS1_3gpuE9ELNS1_3repE0EEENS1_30default_config_static_selectorELNS0_4arch9wavefront6targetE0EEEvT1_.has_recursion, 0
	.set _ZN7rocprim17ROCPRIM_400000_NS6detail17trampoline_kernelINS0_14default_configENS1_20scan_config_selectorIN3c108BFloat16EEEZZNS1_9scan_implILNS1_25lookback_scan_determinismE0ELb0ELb0ES3_PKS6_PS6_S6_ZZZN2at6native31launch_logcumsumexp_cuda_kernelERKNSD_10TensorBaseESH_lENKUlvE_clEvENKUlvE4_clEvEUlS6_S6_E_S6_EEDaPvRmT3_T4_T5_mT6_P12ihipStream_tbENKUlT_T0_E_clISt17integral_constantIbLb1EESY_EEDaST_SU_EUlST_E0_NS1_11comp_targetILNS1_3genE5ELNS1_11target_archE942ELNS1_3gpuE9ELNS1_3repE0EEENS1_30default_config_static_selectorELNS0_4arch9wavefront6targetE0EEEvT1_.has_indirect_call, 0
	.section	.AMDGPU.csdata,"",@progbits
; Kernel info:
; codeLenInByte = 0
; TotalNumSgprs: 0
; NumVgprs: 0
; ScratchSize: 0
; MemoryBound: 0
; FloatMode: 240
; IeeeMode: 1
; LDSByteSize: 0 bytes/workgroup (compile time only)
; SGPRBlocks: 0
; VGPRBlocks: 0
; NumSGPRsForWavesPerEU: 1
; NumVGPRsForWavesPerEU: 1
; Occupancy: 16
; WaveLimiterHint : 0
; COMPUTE_PGM_RSRC2:SCRATCH_EN: 0
; COMPUTE_PGM_RSRC2:USER_SGPR: 2
; COMPUTE_PGM_RSRC2:TRAP_HANDLER: 0
; COMPUTE_PGM_RSRC2:TGID_X_EN: 1
; COMPUTE_PGM_RSRC2:TGID_Y_EN: 0
; COMPUTE_PGM_RSRC2:TGID_Z_EN: 0
; COMPUTE_PGM_RSRC2:TIDIG_COMP_CNT: 0
	.section	.text._ZN7rocprim17ROCPRIM_400000_NS6detail17trampoline_kernelINS0_14default_configENS1_20scan_config_selectorIN3c108BFloat16EEEZZNS1_9scan_implILNS1_25lookback_scan_determinismE0ELb0ELb0ES3_PKS6_PS6_S6_ZZZN2at6native31launch_logcumsumexp_cuda_kernelERKNSD_10TensorBaseESH_lENKUlvE_clEvENKUlvE4_clEvEUlS6_S6_E_S6_EEDaPvRmT3_T4_T5_mT6_P12ihipStream_tbENKUlT_T0_E_clISt17integral_constantIbLb1EESY_EEDaST_SU_EUlST_E0_NS1_11comp_targetILNS1_3genE4ELNS1_11target_archE910ELNS1_3gpuE8ELNS1_3repE0EEENS1_30default_config_static_selectorELNS0_4arch9wavefront6targetE0EEEvT1_,"axG",@progbits,_ZN7rocprim17ROCPRIM_400000_NS6detail17trampoline_kernelINS0_14default_configENS1_20scan_config_selectorIN3c108BFloat16EEEZZNS1_9scan_implILNS1_25lookback_scan_determinismE0ELb0ELb0ES3_PKS6_PS6_S6_ZZZN2at6native31launch_logcumsumexp_cuda_kernelERKNSD_10TensorBaseESH_lENKUlvE_clEvENKUlvE4_clEvEUlS6_S6_E_S6_EEDaPvRmT3_T4_T5_mT6_P12ihipStream_tbENKUlT_T0_E_clISt17integral_constantIbLb1EESY_EEDaST_SU_EUlST_E0_NS1_11comp_targetILNS1_3genE4ELNS1_11target_archE910ELNS1_3gpuE8ELNS1_3repE0EEENS1_30default_config_static_selectorELNS0_4arch9wavefront6targetE0EEEvT1_,comdat
	.globl	_ZN7rocprim17ROCPRIM_400000_NS6detail17trampoline_kernelINS0_14default_configENS1_20scan_config_selectorIN3c108BFloat16EEEZZNS1_9scan_implILNS1_25lookback_scan_determinismE0ELb0ELb0ES3_PKS6_PS6_S6_ZZZN2at6native31launch_logcumsumexp_cuda_kernelERKNSD_10TensorBaseESH_lENKUlvE_clEvENKUlvE4_clEvEUlS6_S6_E_S6_EEDaPvRmT3_T4_T5_mT6_P12ihipStream_tbENKUlT_T0_E_clISt17integral_constantIbLb1EESY_EEDaST_SU_EUlST_E0_NS1_11comp_targetILNS1_3genE4ELNS1_11target_archE910ELNS1_3gpuE8ELNS1_3repE0EEENS1_30default_config_static_selectorELNS0_4arch9wavefront6targetE0EEEvT1_ ; -- Begin function _ZN7rocprim17ROCPRIM_400000_NS6detail17trampoline_kernelINS0_14default_configENS1_20scan_config_selectorIN3c108BFloat16EEEZZNS1_9scan_implILNS1_25lookback_scan_determinismE0ELb0ELb0ES3_PKS6_PS6_S6_ZZZN2at6native31launch_logcumsumexp_cuda_kernelERKNSD_10TensorBaseESH_lENKUlvE_clEvENKUlvE4_clEvEUlS6_S6_E_S6_EEDaPvRmT3_T4_T5_mT6_P12ihipStream_tbENKUlT_T0_E_clISt17integral_constantIbLb1EESY_EEDaST_SU_EUlST_E0_NS1_11comp_targetILNS1_3genE4ELNS1_11target_archE910ELNS1_3gpuE8ELNS1_3repE0EEENS1_30default_config_static_selectorELNS0_4arch9wavefront6targetE0EEEvT1_
	.p2align	8
	.type	_ZN7rocprim17ROCPRIM_400000_NS6detail17trampoline_kernelINS0_14default_configENS1_20scan_config_selectorIN3c108BFloat16EEEZZNS1_9scan_implILNS1_25lookback_scan_determinismE0ELb0ELb0ES3_PKS6_PS6_S6_ZZZN2at6native31launch_logcumsumexp_cuda_kernelERKNSD_10TensorBaseESH_lENKUlvE_clEvENKUlvE4_clEvEUlS6_S6_E_S6_EEDaPvRmT3_T4_T5_mT6_P12ihipStream_tbENKUlT_T0_E_clISt17integral_constantIbLb1EESY_EEDaST_SU_EUlST_E0_NS1_11comp_targetILNS1_3genE4ELNS1_11target_archE910ELNS1_3gpuE8ELNS1_3repE0EEENS1_30default_config_static_selectorELNS0_4arch9wavefront6targetE0EEEvT1_,@function
_ZN7rocprim17ROCPRIM_400000_NS6detail17trampoline_kernelINS0_14default_configENS1_20scan_config_selectorIN3c108BFloat16EEEZZNS1_9scan_implILNS1_25lookback_scan_determinismE0ELb0ELb0ES3_PKS6_PS6_S6_ZZZN2at6native31launch_logcumsumexp_cuda_kernelERKNSD_10TensorBaseESH_lENKUlvE_clEvENKUlvE4_clEvEUlS6_S6_E_S6_EEDaPvRmT3_T4_T5_mT6_P12ihipStream_tbENKUlT_T0_E_clISt17integral_constantIbLb1EESY_EEDaST_SU_EUlST_E0_NS1_11comp_targetILNS1_3genE4ELNS1_11target_archE910ELNS1_3gpuE8ELNS1_3repE0EEENS1_30default_config_static_selectorELNS0_4arch9wavefront6targetE0EEEvT1_: ; @_ZN7rocprim17ROCPRIM_400000_NS6detail17trampoline_kernelINS0_14default_configENS1_20scan_config_selectorIN3c108BFloat16EEEZZNS1_9scan_implILNS1_25lookback_scan_determinismE0ELb0ELb0ES3_PKS6_PS6_S6_ZZZN2at6native31launch_logcumsumexp_cuda_kernelERKNSD_10TensorBaseESH_lENKUlvE_clEvENKUlvE4_clEvEUlS6_S6_E_S6_EEDaPvRmT3_T4_T5_mT6_P12ihipStream_tbENKUlT_T0_E_clISt17integral_constantIbLb1EESY_EEDaST_SU_EUlST_E0_NS1_11comp_targetILNS1_3genE4ELNS1_11target_archE910ELNS1_3gpuE8ELNS1_3repE0EEENS1_30default_config_static_selectorELNS0_4arch9wavefront6targetE0EEEvT1_
; %bb.0:
	.section	.rodata,"a",@progbits
	.p2align	6, 0x0
	.amdhsa_kernel _ZN7rocprim17ROCPRIM_400000_NS6detail17trampoline_kernelINS0_14default_configENS1_20scan_config_selectorIN3c108BFloat16EEEZZNS1_9scan_implILNS1_25lookback_scan_determinismE0ELb0ELb0ES3_PKS6_PS6_S6_ZZZN2at6native31launch_logcumsumexp_cuda_kernelERKNSD_10TensorBaseESH_lENKUlvE_clEvENKUlvE4_clEvEUlS6_S6_E_S6_EEDaPvRmT3_T4_T5_mT6_P12ihipStream_tbENKUlT_T0_E_clISt17integral_constantIbLb1EESY_EEDaST_SU_EUlST_E0_NS1_11comp_targetILNS1_3genE4ELNS1_11target_archE910ELNS1_3gpuE8ELNS1_3repE0EEENS1_30default_config_static_selectorELNS0_4arch9wavefront6targetE0EEEvT1_
		.amdhsa_group_segment_fixed_size 0
		.amdhsa_private_segment_fixed_size 0
		.amdhsa_kernarg_size 32
		.amdhsa_user_sgpr_count 2
		.amdhsa_user_sgpr_dispatch_ptr 0
		.amdhsa_user_sgpr_queue_ptr 0
		.amdhsa_user_sgpr_kernarg_segment_ptr 1
		.amdhsa_user_sgpr_dispatch_id 0
		.amdhsa_user_sgpr_private_segment_size 0
		.amdhsa_wavefront_size32 1
		.amdhsa_uses_dynamic_stack 0
		.amdhsa_enable_private_segment 0
		.amdhsa_system_sgpr_workgroup_id_x 1
		.amdhsa_system_sgpr_workgroup_id_y 0
		.amdhsa_system_sgpr_workgroup_id_z 0
		.amdhsa_system_sgpr_workgroup_info 0
		.amdhsa_system_vgpr_workitem_id 0
		.amdhsa_next_free_vgpr 1
		.amdhsa_next_free_sgpr 1
		.amdhsa_reserve_vcc 0
		.amdhsa_float_round_mode_32 0
		.amdhsa_float_round_mode_16_64 0
		.amdhsa_float_denorm_mode_32 3
		.amdhsa_float_denorm_mode_16_64 3
		.amdhsa_fp16_overflow 0
		.amdhsa_workgroup_processor_mode 1
		.amdhsa_memory_ordered 1
		.amdhsa_forward_progress 1
		.amdhsa_inst_pref_size 0
		.amdhsa_round_robin_scheduling 0
		.amdhsa_exception_fp_ieee_invalid_op 0
		.amdhsa_exception_fp_denorm_src 0
		.amdhsa_exception_fp_ieee_div_zero 0
		.amdhsa_exception_fp_ieee_overflow 0
		.amdhsa_exception_fp_ieee_underflow 0
		.amdhsa_exception_fp_ieee_inexact 0
		.amdhsa_exception_int_div_zero 0
	.end_amdhsa_kernel
	.section	.text._ZN7rocprim17ROCPRIM_400000_NS6detail17trampoline_kernelINS0_14default_configENS1_20scan_config_selectorIN3c108BFloat16EEEZZNS1_9scan_implILNS1_25lookback_scan_determinismE0ELb0ELb0ES3_PKS6_PS6_S6_ZZZN2at6native31launch_logcumsumexp_cuda_kernelERKNSD_10TensorBaseESH_lENKUlvE_clEvENKUlvE4_clEvEUlS6_S6_E_S6_EEDaPvRmT3_T4_T5_mT6_P12ihipStream_tbENKUlT_T0_E_clISt17integral_constantIbLb1EESY_EEDaST_SU_EUlST_E0_NS1_11comp_targetILNS1_3genE4ELNS1_11target_archE910ELNS1_3gpuE8ELNS1_3repE0EEENS1_30default_config_static_selectorELNS0_4arch9wavefront6targetE0EEEvT1_,"axG",@progbits,_ZN7rocprim17ROCPRIM_400000_NS6detail17trampoline_kernelINS0_14default_configENS1_20scan_config_selectorIN3c108BFloat16EEEZZNS1_9scan_implILNS1_25lookback_scan_determinismE0ELb0ELb0ES3_PKS6_PS6_S6_ZZZN2at6native31launch_logcumsumexp_cuda_kernelERKNSD_10TensorBaseESH_lENKUlvE_clEvENKUlvE4_clEvEUlS6_S6_E_S6_EEDaPvRmT3_T4_T5_mT6_P12ihipStream_tbENKUlT_T0_E_clISt17integral_constantIbLb1EESY_EEDaST_SU_EUlST_E0_NS1_11comp_targetILNS1_3genE4ELNS1_11target_archE910ELNS1_3gpuE8ELNS1_3repE0EEENS1_30default_config_static_selectorELNS0_4arch9wavefront6targetE0EEEvT1_,comdat
.Lfunc_end476:
	.size	_ZN7rocprim17ROCPRIM_400000_NS6detail17trampoline_kernelINS0_14default_configENS1_20scan_config_selectorIN3c108BFloat16EEEZZNS1_9scan_implILNS1_25lookback_scan_determinismE0ELb0ELb0ES3_PKS6_PS6_S6_ZZZN2at6native31launch_logcumsumexp_cuda_kernelERKNSD_10TensorBaseESH_lENKUlvE_clEvENKUlvE4_clEvEUlS6_S6_E_S6_EEDaPvRmT3_T4_T5_mT6_P12ihipStream_tbENKUlT_T0_E_clISt17integral_constantIbLb1EESY_EEDaST_SU_EUlST_E0_NS1_11comp_targetILNS1_3genE4ELNS1_11target_archE910ELNS1_3gpuE8ELNS1_3repE0EEENS1_30default_config_static_selectorELNS0_4arch9wavefront6targetE0EEEvT1_, .Lfunc_end476-_ZN7rocprim17ROCPRIM_400000_NS6detail17trampoline_kernelINS0_14default_configENS1_20scan_config_selectorIN3c108BFloat16EEEZZNS1_9scan_implILNS1_25lookback_scan_determinismE0ELb0ELb0ES3_PKS6_PS6_S6_ZZZN2at6native31launch_logcumsumexp_cuda_kernelERKNSD_10TensorBaseESH_lENKUlvE_clEvENKUlvE4_clEvEUlS6_S6_E_S6_EEDaPvRmT3_T4_T5_mT6_P12ihipStream_tbENKUlT_T0_E_clISt17integral_constantIbLb1EESY_EEDaST_SU_EUlST_E0_NS1_11comp_targetILNS1_3genE4ELNS1_11target_archE910ELNS1_3gpuE8ELNS1_3repE0EEENS1_30default_config_static_selectorELNS0_4arch9wavefront6targetE0EEEvT1_
                                        ; -- End function
	.set _ZN7rocprim17ROCPRIM_400000_NS6detail17trampoline_kernelINS0_14default_configENS1_20scan_config_selectorIN3c108BFloat16EEEZZNS1_9scan_implILNS1_25lookback_scan_determinismE0ELb0ELb0ES3_PKS6_PS6_S6_ZZZN2at6native31launch_logcumsumexp_cuda_kernelERKNSD_10TensorBaseESH_lENKUlvE_clEvENKUlvE4_clEvEUlS6_S6_E_S6_EEDaPvRmT3_T4_T5_mT6_P12ihipStream_tbENKUlT_T0_E_clISt17integral_constantIbLb1EESY_EEDaST_SU_EUlST_E0_NS1_11comp_targetILNS1_3genE4ELNS1_11target_archE910ELNS1_3gpuE8ELNS1_3repE0EEENS1_30default_config_static_selectorELNS0_4arch9wavefront6targetE0EEEvT1_.num_vgpr, 0
	.set _ZN7rocprim17ROCPRIM_400000_NS6detail17trampoline_kernelINS0_14default_configENS1_20scan_config_selectorIN3c108BFloat16EEEZZNS1_9scan_implILNS1_25lookback_scan_determinismE0ELb0ELb0ES3_PKS6_PS6_S6_ZZZN2at6native31launch_logcumsumexp_cuda_kernelERKNSD_10TensorBaseESH_lENKUlvE_clEvENKUlvE4_clEvEUlS6_S6_E_S6_EEDaPvRmT3_T4_T5_mT6_P12ihipStream_tbENKUlT_T0_E_clISt17integral_constantIbLb1EESY_EEDaST_SU_EUlST_E0_NS1_11comp_targetILNS1_3genE4ELNS1_11target_archE910ELNS1_3gpuE8ELNS1_3repE0EEENS1_30default_config_static_selectorELNS0_4arch9wavefront6targetE0EEEvT1_.num_agpr, 0
	.set _ZN7rocprim17ROCPRIM_400000_NS6detail17trampoline_kernelINS0_14default_configENS1_20scan_config_selectorIN3c108BFloat16EEEZZNS1_9scan_implILNS1_25lookback_scan_determinismE0ELb0ELb0ES3_PKS6_PS6_S6_ZZZN2at6native31launch_logcumsumexp_cuda_kernelERKNSD_10TensorBaseESH_lENKUlvE_clEvENKUlvE4_clEvEUlS6_S6_E_S6_EEDaPvRmT3_T4_T5_mT6_P12ihipStream_tbENKUlT_T0_E_clISt17integral_constantIbLb1EESY_EEDaST_SU_EUlST_E0_NS1_11comp_targetILNS1_3genE4ELNS1_11target_archE910ELNS1_3gpuE8ELNS1_3repE0EEENS1_30default_config_static_selectorELNS0_4arch9wavefront6targetE0EEEvT1_.numbered_sgpr, 0
	.set _ZN7rocprim17ROCPRIM_400000_NS6detail17trampoline_kernelINS0_14default_configENS1_20scan_config_selectorIN3c108BFloat16EEEZZNS1_9scan_implILNS1_25lookback_scan_determinismE0ELb0ELb0ES3_PKS6_PS6_S6_ZZZN2at6native31launch_logcumsumexp_cuda_kernelERKNSD_10TensorBaseESH_lENKUlvE_clEvENKUlvE4_clEvEUlS6_S6_E_S6_EEDaPvRmT3_T4_T5_mT6_P12ihipStream_tbENKUlT_T0_E_clISt17integral_constantIbLb1EESY_EEDaST_SU_EUlST_E0_NS1_11comp_targetILNS1_3genE4ELNS1_11target_archE910ELNS1_3gpuE8ELNS1_3repE0EEENS1_30default_config_static_selectorELNS0_4arch9wavefront6targetE0EEEvT1_.num_named_barrier, 0
	.set _ZN7rocprim17ROCPRIM_400000_NS6detail17trampoline_kernelINS0_14default_configENS1_20scan_config_selectorIN3c108BFloat16EEEZZNS1_9scan_implILNS1_25lookback_scan_determinismE0ELb0ELb0ES3_PKS6_PS6_S6_ZZZN2at6native31launch_logcumsumexp_cuda_kernelERKNSD_10TensorBaseESH_lENKUlvE_clEvENKUlvE4_clEvEUlS6_S6_E_S6_EEDaPvRmT3_T4_T5_mT6_P12ihipStream_tbENKUlT_T0_E_clISt17integral_constantIbLb1EESY_EEDaST_SU_EUlST_E0_NS1_11comp_targetILNS1_3genE4ELNS1_11target_archE910ELNS1_3gpuE8ELNS1_3repE0EEENS1_30default_config_static_selectorELNS0_4arch9wavefront6targetE0EEEvT1_.private_seg_size, 0
	.set _ZN7rocprim17ROCPRIM_400000_NS6detail17trampoline_kernelINS0_14default_configENS1_20scan_config_selectorIN3c108BFloat16EEEZZNS1_9scan_implILNS1_25lookback_scan_determinismE0ELb0ELb0ES3_PKS6_PS6_S6_ZZZN2at6native31launch_logcumsumexp_cuda_kernelERKNSD_10TensorBaseESH_lENKUlvE_clEvENKUlvE4_clEvEUlS6_S6_E_S6_EEDaPvRmT3_T4_T5_mT6_P12ihipStream_tbENKUlT_T0_E_clISt17integral_constantIbLb1EESY_EEDaST_SU_EUlST_E0_NS1_11comp_targetILNS1_3genE4ELNS1_11target_archE910ELNS1_3gpuE8ELNS1_3repE0EEENS1_30default_config_static_selectorELNS0_4arch9wavefront6targetE0EEEvT1_.uses_vcc, 0
	.set _ZN7rocprim17ROCPRIM_400000_NS6detail17trampoline_kernelINS0_14default_configENS1_20scan_config_selectorIN3c108BFloat16EEEZZNS1_9scan_implILNS1_25lookback_scan_determinismE0ELb0ELb0ES3_PKS6_PS6_S6_ZZZN2at6native31launch_logcumsumexp_cuda_kernelERKNSD_10TensorBaseESH_lENKUlvE_clEvENKUlvE4_clEvEUlS6_S6_E_S6_EEDaPvRmT3_T4_T5_mT6_P12ihipStream_tbENKUlT_T0_E_clISt17integral_constantIbLb1EESY_EEDaST_SU_EUlST_E0_NS1_11comp_targetILNS1_3genE4ELNS1_11target_archE910ELNS1_3gpuE8ELNS1_3repE0EEENS1_30default_config_static_selectorELNS0_4arch9wavefront6targetE0EEEvT1_.uses_flat_scratch, 0
	.set _ZN7rocprim17ROCPRIM_400000_NS6detail17trampoline_kernelINS0_14default_configENS1_20scan_config_selectorIN3c108BFloat16EEEZZNS1_9scan_implILNS1_25lookback_scan_determinismE0ELb0ELb0ES3_PKS6_PS6_S6_ZZZN2at6native31launch_logcumsumexp_cuda_kernelERKNSD_10TensorBaseESH_lENKUlvE_clEvENKUlvE4_clEvEUlS6_S6_E_S6_EEDaPvRmT3_T4_T5_mT6_P12ihipStream_tbENKUlT_T0_E_clISt17integral_constantIbLb1EESY_EEDaST_SU_EUlST_E0_NS1_11comp_targetILNS1_3genE4ELNS1_11target_archE910ELNS1_3gpuE8ELNS1_3repE0EEENS1_30default_config_static_selectorELNS0_4arch9wavefront6targetE0EEEvT1_.has_dyn_sized_stack, 0
	.set _ZN7rocprim17ROCPRIM_400000_NS6detail17trampoline_kernelINS0_14default_configENS1_20scan_config_selectorIN3c108BFloat16EEEZZNS1_9scan_implILNS1_25lookback_scan_determinismE0ELb0ELb0ES3_PKS6_PS6_S6_ZZZN2at6native31launch_logcumsumexp_cuda_kernelERKNSD_10TensorBaseESH_lENKUlvE_clEvENKUlvE4_clEvEUlS6_S6_E_S6_EEDaPvRmT3_T4_T5_mT6_P12ihipStream_tbENKUlT_T0_E_clISt17integral_constantIbLb1EESY_EEDaST_SU_EUlST_E0_NS1_11comp_targetILNS1_3genE4ELNS1_11target_archE910ELNS1_3gpuE8ELNS1_3repE0EEENS1_30default_config_static_selectorELNS0_4arch9wavefront6targetE0EEEvT1_.has_recursion, 0
	.set _ZN7rocprim17ROCPRIM_400000_NS6detail17trampoline_kernelINS0_14default_configENS1_20scan_config_selectorIN3c108BFloat16EEEZZNS1_9scan_implILNS1_25lookback_scan_determinismE0ELb0ELb0ES3_PKS6_PS6_S6_ZZZN2at6native31launch_logcumsumexp_cuda_kernelERKNSD_10TensorBaseESH_lENKUlvE_clEvENKUlvE4_clEvEUlS6_S6_E_S6_EEDaPvRmT3_T4_T5_mT6_P12ihipStream_tbENKUlT_T0_E_clISt17integral_constantIbLb1EESY_EEDaST_SU_EUlST_E0_NS1_11comp_targetILNS1_3genE4ELNS1_11target_archE910ELNS1_3gpuE8ELNS1_3repE0EEENS1_30default_config_static_selectorELNS0_4arch9wavefront6targetE0EEEvT1_.has_indirect_call, 0
	.section	.AMDGPU.csdata,"",@progbits
; Kernel info:
; codeLenInByte = 0
; TotalNumSgprs: 0
; NumVgprs: 0
; ScratchSize: 0
; MemoryBound: 0
; FloatMode: 240
; IeeeMode: 1
; LDSByteSize: 0 bytes/workgroup (compile time only)
; SGPRBlocks: 0
; VGPRBlocks: 0
; NumSGPRsForWavesPerEU: 1
; NumVGPRsForWavesPerEU: 1
; Occupancy: 16
; WaveLimiterHint : 0
; COMPUTE_PGM_RSRC2:SCRATCH_EN: 0
; COMPUTE_PGM_RSRC2:USER_SGPR: 2
; COMPUTE_PGM_RSRC2:TRAP_HANDLER: 0
; COMPUTE_PGM_RSRC2:TGID_X_EN: 1
; COMPUTE_PGM_RSRC2:TGID_Y_EN: 0
; COMPUTE_PGM_RSRC2:TGID_Z_EN: 0
; COMPUTE_PGM_RSRC2:TIDIG_COMP_CNT: 0
	.section	.text._ZN7rocprim17ROCPRIM_400000_NS6detail17trampoline_kernelINS0_14default_configENS1_20scan_config_selectorIN3c108BFloat16EEEZZNS1_9scan_implILNS1_25lookback_scan_determinismE0ELb0ELb0ES3_PKS6_PS6_S6_ZZZN2at6native31launch_logcumsumexp_cuda_kernelERKNSD_10TensorBaseESH_lENKUlvE_clEvENKUlvE4_clEvEUlS6_S6_E_S6_EEDaPvRmT3_T4_T5_mT6_P12ihipStream_tbENKUlT_T0_E_clISt17integral_constantIbLb1EESY_EEDaST_SU_EUlST_E0_NS1_11comp_targetILNS1_3genE3ELNS1_11target_archE908ELNS1_3gpuE7ELNS1_3repE0EEENS1_30default_config_static_selectorELNS0_4arch9wavefront6targetE0EEEvT1_,"axG",@progbits,_ZN7rocprim17ROCPRIM_400000_NS6detail17trampoline_kernelINS0_14default_configENS1_20scan_config_selectorIN3c108BFloat16EEEZZNS1_9scan_implILNS1_25lookback_scan_determinismE0ELb0ELb0ES3_PKS6_PS6_S6_ZZZN2at6native31launch_logcumsumexp_cuda_kernelERKNSD_10TensorBaseESH_lENKUlvE_clEvENKUlvE4_clEvEUlS6_S6_E_S6_EEDaPvRmT3_T4_T5_mT6_P12ihipStream_tbENKUlT_T0_E_clISt17integral_constantIbLb1EESY_EEDaST_SU_EUlST_E0_NS1_11comp_targetILNS1_3genE3ELNS1_11target_archE908ELNS1_3gpuE7ELNS1_3repE0EEENS1_30default_config_static_selectorELNS0_4arch9wavefront6targetE0EEEvT1_,comdat
	.globl	_ZN7rocprim17ROCPRIM_400000_NS6detail17trampoline_kernelINS0_14default_configENS1_20scan_config_selectorIN3c108BFloat16EEEZZNS1_9scan_implILNS1_25lookback_scan_determinismE0ELb0ELb0ES3_PKS6_PS6_S6_ZZZN2at6native31launch_logcumsumexp_cuda_kernelERKNSD_10TensorBaseESH_lENKUlvE_clEvENKUlvE4_clEvEUlS6_S6_E_S6_EEDaPvRmT3_T4_T5_mT6_P12ihipStream_tbENKUlT_T0_E_clISt17integral_constantIbLb1EESY_EEDaST_SU_EUlST_E0_NS1_11comp_targetILNS1_3genE3ELNS1_11target_archE908ELNS1_3gpuE7ELNS1_3repE0EEENS1_30default_config_static_selectorELNS0_4arch9wavefront6targetE0EEEvT1_ ; -- Begin function _ZN7rocprim17ROCPRIM_400000_NS6detail17trampoline_kernelINS0_14default_configENS1_20scan_config_selectorIN3c108BFloat16EEEZZNS1_9scan_implILNS1_25lookback_scan_determinismE0ELb0ELb0ES3_PKS6_PS6_S6_ZZZN2at6native31launch_logcumsumexp_cuda_kernelERKNSD_10TensorBaseESH_lENKUlvE_clEvENKUlvE4_clEvEUlS6_S6_E_S6_EEDaPvRmT3_T4_T5_mT6_P12ihipStream_tbENKUlT_T0_E_clISt17integral_constantIbLb1EESY_EEDaST_SU_EUlST_E0_NS1_11comp_targetILNS1_3genE3ELNS1_11target_archE908ELNS1_3gpuE7ELNS1_3repE0EEENS1_30default_config_static_selectorELNS0_4arch9wavefront6targetE0EEEvT1_
	.p2align	8
	.type	_ZN7rocprim17ROCPRIM_400000_NS6detail17trampoline_kernelINS0_14default_configENS1_20scan_config_selectorIN3c108BFloat16EEEZZNS1_9scan_implILNS1_25lookback_scan_determinismE0ELb0ELb0ES3_PKS6_PS6_S6_ZZZN2at6native31launch_logcumsumexp_cuda_kernelERKNSD_10TensorBaseESH_lENKUlvE_clEvENKUlvE4_clEvEUlS6_S6_E_S6_EEDaPvRmT3_T4_T5_mT6_P12ihipStream_tbENKUlT_T0_E_clISt17integral_constantIbLb1EESY_EEDaST_SU_EUlST_E0_NS1_11comp_targetILNS1_3genE3ELNS1_11target_archE908ELNS1_3gpuE7ELNS1_3repE0EEENS1_30default_config_static_selectorELNS0_4arch9wavefront6targetE0EEEvT1_,@function
_ZN7rocprim17ROCPRIM_400000_NS6detail17trampoline_kernelINS0_14default_configENS1_20scan_config_selectorIN3c108BFloat16EEEZZNS1_9scan_implILNS1_25lookback_scan_determinismE0ELb0ELb0ES3_PKS6_PS6_S6_ZZZN2at6native31launch_logcumsumexp_cuda_kernelERKNSD_10TensorBaseESH_lENKUlvE_clEvENKUlvE4_clEvEUlS6_S6_E_S6_EEDaPvRmT3_T4_T5_mT6_P12ihipStream_tbENKUlT_T0_E_clISt17integral_constantIbLb1EESY_EEDaST_SU_EUlST_E0_NS1_11comp_targetILNS1_3genE3ELNS1_11target_archE908ELNS1_3gpuE7ELNS1_3repE0EEENS1_30default_config_static_selectorELNS0_4arch9wavefront6targetE0EEEvT1_: ; @_ZN7rocprim17ROCPRIM_400000_NS6detail17trampoline_kernelINS0_14default_configENS1_20scan_config_selectorIN3c108BFloat16EEEZZNS1_9scan_implILNS1_25lookback_scan_determinismE0ELb0ELb0ES3_PKS6_PS6_S6_ZZZN2at6native31launch_logcumsumexp_cuda_kernelERKNSD_10TensorBaseESH_lENKUlvE_clEvENKUlvE4_clEvEUlS6_S6_E_S6_EEDaPvRmT3_T4_T5_mT6_P12ihipStream_tbENKUlT_T0_E_clISt17integral_constantIbLb1EESY_EEDaST_SU_EUlST_E0_NS1_11comp_targetILNS1_3genE3ELNS1_11target_archE908ELNS1_3gpuE7ELNS1_3repE0EEENS1_30default_config_static_selectorELNS0_4arch9wavefront6targetE0EEEvT1_
; %bb.0:
	.section	.rodata,"a",@progbits
	.p2align	6, 0x0
	.amdhsa_kernel _ZN7rocprim17ROCPRIM_400000_NS6detail17trampoline_kernelINS0_14default_configENS1_20scan_config_selectorIN3c108BFloat16EEEZZNS1_9scan_implILNS1_25lookback_scan_determinismE0ELb0ELb0ES3_PKS6_PS6_S6_ZZZN2at6native31launch_logcumsumexp_cuda_kernelERKNSD_10TensorBaseESH_lENKUlvE_clEvENKUlvE4_clEvEUlS6_S6_E_S6_EEDaPvRmT3_T4_T5_mT6_P12ihipStream_tbENKUlT_T0_E_clISt17integral_constantIbLb1EESY_EEDaST_SU_EUlST_E0_NS1_11comp_targetILNS1_3genE3ELNS1_11target_archE908ELNS1_3gpuE7ELNS1_3repE0EEENS1_30default_config_static_selectorELNS0_4arch9wavefront6targetE0EEEvT1_
		.amdhsa_group_segment_fixed_size 0
		.amdhsa_private_segment_fixed_size 0
		.amdhsa_kernarg_size 32
		.amdhsa_user_sgpr_count 2
		.amdhsa_user_sgpr_dispatch_ptr 0
		.amdhsa_user_sgpr_queue_ptr 0
		.amdhsa_user_sgpr_kernarg_segment_ptr 1
		.amdhsa_user_sgpr_dispatch_id 0
		.amdhsa_user_sgpr_private_segment_size 0
		.amdhsa_wavefront_size32 1
		.amdhsa_uses_dynamic_stack 0
		.amdhsa_enable_private_segment 0
		.amdhsa_system_sgpr_workgroup_id_x 1
		.amdhsa_system_sgpr_workgroup_id_y 0
		.amdhsa_system_sgpr_workgroup_id_z 0
		.amdhsa_system_sgpr_workgroup_info 0
		.amdhsa_system_vgpr_workitem_id 0
		.amdhsa_next_free_vgpr 1
		.amdhsa_next_free_sgpr 1
		.amdhsa_reserve_vcc 0
		.amdhsa_float_round_mode_32 0
		.amdhsa_float_round_mode_16_64 0
		.amdhsa_float_denorm_mode_32 3
		.amdhsa_float_denorm_mode_16_64 3
		.amdhsa_fp16_overflow 0
		.amdhsa_workgroup_processor_mode 1
		.amdhsa_memory_ordered 1
		.amdhsa_forward_progress 1
		.amdhsa_inst_pref_size 0
		.amdhsa_round_robin_scheduling 0
		.amdhsa_exception_fp_ieee_invalid_op 0
		.amdhsa_exception_fp_denorm_src 0
		.amdhsa_exception_fp_ieee_div_zero 0
		.amdhsa_exception_fp_ieee_overflow 0
		.amdhsa_exception_fp_ieee_underflow 0
		.amdhsa_exception_fp_ieee_inexact 0
		.amdhsa_exception_int_div_zero 0
	.end_amdhsa_kernel
	.section	.text._ZN7rocprim17ROCPRIM_400000_NS6detail17trampoline_kernelINS0_14default_configENS1_20scan_config_selectorIN3c108BFloat16EEEZZNS1_9scan_implILNS1_25lookback_scan_determinismE0ELb0ELb0ES3_PKS6_PS6_S6_ZZZN2at6native31launch_logcumsumexp_cuda_kernelERKNSD_10TensorBaseESH_lENKUlvE_clEvENKUlvE4_clEvEUlS6_S6_E_S6_EEDaPvRmT3_T4_T5_mT6_P12ihipStream_tbENKUlT_T0_E_clISt17integral_constantIbLb1EESY_EEDaST_SU_EUlST_E0_NS1_11comp_targetILNS1_3genE3ELNS1_11target_archE908ELNS1_3gpuE7ELNS1_3repE0EEENS1_30default_config_static_selectorELNS0_4arch9wavefront6targetE0EEEvT1_,"axG",@progbits,_ZN7rocprim17ROCPRIM_400000_NS6detail17trampoline_kernelINS0_14default_configENS1_20scan_config_selectorIN3c108BFloat16EEEZZNS1_9scan_implILNS1_25lookback_scan_determinismE0ELb0ELb0ES3_PKS6_PS6_S6_ZZZN2at6native31launch_logcumsumexp_cuda_kernelERKNSD_10TensorBaseESH_lENKUlvE_clEvENKUlvE4_clEvEUlS6_S6_E_S6_EEDaPvRmT3_T4_T5_mT6_P12ihipStream_tbENKUlT_T0_E_clISt17integral_constantIbLb1EESY_EEDaST_SU_EUlST_E0_NS1_11comp_targetILNS1_3genE3ELNS1_11target_archE908ELNS1_3gpuE7ELNS1_3repE0EEENS1_30default_config_static_selectorELNS0_4arch9wavefront6targetE0EEEvT1_,comdat
.Lfunc_end477:
	.size	_ZN7rocprim17ROCPRIM_400000_NS6detail17trampoline_kernelINS0_14default_configENS1_20scan_config_selectorIN3c108BFloat16EEEZZNS1_9scan_implILNS1_25lookback_scan_determinismE0ELb0ELb0ES3_PKS6_PS6_S6_ZZZN2at6native31launch_logcumsumexp_cuda_kernelERKNSD_10TensorBaseESH_lENKUlvE_clEvENKUlvE4_clEvEUlS6_S6_E_S6_EEDaPvRmT3_T4_T5_mT6_P12ihipStream_tbENKUlT_T0_E_clISt17integral_constantIbLb1EESY_EEDaST_SU_EUlST_E0_NS1_11comp_targetILNS1_3genE3ELNS1_11target_archE908ELNS1_3gpuE7ELNS1_3repE0EEENS1_30default_config_static_selectorELNS0_4arch9wavefront6targetE0EEEvT1_, .Lfunc_end477-_ZN7rocprim17ROCPRIM_400000_NS6detail17trampoline_kernelINS0_14default_configENS1_20scan_config_selectorIN3c108BFloat16EEEZZNS1_9scan_implILNS1_25lookback_scan_determinismE0ELb0ELb0ES3_PKS6_PS6_S6_ZZZN2at6native31launch_logcumsumexp_cuda_kernelERKNSD_10TensorBaseESH_lENKUlvE_clEvENKUlvE4_clEvEUlS6_S6_E_S6_EEDaPvRmT3_T4_T5_mT6_P12ihipStream_tbENKUlT_T0_E_clISt17integral_constantIbLb1EESY_EEDaST_SU_EUlST_E0_NS1_11comp_targetILNS1_3genE3ELNS1_11target_archE908ELNS1_3gpuE7ELNS1_3repE0EEENS1_30default_config_static_selectorELNS0_4arch9wavefront6targetE0EEEvT1_
                                        ; -- End function
	.set _ZN7rocprim17ROCPRIM_400000_NS6detail17trampoline_kernelINS0_14default_configENS1_20scan_config_selectorIN3c108BFloat16EEEZZNS1_9scan_implILNS1_25lookback_scan_determinismE0ELb0ELb0ES3_PKS6_PS6_S6_ZZZN2at6native31launch_logcumsumexp_cuda_kernelERKNSD_10TensorBaseESH_lENKUlvE_clEvENKUlvE4_clEvEUlS6_S6_E_S6_EEDaPvRmT3_T4_T5_mT6_P12ihipStream_tbENKUlT_T0_E_clISt17integral_constantIbLb1EESY_EEDaST_SU_EUlST_E0_NS1_11comp_targetILNS1_3genE3ELNS1_11target_archE908ELNS1_3gpuE7ELNS1_3repE0EEENS1_30default_config_static_selectorELNS0_4arch9wavefront6targetE0EEEvT1_.num_vgpr, 0
	.set _ZN7rocprim17ROCPRIM_400000_NS6detail17trampoline_kernelINS0_14default_configENS1_20scan_config_selectorIN3c108BFloat16EEEZZNS1_9scan_implILNS1_25lookback_scan_determinismE0ELb0ELb0ES3_PKS6_PS6_S6_ZZZN2at6native31launch_logcumsumexp_cuda_kernelERKNSD_10TensorBaseESH_lENKUlvE_clEvENKUlvE4_clEvEUlS6_S6_E_S6_EEDaPvRmT3_T4_T5_mT6_P12ihipStream_tbENKUlT_T0_E_clISt17integral_constantIbLb1EESY_EEDaST_SU_EUlST_E0_NS1_11comp_targetILNS1_3genE3ELNS1_11target_archE908ELNS1_3gpuE7ELNS1_3repE0EEENS1_30default_config_static_selectorELNS0_4arch9wavefront6targetE0EEEvT1_.num_agpr, 0
	.set _ZN7rocprim17ROCPRIM_400000_NS6detail17trampoline_kernelINS0_14default_configENS1_20scan_config_selectorIN3c108BFloat16EEEZZNS1_9scan_implILNS1_25lookback_scan_determinismE0ELb0ELb0ES3_PKS6_PS6_S6_ZZZN2at6native31launch_logcumsumexp_cuda_kernelERKNSD_10TensorBaseESH_lENKUlvE_clEvENKUlvE4_clEvEUlS6_S6_E_S6_EEDaPvRmT3_T4_T5_mT6_P12ihipStream_tbENKUlT_T0_E_clISt17integral_constantIbLb1EESY_EEDaST_SU_EUlST_E0_NS1_11comp_targetILNS1_3genE3ELNS1_11target_archE908ELNS1_3gpuE7ELNS1_3repE0EEENS1_30default_config_static_selectorELNS0_4arch9wavefront6targetE0EEEvT1_.numbered_sgpr, 0
	.set _ZN7rocprim17ROCPRIM_400000_NS6detail17trampoline_kernelINS0_14default_configENS1_20scan_config_selectorIN3c108BFloat16EEEZZNS1_9scan_implILNS1_25lookback_scan_determinismE0ELb0ELb0ES3_PKS6_PS6_S6_ZZZN2at6native31launch_logcumsumexp_cuda_kernelERKNSD_10TensorBaseESH_lENKUlvE_clEvENKUlvE4_clEvEUlS6_S6_E_S6_EEDaPvRmT3_T4_T5_mT6_P12ihipStream_tbENKUlT_T0_E_clISt17integral_constantIbLb1EESY_EEDaST_SU_EUlST_E0_NS1_11comp_targetILNS1_3genE3ELNS1_11target_archE908ELNS1_3gpuE7ELNS1_3repE0EEENS1_30default_config_static_selectorELNS0_4arch9wavefront6targetE0EEEvT1_.num_named_barrier, 0
	.set _ZN7rocprim17ROCPRIM_400000_NS6detail17trampoline_kernelINS0_14default_configENS1_20scan_config_selectorIN3c108BFloat16EEEZZNS1_9scan_implILNS1_25lookback_scan_determinismE0ELb0ELb0ES3_PKS6_PS6_S6_ZZZN2at6native31launch_logcumsumexp_cuda_kernelERKNSD_10TensorBaseESH_lENKUlvE_clEvENKUlvE4_clEvEUlS6_S6_E_S6_EEDaPvRmT3_T4_T5_mT6_P12ihipStream_tbENKUlT_T0_E_clISt17integral_constantIbLb1EESY_EEDaST_SU_EUlST_E0_NS1_11comp_targetILNS1_3genE3ELNS1_11target_archE908ELNS1_3gpuE7ELNS1_3repE0EEENS1_30default_config_static_selectorELNS0_4arch9wavefront6targetE0EEEvT1_.private_seg_size, 0
	.set _ZN7rocprim17ROCPRIM_400000_NS6detail17trampoline_kernelINS0_14default_configENS1_20scan_config_selectorIN3c108BFloat16EEEZZNS1_9scan_implILNS1_25lookback_scan_determinismE0ELb0ELb0ES3_PKS6_PS6_S6_ZZZN2at6native31launch_logcumsumexp_cuda_kernelERKNSD_10TensorBaseESH_lENKUlvE_clEvENKUlvE4_clEvEUlS6_S6_E_S6_EEDaPvRmT3_T4_T5_mT6_P12ihipStream_tbENKUlT_T0_E_clISt17integral_constantIbLb1EESY_EEDaST_SU_EUlST_E0_NS1_11comp_targetILNS1_3genE3ELNS1_11target_archE908ELNS1_3gpuE7ELNS1_3repE0EEENS1_30default_config_static_selectorELNS0_4arch9wavefront6targetE0EEEvT1_.uses_vcc, 0
	.set _ZN7rocprim17ROCPRIM_400000_NS6detail17trampoline_kernelINS0_14default_configENS1_20scan_config_selectorIN3c108BFloat16EEEZZNS1_9scan_implILNS1_25lookback_scan_determinismE0ELb0ELb0ES3_PKS6_PS6_S6_ZZZN2at6native31launch_logcumsumexp_cuda_kernelERKNSD_10TensorBaseESH_lENKUlvE_clEvENKUlvE4_clEvEUlS6_S6_E_S6_EEDaPvRmT3_T4_T5_mT6_P12ihipStream_tbENKUlT_T0_E_clISt17integral_constantIbLb1EESY_EEDaST_SU_EUlST_E0_NS1_11comp_targetILNS1_3genE3ELNS1_11target_archE908ELNS1_3gpuE7ELNS1_3repE0EEENS1_30default_config_static_selectorELNS0_4arch9wavefront6targetE0EEEvT1_.uses_flat_scratch, 0
	.set _ZN7rocprim17ROCPRIM_400000_NS6detail17trampoline_kernelINS0_14default_configENS1_20scan_config_selectorIN3c108BFloat16EEEZZNS1_9scan_implILNS1_25lookback_scan_determinismE0ELb0ELb0ES3_PKS6_PS6_S6_ZZZN2at6native31launch_logcumsumexp_cuda_kernelERKNSD_10TensorBaseESH_lENKUlvE_clEvENKUlvE4_clEvEUlS6_S6_E_S6_EEDaPvRmT3_T4_T5_mT6_P12ihipStream_tbENKUlT_T0_E_clISt17integral_constantIbLb1EESY_EEDaST_SU_EUlST_E0_NS1_11comp_targetILNS1_3genE3ELNS1_11target_archE908ELNS1_3gpuE7ELNS1_3repE0EEENS1_30default_config_static_selectorELNS0_4arch9wavefront6targetE0EEEvT1_.has_dyn_sized_stack, 0
	.set _ZN7rocprim17ROCPRIM_400000_NS6detail17trampoline_kernelINS0_14default_configENS1_20scan_config_selectorIN3c108BFloat16EEEZZNS1_9scan_implILNS1_25lookback_scan_determinismE0ELb0ELb0ES3_PKS6_PS6_S6_ZZZN2at6native31launch_logcumsumexp_cuda_kernelERKNSD_10TensorBaseESH_lENKUlvE_clEvENKUlvE4_clEvEUlS6_S6_E_S6_EEDaPvRmT3_T4_T5_mT6_P12ihipStream_tbENKUlT_T0_E_clISt17integral_constantIbLb1EESY_EEDaST_SU_EUlST_E0_NS1_11comp_targetILNS1_3genE3ELNS1_11target_archE908ELNS1_3gpuE7ELNS1_3repE0EEENS1_30default_config_static_selectorELNS0_4arch9wavefront6targetE0EEEvT1_.has_recursion, 0
	.set _ZN7rocprim17ROCPRIM_400000_NS6detail17trampoline_kernelINS0_14default_configENS1_20scan_config_selectorIN3c108BFloat16EEEZZNS1_9scan_implILNS1_25lookback_scan_determinismE0ELb0ELb0ES3_PKS6_PS6_S6_ZZZN2at6native31launch_logcumsumexp_cuda_kernelERKNSD_10TensorBaseESH_lENKUlvE_clEvENKUlvE4_clEvEUlS6_S6_E_S6_EEDaPvRmT3_T4_T5_mT6_P12ihipStream_tbENKUlT_T0_E_clISt17integral_constantIbLb1EESY_EEDaST_SU_EUlST_E0_NS1_11comp_targetILNS1_3genE3ELNS1_11target_archE908ELNS1_3gpuE7ELNS1_3repE0EEENS1_30default_config_static_selectorELNS0_4arch9wavefront6targetE0EEEvT1_.has_indirect_call, 0
	.section	.AMDGPU.csdata,"",@progbits
; Kernel info:
; codeLenInByte = 0
; TotalNumSgprs: 0
; NumVgprs: 0
; ScratchSize: 0
; MemoryBound: 0
; FloatMode: 240
; IeeeMode: 1
; LDSByteSize: 0 bytes/workgroup (compile time only)
; SGPRBlocks: 0
; VGPRBlocks: 0
; NumSGPRsForWavesPerEU: 1
; NumVGPRsForWavesPerEU: 1
; Occupancy: 16
; WaveLimiterHint : 0
; COMPUTE_PGM_RSRC2:SCRATCH_EN: 0
; COMPUTE_PGM_RSRC2:USER_SGPR: 2
; COMPUTE_PGM_RSRC2:TRAP_HANDLER: 0
; COMPUTE_PGM_RSRC2:TGID_X_EN: 1
; COMPUTE_PGM_RSRC2:TGID_Y_EN: 0
; COMPUTE_PGM_RSRC2:TGID_Z_EN: 0
; COMPUTE_PGM_RSRC2:TIDIG_COMP_CNT: 0
	.section	.text._ZN7rocprim17ROCPRIM_400000_NS6detail17trampoline_kernelINS0_14default_configENS1_20scan_config_selectorIN3c108BFloat16EEEZZNS1_9scan_implILNS1_25lookback_scan_determinismE0ELb0ELb0ES3_PKS6_PS6_S6_ZZZN2at6native31launch_logcumsumexp_cuda_kernelERKNSD_10TensorBaseESH_lENKUlvE_clEvENKUlvE4_clEvEUlS6_S6_E_S6_EEDaPvRmT3_T4_T5_mT6_P12ihipStream_tbENKUlT_T0_E_clISt17integral_constantIbLb1EESY_EEDaST_SU_EUlST_E0_NS1_11comp_targetILNS1_3genE2ELNS1_11target_archE906ELNS1_3gpuE6ELNS1_3repE0EEENS1_30default_config_static_selectorELNS0_4arch9wavefront6targetE0EEEvT1_,"axG",@progbits,_ZN7rocprim17ROCPRIM_400000_NS6detail17trampoline_kernelINS0_14default_configENS1_20scan_config_selectorIN3c108BFloat16EEEZZNS1_9scan_implILNS1_25lookback_scan_determinismE0ELb0ELb0ES3_PKS6_PS6_S6_ZZZN2at6native31launch_logcumsumexp_cuda_kernelERKNSD_10TensorBaseESH_lENKUlvE_clEvENKUlvE4_clEvEUlS6_S6_E_S6_EEDaPvRmT3_T4_T5_mT6_P12ihipStream_tbENKUlT_T0_E_clISt17integral_constantIbLb1EESY_EEDaST_SU_EUlST_E0_NS1_11comp_targetILNS1_3genE2ELNS1_11target_archE906ELNS1_3gpuE6ELNS1_3repE0EEENS1_30default_config_static_selectorELNS0_4arch9wavefront6targetE0EEEvT1_,comdat
	.globl	_ZN7rocprim17ROCPRIM_400000_NS6detail17trampoline_kernelINS0_14default_configENS1_20scan_config_selectorIN3c108BFloat16EEEZZNS1_9scan_implILNS1_25lookback_scan_determinismE0ELb0ELb0ES3_PKS6_PS6_S6_ZZZN2at6native31launch_logcumsumexp_cuda_kernelERKNSD_10TensorBaseESH_lENKUlvE_clEvENKUlvE4_clEvEUlS6_S6_E_S6_EEDaPvRmT3_T4_T5_mT6_P12ihipStream_tbENKUlT_T0_E_clISt17integral_constantIbLb1EESY_EEDaST_SU_EUlST_E0_NS1_11comp_targetILNS1_3genE2ELNS1_11target_archE906ELNS1_3gpuE6ELNS1_3repE0EEENS1_30default_config_static_selectorELNS0_4arch9wavefront6targetE0EEEvT1_ ; -- Begin function _ZN7rocprim17ROCPRIM_400000_NS6detail17trampoline_kernelINS0_14default_configENS1_20scan_config_selectorIN3c108BFloat16EEEZZNS1_9scan_implILNS1_25lookback_scan_determinismE0ELb0ELb0ES3_PKS6_PS6_S6_ZZZN2at6native31launch_logcumsumexp_cuda_kernelERKNSD_10TensorBaseESH_lENKUlvE_clEvENKUlvE4_clEvEUlS6_S6_E_S6_EEDaPvRmT3_T4_T5_mT6_P12ihipStream_tbENKUlT_T0_E_clISt17integral_constantIbLb1EESY_EEDaST_SU_EUlST_E0_NS1_11comp_targetILNS1_3genE2ELNS1_11target_archE906ELNS1_3gpuE6ELNS1_3repE0EEENS1_30default_config_static_selectorELNS0_4arch9wavefront6targetE0EEEvT1_
	.p2align	8
	.type	_ZN7rocprim17ROCPRIM_400000_NS6detail17trampoline_kernelINS0_14default_configENS1_20scan_config_selectorIN3c108BFloat16EEEZZNS1_9scan_implILNS1_25lookback_scan_determinismE0ELb0ELb0ES3_PKS6_PS6_S6_ZZZN2at6native31launch_logcumsumexp_cuda_kernelERKNSD_10TensorBaseESH_lENKUlvE_clEvENKUlvE4_clEvEUlS6_S6_E_S6_EEDaPvRmT3_T4_T5_mT6_P12ihipStream_tbENKUlT_T0_E_clISt17integral_constantIbLb1EESY_EEDaST_SU_EUlST_E0_NS1_11comp_targetILNS1_3genE2ELNS1_11target_archE906ELNS1_3gpuE6ELNS1_3repE0EEENS1_30default_config_static_selectorELNS0_4arch9wavefront6targetE0EEEvT1_,@function
_ZN7rocprim17ROCPRIM_400000_NS6detail17trampoline_kernelINS0_14default_configENS1_20scan_config_selectorIN3c108BFloat16EEEZZNS1_9scan_implILNS1_25lookback_scan_determinismE0ELb0ELb0ES3_PKS6_PS6_S6_ZZZN2at6native31launch_logcumsumexp_cuda_kernelERKNSD_10TensorBaseESH_lENKUlvE_clEvENKUlvE4_clEvEUlS6_S6_E_S6_EEDaPvRmT3_T4_T5_mT6_P12ihipStream_tbENKUlT_T0_E_clISt17integral_constantIbLb1EESY_EEDaST_SU_EUlST_E0_NS1_11comp_targetILNS1_3genE2ELNS1_11target_archE906ELNS1_3gpuE6ELNS1_3repE0EEENS1_30default_config_static_selectorELNS0_4arch9wavefront6targetE0EEEvT1_: ; @_ZN7rocprim17ROCPRIM_400000_NS6detail17trampoline_kernelINS0_14default_configENS1_20scan_config_selectorIN3c108BFloat16EEEZZNS1_9scan_implILNS1_25lookback_scan_determinismE0ELb0ELb0ES3_PKS6_PS6_S6_ZZZN2at6native31launch_logcumsumexp_cuda_kernelERKNSD_10TensorBaseESH_lENKUlvE_clEvENKUlvE4_clEvEUlS6_S6_E_S6_EEDaPvRmT3_T4_T5_mT6_P12ihipStream_tbENKUlT_T0_E_clISt17integral_constantIbLb1EESY_EEDaST_SU_EUlST_E0_NS1_11comp_targetILNS1_3genE2ELNS1_11target_archE906ELNS1_3gpuE6ELNS1_3repE0EEENS1_30default_config_static_selectorELNS0_4arch9wavefront6targetE0EEEvT1_
; %bb.0:
	.section	.rodata,"a",@progbits
	.p2align	6, 0x0
	.amdhsa_kernel _ZN7rocprim17ROCPRIM_400000_NS6detail17trampoline_kernelINS0_14default_configENS1_20scan_config_selectorIN3c108BFloat16EEEZZNS1_9scan_implILNS1_25lookback_scan_determinismE0ELb0ELb0ES3_PKS6_PS6_S6_ZZZN2at6native31launch_logcumsumexp_cuda_kernelERKNSD_10TensorBaseESH_lENKUlvE_clEvENKUlvE4_clEvEUlS6_S6_E_S6_EEDaPvRmT3_T4_T5_mT6_P12ihipStream_tbENKUlT_T0_E_clISt17integral_constantIbLb1EESY_EEDaST_SU_EUlST_E0_NS1_11comp_targetILNS1_3genE2ELNS1_11target_archE906ELNS1_3gpuE6ELNS1_3repE0EEENS1_30default_config_static_selectorELNS0_4arch9wavefront6targetE0EEEvT1_
		.amdhsa_group_segment_fixed_size 0
		.amdhsa_private_segment_fixed_size 0
		.amdhsa_kernarg_size 32
		.amdhsa_user_sgpr_count 2
		.amdhsa_user_sgpr_dispatch_ptr 0
		.amdhsa_user_sgpr_queue_ptr 0
		.amdhsa_user_sgpr_kernarg_segment_ptr 1
		.amdhsa_user_sgpr_dispatch_id 0
		.amdhsa_user_sgpr_private_segment_size 0
		.amdhsa_wavefront_size32 1
		.amdhsa_uses_dynamic_stack 0
		.amdhsa_enable_private_segment 0
		.amdhsa_system_sgpr_workgroup_id_x 1
		.amdhsa_system_sgpr_workgroup_id_y 0
		.amdhsa_system_sgpr_workgroup_id_z 0
		.amdhsa_system_sgpr_workgroup_info 0
		.amdhsa_system_vgpr_workitem_id 0
		.amdhsa_next_free_vgpr 1
		.amdhsa_next_free_sgpr 1
		.amdhsa_reserve_vcc 0
		.amdhsa_float_round_mode_32 0
		.amdhsa_float_round_mode_16_64 0
		.amdhsa_float_denorm_mode_32 3
		.amdhsa_float_denorm_mode_16_64 3
		.amdhsa_fp16_overflow 0
		.amdhsa_workgroup_processor_mode 1
		.amdhsa_memory_ordered 1
		.amdhsa_forward_progress 1
		.amdhsa_inst_pref_size 0
		.amdhsa_round_robin_scheduling 0
		.amdhsa_exception_fp_ieee_invalid_op 0
		.amdhsa_exception_fp_denorm_src 0
		.amdhsa_exception_fp_ieee_div_zero 0
		.amdhsa_exception_fp_ieee_overflow 0
		.amdhsa_exception_fp_ieee_underflow 0
		.amdhsa_exception_fp_ieee_inexact 0
		.amdhsa_exception_int_div_zero 0
	.end_amdhsa_kernel
	.section	.text._ZN7rocprim17ROCPRIM_400000_NS6detail17trampoline_kernelINS0_14default_configENS1_20scan_config_selectorIN3c108BFloat16EEEZZNS1_9scan_implILNS1_25lookback_scan_determinismE0ELb0ELb0ES3_PKS6_PS6_S6_ZZZN2at6native31launch_logcumsumexp_cuda_kernelERKNSD_10TensorBaseESH_lENKUlvE_clEvENKUlvE4_clEvEUlS6_S6_E_S6_EEDaPvRmT3_T4_T5_mT6_P12ihipStream_tbENKUlT_T0_E_clISt17integral_constantIbLb1EESY_EEDaST_SU_EUlST_E0_NS1_11comp_targetILNS1_3genE2ELNS1_11target_archE906ELNS1_3gpuE6ELNS1_3repE0EEENS1_30default_config_static_selectorELNS0_4arch9wavefront6targetE0EEEvT1_,"axG",@progbits,_ZN7rocprim17ROCPRIM_400000_NS6detail17trampoline_kernelINS0_14default_configENS1_20scan_config_selectorIN3c108BFloat16EEEZZNS1_9scan_implILNS1_25lookback_scan_determinismE0ELb0ELb0ES3_PKS6_PS6_S6_ZZZN2at6native31launch_logcumsumexp_cuda_kernelERKNSD_10TensorBaseESH_lENKUlvE_clEvENKUlvE4_clEvEUlS6_S6_E_S6_EEDaPvRmT3_T4_T5_mT6_P12ihipStream_tbENKUlT_T0_E_clISt17integral_constantIbLb1EESY_EEDaST_SU_EUlST_E0_NS1_11comp_targetILNS1_3genE2ELNS1_11target_archE906ELNS1_3gpuE6ELNS1_3repE0EEENS1_30default_config_static_selectorELNS0_4arch9wavefront6targetE0EEEvT1_,comdat
.Lfunc_end478:
	.size	_ZN7rocprim17ROCPRIM_400000_NS6detail17trampoline_kernelINS0_14default_configENS1_20scan_config_selectorIN3c108BFloat16EEEZZNS1_9scan_implILNS1_25lookback_scan_determinismE0ELb0ELb0ES3_PKS6_PS6_S6_ZZZN2at6native31launch_logcumsumexp_cuda_kernelERKNSD_10TensorBaseESH_lENKUlvE_clEvENKUlvE4_clEvEUlS6_S6_E_S6_EEDaPvRmT3_T4_T5_mT6_P12ihipStream_tbENKUlT_T0_E_clISt17integral_constantIbLb1EESY_EEDaST_SU_EUlST_E0_NS1_11comp_targetILNS1_3genE2ELNS1_11target_archE906ELNS1_3gpuE6ELNS1_3repE0EEENS1_30default_config_static_selectorELNS0_4arch9wavefront6targetE0EEEvT1_, .Lfunc_end478-_ZN7rocprim17ROCPRIM_400000_NS6detail17trampoline_kernelINS0_14default_configENS1_20scan_config_selectorIN3c108BFloat16EEEZZNS1_9scan_implILNS1_25lookback_scan_determinismE0ELb0ELb0ES3_PKS6_PS6_S6_ZZZN2at6native31launch_logcumsumexp_cuda_kernelERKNSD_10TensorBaseESH_lENKUlvE_clEvENKUlvE4_clEvEUlS6_S6_E_S6_EEDaPvRmT3_T4_T5_mT6_P12ihipStream_tbENKUlT_T0_E_clISt17integral_constantIbLb1EESY_EEDaST_SU_EUlST_E0_NS1_11comp_targetILNS1_3genE2ELNS1_11target_archE906ELNS1_3gpuE6ELNS1_3repE0EEENS1_30default_config_static_selectorELNS0_4arch9wavefront6targetE0EEEvT1_
                                        ; -- End function
	.set _ZN7rocprim17ROCPRIM_400000_NS6detail17trampoline_kernelINS0_14default_configENS1_20scan_config_selectorIN3c108BFloat16EEEZZNS1_9scan_implILNS1_25lookback_scan_determinismE0ELb0ELb0ES3_PKS6_PS6_S6_ZZZN2at6native31launch_logcumsumexp_cuda_kernelERKNSD_10TensorBaseESH_lENKUlvE_clEvENKUlvE4_clEvEUlS6_S6_E_S6_EEDaPvRmT3_T4_T5_mT6_P12ihipStream_tbENKUlT_T0_E_clISt17integral_constantIbLb1EESY_EEDaST_SU_EUlST_E0_NS1_11comp_targetILNS1_3genE2ELNS1_11target_archE906ELNS1_3gpuE6ELNS1_3repE0EEENS1_30default_config_static_selectorELNS0_4arch9wavefront6targetE0EEEvT1_.num_vgpr, 0
	.set _ZN7rocprim17ROCPRIM_400000_NS6detail17trampoline_kernelINS0_14default_configENS1_20scan_config_selectorIN3c108BFloat16EEEZZNS1_9scan_implILNS1_25lookback_scan_determinismE0ELb0ELb0ES3_PKS6_PS6_S6_ZZZN2at6native31launch_logcumsumexp_cuda_kernelERKNSD_10TensorBaseESH_lENKUlvE_clEvENKUlvE4_clEvEUlS6_S6_E_S6_EEDaPvRmT3_T4_T5_mT6_P12ihipStream_tbENKUlT_T0_E_clISt17integral_constantIbLb1EESY_EEDaST_SU_EUlST_E0_NS1_11comp_targetILNS1_3genE2ELNS1_11target_archE906ELNS1_3gpuE6ELNS1_3repE0EEENS1_30default_config_static_selectorELNS0_4arch9wavefront6targetE0EEEvT1_.num_agpr, 0
	.set _ZN7rocprim17ROCPRIM_400000_NS6detail17trampoline_kernelINS0_14default_configENS1_20scan_config_selectorIN3c108BFloat16EEEZZNS1_9scan_implILNS1_25lookback_scan_determinismE0ELb0ELb0ES3_PKS6_PS6_S6_ZZZN2at6native31launch_logcumsumexp_cuda_kernelERKNSD_10TensorBaseESH_lENKUlvE_clEvENKUlvE4_clEvEUlS6_S6_E_S6_EEDaPvRmT3_T4_T5_mT6_P12ihipStream_tbENKUlT_T0_E_clISt17integral_constantIbLb1EESY_EEDaST_SU_EUlST_E0_NS1_11comp_targetILNS1_3genE2ELNS1_11target_archE906ELNS1_3gpuE6ELNS1_3repE0EEENS1_30default_config_static_selectorELNS0_4arch9wavefront6targetE0EEEvT1_.numbered_sgpr, 0
	.set _ZN7rocprim17ROCPRIM_400000_NS6detail17trampoline_kernelINS0_14default_configENS1_20scan_config_selectorIN3c108BFloat16EEEZZNS1_9scan_implILNS1_25lookback_scan_determinismE0ELb0ELb0ES3_PKS6_PS6_S6_ZZZN2at6native31launch_logcumsumexp_cuda_kernelERKNSD_10TensorBaseESH_lENKUlvE_clEvENKUlvE4_clEvEUlS6_S6_E_S6_EEDaPvRmT3_T4_T5_mT6_P12ihipStream_tbENKUlT_T0_E_clISt17integral_constantIbLb1EESY_EEDaST_SU_EUlST_E0_NS1_11comp_targetILNS1_3genE2ELNS1_11target_archE906ELNS1_3gpuE6ELNS1_3repE0EEENS1_30default_config_static_selectorELNS0_4arch9wavefront6targetE0EEEvT1_.num_named_barrier, 0
	.set _ZN7rocprim17ROCPRIM_400000_NS6detail17trampoline_kernelINS0_14default_configENS1_20scan_config_selectorIN3c108BFloat16EEEZZNS1_9scan_implILNS1_25lookback_scan_determinismE0ELb0ELb0ES3_PKS6_PS6_S6_ZZZN2at6native31launch_logcumsumexp_cuda_kernelERKNSD_10TensorBaseESH_lENKUlvE_clEvENKUlvE4_clEvEUlS6_S6_E_S6_EEDaPvRmT3_T4_T5_mT6_P12ihipStream_tbENKUlT_T0_E_clISt17integral_constantIbLb1EESY_EEDaST_SU_EUlST_E0_NS1_11comp_targetILNS1_3genE2ELNS1_11target_archE906ELNS1_3gpuE6ELNS1_3repE0EEENS1_30default_config_static_selectorELNS0_4arch9wavefront6targetE0EEEvT1_.private_seg_size, 0
	.set _ZN7rocprim17ROCPRIM_400000_NS6detail17trampoline_kernelINS0_14default_configENS1_20scan_config_selectorIN3c108BFloat16EEEZZNS1_9scan_implILNS1_25lookback_scan_determinismE0ELb0ELb0ES3_PKS6_PS6_S6_ZZZN2at6native31launch_logcumsumexp_cuda_kernelERKNSD_10TensorBaseESH_lENKUlvE_clEvENKUlvE4_clEvEUlS6_S6_E_S6_EEDaPvRmT3_T4_T5_mT6_P12ihipStream_tbENKUlT_T0_E_clISt17integral_constantIbLb1EESY_EEDaST_SU_EUlST_E0_NS1_11comp_targetILNS1_3genE2ELNS1_11target_archE906ELNS1_3gpuE6ELNS1_3repE0EEENS1_30default_config_static_selectorELNS0_4arch9wavefront6targetE0EEEvT1_.uses_vcc, 0
	.set _ZN7rocprim17ROCPRIM_400000_NS6detail17trampoline_kernelINS0_14default_configENS1_20scan_config_selectorIN3c108BFloat16EEEZZNS1_9scan_implILNS1_25lookback_scan_determinismE0ELb0ELb0ES3_PKS6_PS6_S6_ZZZN2at6native31launch_logcumsumexp_cuda_kernelERKNSD_10TensorBaseESH_lENKUlvE_clEvENKUlvE4_clEvEUlS6_S6_E_S6_EEDaPvRmT3_T4_T5_mT6_P12ihipStream_tbENKUlT_T0_E_clISt17integral_constantIbLb1EESY_EEDaST_SU_EUlST_E0_NS1_11comp_targetILNS1_3genE2ELNS1_11target_archE906ELNS1_3gpuE6ELNS1_3repE0EEENS1_30default_config_static_selectorELNS0_4arch9wavefront6targetE0EEEvT1_.uses_flat_scratch, 0
	.set _ZN7rocprim17ROCPRIM_400000_NS6detail17trampoline_kernelINS0_14default_configENS1_20scan_config_selectorIN3c108BFloat16EEEZZNS1_9scan_implILNS1_25lookback_scan_determinismE0ELb0ELb0ES3_PKS6_PS6_S6_ZZZN2at6native31launch_logcumsumexp_cuda_kernelERKNSD_10TensorBaseESH_lENKUlvE_clEvENKUlvE4_clEvEUlS6_S6_E_S6_EEDaPvRmT3_T4_T5_mT6_P12ihipStream_tbENKUlT_T0_E_clISt17integral_constantIbLb1EESY_EEDaST_SU_EUlST_E0_NS1_11comp_targetILNS1_3genE2ELNS1_11target_archE906ELNS1_3gpuE6ELNS1_3repE0EEENS1_30default_config_static_selectorELNS0_4arch9wavefront6targetE0EEEvT1_.has_dyn_sized_stack, 0
	.set _ZN7rocprim17ROCPRIM_400000_NS6detail17trampoline_kernelINS0_14default_configENS1_20scan_config_selectorIN3c108BFloat16EEEZZNS1_9scan_implILNS1_25lookback_scan_determinismE0ELb0ELb0ES3_PKS6_PS6_S6_ZZZN2at6native31launch_logcumsumexp_cuda_kernelERKNSD_10TensorBaseESH_lENKUlvE_clEvENKUlvE4_clEvEUlS6_S6_E_S6_EEDaPvRmT3_T4_T5_mT6_P12ihipStream_tbENKUlT_T0_E_clISt17integral_constantIbLb1EESY_EEDaST_SU_EUlST_E0_NS1_11comp_targetILNS1_3genE2ELNS1_11target_archE906ELNS1_3gpuE6ELNS1_3repE0EEENS1_30default_config_static_selectorELNS0_4arch9wavefront6targetE0EEEvT1_.has_recursion, 0
	.set _ZN7rocprim17ROCPRIM_400000_NS6detail17trampoline_kernelINS0_14default_configENS1_20scan_config_selectorIN3c108BFloat16EEEZZNS1_9scan_implILNS1_25lookback_scan_determinismE0ELb0ELb0ES3_PKS6_PS6_S6_ZZZN2at6native31launch_logcumsumexp_cuda_kernelERKNSD_10TensorBaseESH_lENKUlvE_clEvENKUlvE4_clEvEUlS6_S6_E_S6_EEDaPvRmT3_T4_T5_mT6_P12ihipStream_tbENKUlT_T0_E_clISt17integral_constantIbLb1EESY_EEDaST_SU_EUlST_E0_NS1_11comp_targetILNS1_3genE2ELNS1_11target_archE906ELNS1_3gpuE6ELNS1_3repE0EEENS1_30default_config_static_selectorELNS0_4arch9wavefront6targetE0EEEvT1_.has_indirect_call, 0
	.section	.AMDGPU.csdata,"",@progbits
; Kernel info:
; codeLenInByte = 0
; TotalNumSgprs: 0
; NumVgprs: 0
; ScratchSize: 0
; MemoryBound: 0
; FloatMode: 240
; IeeeMode: 1
; LDSByteSize: 0 bytes/workgroup (compile time only)
; SGPRBlocks: 0
; VGPRBlocks: 0
; NumSGPRsForWavesPerEU: 1
; NumVGPRsForWavesPerEU: 1
; Occupancy: 16
; WaveLimiterHint : 0
; COMPUTE_PGM_RSRC2:SCRATCH_EN: 0
; COMPUTE_PGM_RSRC2:USER_SGPR: 2
; COMPUTE_PGM_RSRC2:TRAP_HANDLER: 0
; COMPUTE_PGM_RSRC2:TGID_X_EN: 1
; COMPUTE_PGM_RSRC2:TGID_Y_EN: 0
; COMPUTE_PGM_RSRC2:TGID_Z_EN: 0
; COMPUTE_PGM_RSRC2:TIDIG_COMP_CNT: 0
	.section	.text._ZN7rocprim17ROCPRIM_400000_NS6detail17trampoline_kernelINS0_14default_configENS1_20scan_config_selectorIN3c108BFloat16EEEZZNS1_9scan_implILNS1_25lookback_scan_determinismE0ELb0ELb0ES3_PKS6_PS6_S6_ZZZN2at6native31launch_logcumsumexp_cuda_kernelERKNSD_10TensorBaseESH_lENKUlvE_clEvENKUlvE4_clEvEUlS6_S6_E_S6_EEDaPvRmT3_T4_T5_mT6_P12ihipStream_tbENKUlT_T0_E_clISt17integral_constantIbLb1EESY_EEDaST_SU_EUlST_E0_NS1_11comp_targetILNS1_3genE10ELNS1_11target_archE1201ELNS1_3gpuE5ELNS1_3repE0EEENS1_30default_config_static_selectorELNS0_4arch9wavefront6targetE0EEEvT1_,"axG",@progbits,_ZN7rocprim17ROCPRIM_400000_NS6detail17trampoline_kernelINS0_14default_configENS1_20scan_config_selectorIN3c108BFloat16EEEZZNS1_9scan_implILNS1_25lookback_scan_determinismE0ELb0ELb0ES3_PKS6_PS6_S6_ZZZN2at6native31launch_logcumsumexp_cuda_kernelERKNSD_10TensorBaseESH_lENKUlvE_clEvENKUlvE4_clEvEUlS6_S6_E_S6_EEDaPvRmT3_T4_T5_mT6_P12ihipStream_tbENKUlT_T0_E_clISt17integral_constantIbLb1EESY_EEDaST_SU_EUlST_E0_NS1_11comp_targetILNS1_3genE10ELNS1_11target_archE1201ELNS1_3gpuE5ELNS1_3repE0EEENS1_30default_config_static_selectorELNS0_4arch9wavefront6targetE0EEEvT1_,comdat
	.globl	_ZN7rocprim17ROCPRIM_400000_NS6detail17trampoline_kernelINS0_14default_configENS1_20scan_config_selectorIN3c108BFloat16EEEZZNS1_9scan_implILNS1_25lookback_scan_determinismE0ELb0ELb0ES3_PKS6_PS6_S6_ZZZN2at6native31launch_logcumsumexp_cuda_kernelERKNSD_10TensorBaseESH_lENKUlvE_clEvENKUlvE4_clEvEUlS6_S6_E_S6_EEDaPvRmT3_T4_T5_mT6_P12ihipStream_tbENKUlT_T0_E_clISt17integral_constantIbLb1EESY_EEDaST_SU_EUlST_E0_NS1_11comp_targetILNS1_3genE10ELNS1_11target_archE1201ELNS1_3gpuE5ELNS1_3repE0EEENS1_30default_config_static_selectorELNS0_4arch9wavefront6targetE0EEEvT1_ ; -- Begin function _ZN7rocprim17ROCPRIM_400000_NS6detail17trampoline_kernelINS0_14default_configENS1_20scan_config_selectorIN3c108BFloat16EEEZZNS1_9scan_implILNS1_25lookback_scan_determinismE0ELb0ELb0ES3_PKS6_PS6_S6_ZZZN2at6native31launch_logcumsumexp_cuda_kernelERKNSD_10TensorBaseESH_lENKUlvE_clEvENKUlvE4_clEvEUlS6_S6_E_S6_EEDaPvRmT3_T4_T5_mT6_P12ihipStream_tbENKUlT_T0_E_clISt17integral_constantIbLb1EESY_EEDaST_SU_EUlST_E0_NS1_11comp_targetILNS1_3genE10ELNS1_11target_archE1201ELNS1_3gpuE5ELNS1_3repE0EEENS1_30default_config_static_selectorELNS0_4arch9wavefront6targetE0EEEvT1_
	.p2align	8
	.type	_ZN7rocprim17ROCPRIM_400000_NS6detail17trampoline_kernelINS0_14default_configENS1_20scan_config_selectorIN3c108BFloat16EEEZZNS1_9scan_implILNS1_25lookback_scan_determinismE0ELb0ELb0ES3_PKS6_PS6_S6_ZZZN2at6native31launch_logcumsumexp_cuda_kernelERKNSD_10TensorBaseESH_lENKUlvE_clEvENKUlvE4_clEvEUlS6_S6_E_S6_EEDaPvRmT3_T4_T5_mT6_P12ihipStream_tbENKUlT_T0_E_clISt17integral_constantIbLb1EESY_EEDaST_SU_EUlST_E0_NS1_11comp_targetILNS1_3genE10ELNS1_11target_archE1201ELNS1_3gpuE5ELNS1_3repE0EEENS1_30default_config_static_selectorELNS0_4arch9wavefront6targetE0EEEvT1_,@function
_ZN7rocprim17ROCPRIM_400000_NS6detail17trampoline_kernelINS0_14default_configENS1_20scan_config_selectorIN3c108BFloat16EEEZZNS1_9scan_implILNS1_25lookback_scan_determinismE0ELb0ELb0ES3_PKS6_PS6_S6_ZZZN2at6native31launch_logcumsumexp_cuda_kernelERKNSD_10TensorBaseESH_lENKUlvE_clEvENKUlvE4_clEvEUlS6_S6_E_S6_EEDaPvRmT3_T4_T5_mT6_P12ihipStream_tbENKUlT_T0_E_clISt17integral_constantIbLb1EESY_EEDaST_SU_EUlST_E0_NS1_11comp_targetILNS1_3genE10ELNS1_11target_archE1201ELNS1_3gpuE5ELNS1_3repE0EEENS1_30default_config_static_selectorELNS0_4arch9wavefront6targetE0EEEvT1_: ; @_ZN7rocprim17ROCPRIM_400000_NS6detail17trampoline_kernelINS0_14default_configENS1_20scan_config_selectorIN3c108BFloat16EEEZZNS1_9scan_implILNS1_25lookback_scan_determinismE0ELb0ELb0ES3_PKS6_PS6_S6_ZZZN2at6native31launch_logcumsumexp_cuda_kernelERKNSD_10TensorBaseESH_lENKUlvE_clEvENKUlvE4_clEvEUlS6_S6_E_S6_EEDaPvRmT3_T4_T5_mT6_P12ihipStream_tbENKUlT_T0_E_clISt17integral_constantIbLb1EESY_EEDaST_SU_EUlST_E0_NS1_11comp_targetILNS1_3genE10ELNS1_11target_archE1201ELNS1_3gpuE5ELNS1_3repE0EEENS1_30default_config_static_selectorELNS0_4arch9wavefront6targetE0EEEvT1_
; %bb.0:
	s_load_b128 s[16:19], s[0:1], 0x0
	v_mov_b32_e32 v1, 0
	s_wait_kmcnt 0x0
	global_load_u16 v1, v1, s[16:17]
	v_cmp_gt_u32_e32 vcc_lo, s18, v0
	s_wait_loadcnt 0x0
	v_dual_mov_b32 v2, v1 :: v_dual_lshlrev_b32 v7, 1, v0
	s_and_saveexec_b32 s2, vcc_lo
	s_cbranch_execz .LBB479_2
; %bb.1:
	global_load_u16 v2, v7, s[16:17]
.LBB479_2:
	s_or_b32 exec_lo, exec_lo, s2
	v_or_b32_e32 v3, 0x100, v0
	s_delay_alu instid0(VALU_DEP_1)
	v_cmp_gt_u32_e64 s2, s18, v3
	v_mov_b32_e32 v3, v1
	s_and_saveexec_b32 s3, s2
	s_cbranch_execz .LBB479_4
; %bb.3:
	global_load_u16 v3, v7, s[16:17] offset:512
.LBB479_4:
	s_or_b32 exec_lo, exec_lo, s3
	v_or_b32_e32 v4, 0x200, v0
	s_delay_alu instid0(VALU_DEP_1)
	v_cmp_gt_u32_e64 s3, s18, v4
	v_mov_b32_e32 v4, v1
	s_and_saveexec_b32 s4, s3
	s_cbranch_execz .LBB479_6
; %bb.5:
	global_load_u16 v4, v7, s[16:17] offset:1024
.LBB479_6:
	;; [unrolled: 10-line block ×10, first 2 shown]
	s_or_b32 exec_lo, exec_lo, s12
	v_or_b32_e32 v14, 0xb00, v0
	s_delay_alu instid0(VALU_DEP_1) | instskip(SKIP_2) | instid1(SALU_CYCLE_1)
	v_cmp_gt_u32_e64 s12, s18, v14
	v_cmp_le_u32_e64 s13, s18, v14
	s_and_saveexec_b32 s14, s13
	s_xor_b32 s13, exec_lo, s14
	s_delay_alu instid0(SALU_CYCLE_1)
	s_and_not1_saveexec_b32 s13, s13
	s_cbranch_execz .LBB479_24
; %bb.23:
	v_lshlrev_b32_e32 v1, 1, v0
	global_load_u16 v1, v1, s[16:17] offset:5632
.LBB479_24:
	s_or_b32 exec_lo, exec_lo, s13
	s_wait_loadcnt 0x0
	ds_store_b16 v7, v2
	ds_store_b16 v7, v3 offset:512
	ds_store_b16 v7, v4 offset:1024
	;; [unrolled: 1-line block ×11, first 2 shown]
	v_mad_u32_u24 v5, v0, 22, v7
	s_wait_dscnt 0x0
	s_barrier_signal -1
	s_barrier_wait -1
	global_inv scope:SCOPE_SE
	ds_load_2addr_b64 v[1:4], v5 offset1:1
	ds_load_b64 v[5:6], v5 offset:16
	s_wait_loadcnt_dscnt 0x0
	s_barrier_signal -1
	s_barrier_wait -1
	global_inv scope:SCOPE_SE
	v_lshlrev_b32_e32 v25, 16, v1
	s_delay_alu instid0(VALU_DEP_1) | instskip(SKIP_1) | instid1(VALU_DEP_1)
	v_max_num_f32_e32 v28, v25, v25
	v_and_b32_e32 v8, 0xffff0000, v1
	v_max_num_f32_e32 v12, v8, v8
	v_cmp_u_f32_e64 s24, v25, v25
	s_delay_alu instid0(VALU_DEP_2) | instskip(SKIP_2) | instid1(VALU_DEP_3)
	v_min_num_f32_e32 v26, v28, v12
	v_max_num_f32_e32 v27, v28, v12
	v_cmp_u_f32_e64 s13, v8, v8
	v_cndmask_b32_e64 v9, v26, v25, s24
	s_delay_alu instid0(VALU_DEP_3) | instskip(NEXT) | instid1(VALU_DEP_2)
	v_cndmask_b32_e64 v10, v27, v25, s24
	v_cndmask_b32_e64 v11, v9, v8, s13
	s_delay_alu instid0(VALU_DEP_2) | instskip(SKIP_1) | instid1(VALU_DEP_3)
	v_cndmask_b32_e64 v9, v10, v8, s13
	v_mov_b32_e32 v10, v25
	v_cmp_class_f32_e64 s15, v11, 0x1f8
	s_delay_alu instid0(VALU_DEP_3) | instskip(SKIP_1) | instid1(SALU_CYCLE_1)
	v_cmp_neq_f32_e64 s14, v11, v9
	s_or_b32 s14, s14, s15
	s_and_saveexec_b32 s15, s14
	s_cbranch_execz .LBB479_26
; %bb.25:
	v_sub_f32_e32 v10, v11, v9
	s_delay_alu instid0(VALU_DEP_1) | instskip(SKIP_1) | instid1(VALU_DEP_2)
	v_mul_f32_e32 v11, 0x3fb8aa3b, v10
	v_cmp_ngt_f32_e64 s14, 0xc2ce8ed0, v10
	v_fma_f32 v13, 0x3fb8aa3b, v10, -v11
	v_rndne_f32_e32 v14, v11
	s_delay_alu instid0(VALU_DEP_2) | instskip(NEXT) | instid1(VALU_DEP_2)
	v_fmamk_f32 v13, v10, 0x32a5705f, v13
	v_sub_f32_e32 v11, v11, v14
	s_delay_alu instid0(VALU_DEP_1) | instskip(SKIP_1) | instid1(VALU_DEP_2)
	v_add_f32_e32 v11, v11, v13
	v_cvt_i32_f32_e32 v13, v14
	v_exp_f32_e32 v11, v11
	s_delay_alu instid0(TRANS32_DEP_1) | instskip(NEXT) | instid1(VALU_DEP_1)
	v_ldexp_f32 v11, v11, v13
	v_cndmask_b32_e64 v11, 0, v11, s14
	v_cmp_nlt_f32_e64 s14, 0x42b17218, v10
	s_wait_alu 0xf1ff
	s_delay_alu instid0(VALU_DEP_1) | instskip(NEXT) | instid1(VALU_DEP_1)
	v_cndmask_b32_e64 v13, 0x7f800000, v11, s14
	v_add_f32_e32 v14, 1.0, v13
	s_delay_alu instid0(VALU_DEP_1) | instskip(NEXT) | instid1(VALU_DEP_1)
	v_cvt_f64_f32_e32 v[10:11], v14
	v_frexp_exp_i32_f64_e32 v10, v[10:11]
	v_frexp_mant_f32_e32 v11, v14
	s_delay_alu instid0(VALU_DEP_1) | instskip(SKIP_1) | instid1(VALU_DEP_1)
	v_cmp_gt_f32_e64 s14, 0x3f2aaaab, v11
	v_add_f32_e32 v11, -1.0, v14
	v_sub_f32_e32 v16, v11, v14
	s_delay_alu instid0(VALU_DEP_1)
	v_add_f32_e32 v16, 1.0, v16
	s_wait_alu 0xf1ff
	v_subrev_co_ci_u32_e64 v10, null, 0, v10, s14
	s_mov_b32 s14, 0x3e9b6dac
	v_sub_nc_u32_e32 v15, 0, v10
	v_cvt_f32_i32_e32 v10, v10
	s_delay_alu instid0(VALU_DEP_2) | instskip(NEXT) | instid1(VALU_DEP_1)
	v_ldexp_f32 v14, v14, v15
	v_add_f32_e32 v17, 1.0, v14
	v_sub_f32_e32 v11, v13, v11
	s_delay_alu instid0(VALU_DEP_1) | instskip(NEXT) | instid1(VALU_DEP_1)
	v_add_f32_e32 v11, v11, v16
	v_ldexp_f32 v11, v11, v15
	v_add_f32_e32 v15, -1.0, v14
	s_delay_alu instid0(VALU_DEP_1) | instskip(SKIP_1) | instid1(VALU_DEP_1)
	v_add_f32_e32 v18, 1.0, v15
	v_add_f32_e32 v16, -1.0, v17
	v_sub_f32_e32 v16, v14, v16
	s_delay_alu instid0(VALU_DEP_3) | instskip(NEXT) | instid1(VALU_DEP_2)
	v_sub_f32_e32 v14, v14, v18
	v_add_f32_e32 v16, v11, v16
	s_delay_alu instid0(VALU_DEP_1) | instskip(NEXT) | instid1(VALU_DEP_1)
	v_dual_add_f32 v11, v11, v14 :: v_dual_add_f32 v18, v17, v16
	v_rcp_f32_e32 v14, v18
	v_sub_f32_e32 v17, v17, v18
	s_delay_alu instid0(VALU_DEP_1) | instskip(NEXT) | instid1(VALU_DEP_1)
	v_dual_add_f32 v19, v15, v11 :: v_dual_add_f32 v16, v16, v17
	v_sub_f32_e32 v15, v15, v19
	s_delay_alu instid0(TRANS32_DEP_1) | instskip(NEXT) | instid1(VALU_DEP_2)
	v_mul_f32_e32 v20, v19, v14
	v_add_f32_e32 v11, v11, v15
	s_delay_alu instid0(VALU_DEP_2) | instskip(NEXT) | instid1(VALU_DEP_1)
	v_mul_f32_e32 v21, v18, v20
	v_fma_f32 v17, v20, v18, -v21
	s_delay_alu instid0(VALU_DEP_1) | instskip(NEXT) | instid1(VALU_DEP_1)
	v_fmac_f32_e32 v17, v20, v16
	v_add_f32_e32 v22, v21, v17
	s_delay_alu instid0(VALU_DEP_1) | instskip(SKIP_1) | instid1(VALU_DEP_2)
	v_sub_f32_e32 v23, v19, v22
	v_sub_f32_e32 v15, v22, v21
	;; [unrolled: 1-line block ×3, first 2 shown]
	s_delay_alu instid0(VALU_DEP_2) | instskip(NEXT) | instid1(VALU_DEP_2)
	v_sub_f32_e32 v15, v15, v17
	v_sub_f32_e32 v19, v19, v22
	s_delay_alu instid0(VALU_DEP_1) | instskip(NEXT) | instid1(VALU_DEP_1)
	v_add_f32_e32 v11, v11, v19
	v_add_f32_e32 v11, v15, v11
	s_delay_alu instid0(VALU_DEP_1) | instskip(NEXT) | instid1(VALU_DEP_1)
	v_add_f32_e32 v15, v23, v11
	v_mul_f32_e32 v17, v14, v15
	s_delay_alu instid0(VALU_DEP_1) | instskip(NEXT) | instid1(VALU_DEP_1)
	v_mul_f32_e32 v19, v18, v17
	v_fma_f32 v18, v17, v18, -v19
	s_delay_alu instid0(VALU_DEP_1) | instskip(SKIP_1) | instid1(VALU_DEP_2)
	v_fmac_f32_e32 v18, v17, v16
	v_sub_f32_e32 v22, v23, v15
	v_add_f32_e32 v16, v19, v18
	s_delay_alu instid0(VALU_DEP_2) | instskip(NEXT) | instid1(VALU_DEP_2)
	v_add_f32_e32 v11, v11, v22
	v_sub_f32_e32 v21, v15, v16
	v_sub_f32_e32 v19, v16, v19
	s_delay_alu instid0(VALU_DEP_2) | instskip(NEXT) | instid1(VALU_DEP_1)
	v_sub_f32_e32 v15, v15, v21
	v_sub_f32_e32 v15, v15, v16
	s_delay_alu instid0(VALU_DEP_3) | instskip(NEXT) | instid1(VALU_DEP_2)
	v_sub_f32_e32 v16, v19, v18
	v_add_f32_e32 v11, v11, v15
	v_add_f32_e32 v15, v20, v17
	s_delay_alu instid0(VALU_DEP_1) | instskip(NEXT) | instid1(VALU_DEP_1)
	v_dual_add_f32 v11, v16, v11 :: v_dual_sub_f32 v16, v15, v20
	v_add_f32_e32 v11, v21, v11
	s_delay_alu instid0(VALU_DEP_1) | instskip(NEXT) | instid1(VALU_DEP_1)
	v_dual_sub_f32 v16, v17, v16 :: v_dual_mul_f32 v11, v14, v11
	v_add_f32_e32 v11, v16, v11
	s_delay_alu instid0(VALU_DEP_1) | instskip(NEXT) | instid1(VALU_DEP_1)
	v_add_f32_e32 v14, v15, v11
	v_mul_f32_e32 v16, v14, v14
	s_wait_alu 0xfffe
	s_delay_alu instid0(VALU_DEP_1) | instskip(SKIP_2) | instid1(VALU_DEP_3)
	v_fmaak_f32 v17, s14, v16, 0x3ecc95a3
	v_mul_f32_e32 v18, v14, v16
	v_cmp_neq_f32_e64 s14, 0x7f800000, v13
	v_fmaak_f32 v16, v16, v17, 0x3f2aaada
	v_ldexp_f32 v17, v14, 1
	v_sub_f32_e32 v14, v14, v15
	s_delay_alu instid0(VALU_DEP_3) | instskip(SKIP_1) | instid1(VALU_DEP_3)
	v_mul_f32_e32 v16, v18, v16
	v_mul_f32_e32 v18, 0x3f317218, v10
	v_sub_f32_e32 v11, v11, v14
	s_delay_alu instid0(VALU_DEP_3) | instskip(NEXT) | instid1(VALU_DEP_2)
	v_add_f32_e32 v15, v17, v16
	v_ldexp_f32 v11, v11, 1
	s_delay_alu instid0(VALU_DEP_2) | instskip(SKIP_1) | instid1(VALU_DEP_2)
	v_sub_f32_e32 v14, v15, v17
	v_fma_f32 v17, 0x3f317218, v10, -v18
	v_sub_f32_e32 v14, v16, v14
	s_delay_alu instid0(VALU_DEP_1) | instskip(NEXT) | instid1(VALU_DEP_1)
	v_dual_fmamk_f32 v10, v10, 0xb102e308, v17 :: v_dual_add_f32 v11, v11, v14
	v_add_f32_e32 v14, v18, v10
	s_delay_alu instid0(VALU_DEP_2) | instskip(NEXT) | instid1(VALU_DEP_2)
	v_add_f32_e32 v16, v15, v11
	v_sub_f32_e32 v18, v14, v18
	s_delay_alu instid0(VALU_DEP_2) | instskip(NEXT) | instid1(VALU_DEP_2)
	v_add_f32_e32 v17, v14, v16
	v_dual_sub_f32 v15, v16, v15 :: v_dual_sub_f32 v10, v10, v18
	s_delay_alu instid0(VALU_DEP_2) | instskip(NEXT) | instid1(VALU_DEP_2)
	v_sub_f32_e32 v19, v17, v14
	v_sub_f32_e32 v11, v11, v15
	s_delay_alu instid0(VALU_DEP_2) | instskip(SKIP_1) | instid1(VALU_DEP_3)
	v_sub_f32_e32 v20, v17, v19
	v_sub_f32_e32 v15, v16, v19
	v_add_f32_e32 v16, v10, v11
	s_delay_alu instid0(VALU_DEP_3) | instskip(NEXT) | instid1(VALU_DEP_1)
	v_sub_f32_e32 v14, v14, v20
	v_add_f32_e32 v14, v15, v14
	s_delay_alu instid0(VALU_DEP_3) | instskip(NEXT) | instid1(VALU_DEP_2)
	v_sub_f32_e32 v15, v16, v10
	v_add_f32_e32 v14, v16, v14
	s_delay_alu instid0(VALU_DEP_2) | instskip(NEXT) | instid1(VALU_DEP_1)
	v_sub_f32_e32 v16, v16, v15
	v_dual_sub_f32 v11, v11, v15 :: v_dual_sub_f32 v10, v10, v16
	s_delay_alu instid0(VALU_DEP_1) | instskip(NEXT) | instid1(VALU_DEP_4)
	v_add_f32_e32 v10, v11, v10
	v_add_f32_e32 v18, v17, v14
	s_delay_alu instid0(VALU_DEP_1) | instskip(NEXT) | instid1(VALU_DEP_1)
	v_sub_f32_e32 v15, v18, v17
	v_sub_f32_e32 v11, v14, v15
	s_delay_alu instid0(VALU_DEP_1) | instskip(NEXT) | instid1(VALU_DEP_1)
	v_add_f32_e32 v10, v10, v11
	v_add_f32_e32 v10, v18, v10
	s_wait_alu 0xf1ff
	s_delay_alu instid0(VALU_DEP_1) | instskip(SKIP_2) | instid1(VALU_DEP_1)
	v_cndmask_b32_e64 v10, 0x7f800000, v10, s14
	v_cmp_gt_f32_e64 s14, 0x33800000, |v13|
	s_wait_alu 0xf1ff
	v_cndmask_b32_e64 v10, v10, v13, s14
	s_delay_alu instid0(VALU_DEP_1)
	v_add_f32_e32 v10, v9, v10
.LBB479_26:
	s_or_b32 exec_lo, exec_lo, s15
	s_delay_alu instid0(VALU_DEP_1) | instskip(SKIP_1) | instid1(VALU_DEP_2)
	v_bfe_u32 v9, v10, 16, 1
	v_cmp_o_f32_e64 s14, v10, v10
	v_add3_u32 v9, v10, v9, 0x7fff
	s_delay_alu instid0(VALU_DEP_1) | instskip(SKIP_1) | instid1(VALU_DEP_1)
	v_and_b32_e32 v11, 0xffff0000, v9
	s_wait_alu 0xf1ff
	v_cndmask_b32_e64 v13, 0x7fc00000, v11, s14
	s_delay_alu instid0(VALU_DEP_1) | instskip(NEXT) | instid1(VALU_DEP_1)
	v_dual_max_num_f32 v10, v13, v13 :: v_dual_lshlrev_b32 v9, 16, v2
	v_max_num_f32_e32 v11, v9, v9
	v_cmp_u_f32_e64 s14, v13, v13
	s_delay_alu instid0(VALU_DEP_2) | instskip(SKIP_2) | instid1(VALU_DEP_2)
	v_min_num_f32_e32 v14, v10, v11
	v_max_num_f32_e32 v10, v10, v11
	s_wait_alu 0xf1ff
	v_cndmask_b32_e64 v14, v14, v13, s14
	s_delay_alu instid0(VALU_DEP_2) | instskip(SKIP_2) | instid1(VALU_DEP_1)
	v_cndmask_b32_e64 v10, v10, v13, s14
	v_cmp_u_f32_e64 s14, v9, v9
	s_wait_alu 0xf1ff
	v_cndmask_b32_e64 v14, v14, v9, s14
	s_delay_alu instid0(VALU_DEP_3) | instskip(NEXT) | instid1(VALU_DEP_2)
	v_cndmask_b32_e64 v10, v10, v9, s14
	v_cmp_class_f32_e64 s16, v14, 0x1f8
	s_delay_alu instid0(VALU_DEP_2)
	v_cmp_neq_f32_e64 s15, v14, v10
	s_or_b32 s15, s15, s16
	s_wait_alu 0xfffe
	s_and_saveexec_b32 s16, s15
	s_cbranch_execz .LBB479_28
; %bb.27:
	v_sub_f32_e32 v13, v14, v10
	s_delay_alu instid0(VALU_DEP_1) | instskip(SKIP_1) | instid1(VALU_DEP_2)
	v_mul_f32_e32 v14, 0x3fb8aa3b, v13
	v_cmp_ngt_f32_e64 s15, 0xc2ce8ed0, v13
	v_fma_f32 v15, 0x3fb8aa3b, v13, -v14
	v_rndne_f32_e32 v16, v14
	s_delay_alu instid0(VALU_DEP_1) | instskip(NEXT) | instid1(VALU_DEP_1)
	v_dual_fmamk_f32 v15, v13, 0x32a5705f, v15 :: v_dual_sub_f32 v14, v14, v16
	v_add_f32_e32 v14, v14, v15
	v_cvt_i32_f32_e32 v15, v16
	s_delay_alu instid0(VALU_DEP_2) | instskip(NEXT) | instid1(TRANS32_DEP_1)
	v_exp_f32_e32 v14, v14
	v_ldexp_f32 v14, v14, v15
	s_wait_alu 0xf1ff
	s_delay_alu instid0(VALU_DEP_1) | instskip(SKIP_2) | instid1(VALU_DEP_1)
	v_cndmask_b32_e64 v14, 0, v14, s15
	v_cmp_nlt_f32_e64 s15, 0x42b17218, v13
	s_wait_alu 0xf1ff
	v_cndmask_b32_e64 v15, 0x7f800000, v14, s15
	s_delay_alu instid0(VALU_DEP_1) | instskip(NEXT) | instid1(VALU_DEP_1)
	v_add_f32_e32 v16, 1.0, v15
	v_cvt_f64_f32_e32 v[13:14], v16
	s_delay_alu instid0(VALU_DEP_1) | instskip(SKIP_1) | instid1(VALU_DEP_1)
	v_frexp_exp_i32_f64_e32 v13, v[13:14]
	v_frexp_mant_f32_e32 v14, v16
	v_cmp_gt_f32_e64 s15, 0x3f2aaaab, v14
	v_add_f32_e32 v14, -1.0, v16
	s_delay_alu instid0(VALU_DEP_1)
	v_sub_f32_e32 v18, v14, v16
	v_sub_f32_e32 v14, v15, v14
	s_wait_alu 0xf1ff
	v_subrev_co_ci_u32_e64 v13, null, 0, v13, s15
	s_mov_b32 s15, 0x3e9b6dac
	v_sub_nc_u32_e32 v17, 0, v13
	v_cvt_f32_i32_e32 v13, v13
	s_delay_alu instid0(VALU_DEP_2) | instskip(NEXT) | instid1(VALU_DEP_1)
	v_ldexp_f32 v16, v16, v17
	v_dual_add_f32 v19, 1.0, v16 :: v_dual_add_f32 v18, 1.0, v18
	s_delay_alu instid0(VALU_DEP_1) | instskip(NEXT) | instid1(VALU_DEP_2)
	v_add_f32_e32 v14, v14, v18
	v_add_f32_e32 v18, -1.0, v19
	s_delay_alu instid0(VALU_DEP_2) | instskip(NEXT) | instid1(VALU_DEP_2)
	v_ldexp_f32 v14, v14, v17
	v_dual_add_f32 v17, -1.0, v16 :: v_dual_sub_f32 v18, v16, v18
	s_delay_alu instid0(VALU_DEP_1) | instskip(NEXT) | instid1(VALU_DEP_2)
	v_add_f32_e32 v20, 1.0, v17
	v_add_f32_e32 v18, v14, v18
	s_delay_alu instid0(VALU_DEP_2) | instskip(NEXT) | instid1(VALU_DEP_2)
	v_sub_f32_e32 v16, v16, v20
	v_add_f32_e32 v20, v19, v18
	s_delay_alu instid0(VALU_DEP_2) | instskip(NEXT) | instid1(VALU_DEP_2)
	v_add_f32_e32 v14, v14, v16
	v_rcp_f32_e32 v16, v20
	v_sub_f32_e32 v19, v19, v20
	s_delay_alu instid0(VALU_DEP_1) | instskip(NEXT) | instid1(VALU_DEP_1)
	v_dual_add_f32 v21, v17, v14 :: v_dual_add_f32 v18, v18, v19
	v_sub_f32_e32 v17, v17, v21
	s_delay_alu instid0(TRANS32_DEP_1) | instskip(NEXT) | instid1(VALU_DEP_1)
	v_mul_f32_e32 v22, v21, v16
	v_dual_add_f32 v14, v14, v17 :: v_dual_mul_f32 v23, v20, v22
	s_delay_alu instid0(VALU_DEP_1) | instskip(NEXT) | instid1(VALU_DEP_1)
	v_fma_f32 v19, v22, v20, -v23
	v_fmac_f32_e32 v19, v22, v18
	s_delay_alu instid0(VALU_DEP_1) | instskip(NEXT) | instid1(VALU_DEP_1)
	v_add_f32_e32 v24, v23, v19
	v_sub_f32_e32 v29, v21, v24
	v_sub_f32_e32 v17, v24, v23
	s_delay_alu instid0(VALU_DEP_2) | instskip(NEXT) | instid1(VALU_DEP_2)
	v_sub_f32_e32 v21, v21, v29
	v_sub_f32_e32 v17, v17, v19
	s_delay_alu instid0(VALU_DEP_2) | instskip(NEXT) | instid1(VALU_DEP_1)
	v_sub_f32_e32 v21, v21, v24
	v_add_f32_e32 v14, v14, v21
	s_delay_alu instid0(VALU_DEP_1) | instskip(NEXT) | instid1(VALU_DEP_1)
	v_add_f32_e32 v14, v17, v14
	v_add_f32_e32 v17, v29, v14
	s_delay_alu instid0(VALU_DEP_1) | instskip(NEXT) | instid1(VALU_DEP_1)
	v_mul_f32_e32 v19, v16, v17
	v_dual_sub_f32 v24, v29, v17 :: v_dual_mul_f32 v21, v20, v19
	s_delay_alu instid0(VALU_DEP_1) | instskip(NEXT) | instid1(VALU_DEP_2)
	v_add_f32_e32 v14, v14, v24
	v_fma_f32 v20, v19, v20, -v21
	s_delay_alu instid0(VALU_DEP_1) | instskip(NEXT) | instid1(VALU_DEP_1)
	v_fmac_f32_e32 v20, v19, v18
	v_add_f32_e32 v18, v21, v20
	s_delay_alu instid0(VALU_DEP_1) | instskip(SKIP_1) | instid1(VALU_DEP_2)
	v_sub_f32_e32 v23, v17, v18
	v_sub_f32_e32 v21, v18, v21
	;; [unrolled: 1-line block ×3, first 2 shown]
	s_delay_alu instid0(VALU_DEP_1) | instskip(NEXT) | instid1(VALU_DEP_3)
	v_sub_f32_e32 v17, v17, v18
	v_sub_f32_e32 v18, v21, v20
	s_delay_alu instid0(VALU_DEP_2) | instskip(SKIP_1) | instid1(VALU_DEP_2)
	v_add_f32_e32 v14, v14, v17
	v_add_f32_e32 v17, v22, v19
	;; [unrolled: 1-line block ×3, first 2 shown]
	s_delay_alu instid0(VALU_DEP_2) | instskip(NEXT) | instid1(VALU_DEP_2)
	v_sub_f32_e32 v18, v17, v22
	v_add_f32_e32 v14, v23, v14
	s_delay_alu instid0(VALU_DEP_2) | instskip(NEXT) | instid1(VALU_DEP_2)
	v_sub_f32_e32 v18, v19, v18
	v_mul_f32_e32 v14, v16, v14
	s_delay_alu instid0(VALU_DEP_1) | instskip(NEXT) | instid1(VALU_DEP_1)
	v_add_f32_e32 v14, v18, v14
	v_add_f32_e32 v16, v17, v14
	s_delay_alu instid0(VALU_DEP_1) | instskip(SKIP_1) | instid1(VALU_DEP_1)
	v_mul_f32_e32 v18, v16, v16
	s_wait_alu 0xfffe
	v_fmaak_f32 v19, s15, v18, 0x3ecc95a3
	v_mul_f32_e32 v20, v16, v18
	v_cmp_neq_f32_e64 s15, 0x7f800000, v15
	s_delay_alu instid0(VALU_DEP_3) | instskip(SKIP_2) | instid1(VALU_DEP_3)
	v_fmaak_f32 v18, v18, v19, 0x3f2aaada
	v_ldexp_f32 v19, v16, 1
	v_sub_f32_e32 v16, v16, v17
	v_mul_f32_e32 v18, v20, v18
	v_mul_f32_e32 v20, 0x3f317218, v13
	s_delay_alu instid0(VALU_DEP_2) | instskip(NEXT) | instid1(VALU_DEP_1)
	v_dual_sub_f32 v14, v14, v16 :: v_dual_add_f32 v17, v19, v18
	v_ldexp_f32 v14, v14, 1
	s_delay_alu instid0(VALU_DEP_2) | instskip(NEXT) | instid1(VALU_DEP_4)
	v_sub_f32_e32 v16, v17, v19
	v_fma_f32 v19, 0x3f317218, v13, -v20
	s_delay_alu instid0(VALU_DEP_1) | instskip(NEXT) | instid1(VALU_DEP_1)
	v_dual_sub_f32 v16, v18, v16 :: v_dual_fmamk_f32 v13, v13, 0xb102e308, v19
	v_add_f32_e32 v14, v14, v16
	s_delay_alu instid0(VALU_DEP_2) | instskip(NEXT) | instid1(VALU_DEP_2)
	v_add_f32_e32 v16, v20, v13
	v_add_f32_e32 v18, v17, v14
	s_delay_alu instid0(VALU_DEP_2) | instskip(NEXT) | instid1(VALU_DEP_2)
	v_sub_f32_e32 v20, v16, v20
	v_add_f32_e32 v19, v16, v18
	v_sub_f32_e32 v17, v18, v17
	s_delay_alu instid0(VALU_DEP_3) | instskip(NEXT) | instid1(VALU_DEP_2)
	v_sub_f32_e32 v13, v13, v20
	v_dual_sub_f32 v21, v19, v16 :: v_dual_sub_f32 v14, v14, v17
	s_delay_alu instid0(VALU_DEP_1) | instskip(NEXT) | instid1(VALU_DEP_2)
	v_sub_f32_e32 v22, v19, v21
	v_dual_sub_f32 v17, v18, v21 :: v_dual_add_f32 v18, v13, v14
	s_delay_alu instid0(VALU_DEP_2) | instskip(NEXT) | instid1(VALU_DEP_1)
	v_sub_f32_e32 v16, v16, v22
	v_dual_add_f32 v16, v17, v16 :: v_dual_sub_f32 v17, v18, v13
	s_delay_alu instid0(VALU_DEP_1) | instskip(NEXT) | instid1(VALU_DEP_2)
	v_add_f32_e32 v16, v18, v16
	v_sub_f32_e32 v18, v18, v17
	v_sub_f32_e32 v14, v14, v17
	s_delay_alu instid0(VALU_DEP_2) | instskip(NEXT) | instid1(VALU_DEP_1)
	v_dual_add_f32 v20, v19, v16 :: v_dual_sub_f32 v13, v13, v18
	v_sub_f32_e32 v17, v20, v19
	s_delay_alu instid0(VALU_DEP_2) | instskip(NEXT) | instid1(VALU_DEP_2)
	v_add_f32_e32 v13, v14, v13
	v_sub_f32_e32 v14, v16, v17
	s_delay_alu instid0(VALU_DEP_1) | instskip(NEXT) | instid1(VALU_DEP_1)
	v_add_f32_e32 v13, v13, v14
	v_add_f32_e32 v13, v20, v13
	s_wait_alu 0xf1ff
	s_delay_alu instid0(VALU_DEP_1) | instskip(SKIP_2) | instid1(VALU_DEP_1)
	v_cndmask_b32_e64 v13, 0x7f800000, v13, s15
	v_cmp_gt_f32_e64 s15, 0x33800000, |v15|
	s_wait_alu 0xf1ff
	v_cndmask_b32_e64 v13, v13, v15, s15
	s_delay_alu instid0(VALU_DEP_1)
	v_add_f32_e32 v13, v10, v13
.LBB479_28:
	s_or_b32 exec_lo, exec_lo, s16
	s_delay_alu instid0(VALU_DEP_1) | instskip(SKIP_1) | instid1(VALU_DEP_2)
	v_bfe_u32 v10, v13, 16, 1
	v_cmp_o_f32_e64 s15, v13, v13
	v_add3_u32 v10, v13, v10, 0x7fff
	s_delay_alu instid0(VALU_DEP_1) | instskip(SKIP_1) | instid1(VALU_DEP_1)
	v_and_b32_e32 v10, 0xffff0000, v10
	s_wait_alu 0xf1ff
	v_cndmask_b32_e64 v14, 0x7fc00000, v10, s15
	s_delay_alu instid0(VALU_DEP_1) | instskip(SKIP_2) | instid1(VALU_DEP_2)
	v_max_num_f32_e32 v10, v14, v14
	v_and_b32_e32 v2, 0xffff0000, v2
	v_cmp_u_f32_e64 s15, v14, v14
	v_max_num_f32_e32 v13, v2, v2
	s_delay_alu instid0(VALU_DEP_1) | instskip(SKIP_2) | instid1(VALU_DEP_2)
	v_min_num_f32_e32 v15, v10, v13
	v_max_num_f32_e32 v10, v10, v13
	s_wait_alu 0xf1ff
	v_cndmask_b32_e64 v15, v15, v14, s15
	s_delay_alu instid0(VALU_DEP_2) | instskip(SKIP_2) | instid1(VALU_DEP_1)
	v_cndmask_b32_e64 v10, v10, v14, s15
	v_cmp_u_f32_e64 s15, v2, v2
	s_wait_alu 0xf1ff
	v_cndmask_b32_e64 v15, v15, v2, s15
	s_delay_alu instid0(VALU_DEP_3) | instskip(NEXT) | instid1(VALU_DEP_2)
	v_cndmask_b32_e64 v10, v10, v2, s15
	v_cmp_class_f32_e64 s17, v15, 0x1f8
	s_delay_alu instid0(VALU_DEP_2) | instskip(SKIP_1) | instid1(SALU_CYCLE_1)
	v_cmp_neq_f32_e64 s16, v15, v10
	s_or_b32 s16, s16, s17
	s_and_saveexec_b32 s17, s16
	s_cbranch_execz .LBB479_30
; %bb.29:
	v_sub_f32_e32 v14, v15, v10
	s_delay_alu instid0(VALU_DEP_1) | instskip(SKIP_1) | instid1(VALU_DEP_2)
	v_mul_f32_e32 v15, 0x3fb8aa3b, v14
	v_cmp_ngt_f32_e64 s16, 0xc2ce8ed0, v14
	v_fma_f32 v16, 0x3fb8aa3b, v14, -v15
	v_rndne_f32_e32 v17, v15
	s_delay_alu instid0(VALU_DEP_1) | instskip(NEXT) | instid1(VALU_DEP_1)
	v_dual_fmamk_f32 v16, v14, 0x32a5705f, v16 :: v_dual_sub_f32 v15, v15, v17
	v_add_f32_e32 v15, v15, v16
	v_cvt_i32_f32_e32 v16, v17
	s_delay_alu instid0(VALU_DEP_2) | instskip(NEXT) | instid1(TRANS32_DEP_1)
	v_exp_f32_e32 v15, v15
	v_ldexp_f32 v15, v15, v16
	s_delay_alu instid0(VALU_DEP_1) | instskip(SKIP_2) | instid1(VALU_DEP_1)
	v_cndmask_b32_e64 v15, 0, v15, s16
	v_cmp_nlt_f32_e64 s16, 0x42b17218, v14
	s_wait_alu 0xf1ff
	v_cndmask_b32_e64 v16, 0x7f800000, v15, s16
	s_delay_alu instid0(VALU_DEP_1) | instskip(NEXT) | instid1(VALU_DEP_1)
	v_add_f32_e32 v17, 1.0, v16
	v_cvt_f64_f32_e32 v[14:15], v17
	s_delay_alu instid0(VALU_DEP_1) | instskip(SKIP_1) | instid1(VALU_DEP_1)
	v_frexp_exp_i32_f64_e32 v14, v[14:15]
	v_frexp_mant_f32_e32 v15, v17
	v_cmp_gt_f32_e64 s16, 0x3f2aaaab, v15
	v_add_f32_e32 v15, -1.0, v17
	s_delay_alu instid0(VALU_DEP_1)
	v_sub_f32_e32 v19, v15, v17
	v_sub_f32_e32 v15, v16, v15
	s_wait_alu 0xf1ff
	v_subrev_co_ci_u32_e64 v14, null, 0, v14, s16
	s_mov_b32 s16, 0x3e9b6dac
	v_sub_nc_u32_e32 v18, 0, v14
	v_cvt_f32_i32_e32 v14, v14
	s_delay_alu instid0(VALU_DEP_2) | instskip(NEXT) | instid1(VALU_DEP_1)
	v_ldexp_f32 v17, v17, v18
	v_dual_add_f32 v20, 1.0, v17 :: v_dual_add_f32 v19, 1.0, v19
	s_delay_alu instid0(VALU_DEP_1) | instskip(NEXT) | instid1(VALU_DEP_2)
	v_add_f32_e32 v15, v15, v19
	v_add_f32_e32 v19, -1.0, v20
	s_delay_alu instid0(VALU_DEP_2) | instskip(NEXT) | instid1(VALU_DEP_2)
	v_ldexp_f32 v15, v15, v18
	v_dual_add_f32 v18, -1.0, v17 :: v_dual_sub_f32 v19, v17, v19
	s_delay_alu instid0(VALU_DEP_1) | instskip(NEXT) | instid1(VALU_DEP_2)
	v_add_f32_e32 v21, 1.0, v18
	v_add_f32_e32 v19, v15, v19
	s_delay_alu instid0(VALU_DEP_2) | instskip(NEXT) | instid1(VALU_DEP_2)
	v_sub_f32_e32 v17, v17, v21
	v_add_f32_e32 v21, v20, v19
	s_delay_alu instid0(VALU_DEP_2) | instskip(NEXT) | instid1(VALU_DEP_2)
	v_add_f32_e32 v15, v15, v17
	v_rcp_f32_e32 v17, v21
	v_sub_f32_e32 v20, v20, v21
	s_delay_alu instid0(VALU_DEP_1) | instskip(NEXT) | instid1(VALU_DEP_1)
	v_dual_add_f32 v22, v18, v15 :: v_dual_add_f32 v19, v19, v20
	v_sub_f32_e32 v18, v18, v22
	s_delay_alu instid0(TRANS32_DEP_1) | instskip(NEXT) | instid1(VALU_DEP_1)
	v_mul_f32_e32 v23, v22, v17
	v_dual_add_f32 v15, v15, v18 :: v_dual_mul_f32 v24, v21, v23
	s_delay_alu instid0(VALU_DEP_1) | instskip(NEXT) | instid1(VALU_DEP_1)
	v_fma_f32 v20, v23, v21, -v24
	v_fmac_f32_e32 v20, v23, v19
	s_delay_alu instid0(VALU_DEP_1) | instskip(NEXT) | instid1(VALU_DEP_1)
	v_add_f32_e32 v29, v24, v20
	v_sub_f32_e32 v30, v22, v29
	v_sub_f32_e32 v18, v29, v24
	s_delay_alu instid0(VALU_DEP_2) | instskip(NEXT) | instid1(VALU_DEP_2)
	v_sub_f32_e32 v22, v22, v30
	v_sub_f32_e32 v18, v18, v20
	s_delay_alu instid0(VALU_DEP_2) | instskip(NEXT) | instid1(VALU_DEP_1)
	v_sub_f32_e32 v22, v22, v29
	v_add_f32_e32 v15, v15, v22
	s_delay_alu instid0(VALU_DEP_1) | instskip(NEXT) | instid1(VALU_DEP_1)
	v_add_f32_e32 v15, v18, v15
	v_add_f32_e32 v18, v30, v15
	s_delay_alu instid0(VALU_DEP_1) | instskip(NEXT) | instid1(VALU_DEP_1)
	v_mul_f32_e32 v20, v17, v18
	v_dual_sub_f32 v29, v30, v18 :: v_dual_mul_f32 v22, v21, v20
	s_delay_alu instid0(VALU_DEP_1) | instskip(NEXT) | instid1(VALU_DEP_2)
	v_add_f32_e32 v15, v15, v29
	v_fma_f32 v21, v20, v21, -v22
	s_delay_alu instid0(VALU_DEP_1) | instskip(NEXT) | instid1(VALU_DEP_1)
	v_fmac_f32_e32 v21, v20, v19
	v_add_f32_e32 v19, v22, v21
	s_delay_alu instid0(VALU_DEP_1) | instskip(SKIP_1) | instid1(VALU_DEP_2)
	v_sub_f32_e32 v24, v18, v19
	v_sub_f32_e32 v22, v19, v22
	;; [unrolled: 1-line block ×3, first 2 shown]
	s_delay_alu instid0(VALU_DEP_1) | instskip(NEXT) | instid1(VALU_DEP_3)
	v_sub_f32_e32 v18, v18, v19
	v_sub_f32_e32 v19, v22, v21
	s_delay_alu instid0(VALU_DEP_2) | instskip(SKIP_1) | instid1(VALU_DEP_2)
	v_add_f32_e32 v15, v15, v18
	v_add_f32_e32 v18, v23, v20
	;; [unrolled: 1-line block ×3, first 2 shown]
	s_delay_alu instid0(VALU_DEP_2) | instskip(NEXT) | instid1(VALU_DEP_2)
	v_sub_f32_e32 v19, v18, v23
	v_add_f32_e32 v15, v24, v15
	s_delay_alu instid0(VALU_DEP_2) | instskip(NEXT) | instid1(VALU_DEP_2)
	v_sub_f32_e32 v19, v20, v19
	v_mul_f32_e32 v15, v17, v15
	s_delay_alu instid0(VALU_DEP_1) | instskip(NEXT) | instid1(VALU_DEP_1)
	v_add_f32_e32 v15, v19, v15
	v_add_f32_e32 v17, v18, v15
	s_delay_alu instid0(VALU_DEP_1) | instskip(SKIP_1) | instid1(VALU_DEP_1)
	v_mul_f32_e32 v19, v17, v17
	s_wait_alu 0xfffe
	v_fmaak_f32 v20, s16, v19, 0x3ecc95a3
	v_mul_f32_e32 v21, v17, v19
	v_cmp_neq_f32_e64 s16, 0x7f800000, v16
	s_delay_alu instid0(VALU_DEP_3) | instskip(SKIP_2) | instid1(VALU_DEP_3)
	v_fmaak_f32 v19, v19, v20, 0x3f2aaada
	v_ldexp_f32 v20, v17, 1
	v_sub_f32_e32 v17, v17, v18
	v_mul_f32_e32 v19, v21, v19
	v_mul_f32_e32 v21, 0x3f317218, v14
	s_delay_alu instid0(VALU_DEP_2) | instskip(NEXT) | instid1(VALU_DEP_1)
	v_dual_sub_f32 v15, v15, v17 :: v_dual_add_f32 v18, v20, v19
	v_ldexp_f32 v15, v15, 1
	s_delay_alu instid0(VALU_DEP_2) | instskip(NEXT) | instid1(VALU_DEP_4)
	v_sub_f32_e32 v17, v18, v20
	v_fma_f32 v20, 0x3f317218, v14, -v21
	s_delay_alu instid0(VALU_DEP_1) | instskip(NEXT) | instid1(VALU_DEP_1)
	v_dual_sub_f32 v17, v19, v17 :: v_dual_fmamk_f32 v14, v14, 0xb102e308, v20
	v_add_f32_e32 v15, v15, v17
	s_delay_alu instid0(VALU_DEP_2) | instskip(NEXT) | instid1(VALU_DEP_2)
	v_add_f32_e32 v17, v21, v14
	v_add_f32_e32 v19, v18, v15
	s_delay_alu instid0(VALU_DEP_2) | instskip(NEXT) | instid1(VALU_DEP_2)
	v_sub_f32_e32 v21, v17, v21
	v_add_f32_e32 v20, v17, v19
	v_sub_f32_e32 v18, v19, v18
	s_delay_alu instid0(VALU_DEP_3) | instskip(NEXT) | instid1(VALU_DEP_2)
	v_sub_f32_e32 v14, v14, v21
	v_dual_sub_f32 v22, v20, v17 :: v_dual_sub_f32 v15, v15, v18
	s_delay_alu instid0(VALU_DEP_1) | instskip(NEXT) | instid1(VALU_DEP_2)
	v_sub_f32_e32 v23, v20, v22
	v_dual_sub_f32 v18, v19, v22 :: v_dual_add_f32 v19, v14, v15
	s_delay_alu instid0(VALU_DEP_2) | instskip(NEXT) | instid1(VALU_DEP_1)
	v_sub_f32_e32 v17, v17, v23
	v_dual_add_f32 v17, v18, v17 :: v_dual_sub_f32 v18, v19, v14
	s_delay_alu instid0(VALU_DEP_1) | instskip(NEXT) | instid1(VALU_DEP_2)
	v_add_f32_e32 v17, v19, v17
	v_sub_f32_e32 v19, v19, v18
	v_sub_f32_e32 v15, v15, v18
	s_delay_alu instid0(VALU_DEP_2) | instskip(NEXT) | instid1(VALU_DEP_1)
	v_dual_add_f32 v21, v20, v17 :: v_dual_sub_f32 v14, v14, v19
	v_sub_f32_e32 v18, v21, v20
	s_delay_alu instid0(VALU_DEP_2) | instskip(NEXT) | instid1(VALU_DEP_2)
	v_add_f32_e32 v14, v15, v14
	v_sub_f32_e32 v15, v17, v18
	s_delay_alu instid0(VALU_DEP_1) | instskip(NEXT) | instid1(VALU_DEP_1)
	v_add_f32_e32 v14, v14, v15
	v_add_f32_e32 v14, v21, v14
	s_wait_alu 0xf1ff
	s_delay_alu instid0(VALU_DEP_1) | instskip(SKIP_2) | instid1(VALU_DEP_1)
	v_cndmask_b32_e64 v14, 0x7f800000, v14, s16
	v_cmp_gt_f32_e64 s16, 0x33800000, |v16|
	s_wait_alu 0xf1ff
	v_cndmask_b32_e64 v14, v14, v16, s16
	s_delay_alu instid0(VALU_DEP_1)
	v_add_f32_e32 v14, v10, v14
.LBB479_30:
	s_or_b32 exec_lo, exec_lo, s17
	s_delay_alu instid0(VALU_DEP_1) | instskip(SKIP_1) | instid1(VALU_DEP_2)
	v_bfe_u32 v10, v14, 16, 1
	v_cmp_o_f32_e64 s16, v14, v14
	v_add3_u32 v10, v14, v10, 0x7fff
	s_delay_alu instid0(VALU_DEP_1) | instskip(SKIP_2) | instid1(VALU_DEP_2)
	v_and_b32_e32 v15, 0xffff0000, v10
	v_lshlrev_b32_e32 v10, 16, v3
	s_wait_alu 0xf1ff
	v_cndmask_b32_e64 v16, 0x7fc00000, v15, s16
	s_delay_alu instid0(VALU_DEP_1) | instskip(SKIP_1) | instid1(VALU_DEP_2)
	v_dual_max_num_f32 v15, v10, v10 :: v_dual_max_num_f32 v14, v16, v16
	v_cmp_u_f32_e64 s16, v16, v16
	v_min_num_f32_e32 v17, v14, v15
	v_max_num_f32_e32 v14, v14, v15
	s_wait_alu 0xf1ff
	s_delay_alu instid0(VALU_DEP_2) | instskip(NEXT) | instid1(VALU_DEP_2)
	v_cndmask_b32_e64 v17, v17, v16, s16
	v_cndmask_b32_e64 v14, v14, v16, s16
	v_cmp_u_f32_e64 s16, v10, v10
	s_wait_alu 0xf1ff
	s_delay_alu instid0(VALU_DEP_1) | instskip(NEXT) | instid1(VALU_DEP_3)
	v_cndmask_b32_e64 v17, v17, v10, s16
	v_cndmask_b32_e64 v14, v14, v10, s16
	s_delay_alu instid0(VALU_DEP_2) | instskip(NEXT) | instid1(VALU_DEP_2)
	v_cmp_class_f32_e64 s18, v17, 0x1f8
	v_cmp_neq_f32_e64 s17, v17, v14
	s_or_b32 s17, s17, s18
	s_wait_alu 0xfffe
	s_and_saveexec_b32 s18, s17
	s_cbranch_execz .LBB479_32
; %bb.31:
	v_sub_f32_e32 v16, v17, v14
	s_delay_alu instid0(VALU_DEP_1) | instskip(SKIP_1) | instid1(VALU_DEP_2)
	v_mul_f32_e32 v17, 0x3fb8aa3b, v16
	v_cmp_ngt_f32_e64 s17, 0xc2ce8ed0, v16
	v_fma_f32 v18, 0x3fb8aa3b, v16, -v17
	v_rndne_f32_e32 v19, v17
	s_delay_alu instid0(VALU_DEP_1) | instskip(NEXT) | instid1(VALU_DEP_1)
	v_dual_fmamk_f32 v18, v16, 0x32a5705f, v18 :: v_dual_sub_f32 v17, v17, v19
	v_add_f32_e32 v17, v17, v18
	v_cvt_i32_f32_e32 v18, v19
	s_delay_alu instid0(VALU_DEP_2) | instskip(NEXT) | instid1(TRANS32_DEP_1)
	v_exp_f32_e32 v17, v17
	v_ldexp_f32 v17, v17, v18
	s_wait_alu 0xf1ff
	s_delay_alu instid0(VALU_DEP_1) | instskip(SKIP_2) | instid1(VALU_DEP_1)
	v_cndmask_b32_e64 v17, 0, v17, s17
	v_cmp_nlt_f32_e64 s17, 0x42b17218, v16
	s_wait_alu 0xf1ff
	v_cndmask_b32_e64 v18, 0x7f800000, v17, s17
	s_delay_alu instid0(VALU_DEP_1) | instskip(NEXT) | instid1(VALU_DEP_1)
	v_add_f32_e32 v19, 1.0, v18
	v_cvt_f64_f32_e32 v[16:17], v19
	s_delay_alu instid0(VALU_DEP_1) | instskip(SKIP_1) | instid1(VALU_DEP_1)
	v_frexp_exp_i32_f64_e32 v16, v[16:17]
	v_frexp_mant_f32_e32 v17, v19
	v_cmp_gt_f32_e64 s17, 0x3f2aaaab, v17
	v_add_f32_e32 v17, -1.0, v19
	s_delay_alu instid0(VALU_DEP_1)
	v_sub_f32_e32 v21, v17, v19
	v_sub_f32_e32 v17, v18, v17
	s_wait_alu 0xf1ff
	v_subrev_co_ci_u32_e64 v16, null, 0, v16, s17
	s_mov_b32 s17, 0x3e9b6dac
	v_sub_nc_u32_e32 v20, 0, v16
	v_cvt_f32_i32_e32 v16, v16
	s_delay_alu instid0(VALU_DEP_2) | instskip(NEXT) | instid1(VALU_DEP_1)
	v_ldexp_f32 v19, v19, v20
	v_dual_add_f32 v22, 1.0, v19 :: v_dual_add_f32 v21, 1.0, v21
	s_delay_alu instid0(VALU_DEP_1) | instskip(NEXT) | instid1(VALU_DEP_2)
	v_add_f32_e32 v17, v17, v21
	v_add_f32_e32 v21, -1.0, v22
	s_delay_alu instid0(VALU_DEP_2) | instskip(NEXT) | instid1(VALU_DEP_2)
	v_ldexp_f32 v17, v17, v20
	v_dual_add_f32 v20, -1.0, v19 :: v_dual_sub_f32 v21, v19, v21
	s_delay_alu instid0(VALU_DEP_1) | instskip(NEXT) | instid1(VALU_DEP_2)
	v_add_f32_e32 v23, 1.0, v20
	v_add_f32_e32 v21, v17, v21
	s_delay_alu instid0(VALU_DEP_2) | instskip(NEXT) | instid1(VALU_DEP_2)
	v_sub_f32_e32 v19, v19, v23
	v_add_f32_e32 v23, v22, v21
	s_delay_alu instid0(VALU_DEP_2) | instskip(NEXT) | instid1(VALU_DEP_2)
	v_add_f32_e32 v17, v17, v19
	v_rcp_f32_e32 v19, v23
	v_sub_f32_e32 v22, v22, v23
	s_delay_alu instid0(VALU_DEP_1) | instskip(NEXT) | instid1(VALU_DEP_1)
	v_dual_add_f32 v24, v20, v17 :: v_dual_add_f32 v21, v21, v22
	v_sub_f32_e32 v20, v20, v24
	s_delay_alu instid0(TRANS32_DEP_1) | instskip(NEXT) | instid1(VALU_DEP_1)
	v_mul_f32_e32 v29, v24, v19
	v_dual_add_f32 v17, v17, v20 :: v_dual_mul_f32 v30, v23, v29
	s_delay_alu instid0(VALU_DEP_1) | instskip(NEXT) | instid1(VALU_DEP_1)
	v_fma_f32 v22, v29, v23, -v30
	v_fmac_f32_e32 v22, v29, v21
	s_delay_alu instid0(VALU_DEP_1) | instskip(NEXT) | instid1(VALU_DEP_1)
	v_add_f32_e32 v31, v30, v22
	v_sub_f32_e32 v32, v24, v31
	v_sub_f32_e32 v20, v31, v30
	s_delay_alu instid0(VALU_DEP_2) | instskip(NEXT) | instid1(VALU_DEP_2)
	v_sub_f32_e32 v24, v24, v32
	v_sub_f32_e32 v20, v20, v22
	s_delay_alu instid0(VALU_DEP_2) | instskip(NEXT) | instid1(VALU_DEP_1)
	v_sub_f32_e32 v24, v24, v31
	v_add_f32_e32 v17, v17, v24
	s_delay_alu instid0(VALU_DEP_1) | instskip(NEXT) | instid1(VALU_DEP_1)
	v_add_f32_e32 v17, v20, v17
	v_add_f32_e32 v20, v32, v17
	s_delay_alu instid0(VALU_DEP_1) | instskip(NEXT) | instid1(VALU_DEP_1)
	v_mul_f32_e32 v22, v19, v20
	v_dual_sub_f32 v31, v32, v20 :: v_dual_mul_f32 v24, v23, v22
	s_delay_alu instid0(VALU_DEP_1) | instskip(NEXT) | instid1(VALU_DEP_2)
	v_add_f32_e32 v17, v17, v31
	v_fma_f32 v23, v22, v23, -v24
	s_delay_alu instid0(VALU_DEP_1) | instskip(NEXT) | instid1(VALU_DEP_1)
	v_fmac_f32_e32 v23, v22, v21
	v_add_f32_e32 v21, v24, v23
	s_delay_alu instid0(VALU_DEP_1) | instskip(SKIP_1) | instid1(VALU_DEP_2)
	v_sub_f32_e32 v30, v20, v21
	v_sub_f32_e32 v24, v21, v24
	;; [unrolled: 1-line block ×3, first 2 shown]
	s_delay_alu instid0(VALU_DEP_1) | instskip(NEXT) | instid1(VALU_DEP_3)
	v_sub_f32_e32 v20, v20, v21
	v_sub_f32_e32 v21, v24, v23
	s_delay_alu instid0(VALU_DEP_2) | instskip(SKIP_1) | instid1(VALU_DEP_2)
	v_add_f32_e32 v17, v17, v20
	v_add_f32_e32 v20, v29, v22
	v_add_f32_e32 v17, v21, v17
	s_delay_alu instid0(VALU_DEP_2) | instskip(NEXT) | instid1(VALU_DEP_2)
	v_sub_f32_e32 v21, v20, v29
	v_add_f32_e32 v17, v30, v17
	s_delay_alu instid0(VALU_DEP_2) | instskip(NEXT) | instid1(VALU_DEP_2)
	v_sub_f32_e32 v21, v22, v21
	v_mul_f32_e32 v17, v19, v17
	s_delay_alu instid0(VALU_DEP_1) | instskip(NEXT) | instid1(VALU_DEP_1)
	v_add_f32_e32 v17, v21, v17
	v_add_f32_e32 v19, v20, v17
	s_delay_alu instid0(VALU_DEP_1) | instskip(SKIP_1) | instid1(VALU_DEP_1)
	v_mul_f32_e32 v21, v19, v19
	s_wait_alu 0xfffe
	v_fmaak_f32 v22, s17, v21, 0x3ecc95a3
	v_mul_f32_e32 v23, v19, v21
	v_cmp_neq_f32_e64 s17, 0x7f800000, v18
	s_delay_alu instid0(VALU_DEP_3) | instskip(SKIP_2) | instid1(VALU_DEP_3)
	v_fmaak_f32 v21, v21, v22, 0x3f2aaada
	v_ldexp_f32 v22, v19, 1
	v_sub_f32_e32 v19, v19, v20
	v_mul_f32_e32 v21, v23, v21
	v_mul_f32_e32 v23, 0x3f317218, v16
	s_delay_alu instid0(VALU_DEP_2) | instskip(NEXT) | instid1(VALU_DEP_1)
	v_dual_sub_f32 v17, v17, v19 :: v_dual_add_f32 v20, v22, v21
	v_ldexp_f32 v17, v17, 1
	s_delay_alu instid0(VALU_DEP_2) | instskip(NEXT) | instid1(VALU_DEP_4)
	v_sub_f32_e32 v19, v20, v22
	v_fma_f32 v22, 0x3f317218, v16, -v23
	s_delay_alu instid0(VALU_DEP_1) | instskip(NEXT) | instid1(VALU_DEP_1)
	v_dual_sub_f32 v19, v21, v19 :: v_dual_fmamk_f32 v16, v16, 0xb102e308, v22
	v_add_f32_e32 v17, v17, v19
	s_delay_alu instid0(VALU_DEP_2) | instskip(NEXT) | instid1(VALU_DEP_2)
	v_add_f32_e32 v19, v23, v16
	v_add_f32_e32 v21, v20, v17
	s_delay_alu instid0(VALU_DEP_2) | instskip(NEXT) | instid1(VALU_DEP_2)
	v_sub_f32_e32 v23, v19, v23
	v_add_f32_e32 v22, v19, v21
	v_sub_f32_e32 v20, v21, v20
	s_delay_alu instid0(VALU_DEP_3) | instskip(NEXT) | instid1(VALU_DEP_2)
	v_sub_f32_e32 v16, v16, v23
	v_dual_sub_f32 v24, v22, v19 :: v_dual_sub_f32 v17, v17, v20
	s_delay_alu instid0(VALU_DEP_1) | instskip(NEXT) | instid1(VALU_DEP_2)
	v_sub_f32_e32 v29, v22, v24
	v_dual_sub_f32 v20, v21, v24 :: v_dual_add_f32 v21, v16, v17
	s_delay_alu instid0(VALU_DEP_2) | instskip(NEXT) | instid1(VALU_DEP_1)
	v_sub_f32_e32 v19, v19, v29
	v_dual_add_f32 v19, v20, v19 :: v_dual_sub_f32 v20, v21, v16
	s_delay_alu instid0(VALU_DEP_1) | instskip(NEXT) | instid1(VALU_DEP_2)
	v_add_f32_e32 v19, v21, v19
	v_sub_f32_e32 v21, v21, v20
	v_sub_f32_e32 v17, v17, v20
	s_delay_alu instid0(VALU_DEP_2) | instskip(NEXT) | instid1(VALU_DEP_1)
	v_dual_add_f32 v23, v22, v19 :: v_dual_sub_f32 v16, v16, v21
	v_sub_f32_e32 v20, v23, v22
	s_delay_alu instid0(VALU_DEP_2) | instskip(NEXT) | instid1(VALU_DEP_2)
	v_add_f32_e32 v16, v17, v16
	v_sub_f32_e32 v17, v19, v20
	s_delay_alu instid0(VALU_DEP_1) | instskip(NEXT) | instid1(VALU_DEP_1)
	v_add_f32_e32 v16, v16, v17
	v_add_f32_e32 v16, v23, v16
	s_wait_alu 0xf1ff
	s_delay_alu instid0(VALU_DEP_1) | instskip(SKIP_2) | instid1(VALU_DEP_1)
	v_cndmask_b32_e64 v16, 0x7f800000, v16, s17
	v_cmp_gt_f32_e64 s17, 0x33800000, |v18|
	s_wait_alu 0xf1ff
	v_cndmask_b32_e64 v16, v16, v18, s17
	s_delay_alu instid0(VALU_DEP_1)
	v_add_f32_e32 v16, v14, v16
.LBB479_32:
	s_wait_alu 0xfffe
	s_or_b32 exec_lo, exec_lo, s18
	s_delay_alu instid0(VALU_DEP_1) | instskip(SKIP_1) | instid1(VALU_DEP_2)
	v_bfe_u32 v14, v16, 16, 1
	v_cmp_o_f32_e64 s17, v16, v16
	v_add3_u32 v14, v16, v14, 0x7fff
	s_delay_alu instid0(VALU_DEP_1) | instskip(SKIP_1) | instid1(VALU_DEP_1)
	v_and_b32_e32 v14, 0xffff0000, v14
	s_wait_alu 0xf1ff
	v_cndmask_b32_e64 v17, 0x7fc00000, v14, s17
	s_delay_alu instid0(VALU_DEP_1) | instskip(NEXT) | instid1(VALU_DEP_1)
	v_dual_max_num_f32 v14, v17, v17 :: v_dual_and_b32 v3, 0xffff0000, v3
	v_max_num_f32_e32 v16, v3, v3
	v_cmp_u_f32_e64 s17, v17, v17
	s_delay_alu instid0(VALU_DEP_2) | instskip(SKIP_2) | instid1(VALU_DEP_2)
	v_min_num_f32_e32 v18, v14, v16
	v_max_num_f32_e32 v14, v14, v16
	s_wait_alu 0xf1ff
	v_cndmask_b32_e64 v18, v18, v17, s17
	s_delay_alu instid0(VALU_DEP_2) | instskip(SKIP_2) | instid1(VALU_DEP_1)
	v_cndmask_b32_e64 v14, v14, v17, s17
	v_cmp_u_f32_e64 s17, v3, v3
	s_wait_alu 0xf1ff
	v_cndmask_b32_e64 v18, v18, v3, s17
	s_delay_alu instid0(VALU_DEP_3) | instskip(NEXT) | instid1(VALU_DEP_2)
	v_cndmask_b32_e64 v14, v14, v3, s17
	v_cmp_class_f32_e64 s19, v18, 0x1f8
	s_delay_alu instid0(VALU_DEP_2)
	v_cmp_neq_f32_e64 s18, v18, v14
	s_or_b32 s18, s18, s19
	s_wait_alu 0xfffe
	s_and_saveexec_b32 s19, s18
	s_cbranch_execz .LBB479_34
; %bb.33:
	v_sub_f32_e32 v17, v18, v14
	s_delay_alu instid0(VALU_DEP_1) | instskip(SKIP_1) | instid1(VALU_DEP_2)
	v_mul_f32_e32 v18, 0x3fb8aa3b, v17
	v_cmp_ngt_f32_e64 s18, 0xc2ce8ed0, v17
	v_fma_f32 v19, 0x3fb8aa3b, v17, -v18
	v_rndne_f32_e32 v20, v18
	s_delay_alu instid0(VALU_DEP_1) | instskip(NEXT) | instid1(VALU_DEP_1)
	v_dual_fmamk_f32 v19, v17, 0x32a5705f, v19 :: v_dual_sub_f32 v18, v18, v20
	v_add_f32_e32 v18, v18, v19
	v_cvt_i32_f32_e32 v19, v20
	s_delay_alu instid0(VALU_DEP_2) | instskip(NEXT) | instid1(TRANS32_DEP_1)
	v_exp_f32_e32 v18, v18
	v_ldexp_f32 v18, v18, v19
	s_wait_alu 0xf1ff
	s_delay_alu instid0(VALU_DEP_1) | instskip(SKIP_2) | instid1(VALU_DEP_1)
	v_cndmask_b32_e64 v18, 0, v18, s18
	v_cmp_nlt_f32_e64 s18, 0x42b17218, v17
	s_wait_alu 0xf1ff
	v_cndmask_b32_e64 v19, 0x7f800000, v18, s18
	s_delay_alu instid0(VALU_DEP_1) | instskip(NEXT) | instid1(VALU_DEP_1)
	v_add_f32_e32 v20, 1.0, v19
	v_cvt_f64_f32_e32 v[17:18], v20
	s_delay_alu instid0(VALU_DEP_1) | instskip(SKIP_1) | instid1(VALU_DEP_1)
	v_frexp_exp_i32_f64_e32 v17, v[17:18]
	v_frexp_mant_f32_e32 v18, v20
	v_cmp_gt_f32_e64 s18, 0x3f2aaaab, v18
	v_add_f32_e32 v18, -1.0, v20
	s_delay_alu instid0(VALU_DEP_1)
	v_sub_f32_e32 v22, v18, v20
	v_sub_f32_e32 v18, v19, v18
	s_wait_alu 0xf1ff
	v_subrev_co_ci_u32_e64 v17, null, 0, v17, s18
	s_mov_b32 s18, 0x3e9b6dac
	v_sub_nc_u32_e32 v21, 0, v17
	v_cvt_f32_i32_e32 v17, v17
	s_delay_alu instid0(VALU_DEP_2) | instskip(NEXT) | instid1(VALU_DEP_1)
	v_ldexp_f32 v20, v20, v21
	v_dual_add_f32 v23, 1.0, v20 :: v_dual_add_f32 v22, 1.0, v22
	s_delay_alu instid0(VALU_DEP_1) | instskip(NEXT) | instid1(VALU_DEP_2)
	v_add_f32_e32 v18, v18, v22
	v_add_f32_e32 v22, -1.0, v23
	s_delay_alu instid0(VALU_DEP_2) | instskip(NEXT) | instid1(VALU_DEP_2)
	v_ldexp_f32 v18, v18, v21
	v_dual_add_f32 v21, -1.0, v20 :: v_dual_sub_f32 v22, v20, v22
	s_delay_alu instid0(VALU_DEP_1) | instskip(NEXT) | instid1(VALU_DEP_2)
	v_add_f32_e32 v24, 1.0, v21
	v_add_f32_e32 v22, v18, v22
	s_delay_alu instid0(VALU_DEP_2) | instskip(NEXT) | instid1(VALU_DEP_2)
	v_sub_f32_e32 v20, v20, v24
	v_add_f32_e32 v24, v23, v22
	s_delay_alu instid0(VALU_DEP_2) | instskip(NEXT) | instid1(VALU_DEP_2)
	v_add_f32_e32 v18, v18, v20
	v_rcp_f32_e32 v20, v24
	v_sub_f32_e32 v23, v23, v24
	s_delay_alu instid0(VALU_DEP_1) | instskip(NEXT) | instid1(VALU_DEP_1)
	v_dual_add_f32 v29, v21, v18 :: v_dual_add_f32 v22, v22, v23
	v_sub_f32_e32 v21, v21, v29
	s_delay_alu instid0(TRANS32_DEP_1) | instskip(NEXT) | instid1(VALU_DEP_1)
	v_mul_f32_e32 v30, v29, v20
	v_dual_add_f32 v18, v18, v21 :: v_dual_mul_f32 v31, v24, v30
	s_delay_alu instid0(VALU_DEP_1) | instskip(NEXT) | instid1(VALU_DEP_1)
	v_fma_f32 v23, v30, v24, -v31
	v_fmac_f32_e32 v23, v30, v22
	s_delay_alu instid0(VALU_DEP_1) | instskip(NEXT) | instid1(VALU_DEP_1)
	v_add_f32_e32 v32, v31, v23
	v_sub_f32_e32 v33, v29, v32
	v_sub_f32_e32 v21, v32, v31
	s_delay_alu instid0(VALU_DEP_2) | instskip(NEXT) | instid1(VALU_DEP_2)
	v_sub_f32_e32 v29, v29, v33
	v_sub_f32_e32 v21, v21, v23
	s_delay_alu instid0(VALU_DEP_2) | instskip(NEXT) | instid1(VALU_DEP_1)
	v_sub_f32_e32 v29, v29, v32
	v_add_f32_e32 v18, v18, v29
	s_delay_alu instid0(VALU_DEP_1) | instskip(NEXT) | instid1(VALU_DEP_1)
	v_add_f32_e32 v18, v21, v18
	v_add_f32_e32 v21, v33, v18
	s_delay_alu instid0(VALU_DEP_1) | instskip(NEXT) | instid1(VALU_DEP_1)
	v_mul_f32_e32 v23, v20, v21
	v_dual_sub_f32 v32, v33, v21 :: v_dual_mul_f32 v29, v24, v23
	s_delay_alu instid0(VALU_DEP_1) | instskip(NEXT) | instid1(VALU_DEP_2)
	v_add_f32_e32 v18, v18, v32
	v_fma_f32 v24, v23, v24, -v29
	s_delay_alu instid0(VALU_DEP_1) | instskip(NEXT) | instid1(VALU_DEP_1)
	v_fmac_f32_e32 v24, v23, v22
	v_add_f32_e32 v22, v29, v24
	s_delay_alu instid0(VALU_DEP_1) | instskip(SKIP_1) | instid1(VALU_DEP_2)
	v_sub_f32_e32 v31, v21, v22
	v_sub_f32_e32 v29, v22, v29
	;; [unrolled: 1-line block ×3, first 2 shown]
	s_delay_alu instid0(VALU_DEP_1) | instskip(NEXT) | instid1(VALU_DEP_3)
	v_sub_f32_e32 v21, v21, v22
	v_sub_f32_e32 v22, v29, v24
	s_delay_alu instid0(VALU_DEP_2) | instskip(SKIP_1) | instid1(VALU_DEP_2)
	v_add_f32_e32 v18, v18, v21
	v_add_f32_e32 v21, v30, v23
	;; [unrolled: 1-line block ×3, first 2 shown]
	s_delay_alu instid0(VALU_DEP_2) | instskip(NEXT) | instid1(VALU_DEP_2)
	v_sub_f32_e32 v22, v21, v30
	v_add_f32_e32 v18, v31, v18
	s_delay_alu instid0(VALU_DEP_2) | instskip(NEXT) | instid1(VALU_DEP_2)
	v_sub_f32_e32 v22, v23, v22
	v_mul_f32_e32 v18, v20, v18
	s_delay_alu instid0(VALU_DEP_1) | instskip(NEXT) | instid1(VALU_DEP_1)
	v_add_f32_e32 v18, v22, v18
	v_add_f32_e32 v20, v21, v18
	s_delay_alu instid0(VALU_DEP_1) | instskip(SKIP_1) | instid1(VALU_DEP_1)
	v_mul_f32_e32 v22, v20, v20
	s_wait_alu 0xfffe
	v_fmaak_f32 v23, s18, v22, 0x3ecc95a3
	v_mul_f32_e32 v24, v20, v22
	v_cmp_neq_f32_e64 s18, 0x7f800000, v19
	s_delay_alu instid0(VALU_DEP_3) | instskip(SKIP_2) | instid1(VALU_DEP_3)
	v_fmaak_f32 v22, v22, v23, 0x3f2aaada
	v_ldexp_f32 v23, v20, 1
	v_sub_f32_e32 v20, v20, v21
	v_mul_f32_e32 v22, v24, v22
	v_mul_f32_e32 v24, 0x3f317218, v17
	s_delay_alu instid0(VALU_DEP_2) | instskip(NEXT) | instid1(VALU_DEP_1)
	v_dual_sub_f32 v18, v18, v20 :: v_dual_add_f32 v21, v23, v22
	v_ldexp_f32 v18, v18, 1
	s_delay_alu instid0(VALU_DEP_2) | instskip(NEXT) | instid1(VALU_DEP_4)
	v_sub_f32_e32 v20, v21, v23
	v_fma_f32 v23, 0x3f317218, v17, -v24
	s_delay_alu instid0(VALU_DEP_1) | instskip(NEXT) | instid1(VALU_DEP_1)
	v_dual_sub_f32 v20, v22, v20 :: v_dual_fmamk_f32 v17, v17, 0xb102e308, v23
	v_add_f32_e32 v18, v18, v20
	s_delay_alu instid0(VALU_DEP_2) | instskip(NEXT) | instid1(VALU_DEP_2)
	v_add_f32_e32 v20, v24, v17
	v_add_f32_e32 v22, v21, v18
	s_delay_alu instid0(VALU_DEP_2) | instskip(NEXT) | instid1(VALU_DEP_2)
	v_sub_f32_e32 v24, v20, v24
	v_add_f32_e32 v23, v20, v22
	v_sub_f32_e32 v21, v22, v21
	s_delay_alu instid0(VALU_DEP_3) | instskip(NEXT) | instid1(VALU_DEP_2)
	v_sub_f32_e32 v17, v17, v24
	v_dual_sub_f32 v29, v23, v20 :: v_dual_sub_f32 v18, v18, v21
	s_delay_alu instid0(VALU_DEP_1) | instskip(NEXT) | instid1(VALU_DEP_2)
	v_sub_f32_e32 v30, v23, v29
	v_dual_sub_f32 v21, v22, v29 :: v_dual_add_f32 v22, v17, v18
	s_delay_alu instid0(VALU_DEP_2) | instskip(NEXT) | instid1(VALU_DEP_1)
	v_sub_f32_e32 v20, v20, v30
	v_dual_add_f32 v20, v21, v20 :: v_dual_sub_f32 v21, v22, v17
	s_delay_alu instid0(VALU_DEP_1) | instskip(NEXT) | instid1(VALU_DEP_2)
	v_add_f32_e32 v20, v22, v20
	v_sub_f32_e32 v22, v22, v21
	v_sub_f32_e32 v18, v18, v21
	s_delay_alu instid0(VALU_DEP_2) | instskip(NEXT) | instid1(VALU_DEP_1)
	v_dual_add_f32 v24, v23, v20 :: v_dual_sub_f32 v17, v17, v22
	v_sub_f32_e32 v21, v24, v23
	s_delay_alu instid0(VALU_DEP_2) | instskip(NEXT) | instid1(VALU_DEP_2)
	v_add_f32_e32 v17, v18, v17
	v_sub_f32_e32 v18, v20, v21
	s_delay_alu instid0(VALU_DEP_1) | instskip(NEXT) | instid1(VALU_DEP_1)
	v_add_f32_e32 v17, v17, v18
	v_add_f32_e32 v17, v24, v17
	s_wait_alu 0xf1ff
	s_delay_alu instid0(VALU_DEP_1) | instskip(SKIP_2) | instid1(VALU_DEP_1)
	v_cndmask_b32_e64 v17, 0x7f800000, v17, s18
	v_cmp_gt_f32_e64 s18, 0x33800000, |v19|
	s_wait_alu 0xf1ff
	v_cndmask_b32_e64 v17, v17, v19, s18
	s_delay_alu instid0(VALU_DEP_1)
	v_add_f32_e32 v17, v14, v17
.LBB479_34:
	s_wait_alu 0xfffe
	s_or_b32 exec_lo, exec_lo, s19
	s_delay_alu instid0(VALU_DEP_1) | instskip(SKIP_1) | instid1(VALU_DEP_2)
	v_bfe_u32 v14, v17, 16, 1
	v_cmp_o_f32_e64 s18, v17, v17
	v_add3_u32 v14, v17, v14, 0x7fff
	s_delay_alu instid0(VALU_DEP_1) | instskip(SKIP_1) | instid1(VALU_DEP_1)
	v_and_b32_e32 v18, 0xffff0000, v14
	s_wait_alu 0xf1ff
	v_cndmask_b32_e64 v19, 0x7fc00000, v18, s18
	s_delay_alu instid0(VALU_DEP_1) | instskip(SKIP_1) | instid1(VALU_DEP_2)
	v_dual_max_num_f32 v17, v19, v19 :: v_dual_lshlrev_b32 v14, 16, v4
	v_cmp_u_f32_e64 s18, v19, v19
	v_max_num_f32_e32 v18, v14, v14
	s_delay_alu instid0(VALU_DEP_1) | instskip(SKIP_2) | instid1(VALU_DEP_2)
	v_min_num_f32_e32 v20, v17, v18
	v_max_num_f32_e32 v17, v17, v18
	s_wait_alu 0xf1ff
	v_cndmask_b32_e64 v20, v20, v19, s18
	s_delay_alu instid0(VALU_DEP_2) | instskip(SKIP_2) | instid1(VALU_DEP_1)
	v_cndmask_b32_e64 v17, v17, v19, s18
	v_cmp_u_f32_e64 s18, v14, v14
	s_wait_alu 0xf1ff
	v_cndmask_b32_e64 v20, v20, v14, s18
	s_delay_alu instid0(VALU_DEP_3) | instskip(NEXT) | instid1(VALU_DEP_2)
	v_cndmask_b32_e64 v17, v17, v14, s18
	v_cmp_class_f32_e64 s20, v20, 0x1f8
	s_delay_alu instid0(VALU_DEP_2)
	v_cmp_neq_f32_e64 s19, v20, v17
	s_or_b32 s19, s19, s20
	s_wait_alu 0xfffe
	s_and_saveexec_b32 s20, s19
	s_cbranch_execz .LBB479_36
; %bb.35:
	v_sub_f32_e32 v19, v20, v17
	s_delay_alu instid0(VALU_DEP_1) | instskip(SKIP_1) | instid1(VALU_DEP_2)
	v_mul_f32_e32 v20, 0x3fb8aa3b, v19
	v_cmp_ngt_f32_e64 s19, 0xc2ce8ed0, v19
	v_fma_f32 v21, 0x3fb8aa3b, v19, -v20
	v_rndne_f32_e32 v22, v20
	s_delay_alu instid0(VALU_DEP_1) | instskip(NEXT) | instid1(VALU_DEP_1)
	v_dual_fmamk_f32 v21, v19, 0x32a5705f, v21 :: v_dual_sub_f32 v20, v20, v22
	v_add_f32_e32 v20, v20, v21
	v_cvt_i32_f32_e32 v21, v22
	s_delay_alu instid0(VALU_DEP_2) | instskip(NEXT) | instid1(TRANS32_DEP_1)
	v_exp_f32_e32 v20, v20
	v_ldexp_f32 v20, v20, v21
	s_wait_alu 0xf1ff
	s_delay_alu instid0(VALU_DEP_1) | instskip(SKIP_2) | instid1(VALU_DEP_1)
	v_cndmask_b32_e64 v20, 0, v20, s19
	v_cmp_nlt_f32_e64 s19, 0x42b17218, v19
	s_wait_alu 0xf1ff
	v_cndmask_b32_e64 v21, 0x7f800000, v20, s19
	s_delay_alu instid0(VALU_DEP_1) | instskip(NEXT) | instid1(VALU_DEP_1)
	v_add_f32_e32 v22, 1.0, v21
	v_cvt_f64_f32_e32 v[19:20], v22
	s_delay_alu instid0(VALU_DEP_1) | instskip(SKIP_1) | instid1(VALU_DEP_1)
	v_frexp_exp_i32_f64_e32 v19, v[19:20]
	v_frexp_mant_f32_e32 v20, v22
	v_cmp_gt_f32_e64 s19, 0x3f2aaaab, v20
	v_add_f32_e32 v20, -1.0, v22
	s_delay_alu instid0(VALU_DEP_1)
	v_sub_f32_e32 v24, v20, v22
	v_sub_f32_e32 v20, v21, v20
	s_wait_alu 0xf1ff
	v_subrev_co_ci_u32_e64 v19, null, 0, v19, s19
	s_mov_b32 s19, 0x3e9b6dac
	v_sub_nc_u32_e32 v23, 0, v19
	v_cvt_f32_i32_e32 v19, v19
	s_delay_alu instid0(VALU_DEP_2) | instskip(NEXT) | instid1(VALU_DEP_1)
	v_ldexp_f32 v22, v22, v23
	v_dual_add_f32 v29, 1.0, v22 :: v_dual_add_f32 v24, 1.0, v24
	s_delay_alu instid0(VALU_DEP_1) | instskip(NEXT) | instid1(VALU_DEP_2)
	v_add_f32_e32 v20, v20, v24
	v_add_f32_e32 v24, -1.0, v29
	s_delay_alu instid0(VALU_DEP_2) | instskip(NEXT) | instid1(VALU_DEP_2)
	v_ldexp_f32 v20, v20, v23
	v_dual_add_f32 v23, -1.0, v22 :: v_dual_sub_f32 v24, v22, v24
	s_delay_alu instid0(VALU_DEP_1) | instskip(NEXT) | instid1(VALU_DEP_2)
	v_add_f32_e32 v30, 1.0, v23
	v_add_f32_e32 v24, v20, v24
	s_delay_alu instid0(VALU_DEP_2) | instskip(NEXT) | instid1(VALU_DEP_2)
	v_sub_f32_e32 v22, v22, v30
	v_add_f32_e32 v30, v29, v24
	s_delay_alu instid0(VALU_DEP_2) | instskip(NEXT) | instid1(VALU_DEP_2)
	v_add_f32_e32 v20, v20, v22
	v_rcp_f32_e32 v22, v30
	v_sub_f32_e32 v29, v29, v30
	s_delay_alu instid0(VALU_DEP_1) | instskip(NEXT) | instid1(VALU_DEP_1)
	v_dual_add_f32 v31, v23, v20 :: v_dual_add_f32 v24, v24, v29
	v_sub_f32_e32 v23, v23, v31
	s_delay_alu instid0(TRANS32_DEP_1) | instskip(NEXT) | instid1(VALU_DEP_1)
	v_mul_f32_e32 v32, v31, v22
	v_dual_add_f32 v20, v20, v23 :: v_dual_mul_f32 v33, v30, v32
	s_delay_alu instid0(VALU_DEP_1) | instskip(NEXT) | instid1(VALU_DEP_1)
	v_fma_f32 v29, v32, v30, -v33
	v_fmac_f32_e32 v29, v32, v24
	s_delay_alu instid0(VALU_DEP_1) | instskip(NEXT) | instid1(VALU_DEP_1)
	v_add_f32_e32 v34, v33, v29
	v_sub_f32_e32 v35, v31, v34
	v_sub_f32_e32 v23, v34, v33
	s_delay_alu instid0(VALU_DEP_2) | instskip(NEXT) | instid1(VALU_DEP_2)
	v_sub_f32_e32 v31, v31, v35
	v_sub_f32_e32 v23, v23, v29
	s_delay_alu instid0(VALU_DEP_2) | instskip(NEXT) | instid1(VALU_DEP_1)
	v_sub_f32_e32 v31, v31, v34
	v_add_f32_e32 v20, v20, v31
	s_delay_alu instid0(VALU_DEP_1) | instskip(NEXT) | instid1(VALU_DEP_1)
	v_add_f32_e32 v20, v23, v20
	v_add_f32_e32 v23, v35, v20
	s_delay_alu instid0(VALU_DEP_1) | instskip(NEXT) | instid1(VALU_DEP_1)
	v_mul_f32_e32 v29, v22, v23
	v_dual_sub_f32 v34, v35, v23 :: v_dual_mul_f32 v31, v30, v29
	s_delay_alu instid0(VALU_DEP_1) | instskip(NEXT) | instid1(VALU_DEP_2)
	v_add_f32_e32 v20, v20, v34
	v_fma_f32 v30, v29, v30, -v31
	s_delay_alu instid0(VALU_DEP_1) | instskip(NEXT) | instid1(VALU_DEP_1)
	v_fmac_f32_e32 v30, v29, v24
	v_add_f32_e32 v24, v31, v30
	s_delay_alu instid0(VALU_DEP_1) | instskip(SKIP_1) | instid1(VALU_DEP_2)
	v_sub_f32_e32 v33, v23, v24
	v_sub_f32_e32 v31, v24, v31
	v_sub_f32_e32 v23, v23, v33
	s_delay_alu instid0(VALU_DEP_1) | instskip(NEXT) | instid1(VALU_DEP_3)
	v_sub_f32_e32 v23, v23, v24
	v_sub_f32_e32 v24, v31, v30
	s_delay_alu instid0(VALU_DEP_2) | instskip(SKIP_1) | instid1(VALU_DEP_2)
	v_add_f32_e32 v20, v20, v23
	v_add_f32_e32 v23, v32, v29
	;; [unrolled: 1-line block ×3, first 2 shown]
	s_delay_alu instid0(VALU_DEP_2) | instskip(NEXT) | instid1(VALU_DEP_2)
	v_sub_f32_e32 v24, v23, v32
	v_add_f32_e32 v20, v33, v20
	s_delay_alu instid0(VALU_DEP_2) | instskip(NEXT) | instid1(VALU_DEP_2)
	v_sub_f32_e32 v24, v29, v24
	v_mul_f32_e32 v20, v22, v20
	s_delay_alu instid0(VALU_DEP_1) | instskip(NEXT) | instid1(VALU_DEP_1)
	v_add_f32_e32 v20, v24, v20
	v_add_f32_e32 v22, v23, v20
	s_delay_alu instid0(VALU_DEP_1) | instskip(SKIP_1) | instid1(VALU_DEP_1)
	v_mul_f32_e32 v24, v22, v22
	s_wait_alu 0xfffe
	v_fmaak_f32 v29, s19, v24, 0x3ecc95a3
	v_mul_f32_e32 v30, v22, v24
	v_cmp_neq_f32_e64 s19, 0x7f800000, v21
	s_delay_alu instid0(VALU_DEP_3) | instskip(SKIP_2) | instid1(VALU_DEP_3)
	v_fmaak_f32 v24, v24, v29, 0x3f2aaada
	v_ldexp_f32 v29, v22, 1
	v_sub_f32_e32 v22, v22, v23
	v_mul_f32_e32 v24, v30, v24
	v_mul_f32_e32 v30, 0x3f317218, v19
	s_delay_alu instid0(VALU_DEP_2) | instskip(NEXT) | instid1(VALU_DEP_1)
	v_dual_sub_f32 v20, v20, v22 :: v_dual_add_f32 v23, v29, v24
	v_ldexp_f32 v20, v20, 1
	s_delay_alu instid0(VALU_DEP_2) | instskip(NEXT) | instid1(VALU_DEP_4)
	v_sub_f32_e32 v22, v23, v29
	v_fma_f32 v29, 0x3f317218, v19, -v30
	s_delay_alu instid0(VALU_DEP_1) | instskip(NEXT) | instid1(VALU_DEP_1)
	v_dual_sub_f32 v22, v24, v22 :: v_dual_fmamk_f32 v19, v19, 0xb102e308, v29
	v_add_f32_e32 v20, v20, v22
	s_delay_alu instid0(VALU_DEP_2) | instskip(NEXT) | instid1(VALU_DEP_2)
	v_add_f32_e32 v22, v30, v19
	v_add_f32_e32 v24, v23, v20
	s_delay_alu instid0(VALU_DEP_2) | instskip(NEXT) | instid1(VALU_DEP_2)
	v_sub_f32_e32 v30, v22, v30
	v_add_f32_e32 v29, v22, v24
	v_sub_f32_e32 v23, v24, v23
	s_delay_alu instid0(VALU_DEP_3) | instskip(NEXT) | instid1(VALU_DEP_2)
	v_sub_f32_e32 v19, v19, v30
	v_dual_sub_f32 v31, v29, v22 :: v_dual_sub_f32 v20, v20, v23
	s_delay_alu instid0(VALU_DEP_1) | instskip(NEXT) | instid1(VALU_DEP_2)
	v_sub_f32_e32 v32, v29, v31
	v_dual_sub_f32 v23, v24, v31 :: v_dual_add_f32 v24, v19, v20
	s_delay_alu instid0(VALU_DEP_2) | instskip(NEXT) | instid1(VALU_DEP_1)
	v_sub_f32_e32 v22, v22, v32
	v_dual_add_f32 v22, v23, v22 :: v_dual_sub_f32 v23, v24, v19
	s_delay_alu instid0(VALU_DEP_1) | instskip(NEXT) | instid1(VALU_DEP_2)
	v_add_f32_e32 v22, v24, v22
	v_sub_f32_e32 v24, v24, v23
	v_sub_f32_e32 v20, v20, v23
	s_delay_alu instid0(VALU_DEP_2) | instskip(NEXT) | instid1(VALU_DEP_1)
	v_dual_add_f32 v30, v29, v22 :: v_dual_sub_f32 v19, v19, v24
	v_sub_f32_e32 v23, v30, v29
	s_delay_alu instid0(VALU_DEP_2) | instskip(NEXT) | instid1(VALU_DEP_2)
	v_add_f32_e32 v19, v20, v19
	v_sub_f32_e32 v20, v22, v23
	s_delay_alu instid0(VALU_DEP_1) | instskip(NEXT) | instid1(VALU_DEP_1)
	v_add_f32_e32 v19, v19, v20
	v_add_f32_e32 v19, v30, v19
	s_wait_alu 0xf1ff
	s_delay_alu instid0(VALU_DEP_1) | instskip(SKIP_2) | instid1(VALU_DEP_1)
	v_cndmask_b32_e64 v19, 0x7f800000, v19, s19
	v_cmp_gt_f32_e64 s19, 0x33800000, |v21|
	s_wait_alu 0xf1ff
	v_cndmask_b32_e64 v19, v19, v21, s19
	s_delay_alu instid0(VALU_DEP_1)
	v_add_f32_e32 v19, v17, v19
.LBB479_36:
	s_or_b32 exec_lo, exec_lo, s20
	s_delay_alu instid0(VALU_DEP_1) | instskip(SKIP_1) | instid1(VALU_DEP_2)
	v_bfe_u32 v17, v19, 16, 1
	v_cmp_o_f32_e64 s19, v19, v19
	v_add3_u32 v17, v19, v17, 0x7fff
	s_delay_alu instid0(VALU_DEP_1) | instskip(SKIP_1) | instid1(VALU_DEP_1)
	v_and_b32_e32 v17, 0xffff0000, v17
	s_wait_alu 0xf1ff
	v_cndmask_b32_e64 v20, 0x7fc00000, v17, s19
	s_delay_alu instid0(VALU_DEP_1) | instskip(SKIP_2) | instid1(VALU_DEP_2)
	v_max_num_f32_e32 v17, v20, v20
	v_and_b32_e32 v4, 0xffff0000, v4
	v_cmp_u_f32_e64 s19, v20, v20
	v_max_num_f32_e32 v19, v4, v4
	s_delay_alu instid0(VALU_DEP_1) | instskip(SKIP_2) | instid1(VALU_DEP_2)
	v_min_num_f32_e32 v21, v17, v19
	v_max_num_f32_e32 v17, v17, v19
	s_wait_alu 0xf1ff
	v_cndmask_b32_e64 v21, v21, v20, s19
	s_delay_alu instid0(VALU_DEP_2) | instskip(SKIP_2) | instid1(VALU_DEP_1)
	v_cndmask_b32_e64 v17, v17, v20, s19
	v_cmp_u_f32_e64 s19, v4, v4
	s_wait_alu 0xf1ff
	v_cndmask_b32_e64 v21, v21, v4, s19
	s_delay_alu instid0(VALU_DEP_3) | instskip(NEXT) | instid1(VALU_DEP_2)
	v_cndmask_b32_e64 v17, v17, v4, s19
	v_cmp_class_f32_e64 s21, v21, 0x1f8
	s_delay_alu instid0(VALU_DEP_2) | instskip(SKIP_1) | instid1(SALU_CYCLE_1)
	v_cmp_neq_f32_e64 s20, v21, v17
	s_or_b32 s20, s20, s21
	s_and_saveexec_b32 s21, s20
	s_cbranch_execz .LBB479_38
; %bb.37:
	v_sub_f32_e32 v20, v21, v17
	s_delay_alu instid0(VALU_DEP_1) | instskip(SKIP_1) | instid1(VALU_DEP_2)
	v_mul_f32_e32 v21, 0x3fb8aa3b, v20
	v_cmp_ngt_f32_e64 s20, 0xc2ce8ed0, v20
	v_fma_f32 v22, 0x3fb8aa3b, v20, -v21
	v_rndne_f32_e32 v23, v21
	s_delay_alu instid0(VALU_DEP_1) | instskip(NEXT) | instid1(VALU_DEP_1)
	v_dual_fmamk_f32 v22, v20, 0x32a5705f, v22 :: v_dual_sub_f32 v21, v21, v23
	v_add_f32_e32 v21, v21, v22
	v_cvt_i32_f32_e32 v22, v23
	s_delay_alu instid0(VALU_DEP_2) | instskip(NEXT) | instid1(TRANS32_DEP_1)
	v_exp_f32_e32 v21, v21
	v_ldexp_f32 v21, v21, v22
	s_delay_alu instid0(VALU_DEP_1) | instskip(SKIP_2) | instid1(VALU_DEP_1)
	v_cndmask_b32_e64 v21, 0, v21, s20
	v_cmp_nlt_f32_e64 s20, 0x42b17218, v20
	s_wait_alu 0xf1ff
	v_cndmask_b32_e64 v22, 0x7f800000, v21, s20
	s_delay_alu instid0(VALU_DEP_1) | instskip(NEXT) | instid1(VALU_DEP_1)
	v_add_f32_e32 v23, 1.0, v22
	v_cvt_f64_f32_e32 v[20:21], v23
	s_delay_alu instid0(VALU_DEP_1) | instskip(SKIP_1) | instid1(VALU_DEP_1)
	v_frexp_exp_i32_f64_e32 v20, v[20:21]
	v_frexp_mant_f32_e32 v21, v23
	v_cmp_gt_f32_e64 s20, 0x3f2aaaab, v21
	v_add_f32_e32 v21, -1.0, v23
	s_delay_alu instid0(VALU_DEP_1)
	v_sub_f32_e32 v29, v21, v23
	v_sub_f32_e32 v21, v22, v21
	s_wait_alu 0xf1ff
	v_subrev_co_ci_u32_e64 v20, null, 0, v20, s20
	s_mov_b32 s20, 0x3e9b6dac
	v_sub_nc_u32_e32 v24, 0, v20
	v_cvt_f32_i32_e32 v20, v20
	s_delay_alu instid0(VALU_DEP_2) | instskip(NEXT) | instid1(VALU_DEP_1)
	v_ldexp_f32 v23, v23, v24
	v_dual_add_f32 v30, 1.0, v23 :: v_dual_add_f32 v29, 1.0, v29
	s_delay_alu instid0(VALU_DEP_1) | instskip(NEXT) | instid1(VALU_DEP_2)
	v_add_f32_e32 v21, v21, v29
	v_add_f32_e32 v29, -1.0, v30
	s_delay_alu instid0(VALU_DEP_2) | instskip(NEXT) | instid1(VALU_DEP_2)
	v_ldexp_f32 v21, v21, v24
	v_dual_add_f32 v24, -1.0, v23 :: v_dual_sub_f32 v29, v23, v29
	s_delay_alu instid0(VALU_DEP_1) | instskip(NEXT) | instid1(VALU_DEP_2)
	v_add_f32_e32 v31, 1.0, v24
	v_add_f32_e32 v29, v21, v29
	s_delay_alu instid0(VALU_DEP_2) | instskip(NEXT) | instid1(VALU_DEP_2)
	v_sub_f32_e32 v23, v23, v31
	v_add_f32_e32 v31, v30, v29
	s_delay_alu instid0(VALU_DEP_2) | instskip(NEXT) | instid1(VALU_DEP_2)
	v_add_f32_e32 v21, v21, v23
	v_rcp_f32_e32 v23, v31
	v_sub_f32_e32 v30, v30, v31
	s_delay_alu instid0(VALU_DEP_1) | instskip(NEXT) | instid1(VALU_DEP_1)
	v_dual_add_f32 v32, v24, v21 :: v_dual_add_f32 v29, v29, v30
	v_sub_f32_e32 v24, v24, v32
	s_delay_alu instid0(TRANS32_DEP_1) | instskip(NEXT) | instid1(VALU_DEP_1)
	v_mul_f32_e32 v33, v32, v23
	v_dual_add_f32 v21, v21, v24 :: v_dual_mul_f32 v34, v31, v33
	s_delay_alu instid0(VALU_DEP_1) | instskip(NEXT) | instid1(VALU_DEP_1)
	v_fma_f32 v30, v33, v31, -v34
	v_fmac_f32_e32 v30, v33, v29
	s_delay_alu instid0(VALU_DEP_1) | instskip(NEXT) | instid1(VALU_DEP_1)
	v_add_f32_e32 v35, v34, v30
	v_sub_f32_e32 v36, v32, v35
	v_sub_f32_e32 v24, v35, v34
	s_delay_alu instid0(VALU_DEP_2) | instskip(NEXT) | instid1(VALU_DEP_2)
	v_sub_f32_e32 v32, v32, v36
	v_sub_f32_e32 v24, v24, v30
	s_delay_alu instid0(VALU_DEP_2) | instskip(NEXT) | instid1(VALU_DEP_1)
	v_sub_f32_e32 v32, v32, v35
	v_add_f32_e32 v21, v21, v32
	s_delay_alu instid0(VALU_DEP_1) | instskip(NEXT) | instid1(VALU_DEP_1)
	v_add_f32_e32 v21, v24, v21
	v_add_f32_e32 v24, v36, v21
	s_delay_alu instid0(VALU_DEP_1) | instskip(NEXT) | instid1(VALU_DEP_1)
	v_mul_f32_e32 v30, v23, v24
	v_dual_sub_f32 v35, v36, v24 :: v_dual_mul_f32 v32, v31, v30
	s_delay_alu instid0(VALU_DEP_1) | instskip(NEXT) | instid1(VALU_DEP_2)
	v_add_f32_e32 v21, v21, v35
	v_fma_f32 v31, v30, v31, -v32
	s_delay_alu instid0(VALU_DEP_1) | instskip(NEXT) | instid1(VALU_DEP_1)
	v_fmac_f32_e32 v31, v30, v29
	v_add_f32_e32 v29, v32, v31
	s_delay_alu instid0(VALU_DEP_1) | instskip(SKIP_1) | instid1(VALU_DEP_2)
	v_sub_f32_e32 v34, v24, v29
	v_sub_f32_e32 v32, v29, v32
	;; [unrolled: 1-line block ×3, first 2 shown]
	s_delay_alu instid0(VALU_DEP_1) | instskip(NEXT) | instid1(VALU_DEP_3)
	v_sub_f32_e32 v24, v24, v29
	v_sub_f32_e32 v29, v32, v31
	s_delay_alu instid0(VALU_DEP_2) | instskip(SKIP_1) | instid1(VALU_DEP_2)
	v_add_f32_e32 v21, v21, v24
	v_add_f32_e32 v24, v33, v30
	;; [unrolled: 1-line block ×3, first 2 shown]
	s_delay_alu instid0(VALU_DEP_2) | instskip(NEXT) | instid1(VALU_DEP_2)
	v_sub_f32_e32 v29, v24, v33
	v_add_f32_e32 v21, v34, v21
	s_delay_alu instid0(VALU_DEP_2) | instskip(NEXT) | instid1(VALU_DEP_2)
	v_sub_f32_e32 v29, v30, v29
	v_mul_f32_e32 v21, v23, v21
	s_delay_alu instid0(VALU_DEP_1) | instskip(NEXT) | instid1(VALU_DEP_1)
	v_add_f32_e32 v21, v29, v21
	v_add_f32_e32 v23, v24, v21
	s_delay_alu instid0(VALU_DEP_1) | instskip(SKIP_1) | instid1(VALU_DEP_1)
	v_mul_f32_e32 v29, v23, v23
	s_wait_alu 0xfffe
	v_fmaak_f32 v30, s20, v29, 0x3ecc95a3
	v_mul_f32_e32 v31, v23, v29
	v_cmp_neq_f32_e64 s20, 0x7f800000, v22
	s_delay_alu instid0(VALU_DEP_3) | instskip(SKIP_2) | instid1(VALU_DEP_3)
	v_fmaak_f32 v29, v29, v30, 0x3f2aaada
	v_ldexp_f32 v30, v23, 1
	v_sub_f32_e32 v23, v23, v24
	v_mul_f32_e32 v29, v31, v29
	v_mul_f32_e32 v31, 0x3f317218, v20
	s_delay_alu instid0(VALU_DEP_2) | instskip(NEXT) | instid1(VALU_DEP_1)
	v_dual_sub_f32 v21, v21, v23 :: v_dual_add_f32 v24, v30, v29
	v_ldexp_f32 v21, v21, 1
	s_delay_alu instid0(VALU_DEP_2) | instskip(NEXT) | instid1(VALU_DEP_4)
	v_sub_f32_e32 v23, v24, v30
	v_fma_f32 v30, 0x3f317218, v20, -v31
	s_delay_alu instid0(VALU_DEP_1) | instskip(NEXT) | instid1(VALU_DEP_1)
	v_dual_sub_f32 v23, v29, v23 :: v_dual_fmamk_f32 v20, v20, 0xb102e308, v30
	v_add_f32_e32 v21, v21, v23
	s_delay_alu instid0(VALU_DEP_2) | instskip(NEXT) | instid1(VALU_DEP_2)
	v_add_f32_e32 v23, v31, v20
	v_add_f32_e32 v29, v24, v21
	s_delay_alu instid0(VALU_DEP_2) | instskip(NEXT) | instid1(VALU_DEP_2)
	v_sub_f32_e32 v31, v23, v31
	v_add_f32_e32 v30, v23, v29
	v_sub_f32_e32 v24, v29, v24
	s_delay_alu instid0(VALU_DEP_3) | instskip(NEXT) | instid1(VALU_DEP_2)
	v_sub_f32_e32 v20, v20, v31
	v_dual_sub_f32 v32, v30, v23 :: v_dual_sub_f32 v21, v21, v24
	s_delay_alu instid0(VALU_DEP_1) | instskip(NEXT) | instid1(VALU_DEP_2)
	v_sub_f32_e32 v33, v30, v32
	v_dual_sub_f32 v24, v29, v32 :: v_dual_add_f32 v29, v20, v21
	s_delay_alu instid0(VALU_DEP_2) | instskip(NEXT) | instid1(VALU_DEP_1)
	v_sub_f32_e32 v23, v23, v33
	v_dual_add_f32 v23, v24, v23 :: v_dual_sub_f32 v24, v29, v20
	s_delay_alu instid0(VALU_DEP_1) | instskip(NEXT) | instid1(VALU_DEP_2)
	v_add_f32_e32 v23, v29, v23
	v_sub_f32_e32 v29, v29, v24
	v_sub_f32_e32 v21, v21, v24
	s_delay_alu instid0(VALU_DEP_2) | instskip(NEXT) | instid1(VALU_DEP_1)
	v_dual_add_f32 v31, v30, v23 :: v_dual_sub_f32 v20, v20, v29
	v_sub_f32_e32 v24, v31, v30
	s_delay_alu instid0(VALU_DEP_2) | instskip(NEXT) | instid1(VALU_DEP_2)
	v_add_f32_e32 v20, v21, v20
	v_sub_f32_e32 v21, v23, v24
	s_delay_alu instid0(VALU_DEP_1) | instskip(NEXT) | instid1(VALU_DEP_1)
	v_add_f32_e32 v20, v20, v21
	v_add_f32_e32 v20, v31, v20
	s_wait_alu 0xf1ff
	s_delay_alu instid0(VALU_DEP_1) | instskip(SKIP_2) | instid1(VALU_DEP_1)
	v_cndmask_b32_e64 v20, 0x7f800000, v20, s20
	v_cmp_gt_f32_e64 s20, 0x33800000, |v22|
	s_wait_alu 0xf1ff
	v_cndmask_b32_e64 v20, v20, v22, s20
	s_delay_alu instid0(VALU_DEP_1)
	v_add_f32_e32 v20, v17, v20
.LBB479_38:
	s_or_b32 exec_lo, exec_lo, s21
	s_delay_alu instid0(VALU_DEP_1) | instskip(SKIP_1) | instid1(VALU_DEP_2)
	v_bfe_u32 v17, v20, 16, 1
	v_cmp_o_f32_e64 s20, v20, v20
	v_add3_u32 v17, v20, v17, 0x7fff
	s_delay_alu instid0(VALU_DEP_1) | instskip(SKIP_2) | instid1(VALU_DEP_2)
	v_and_b32_e32 v21, 0xffff0000, v17
	v_lshlrev_b32_e32 v17, 16, v5
	s_wait_alu 0xf1ff
	v_cndmask_b32_e64 v22, 0x7fc00000, v21, s20
	s_delay_alu instid0(VALU_DEP_1) | instskip(SKIP_1) | instid1(VALU_DEP_2)
	v_dual_max_num_f32 v21, v17, v17 :: v_dual_max_num_f32 v20, v22, v22
	v_cmp_u_f32_e64 s20, v22, v22
	v_min_num_f32_e32 v23, v20, v21
	v_max_num_f32_e32 v20, v20, v21
	s_wait_alu 0xf1ff
	s_delay_alu instid0(VALU_DEP_2) | instskip(NEXT) | instid1(VALU_DEP_2)
	v_cndmask_b32_e64 v23, v23, v22, s20
	v_cndmask_b32_e64 v20, v20, v22, s20
	v_cmp_u_f32_e64 s20, v17, v17
	s_wait_alu 0xf1ff
	s_delay_alu instid0(VALU_DEP_1) | instskip(NEXT) | instid1(VALU_DEP_3)
	v_cndmask_b32_e64 v23, v23, v17, s20
	v_cndmask_b32_e64 v20, v20, v17, s20
	s_delay_alu instid0(VALU_DEP_2) | instskip(NEXT) | instid1(VALU_DEP_2)
	v_cmp_class_f32_e64 s22, v23, 0x1f8
	v_cmp_neq_f32_e64 s21, v23, v20
	s_or_b32 s21, s21, s22
	s_wait_alu 0xfffe
	s_and_saveexec_b32 s22, s21
	s_cbranch_execz .LBB479_40
; %bb.39:
	v_sub_f32_e32 v22, v23, v20
	s_delay_alu instid0(VALU_DEP_1) | instskip(SKIP_1) | instid1(VALU_DEP_2)
	v_mul_f32_e32 v23, 0x3fb8aa3b, v22
	v_cmp_ngt_f32_e64 s21, 0xc2ce8ed0, v22
	v_fma_f32 v24, 0x3fb8aa3b, v22, -v23
	v_rndne_f32_e32 v29, v23
	s_delay_alu instid0(VALU_DEP_1) | instskip(NEXT) | instid1(VALU_DEP_1)
	v_dual_fmamk_f32 v24, v22, 0x32a5705f, v24 :: v_dual_sub_f32 v23, v23, v29
	v_add_f32_e32 v23, v23, v24
	v_cvt_i32_f32_e32 v24, v29
	s_delay_alu instid0(VALU_DEP_2) | instskip(NEXT) | instid1(TRANS32_DEP_1)
	v_exp_f32_e32 v23, v23
	v_ldexp_f32 v23, v23, v24
	s_wait_alu 0xf1ff
	s_delay_alu instid0(VALU_DEP_1) | instskip(SKIP_2) | instid1(VALU_DEP_1)
	v_cndmask_b32_e64 v23, 0, v23, s21
	v_cmp_nlt_f32_e64 s21, 0x42b17218, v22
	s_wait_alu 0xf1ff
	v_cndmask_b32_e64 v24, 0x7f800000, v23, s21
	s_delay_alu instid0(VALU_DEP_1) | instskip(NEXT) | instid1(VALU_DEP_1)
	v_add_f32_e32 v29, 1.0, v24
	v_cvt_f64_f32_e32 v[22:23], v29
	s_delay_alu instid0(VALU_DEP_1) | instskip(SKIP_1) | instid1(VALU_DEP_1)
	v_frexp_exp_i32_f64_e32 v22, v[22:23]
	v_frexp_mant_f32_e32 v23, v29
	v_cmp_gt_f32_e64 s21, 0x3f2aaaab, v23
	v_add_f32_e32 v23, -1.0, v29
	s_delay_alu instid0(VALU_DEP_1)
	v_sub_f32_e32 v31, v23, v29
	v_sub_f32_e32 v23, v24, v23
	s_wait_alu 0xf1ff
	v_subrev_co_ci_u32_e64 v22, null, 0, v22, s21
	s_mov_b32 s21, 0x3e9b6dac
	v_sub_nc_u32_e32 v30, 0, v22
	v_cvt_f32_i32_e32 v22, v22
	s_delay_alu instid0(VALU_DEP_2) | instskip(NEXT) | instid1(VALU_DEP_1)
	v_ldexp_f32 v29, v29, v30
	v_dual_add_f32 v32, 1.0, v29 :: v_dual_add_f32 v31, 1.0, v31
	s_delay_alu instid0(VALU_DEP_1) | instskip(NEXT) | instid1(VALU_DEP_2)
	v_add_f32_e32 v23, v23, v31
	v_add_f32_e32 v31, -1.0, v32
	s_delay_alu instid0(VALU_DEP_2) | instskip(NEXT) | instid1(VALU_DEP_2)
	v_ldexp_f32 v23, v23, v30
	v_dual_add_f32 v30, -1.0, v29 :: v_dual_sub_f32 v31, v29, v31
	s_delay_alu instid0(VALU_DEP_1) | instskip(NEXT) | instid1(VALU_DEP_2)
	v_add_f32_e32 v33, 1.0, v30
	v_add_f32_e32 v31, v23, v31
	s_delay_alu instid0(VALU_DEP_2) | instskip(NEXT) | instid1(VALU_DEP_2)
	v_sub_f32_e32 v29, v29, v33
	v_add_f32_e32 v33, v32, v31
	s_delay_alu instid0(VALU_DEP_2) | instskip(NEXT) | instid1(VALU_DEP_2)
	v_add_f32_e32 v23, v23, v29
	v_rcp_f32_e32 v29, v33
	v_sub_f32_e32 v32, v32, v33
	s_delay_alu instid0(VALU_DEP_1) | instskip(NEXT) | instid1(VALU_DEP_1)
	v_dual_add_f32 v34, v30, v23 :: v_dual_add_f32 v31, v31, v32
	v_sub_f32_e32 v30, v30, v34
	s_delay_alu instid0(TRANS32_DEP_1) | instskip(NEXT) | instid1(VALU_DEP_1)
	v_mul_f32_e32 v35, v34, v29
	v_dual_add_f32 v23, v23, v30 :: v_dual_mul_f32 v36, v33, v35
	s_delay_alu instid0(VALU_DEP_1) | instskip(NEXT) | instid1(VALU_DEP_1)
	v_fma_f32 v32, v35, v33, -v36
	v_fmac_f32_e32 v32, v35, v31
	s_delay_alu instid0(VALU_DEP_1) | instskip(NEXT) | instid1(VALU_DEP_1)
	v_add_f32_e32 v37, v36, v32
	v_sub_f32_e32 v38, v34, v37
	v_sub_f32_e32 v30, v37, v36
	s_delay_alu instid0(VALU_DEP_2) | instskip(NEXT) | instid1(VALU_DEP_2)
	v_sub_f32_e32 v34, v34, v38
	v_sub_f32_e32 v30, v30, v32
	s_delay_alu instid0(VALU_DEP_2) | instskip(NEXT) | instid1(VALU_DEP_1)
	v_sub_f32_e32 v34, v34, v37
	v_add_f32_e32 v23, v23, v34
	s_delay_alu instid0(VALU_DEP_1) | instskip(NEXT) | instid1(VALU_DEP_1)
	v_add_f32_e32 v23, v30, v23
	v_add_f32_e32 v30, v38, v23
	s_delay_alu instid0(VALU_DEP_1) | instskip(NEXT) | instid1(VALU_DEP_1)
	v_mul_f32_e32 v32, v29, v30
	v_dual_sub_f32 v37, v38, v30 :: v_dual_mul_f32 v34, v33, v32
	s_delay_alu instid0(VALU_DEP_1) | instskip(NEXT) | instid1(VALU_DEP_2)
	v_add_f32_e32 v23, v23, v37
	v_fma_f32 v33, v32, v33, -v34
	s_delay_alu instid0(VALU_DEP_1) | instskip(NEXT) | instid1(VALU_DEP_1)
	v_fmac_f32_e32 v33, v32, v31
	v_add_f32_e32 v31, v34, v33
	s_delay_alu instid0(VALU_DEP_1) | instskip(SKIP_1) | instid1(VALU_DEP_2)
	v_sub_f32_e32 v36, v30, v31
	v_sub_f32_e32 v34, v31, v34
	;; [unrolled: 1-line block ×3, first 2 shown]
	s_delay_alu instid0(VALU_DEP_1) | instskip(NEXT) | instid1(VALU_DEP_3)
	v_sub_f32_e32 v30, v30, v31
	v_sub_f32_e32 v31, v34, v33
	s_delay_alu instid0(VALU_DEP_2) | instskip(SKIP_1) | instid1(VALU_DEP_2)
	v_add_f32_e32 v23, v23, v30
	v_add_f32_e32 v30, v35, v32
	v_add_f32_e32 v23, v31, v23
	s_delay_alu instid0(VALU_DEP_2) | instskip(NEXT) | instid1(VALU_DEP_2)
	v_sub_f32_e32 v31, v30, v35
	v_add_f32_e32 v23, v36, v23
	s_delay_alu instid0(VALU_DEP_2) | instskip(NEXT) | instid1(VALU_DEP_2)
	v_sub_f32_e32 v31, v32, v31
	v_mul_f32_e32 v23, v29, v23
	s_delay_alu instid0(VALU_DEP_1) | instskip(NEXT) | instid1(VALU_DEP_1)
	v_add_f32_e32 v23, v31, v23
	v_add_f32_e32 v29, v30, v23
	s_delay_alu instid0(VALU_DEP_1) | instskip(SKIP_1) | instid1(VALU_DEP_1)
	v_mul_f32_e32 v31, v29, v29
	s_wait_alu 0xfffe
	v_fmaak_f32 v32, s21, v31, 0x3ecc95a3
	v_mul_f32_e32 v33, v29, v31
	v_cmp_neq_f32_e64 s21, 0x7f800000, v24
	s_delay_alu instid0(VALU_DEP_3) | instskip(SKIP_2) | instid1(VALU_DEP_3)
	v_fmaak_f32 v31, v31, v32, 0x3f2aaada
	v_ldexp_f32 v32, v29, 1
	v_sub_f32_e32 v29, v29, v30
	v_mul_f32_e32 v31, v33, v31
	v_mul_f32_e32 v33, 0x3f317218, v22
	s_delay_alu instid0(VALU_DEP_2) | instskip(NEXT) | instid1(VALU_DEP_1)
	v_dual_sub_f32 v23, v23, v29 :: v_dual_add_f32 v30, v32, v31
	v_ldexp_f32 v23, v23, 1
	s_delay_alu instid0(VALU_DEP_2) | instskip(NEXT) | instid1(VALU_DEP_4)
	v_sub_f32_e32 v29, v30, v32
	v_fma_f32 v32, 0x3f317218, v22, -v33
	s_delay_alu instid0(VALU_DEP_1) | instskip(NEXT) | instid1(VALU_DEP_1)
	v_dual_sub_f32 v29, v31, v29 :: v_dual_fmamk_f32 v22, v22, 0xb102e308, v32
	v_add_f32_e32 v23, v23, v29
	s_delay_alu instid0(VALU_DEP_2) | instskip(NEXT) | instid1(VALU_DEP_2)
	v_add_f32_e32 v29, v33, v22
	v_add_f32_e32 v31, v30, v23
	s_delay_alu instid0(VALU_DEP_2) | instskip(NEXT) | instid1(VALU_DEP_2)
	v_sub_f32_e32 v33, v29, v33
	v_add_f32_e32 v32, v29, v31
	v_sub_f32_e32 v30, v31, v30
	s_delay_alu instid0(VALU_DEP_3) | instskip(NEXT) | instid1(VALU_DEP_2)
	v_sub_f32_e32 v22, v22, v33
	v_dual_sub_f32 v34, v32, v29 :: v_dual_sub_f32 v23, v23, v30
	s_delay_alu instid0(VALU_DEP_1) | instskip(NEXT) | instid1(VALU_DEP_2)
	v_sub_f32_e32 v35, v32, v34
	v_dual_sub_f32 v30, v31, v34 :: v_dual_add_f32 v31, v22, v23
	s_delay_alu instid0(VALU_DEP_2) | instskip(NEXT) | instid1(VALU_DEP_1)
	v_sub_f32_e32 v29, v29, v35
	v_dual_add_f32 v29, v30, v29 :: v_dual_sub_f32 v30, v31, v22
	s_delay_alu instid0(VALU_DEP_1) | instskip(NEXT) | instid1(VALU_DEP_2)
	v_add_f32_e32 v29, v31, v29
	v_sub_f32_e32 v31, v31, v30
	v_sub_f32_e32 v23, v23, v30
	s_delay_alu instid0(VALU_DEP_2) | instskip(NEXT) | instid1(VALU_DEP_1)
	v_dual_add_f32 v33, v32, v29 :: v_dual_sub_f32 v22, v22, v31
	v_sub_f32_e32 v30, v33, v32
	s_delay_alu instid0(VALU_DEP_2) | instskip(NEXT) | instid1(VALU_DEP_2)
	v_add_f32_e32 v22, v23, v22
	v_sub_f32_e32 v23, v29, v30
	s_delay_alu instid0(VALU_DEP_1) | instskip(NEXT) | instid1(VALU_DEP_1)
	v_add_f32_e32 v22, v22, v23
	v_add_f32_e32 v22, v33, v22
	s_wait_alu 0xf1ff
	s_delay_alu instid0(VALU_DEP_1) | instskip(SKIP_2) | instid1(VALU_DEP_1)
	v_cndmask_b32_e64 v22, 0x7f800000, v22, s21
	v_cmp_gt_f32_e64 s21, 0x33800000, |v24|
	s_wait_alu 0xf1ff
	v_cndmask_b32_e64 v22, v22, v24, s21
	s_delay_alu instid0(VALU_DEP_1)
	v_add_f32_e32 v22, v20, v22
.LBB479_40:
	s_or_b32 exec_lo, exec_lo, s22
	s_delay_alu instid0(VALU_DEP_1) | instskip(SKIP_1) | instid1(VALU_DEP_2)
	v_bfe_u32 v20, v22, 16, 1
	v_cmp_o_f32_e64 s21, v22, v22
	v_add3_u32 v20, v22, v20, 0x7fff
	s_delay_alu instid0(VALU_DEP_1) | instskip(SKIP_1) | instid1(VALU_DEP_1)
	v_and_b32_e32 v20, 0xffff0000, v20
	s_wait_alu 0xf1ff
	v_cndmask_b32_e64 v23, 0x7fc00000, v20, s21
	s_delay_alu instid0(VALU_DEP_1) | instskip(NEXT) | instid1(VALU_DEP_1)
	v_dual_max_num_f32 v20, v23, v23 :: v_dual_and_b32 v5, 0xffff0000, v5
	v_max_num_f32_e32 v22, v5, v5
	v_cmp_u_f32_e64 s21, v23, v23
	s_delay_alu instid0(VALU_DEP_2) | instskip(SKIP_2) | instid1(VALU_DEP_2)
	v_min_num_f32_e32 v24, v20, v22
	v_max_num_f32_e32 v20, v20, v22
	s_wait_alu 0xf1ff
	v_cndmask_b32_e64 v24, v24, v23, s21
	s_delay_alu instid0(VALU_DEP_2) | instskip(SKIP_2) | instid1(VALU_DEP_1)
	v_cndmask_b32_e64 v20, v20, v23, s21
	v_cmp_u_f32_e64 s21, v5, v5
	s_wait_alu 0xf1ff
	v_cndmask_b32_e64 v24, v24, v5, s21
	s_delay_alu instid0(VALU_DEP_3) | instskip(NEXT) | instid1(VALU_DEP_2)
	v_cndmask_b32_e64 v20, v20, v5, s21
	v_cmp_class_f32_e64 s23, v24, 0x1f8
	s_delay_alu instid0(VALU_DEP_2) | instskip(SKIP_1) | instid1(SALU_CYCLE_1)
	v_cmp_neq_f32_e64 s22, v24, v20
	s_or_b32 s22, s22, s23
	s_and_saveexec_b32 s23, s22
	s_cbranch_execz .LBB479_42
; %bb.41:
	v_sub_f32_e32 v23, v24, v20
	s_delay_alu instid0(VALU_DEP_1) | instskip(SKIP_1) | instid1(VALU_DEP_2)
	v_mul_f32_e32 v24, 0x3fb8aa3b, v23
	v_cmp_ngt_f32_e64 s22, 0xc2ce8ed0, v23
	v_fma_f32 v29, 0x3fb8aa3b, v23, -v24
	v_rndne_f32_e32 v30, v24
	s_delay_alu instid0(VALU_DEP_1) | instskip(NEXT) | instid1(VALU_DEP_1)
	v_dual_fmamk_f32 v29, v23, 0x32a5705f, v29 :: v_dual_sub_f32 v24, v24, v30
	v_add_f32_e32 v24, v24, v29
	v_cvt_i32_f32_e32 v29, v30
	s_delay_alu instid0(VALU_DEP_2) | instskip(NEXT) | instid1(TRANS32_DEP_1)
	v_exp_f32_e32 v24, v24
	v_ldexp_f32 v24, v24, v29
	s_delay_alu instid0(VALU_DEP_1) | instskip(SKIP_2) | instid1(VALU_DEP_1)
	v_cndmask_b32_e64 v24, 0, v24, s22
	v_cmp_nlt_f32_e64 s22, 0x42b17218, v23
	s_wait_alu 0xf1ff
	v_cndmask_b32_e64 v29, 0x7f800000, v24, s22
	s_delay_alu instid0(VALU_DEP_1) | instskip(NEXT) | instid1(VALU_DEP_1)
	v_add_f32_e32 v30, 1.0, v29
	v_cvt_f64_f32_e32 v[23:24], v30
	s_delay_alu instid0(VALU_DEP_1) | instskip(SKIP_1) | instid1(VALU_DEP_1)
	v_frexp_exp_i32_f64_e32 v23, v[23:24]
	v_frexp_mant_f32_e32 v24, v30
	v_cmp_gt_f32_e64 s22, 0x3f2aaaab, v24
	v_add_f32_e32 v24, -1.0, v30
	s_delay_alu instid0(VALU_DEP_1)
	v_sub_f32_e32 v32, v24, v30
	v_sub_f32_e32 v24, v29, v24
	s_wait_alu 0xf1ff
	v_subrev_co_ci_u32_e64 v23, null, 0, v23, s22
	s_mov_b32 s22, 0x3e9b6dac
	v_sub_nc_u32_e32 v31, 0, v23
	v_cvt_f32_i32_e32 v23, v23
	s_delay_alu instid0(VALU_DEP_2) | instskip(NEXT) | instid1(VALU_DEP_1)
	v_ldexp_f32 v30, v30, v31
	v_dual_add_f32 v33, 1.0, v30 :: v_dual_add_f32 v32, 1.0, v32
	s_delay_alu instid0(VALU_DEP_1) | instskip(NEXT) | instid1(VALU_DEP_2)
	v_add_f32_e32 v24, v24, v32
	v_add_f32_e32 v32, -1.0, v33
	s_delay_alu instid0(VALU_DEP_2) | instskip(NEXT) | instid1(VALU_DEP_2)
	v_ldexp_f32 v24, v24, v31
	v_dual_add_f32 v31, -1.0, v30 :: v_dual_sub_f32 v32, v30, v32
	s_delay_alu instid0(VALU_DEP_1) | instskip(NEXT) | instid1(VALU_DEP_2)
	v_add_f32_e32 v34, 1.0, v31
	v_add_f32_e32 v32, v24, v32
	s_delay_alu instid0(VALU_DEP_2) | instskip(NEXT) | instid1(VALU_DEP_2)
	v_sub_f32_e32 v30, v30, v34
	v_add_f32_e32 v34, v33, v32
	s_delay_alu instid0(VALU_DEP_2) | instskip(NEXT) | instid1(VALU_DEP_2)
	v_add_f32_e32 v24, v24, v30
	v_rcp_f32_e32 v30, v34
	v_sub_f32_e32 v33, v33, v34
	s_delay_alu instid0(VALU_DEP_1) | instskip(NEXT) | instid1(VALU_DEP_1)
	v_dual_add_f32 v35, v31, v24 :: v_dual_add_f32 v32, v32, v33
	v_sub_f32_e32 v31, v31, v35
	s_delay_alu instid0(TRANS32_DEP_1) | instskip(NEXT) | instid1(VALU_DEP_1)
	v_mul_f32_e32 v36, v35, v30
	v_dual_add_f32 v24, v24, v31 :: v_dual_mul_f32 v37, v34, v36
	s_delay_alu instid0(VALU_DEP_1) | instskip(NEXT) | instid1(VALU_DEP_1)
	v_fma_f32 v33, v36, v34, -v37
	v_fmac_f32_e32 v33, v36, v32
	s_delay_alu instid0(VALU_DEP_1) | instskip(NEXT) | instid1(VALU_DEP_1)
	v_add_f32_e32 v38, v37, v33
	v_sub_f32_e32 v39, v35, v38
	v_sub_f32_e32 v31, v38, v37
	s_delay_alu instid0(VALU_DEP_2) | instskip(NEXT) | instid1(VALU_DEP_2)
	v_sub_f32_e32 v35, v35, v39
	v_sub_f32_e32 v31, v31, v33
	s_delay_alu instid0(VALU_DEP_2) | instskip(NEXT) | instid1(VALU_DEP_1)
	v_sub_f32_e32 v35, v35, v38
	v_add_f32_e32 v24, v24, v35
	s_delay_alu instid0(VALU_DEP_1) | instskip(NEXT) | instid1(VALU_DEP_1)
	v_add_f32_e32 v24, v31, v24
	v_add_f32_e32 v31, v39, v24
	s_delay_alu instid0(VALU_DEP_1) | instskip(NEXT) | instid1(VALU_DEP_1)
	v_mul_f32_e32 v33, v30, v31
	v_dual_sub_f32 v38, v39, v31 :: v_dual_mul_f32 v35, v34, v33
	s_delay_alu instid0(VALU_DEP_1) | instskip(NEXT) | instid1(VALU_DEP_2)
	v_add_f32_e32 v24, v24, v38
	v_fma_f32 v34, v33, v34, -v35
	s_delay_alu instid0(VALU_DEP_1) | instskip(NEXT) | instid1(VALU_DEP_1)
	v_fmac_f32_e32 v34, v33, v32
	v_add_f32_e32 v32, v35, v34
	s_delay_alu instid0(VALU_DEP_1) | instskip(SKIP_1) | instid1(VALU_DEP_2)
	v_sub_f32_e32 v37, v31, v32
	v_sub_f32_e32 v35, v32, v35
	;; [unrolled: 1-line block ×3, first 2 shown]
	s_delay_alu instid0(VALU_DEP_1) | instskip(NEXT) | instid1(VALU_DEP_3)
	v_sub_f32_e32 v31, v31, v32
	v_sub_f32_e32 v32, v35, v34
	s_delay_alu instid0(VALU_DEP_2) | instskip(SKIP_1) | instid1(VALU_DEP_2)
	v_add_f32_e32 v24, v24, v31
	v_add_f32_e32 v31, v36, v33
	;; [unrolled: 1-line block ×3, first 2 shown]
	s_delay_alu instid0(VALU_DEP_2) | instskip(NEXT) | instid1(VALU_DEP_2)
	v_sub_f32_e32 v32, v31, v36
	v_add_f32_e32 v24, v37, v24
	s_delay_alu instid0(VALU_DEP_2) | instskip(NEXT) | instid1(VALU_DEP_2)
	v_sub_f32_e32 v32, v33, v32
	v_mul_f32_e32 v24, v30, v24
	s_delay_alu instid0(VALU_DEP_1) | instskip(NEXT) | instid1(VALU_DEP_1)
	v_add_f32_e32 v24, v32, v24
	v_add_f32_e32 v30, v31, v24
	s_delay_alu instid0(VALU_DEP_1) | instskip(SKIP_1) | instid1(VALU_DEP_1)
	v_mul_f32_e32 v32, v30, v30
	s_wait_alu 0xfffe
	v_fmaak_f32 v33, s22, v32, 0x3ecc95a3
	v_mul_f32_e32 v34, v30, v32
	v_cmp_neq_f32_e64 s22, 0x7f800000, v29
	s_delay_alu instid0(VALU_DEP_3) | instskip(SKIP_2) | instid1(VALU_DEP_3)
	v_fmaak_f32 v32, v32, v33, 0x3f2aaada
	v_ldexp_f32 v33, v30, 1
	v_sub_f32_e32 v30, v30, v31
	v_mul_f32_e32 v32, v34, v32
	v_mul_f32_e32 v34, 0x3f317218, v23
	s_delay_alu instid0(VALU_DEP_2) | instskip(NEXT) | instid1(VALU_DEP_1)
	v_dual_sub_f32 v24, v24, v30 :: v_dual_add_f32 v31, v33, v32
	v_ldexp_f32 v24, v24, 1
	s_delay_alu instid0(VALU_DEP_2) | instskip(NEXT) | instid1(VALU_DEP_4)
	v_sub_f32_e32 v30, v31, v33
	v_fma_f32 v33, 0x3f317218, v23, -v34
	s_delay_alu instid0(VALU_DEP_1) | instskip(NEXT) | instid1(VALU_DEP_1)
	v_dual_sub_f32 v30, v32, v30 :: v_dual_fmamk_f32 v23, v23, 0xb102e308, v33
	v_add_f32_e32 v24, v24, v30
	s_delay_alu instid0(VALU_DEP_2) | instskip(NEXT) | instid1(VALU_DEP_2)
	v_add_f32_e32 v30, v34, v23
	v_add_f32_e32 v32, v31, v24
	s_delay_alu instid0(VALU_DEP_2) | instskip(NEXT) | instid1(VALU_DEP_2)
	v_sub_f32_e32 v34, v30, v34
	v_add_f32_e32 v33, v30, v32
	v_sub_f32_e32 v31, v32, v31
	s_delay_alu instid0(VALU_DEP_3) | instskip(NEXT) | instid1(VALU_DEP_2)
	v_sub_f32_e32 v23, v23, v34
	v_dual_sub_f32 v35, v33, v30 :: v_dual_sub_f32 v24, v24, v31
	s_delay_alu instid0(VALU_DEP_1) | instskip(NEXT) | instid1(VALU_DEP_2)
	v_sub_f32_e32 v36, v33, v35
	v_dual_sub_f32 v31, v32, v35 :: v_dual_add_f32 v32, v23, v24
	s_delay_alu instid0(VALU_DEP_2) | instskip(NEXT) | instid1(VALU_DEP_1)
	v_sub_f32_e32 v30, v30, v36
	v_dual_add_f32 v30, v31, v30 :: v_dual_sub_f32 v31, v32, v23
	s_delay_alu instid0(VALU_DEP_1) | instskip(NEXT) | instid1(VALU_DEP_2)
	v_add_f32_e32 v30, v32, v30
	v_sub_f32_e32 v32, v32, v31
	v_sub_f32_e32 v24, v24, v31
	s_delay_alu instid0(VALU_DEP_2) | instskip(NEXT) | instid1(VALU_DEP_1)
	v_dual_add_f32 v34, v33, v30 :: v_dual_sub_f32 v23, v23, v32
	v_sub_f32_e32 v31, v34, v33
	s_delay_alu instid0(VALU_DEP_2) | instskip(NEXT) | instid1(VALU_DEP_2)
	v_add_f32_e32 v23, v24, v23
	v_sub_f32_e32 v24, v30, v31
	s_delay_alu instid0(VALU_DEP_1) | instskip(NEXT) | instid1(VALU_DEP_1)
	v_add_f32_e32 v23, v23, v24
	v_add_f32_e32 v23, v34, v23
	s_wait_alu 0xf1ff
	s_delay_alu instid0(VALU_DEP_1) | instskip(SKIP_2) | instid1(VALU_DEP_1)
	v_cndmask_b32_e64 v23, 0x7f800000, v23, s22
	v_cmp_gt_f32_e64 s22, 0x33800000, |v29|
	s_wait_alu 0xf1ff
	v_cndmask_b32_e64 v23, v23, v29, s22
	s_delay_alu instid0(VALU_DEP_1)
	v_add_f32_e32 v23, v20, v23
.LBB479_42:
	s_or_b32 exec_lo, exec_lo, s23
	s_delay_alu instid0(VALU_DEP_1) | instskip(SKIP_1) | instid1(VALU_DEP_2)
	v_bfe_u32 v20, v23, 16, 1
	v_cmp_o_f32_e64 s22, v23, v23
	v_add3_u32 v20, v23, v20, 0x7fff
	s_delay_alu instid0(VALU_DEP_1) | instskip(SKIP_2) | instid1(VALU_DEP_2)
	v_and_b32_e32 v24, 0xffff0000, v20
	v_lshlrev_b32_e32 v20, 16, v6
	s_wait_alu 0xf1ff
	v_cndmask_b32_e64 v29, 0x7fc00000, v24, s22
	s_delay_alu instid0(VALU_DEP_1) | instskip(SKIP_1) | instid1(VALU_DEP_2)
	v_dual_max_num_f32 v23, v20, v20 :: v_dual_max_num_f32 v24, v29, v29
	v_cmp_u_f32_e64 s22, v29, v29
	v_min_num_f32_e32 v30, v24, v23
	v_max_num_f32_e32 v24, v24, v23
	s_wait_alu 0xf1ff
	s_delay_alu instid0(VALU_DEP_2) | instskip(NEXT) | instid1(VALU_DEP_2)
	v_cndmask_b32_e64 v30, v30, v29, s22
	v_cndmask_b32_e64 v24, v24, v29, s22
	v_cmp_u_f32_e64 s22, v20, v20
	s_wait_alu 0xf1ff
	s_delay_alu instid0(VALU_DEP_1) | instskip(NEXT) | instid1(VALU_DEP_3)
	v_cndmask_b32_e64 v30, v30, v20, s22
	v_cndmask_b32_e64 v24, v24, v20, s22
	s_delay_alu instid0(VALU_DEP_2) | instskip(NEXT) | instid1(VALU_DEP_2)
	v_cmp_class_f32_e64 s25, v30, 0x1f8
	v_cmp_neq_f32_e64 s23, v30, v24
	s_or_b32 s23, s23, s25
	s_wait_alu 0xfffe
	s_and_saveexec_b32 s25, s23
	s_cbranch_execz .LBB479_44
; %bb.43:
	v_sub_f32_e32 v29, v30, v24
	s_delay_alu instid0(VALU_DEP_1) | instskip(SKIP_1) | instid1(VALU_DEP_2)
	v_mul_f32_e32 v30, 0x3fb8aa3b, v29
	v_cmp_ngt_f32_e64 s23, 0xc2ce8ed0, v29
	v_fma_f32 v31, 0x3fb8aa3b, v29, -v30
	v_rndne_f32_e32 v32, v30
	s_delay_alu instid0(VALU_DEP_1) | instskip(NEXT) | instid1(VALU_DEP_1)
	v_dual_fmamk_f32 v31, v29, 0x32a5705f, v31 :: v_dual_sub_f32 v30, v30, v32
	v_add_f32_e32 v30, v30, v31
	v_cvt_i32_f32_e32 v31, v32
	s_delay_alu instid0(VALU_DEP_2) | instskip(NEXT) | instid1(TRANS32_DEP_1)
	v_exp_f32_e32 v30, v30
	v_ldexp_f32 v30, v30, v31
	s_wait_alu 0xf1ff
	s_delay_alu instid0(VALU_DEP_1) | instskip(SKIP_2) | instid1(VALU_DEP_1)
	v_cndmask_b32_e64 v30, 0, v30, s23
	v_cmp_nlt_f32_e64 s23, 0x42b17218, v29
	s_wait_alu 0xf1ff
	v_cndmask_b32_e64 v31, 0x7f800000, v30, s23
	s_delay_alu instid0(VALU_DEP_1) | instskip(NEXT) | instid1(VALU_DEP_1)
	v_add_f32_e32 v32, 1.0, v31
	v_cvt_f64_f32_e32 v[29:30], v32
	s_delay_alu instid0(VALU_DEP_1) | instskip(SKIP_1) | instid1(VALU_DEP_1)
	v_frexp_exp_i32_f64_e32 v29, v[29:30]
	v_frexp_mant_f32_e32 v30, v32
	v_cmp_gt_f32_e64 s23, 0x3f2aaaab, v30
	v_add_f32_e32 v30, -1.0, v32
	s_delay_alu instid0(VALU_DEP_1)
	v_sub_f32_e32 v34, v30, v32
	v_sub_f32_e32 v30, v31, v30
	s_wait_alu 0xf1ff
	v_subrev_co_ci_u32_e64 v29, null, 0, v29, s23
	s_mov_b32 s23, 0x3e9b6dac
	v_sub_nc_u32_e32 v33, 0, v29
	v_cvt_f32_i32_e32 v29, v29
	s_delay_alu instid0(VALU_DEP_2) | instskip(NEXT) | instid1(VALU_DEP_1)
	v_ldexp_f32 v32, v32, v33
	v_dual_add_f32 v35, 1.0, v32 :: v_dual_add_f32 v34, 1.0, v34
	s_delay_alu instid0(VALU_DEP_1) | instskip(NEXT) | instid1(VALU_DEP_2)
	v_add_f32_e32 v30, v30, v34
	v_add_f32_e32 v34, -1.0, v35
	s_delay_alu instid0(VALU_DEP_2) | instskip(NEXT) | instid1(VALU_DEP_2)
	v_ldexp_f32 v30, v30, v33
	v_dual_add_f32 v33, -1.0, v32 :: v_dual_sub_f32 v34, v32, v34
	s_delay_alu instid0(VALU_DEP_1) | instskip(NEXT) | instid1(VALU_DEP_2)
	v_add_f32_e32 v36, 1.0, v33
	v_add_f32_e32 v34, v30, v34
	s_delay_alu instid0(VALU_DEP_2) | instskip(NEXT) | instid1(VALU_DEP_2)
	v_sub_f32_e32 v32, v32, v36
	v_add_f32_e32 v36, v35, v34
	s_delay_alu instid0(VALU_DEP_2) | instskip(NEXT) | instid1(VALU_DEP_2)
	v_add_f32_e32 v30, v30, v32
	v_rcp_f32_e32 v32, v36
	v_sub_f32_e32 v35, v35, v36
	s_delay_alu instid0(VALU_DEP_1) | instskip(NEXT) | instid1(VALU_DEP_1)
	v_dual_add_f32 v37, v33, v30 :: v_dual_add_f32 v34, v34, v35
	v_sub_f32_e32 v33, v33, v37
	s_delay_alu instid0(TRANS32_DEP_1) | instskip(NEXT) | instid1(VALU_DEP_1)
	v_mul_f32_e32 v38, v37, v32
	v_dual_add_f32 v30, v30, v33 :: v_dual_mul_f32 v39, v36, v38
	s_delay_alu instid0(VALU_DEP_1) | instskip(NEXT) | instid1(VALU_DEP_1)
	v_fma_f32 v35, v38, v36, -v39
	v_fmac_f32_e32 v35, v38, v34
	s_delay_alu instid0(VALU_DEP_1) | instskip(NEXT) | instid1(VALU_DEP_1)
	v_add_f32_e32 v40, v39, v35
	v_sub_f32_e32 v41, v37, v40
	v_sub_f32_e32 v33, v40, v39
	s_delay_alu instid0(VALU_DEP_2) | instskip(NEXT) | instid1(VALU_DEP_2)
	v_sub_f32_e32 v37, v37, v41
	v_sub_f32_e32 v33, v33, v35
	s_delay_alu instid0(VALU_DEP_2) | instskip(NEXT) | instid1(VALU_DEP_1)
	v_sub_f32_e32 v37, v37, v40
	v_add_f32_e32 v30, v30, v37
	s_delay_alu instid0(VALU_DEP_1) | instskip(NEXT) | instid1(VALU_DEP_1)
	v_add_f32_e32 v30, v33, v30
	v_add_f32_e32 v33, v41, v30
	s_delay_alu instid0(VALU_DEP_1) | instskip(NEXT) | instid1(VALU_DEP_1)
	v_mul_f32_e32 v35, v32, v33
	v_dual_sub_f32 v40, v41, v33 :: v_dual_mul_f32 v37, v36, v35
	s_delay_alu instid0(VALU_DEP_1) | instskip(NEXT) | instid1(VALU_DEP_2)
	v_add_f32_e32 v30, v30, v40
	v_fma_f32 v36, v35, v36, -v37
	s_delay_alu instid0(VALU_DEP_1) | instskip(NEXT) | instid1(VALU_DEP_1)
	v_fmac_f32_e32 v36, v35, v34
	v_add_f32_e32 v34, v37, v36
	s_delay_alu instid0(VALU_DEP_1) | instskip(SKIP_1) | instid1(VALU_DEP_2)
	v_sub_f32_e32 v39, v33, v34
	v_sub_f32_e32 v37, v34, v37
	;; [unrolled: 1-line block ×3, first 2 shown]
	s_delay_alu instid0(VALU_DEP_1) | instskip(NEXT) | instid1(VALU_DEP_3)
	v_sub_f32_e32 v33, v33, v34
	v_sub_f32_e32 v34, v37, v36
	s_delay_alu instid0(VALU_DEP_2) | instskip(SKIP_1) | instid1(VALU_DEP_2)
	v_add_f32_e32 v30, v30, v33
	v_add_f32_e32 v33, v38, v35
	;; [unrolled: 1-line block ×3, first 2 shown]
	s_delay_alu instid0(VALU_DEP_2) | instskip(NEXT) | instid1(VALU_DEP_2)
	v_sub_f32_e32 v34, v33, v38
	v_add_f32_e32 v30, v39, v30
	s_delay_alu instid0(VALU_DEP_2) | instskip(NEXT) | instid1(VALU_DEP_2)
	v_sub_f32_e32 v34, v35, v34
	v_mul_f32_e32 v30, v32, v30
	s_delay_alu instid0(VALU_DEP_1) | instskip(NEXT) | instid1(VALU_DEP_1)
	v_add_f32_e32 v30, v34, v30
	v_add_f32_e32 v32, v33, v30
	s_delay_alu instid0(VALU_DEP_1) | instskip(SKIP_1) | instid1(VALU_DEP_1)
	v_mul_f32_e32 v34, v32, v32
	s_wait_alu 0xfffe
	v_fmaak_f32 v35, s23, v34, 0x3ecc95a3
	v_mul_f32_e32 v36, v32, v34
	v_cmp_neq_f32_e64 s23, 0x7f800000, v31
	s_delay_alu instid0(VALU_DEP_3) | instskip(SKIP_2) | instid1(VALU_DEP_3)
	v_fmaak_f32 v34, v34, v35, 0x3f2aaada
	v_ldexp_f32 v35, v32, 1
	v_sub_f32_e32 v32, v32, v33
	v_mul_f32_e32 v34, v36, v34
	v_mul_f32_e32 v36, 0x3f317218, v29
	s_delay_alu instid0(VALU_DEP_2) | instskip(NEXT) | instid1(VALU_DEP_1)
	v_dual_sub_f32 v30, v30, v32 :: v_dual_add_f32 v33, v35, v34
	v_ldexp_f32 v30, v30, 1
	s_delay_alu instid0(VALU_DEP_2) | instskip(NEXT) | instid1(VALU_DEP_4)
	v_sub_f32_e32 v32, v33, v35
	v_fma_f32 v35, 0x3f317218, v29, -v36
	s_delay_alu instid0(VALU_DEP_1) | instskip(NEXT) | instid1(VALU_DEP_1)
	v_dual_sub_f32 v32, v34, v32 :: v_dual_fmamk_f32 v29, v29, 0xb102e308, v35
	v_add_f32_e32 v30, v30, v32
	s_delay_alu instid0(VALU_DEP_2) | instskip(NEXT) | instid1(VALU_DEP_2)
	v_add_f32_e32 v32, v36, v29
	v_add_f32_e32 v34, v33, v30
	s_delay_alu instid0(VALU_DEP_2) | instskip(NEXT) | instid1(VALU_DEP_2)
	v_sub_f32_e32 v36, v32, v36
	v_add_f32_e32 v35, v32, v34
	v_sub_f32_e32 v33, v34, v33
	s_delay_alu instid0(VALU_DEP_3) | instskip(NEXT) | instid1(VALU_DEP_2)
	v_sub_f32_e32 v29, v29, v36
	v_dual_sub_f32 v37, v35, v32 :: v_dual_sub_f32 v30, v30, v33
	s_delay_alu instid0(VALU_DEP_1) | instskip(NEXT) | instid1(VALU_DEP_2)
	v_sub_f32_e32 v38, v35, v37
	v_dual_sub_f32 v33, v34, v37 :: v_dual_add_f32 v34, v29, v30
	s_delay_alu instid0(VALU_DEP_2) | instskip(NEXT) | instid1(VALU_DEP_1)
	v_sub_f32_e32 v32, v32, v38
	v_dual_add_f32 v32, v33, v32 :: v_dual_sub_f32 v33, v34, v29
	s_delay_alu instid0(VALU_DEP_1) | instskip(NEXT) | instid1(VALU_DEP_2)
	v_add_f32_e32 v32, v34, v32
	v_sub_f32_e32 v34, v34, v33
	v_sub_f32_e32 v30, v30, v33
	s_delay_alu instid0(VALU_DEP_2) | instskip(NEXT) | instid1(VALU_DEP_1)
	v_dual_add_f32 v36, v35, v32 :: v_dual_sub_f32 v29, v29, v34
	v_sub_f32_e32 v33, v36, v35
	s_delay_alu instid0(VALU_DEP_2) | instskip(NEXT) | instid1(VALU_DEP_2)
	v_add_f32_e32 v29, v30, v29
	v_sub_f32_e32 v30, v32, v33
	s_delay_alu instid0(VALU_DEP_1) | instskip(NEXT) | instid1(VALU_DEP_1)
	v_add_f32_e32 v29, v29, v30
	v_add_f32_e32 v29, v36, v29
	s_wait_alu 0xf1ff
	s_delay_alu instid0(VALU_DEP_1) | instskip(SKIP_2) | instid1(VALU_DEP_1)
	v_cndmask_b32_e64 v29, 0x7f800000, v29, s23
	v_cmp_gt_f32_e64 s23, 0x33800000, |v31|
	s_wait_alu 0xf1ff
	v_cndmask_b32_e64 v29, v29, v31, s23
	s_delay_alu instid0(VALU_DEP_1)
	v_add_f32_e32 v29, v24, v29
.LBB479_44:
	s_wait_alu 0xfffe
	s_or_b32 exec_lo, exec_lo, s25
	s_delay_alu instid0(VALU_DEP_1) | instskip(SKIP_1) | instid1(VALU_DEP_2)
	v_bfe_u32 v24, v29, 16, 1
	v_cmp_o_f32_e64 s23, v29, v29
	v_add3_u32 v24, v29, v24, 0x7fff
	s_delay_alu instid0(VALU_DEP_1) | instskip(SKIP_1) | instid1(VALU_DEP_1)
	v_and_b32_e32 v24, 0xffff0000, v24
	s_wait_alu 0xf1ff
	v_cndmask_b32_e64 v30, 0x7fc00000, v24, s23
	s_delay_alu instid0(VALU_DEP_1) | instskip(SKIP_2) | instid1(VALU_DEP_2)
	v_max_num_f32_e32 v29, v30, v30
	v_and_b32_e32 v6, 0xffff0000, v6
	v_cmp_u_f32_e64 s23, v30, v30
	v_max_num_f32_e32 v24, v6, v6
	s_delay_alu instid0(VALU_DEP_1) | instskip(SKIP_2) | instid1(VALU_DEP_2)
	v_min_num_f32_e32 v31, v29, v24
	v_max_num_f32_e32 v29, v29, v24
	s_wait_alu 0xf1ff
	v_cndmask_b32_e64 v31, v31, v30, s23
	s_delay_alu instid0(VALU_DEP_2) | instskip(SKIP_2) | instid1(VALU_DEP_1)
	v_cndmask_b32_e64 v29, v29, v30, s23
	v_cmp_u_f32_e64 s23, v6, v6
	s_wait_alu 0xf1ff
	v_cndmask_b32_e64 v31, v31, v6, s23
	s_delay_alu instid0(VALU_DEP_3) | instskip(NEXT) | instid1(VALU_DEP_2)
	v_cndmask_b32_e64 v29, v29, v6, s23
	v_cmp_class_f32_e64 s26, v31, 0x1f8
	s_delay_alu instid0(VALU_DEP_2)
	v_cmp_neq_f32_e64 s25, v31, v29
	s_or_b32 s25, s25, s26
	s_wait_alu 0xfffe
	s_and_saveexec_b32 s26, s25
	s_cbranch_execz .LBB479_46
; %bb.45:
	v_sub_f32_e32 v30, v31, v29
	s_delay_alu instid0(VALU_DEP_1) | instskip(SKIP_1) | instid1(VALU_DEP_2)
	v_mul_f32_e32 v31, 0x3fb8aa3b, v30
	v_cmp_ngt_f32_e64 s25, 0xc2ce8ed0, v30
	v_fma_f32 v32, 0x3fb8aa3b, v30, -v31
	v_rndne_f32_e32 v33, v31
	s_delay_alu instid0(VALU_DEP_1) | instskip(NEXT) | instid1(VALU_DEP_1)
	v_dual_fmamk_f32 v32, v30, 0x32a5705f, v32 :: v_dual_sub_f32 v31, v31, v33
	v_add_f32_e32 v31, v31, v32
	v_cvt_i32_f32_e32 v32, v33
	s_delay_alu instid0(VALU_DEP_2) | instskip(NEXT) | instid1(TRANS32_DEP_1)
	v_exp_f32_e32 v31, v31
	v_ldexp_f32 v31, v31, v32
	s_wait_alu 0xf1ff
	s_delay_alu instid0(VALU_DEP_1) | instskip(SKIP_2) | instid1(VALU_DEP_1)
	v_cndmask_b32_e64 v31, 0, v31, s25
	v_cmp_nlt_f32_e64 s25, 0x42b17218, v30
	s_wait_alu 0xf1ff
	v_cndmask_b32_e64 v32, 0x7f800000, v31, s25
	s_delay_alu instid0(VALU_DEP_1) | instskip(NEXT) | instid1(VALU_DEP_1)
	v_add_f32_e32 v33, 1.0, v32
	v_cvt_f64_f32_e32 v[30:31], v33
	s_delay_alu instid0(VALU_DEP_1) | instskip(SKIP_1) | instid1(VALU_DEP_1)
	v_frexp_exp_i32_f64_e32 v30, v[30:31]
	v_frexp_mant_f32_e32 v31, v33
	v_cmp_gt_f32_e64 s25, 0x3f2aaaab, v31
	v_add_f32_e32 v31, -1.0, v33
	s_delay_alu instid0(VALU_DEP_1)
	v_sub_f32_e32 v35, v31, v33
	v_sub_f32_e32 v31, v32, v31
	s_wait_alu 0xf1ff
	v_subrev_co_ci_u32_e64 v30, null, 0, v30, s25
	s_mov_b32 s25, 0x3e9b6dac
	v_sub_nc_u32_e32 v34, 0, v30
	v_cvt_f32_i32_e32 v30, v30
	s_delay_alu instid0(VALU_DEP_2) | instskip(NEXT) | instid1(VALU_DEP_1)
	v_ldexp_f32 v33, v33, v34
	v_dual_add_f32 v36, 1.0, v33 :: v_dual_add_f32 v35, 1.0, v35
	s_delay_alu instid0(VALU_DEP_1) | instskip(NEXT) | instid1(VALU_DEP_2)
	v_add_f32_e32 v31, v31, v35
	v_add_f32_e32 v35, -1.0, v36
	s_delay_alu instid0(VALU_DEP_2) | instskip(NEXT) | instid1(VALU_DEP_2)
	v_ldexp_f32 v31, v31, v34
	v_dual_add_f32 v34, -1.0, v33 :: v_dual_sub_f32 v35, v33, v35
	s_delay_alu instid0(VALU_DEP_1) | instskip(NEXT) | instid1(VALU_DEP_2)
	v_add_f32_e32 v37, 1.0, v34
	v_add_f32_e32 v35, v31, v35
	s_delay_alu instid0(VALU_DEP_2) | instskip(NEXT) | instid1(VALU_DEP_2)
	v_sub_f32_e32 v33, v33, v37
	v_add_f32_e32 v37, v36, v35
	s_delay_alu instid0(VALU_DEP_2) | instskip(NEXT) | instid1(VALU_DEP_2)
	v_add_f32_e32 v31, v31, v33
	v_rcp_f32_e32 v33, v37
	v_sub_f32_e32 v36, v36, v37
	s_delay_alu instid0(VALU_DEP_1) | instskip(NEXT) | instid1(VALU_DEP_1)
	v_dual_add_f32 v38, v34, v31 :: v_dual_add_f32 v35, v35, v36
	v_sub_f32_e32 v34, v34, v38
	s_delay_alu instid0(TRANS32_DEP_1) | instskip(NEXT) | instid1(VALU_DEP_1)
	v_mul_f32_e32 v39, v38, v33
	v_dual_add_f32 v31, v31, v34 :: v_dual_mul_f32 v40, v37, v39
	s_delay_alu instid0(VALU_DEP_1) | instskip(NEXT) | instid1(VALU_DEP_1)
	v_fma_f32 v36, v39, v37, -v40
	v_fmac_f32_e32 v36, v39, v35
	s_delay_alu instid0(VALU_DEP_1) | instskip(NEXT) | instid1(VALU_DEP_1)
	v_add_f32_e32 v41, v40, v36
	v_sub_f32_e32 v42, v38, v41
	v_sub_f32_e32 v34, v41, v40
	s_delay_alu instid0(VALU_DEP_2) | instskip(NEXT) | instid1(VALU_DEP_2)
	v_sub_f32_e32 v38, v38, v42
	v_sub_f32_e32 v34, v34, v36
	s_delay_alu instid0(VALU_DEP_2) | instskip(NEXT) | instid1(VALU_DEP_1)
	v_sub_f32_e32 v38, v38, v41
	v_add_f32_e32 v31, v31, v38
	s_delay_alu instid0(VALU_DEP_1) | instskip(NEXT) | instid1(VALU_DEP_1)
	v_add_f32_e32 v31, v34, v31
	v_add_f32_e32 v34, v42, v31
	s_delay_alu instid0(VALU_DEP_1) | instskip(NEXT) | instid1(VALU_DEP_1)
	v_mul_f32_e32 v36, v33, v34
	v_dual_sub_f32 v41, v42, v34 :: v_dual_mul_f32 v38, v37, v36
	s_delay_alu instid0(VALU_DEP_1) | instskip(NEXT) | instid1(VALU_DEP_2)
	v_add_f32_e32 v31, v31, v41
	v_fma_f32 v37, v36, v37, -v38
	s_delay_alu instid0(VALU_DEP_1) | instskip(NEXT) | instid1(VALU_DEP_1)
	v_fmac_f32_e32 v37, v36, v35
	v_add_f32_e32 v35, v38, v37
	s_delay_alu instid0(VALU_DEP_1) | instskip(SKIP_1) | instid1(VALU_DEP_2)
	v_sub_f32_e32 v40, v34, v35
	v_sub_f32_e32 v38, v35, v38
	;; [unrolled: 1-line block ×3, first 2 shown]
	s_delay_alu instid0(VALU_DEP_1) | instskip(NEXT) | instid1(VALU_DEP_3)
	v_sub_f32_e32 v34, v34, v35
	v_sub_f32_e32 v35, v38, v37
	s_delay_alu instid0(VALU_DEP_2) | instskip(SKIP_1) | instid1(VALU_DEP_2)
	v_add_f32_e32 v31, v31, v34
	v_add_f32_e32 v34, v39, v36
	;; [unrolled: 1-line block ×3, first 2 shown]
	s_delay_alu instid0(VALU_DEP_2) | instskip(NEXT) | instid1(VALU_DEP_2)
	v_sub_f32_e32 v35, v34, v39
	v_add_f32_e32 v31, v40, v31
	s_delay_alu instid0(VALU_DEP_2) | instskip(NEXT) | instid1(VALU_DEP_2)
	v_sub_f32_e32 v35, v36, v35
	v_mul_f32_e32 v31, v33, v31
	s_delay_alu instid0(VALU_DEP_1) | instskip(NEXT) | instid1(VALU_DEP_1)
	v_add_f32_e32 v31, v35, v31
	v_add_f32_e32 v33, v34, v31
	s_delay_alu instid0(VALU_DEP_1) | instskip(SKIP_1) | instid1(VALU_DEP_1)
	v_mul_f32_e32 v35, v33, v33
	s_wait_alu 0xfffe
	v_fmaak_f32 v36, s25, v35, 0x3ecc95a3
	v_mul_f32_e32 v37, v33, v35
	v_cmp_neq_f32_e64 s25, 0x7f800000, v32
	s_delay_alu instid0(VALU_DEP_3) | instskip(SKIP_2) | instid1(VALU_DEP_3)
	v_fmaak_f32 v35, v35, v36, 0x3f2aaada
	v_ldexp_f32 v36, v33, 1
	v_sub_f32_e32 v33, v33, v34
	v_mul_f32_e32 v35, v37, v35
	v_mul_f32_e32 v37, 0x3f317218, v30
	s_delay_alu instid0(VALU_DEP_2) | instskip(NEXT) | instid1(VALU_DEP_1)
	v_dual_sub_f32 v31, v31, v33 :: v_dual_add_f32 v34, v36, v35
	v_ldexp_f32 v31, v31, 1
	s_delay_alu instid0(VALU_DEP_2) | instskip(NEXT) | instid1(VALU_DEP_4)
	v_sub_f32_e32 v33, v34, v36
	v_fma_f32 v36, 0x3f317218, v30, -v37
	s_delay_alu instid0(VALU_DEP_1) | instskip(NEXT) | instid1(VALU_DEP_1)
	v_dual_sub_f32 v33, v35, v33 :: v_dual_fmamk_f32 v30, v30, 0xb102e308, v36
	v_add_f32_e32 v31, v31, v33
	s_delay_alu instid0(VALU_DEP_2) | instskip(NEXT) | instid1(VALU_DEP_2)
	v_add_f32_e32 v33, v37, v30
	v_add_f32_e32 v35, v34, v31
	s_delay_alu instid0(VALU_DEP_2) | instskip(NEXT) | instid1(VALU_DEP_2)
	v_sub_f32_e32 v37, v33, v37
	v_add_f32_e32 v36, v33, v35
	v_sub_f32_e32 v34, v35, v34
	s_delay_alu instid0(VALU_DEP_3) | instskip(NEXT) | instid1(VALU_DEP_2)
	v_sub_f32_e32 v30, v30, v37
	v_dual_sub_f32 v38, v36, v33 :: v_dual_sub_f32 v31, v31, v34
	s_delay_alu instid0(VALU_DEP_1) | instskip(NEXT) | instid1(VALU_DEP_2)
	v_sub_f32_e32 v39, v36, v38
	v_dual_sub_f32 v34, v35, v38 :: v_dual_add_f32 v35, v30, v31
	s_delay_alu instid0(VALU_DEP_2) | instskip(NEXT) | instid1(VALU_DEP_1)
	v_sub_f32_e32 v33, v33, v39
	v_dual_add_f32 v33, v34, v33 :: v_dual_sub_f32 v34, v35, v30
	s_delay_alu instid0(VALU_DEP_1) | instskip(NEXT) | instid1(VALU_DEP_2)
	v_add_f32_e32 v33, v35, v33
	v_sub_f32_e32 v35, v35, v34
	v_sub_f32_e32 v31, v31, v34
	s_delay_alu instid0(VALU_DEP_2) | instskip(NEXT) | instid1(VALU_DEP_1)
	v_dual_add_f32 v37, v36, v33 :: v_dual_sub_f32 v30, v30, v35
	v_sub_f32_e32 v34, v37, v36
	s_delay_alu instid0(VALU_DEP_2) | instskip(NEXT) | instid1(VALU_DEP_2)
	v_add_f32_e32 v30, v31, v30
	v_sub_f32_e32 v31, v33, v34
	s_delay_alu instid0(VALU_DEP_1) | instskip(NEXT) | instid1(VALU_DEP_1)
	v_add_f32_e32 v30, v30, v31
	v_add_f32_e32 v30, v37, v30
	s_wait_alu 0xf1ff
	s_delay_alu instid0(VALU_DEP_1) | instskip(SKIP_2) | instid1(VALU_DEP_1)
	v_cndmask_b32_e64 v30, 0x7f800000, v30, s25
	v_cmp_gt_f32_e64 s25, 0x33800000, |v32|
	s_wait_alu 0xf1ff
	v_cndmask_b32_e64 v30, v30, v32, s25
	s_delay_alu instid0(VALU_DEP_1)
	v_add_f32_e32 v30, v29, v30
.LBB479_46:
	s_or_b32 exec_lo, exec_lo, s26
	s_delay_alu instid0(VALU_DEP_1)
	v_bfe_u32 v29, v30, 16, 1
	s_load_b64 s[26:27], s[0:1], 0x18
	v_lshrrev_b32_e32 v31, 4, v0
	v_cmp_o_f32_e64 s0, v30, v30
	s_mov_b32 s25, exec_lo
	v_add3_u32 v29, v30, v29, 0x7fff
	v_and_b32_e32 v31, 14, v31
	s_delay_alu instid0(VALU_DEP_2) | instskip(NEXT) | instid1(VALU_DEP_2)
	v_lshrrev_b32_e32 v29, 16, v29
	v_lshl_add_u32 v31, v0, 1, v31
	s_delay_alu instid0(VALU_DEP_2)
	v_cndmask_b32_e64 v30, 0x7fc0, v29, s0
	ds_store_b16 v31, v30
	s_wait_loadcnt_dscnt 0x0
	s_barrier_signal -1
	s_barrier_wait -1
	global_inv scope:SCOPE_SE
	v_cmpx_gt_u32_e32 32, v0
	s_cbranch_execz .LBB479_98
; %bb.47:
	v_lshrrev_b32_e32 v29, 1, v0
	v_lshlrev_b32_e32 v31, 4, v0
	s_delay_alu instid0(VALU_DEP_2) | instskip(NEXT) | instid1(VALU_DEP_1)
	v_and_b32_e32 v29, 0x7e, v29
	v_add_nc_u32_e32 v29, v29, v31
	ds_load_u16 v31, v29 offset:2
	ds_load_u16 v32, v29
	s_wait_dscnt 0x1
	v_lshlrev_b32_e32 v33, 16, v31
	s_wait_dscnt 0x0
	s_delay_alu instid0(VALU_DEP_1) | instskip(NEXT) | instid1(VALU_DEP_1)
	v_dual_max_num_f32 v34, v33, v33 :: v_dual_lshlrev_b32 v31, 16, v32
	v_max_num_f32_e32 v32, v31, v31
	v_cmp_u_f32_e64 s0, v31, v31
	v_cmp_u_f32_e64 s1, v33, v33
	s_delay_alu instid0(VALU_DEP_3) | instskip(SKIP_2) | instid1(VALU_DEP_2)
	v_min_num_f32_e32 v35, v32, v34
	v_max_num_f32_e32 v34, v32, v34
	s_wait_alu 0xf1ff
	v_cndmask_b32_e64 v35, v35, v31, s0
	s_delay_alu instid0(VALU_DEP_2) | instskip(NEXT) | instid1(VALU_DEP_2)
	v_cndmask_b32_e64 v34, v34, v31, s0
	v_cndmask_b32_e64 v35, v35, v33, s1
	s_delay_alu instid0(VALU_DEP_2) | instskip(SKIP_1) | instid1(VALU_DEP_3)
	v_cndmask_b32_e64 v33, v34, v33, s1
	v_mov_b32_e32 v34, v31
	v_cmp_class_f32_e64 s28, v35, 0x1f8
	s_delay_alu instid0(VALU_DEP_3)
	v_cmp_neq_f32_e64 s1, v35, v33
	s_or_b32 s1, s1, s28
	s_wait_alu 0xfffe
	s_and_saveexec_b32 s28, s1
	s_cbranch_execz .LBB479_49
; %bb.48:
	v_sub_f32_e32 v34, v35, v33
	s_delay_alu instid0(VALU_DEP_1) | instskip(SKIP_1) | instid1(VALU_DEP_2)
	v_mul_f32_e32 v35, 0x3fb8aa3b, v34
	v_cmp_ngt_f32_e64 s1, 0xc2ce8ed0, v34
	v_fma_f32 v36, 0x3fb8aa3b, v34, -v35
	v_rndne_f32_e32 v37, v35
	s_delay_alu instid0(VALU_DEP_1) | instskip(NEXT) | instid1(VALU_DEP_1)
	v_dual_fmamk_f32 v36, v34, 0x32a5705f, v36 :: v_dual_sub_f32 v35, v35, v37
	v_add_f32_e32 v35, v35, v36
	v_cvt_i32_f32_e32 v36, v37
	s_delay_alu instid0(VALU_DEP_2) | instskip(NEXT) | instid1(TRANS32_DEP_1)
	v_exp_f32_e32 v35, v35
	v_ldexp_f32 v35, v35, v36
	s_wait_alu 0xf1ff
	s_delay_alu instid0(VALU_DEP_1) | instskip(SKIP_2) | instid1(VALU_DEP_1)
	v_cndmask_b32_e64 v35, 0, v35, s1
	v_cmp_nlt_f32_e64 s1, 0x42b17218, v34
	s_wait_alu 0xf1ff
	v_cndmask_b32_e64 v36, 0x7f800000, v35, s1
	s_delay_alu instid0(VALU_DEP_1) | instskip(NEXT) | instid1(VALU_DEP_1)
	v_add_f32_e32 v37, 1.0, v36
	v_cvt_f64_f32_e32 v[34:35], v37
	s_delay_alu instid0(VALU_DEP_1) | instskip(SKIP_1) | instid1(VALU_DEP_1)
	v_frexp_exp_i32_f64_e32 v34, v[34:35]
	v_frexp_mant_f32_e32 v35, v37
	v_cmp_gt_f32_e64 s1, 0x3f2aaaab, v35
	v_add_f32_e32 v35, -1.0, v37
	s_delay_alu instid0(VALU_DEP_1)
	v_sub_f32_e32 v39, v35, v37
	v_sub_f32_e32 v35, v36, v35
	s_wait_alu 0xf1ff
	v_subrev_co_ci_u32_e64 v34, null, 0, v34, s1
	s_mov_b32 s1, 0x3e9b6dac
	v_sub_nc_u32_e32 v38, 0, v34
	v_cvt_f32_i32_e32 v34, v34
	s_delay_alu instid0(VALU_DEP_2) | instskip(NEXT) | instid1(VALU_DEP_1)
	v_ldexp_f32 v37, v37, v38
	v_dual_add_f32 v40, 1.0, v37 :: v_dual_add_f32 v39, 1.0, v39
	s_delay_alu instid0(VALU_DEP_1) | instskip(NEXT) | instid1(VALU_DEP_2)
	v_add_f32_e32 v35, v35, v39
	v_add_f32_e32 v39, -1.0, v40
	s_delay_alu instid0(VALU_DEP_2) | instskip(NEXT) | instid1(VALU_DEP_2)
	v_ldexp_f32 v35, v35, v38
	v_dual_add_f32 v38, -1.0, v37 :: v_dual_sub_f32 v39, v37, v39
	s_delay_alu instid0(VALU_DEP_1) | instskip(NEXT) | instid1(VALU_DEP_2)
	v_add_f32_e32 v41, 1.0, v38
	v_add_f32_e32 v39, v35, v39
	s_delay_alu instid0(VALU_DEP_2) | instskip(NEXT) | instid1(VALU_DEP_2)
	v_sub_f32_e32 v37, v37, v41
	v_add_f32_e32 v41, v40, v39
	s_delay_alu instid0(VALU_DEP_2) | instskip(NEXT) | instid1(VALU_DEP_2)
	v_add_f32_e32 v35, v35, v37
	v_rcp_f32_e32 v37, v41
	v_sub_f32_e32 v40, v40, v41
	s_delay_alu instid0(VALU_DEP_1) | instskip(NEXT) | instid1(VALU_DEP_1)
	v_dual_add_f32 v42, v38, v35 :: v_dual_add_f32 v39, v39, v40
	v_sub_f32_e32 v38, v38, v42
	s_delay_alu instid0(TRANS32_DEP_1) | instskip(NEXT) | instid1(VALU_DEP_1)
	v_mul_f32_e32 v43, v42, v37
	v_dual_add_f32 v35, v35, v38 :: v_dual_mul_f32 v44, v41, v43
	s_delay_alu instid0(VALU_DEP_1) | instskip(NEXT) | instid1(VALU_DEP_1)
	v_fma_f32 v40, v43, v41, -v44
	v_fmac_f32_e32 v40, v43, v39
	s_delay_alu instid0(VALU_DEP_1) | instskip(NEXT) | instid1(VALU_DEP_1)
	v_add_f32_e32 v45, v44, v40
	v_sub_f32_e32 v46, v42, v45
	v_sub_f32_e32 v38, v45, v44
	s_delay_alu instid0(VALU_DEP_2) | instskip(NEXT) | instid1(VALU_DEP_2)
	v_sub_f32_e32 v42, v42, v46
	v_sub_f32_e32 v38, v38, v40
	s_delay_alu instid0(VALU_DEP_2) | instskip(NEXT) | instid1(VALU_DEP_1)
	v_sub_f32_e32 v42, v42, v45
	v_add_f32_e32 v35, v35, v42
	s_delay_alu instid0(VALU_DEP_1) | instskip(NEXT) | instid1(VALU_DEP_1)
	v_add_f32_e32 v35, v38, v35
	v_add_f32_e32 v38, v46, v35
	s_delay_alu instid0(VALU_DEP_1) | instskip(NEXT) | instid1(VALU_DEP_1)
	v_mul_f32_e32 v40, v37, v38
	v_dual_sub_f32 v45, v46, v38 :: v_dual_mul_f32 v42, v41, v40
	s_delay_alu instid0(VALU_DEP_1) | instskip(NEXT) | instid1(VALU_DEP_2)
	v_add_f32_e32 v35, v35, v45
	v_fma_f32 v41, v40, v41, -v42
	s_delay_alu instid0(VALU_DEP_1) | instskip(NEXT) | instid1(VALU_DEP_1)
	v_fmac_f32_e32 v41, v40, v39
	v_add_f32_e32 v39, v42, v41
	s_delay_alu instid0(VALU_DEP_1) | instskip(SKIP_1) | instid1(VALU_DEP_2)
	v_sub_f32_e32 v44, v38, v39
	v_sub_f32_e32 v42, v39, v42
	;; [unrolled: 1-line block ×3, first 2 shown]
	s_delay_alu instid0(VALU_DEP_1) | instskip(NEXT) | instid1(VALU_DEP_3)
	v_sub_f32_e32 v38, v38, v39
	v_sub_f32_e32 v39, v42, v41
	s_delay_alu instid0(VALU_DEP_2) | instskip(SKIP_1) | instid1(VALU_DEP_2)
	v_add_f32_e32 v35, v35, v38
	v_add_f32_e32 v38, v43, v40
	;; [unrolled: 1-line block ×3, first 2 shown]
	s_delay_alu instid0(VALU_DEP_2) | instskip(NEXT) | instid1(VALU_DEP_2)
	v_sub_f32_e32 v39, v38, v43
	v_add_f32_e32 v35, v44, v35
	s_delay_alu instid0(VALU_DEP_2) | instskip(NEXT) | instid1(VALU_DEP_2)
	v_sub_f32_e32 v39, v40, v39
	v_mul_f32_e32 v35, v37, v35
	s_delay_alu instid0(VALU_DEP_1) | instskip(NEXT) | instid1(VALU_DEP_1)
	v_add_f32_e32 v35, v39, v35
	v_add_f32_e32 v37, v38, v35
	s_delay_alu instid0(VALU_DEP_1) | instskip(SKIP_1) | instid1(VALU_DEP_1)
	v_mul_f32_e32 v39, v37, v37
	s_wait_alu 0xfffe
	v_fmaak_f32 v40, s1, v39, 0x3ecc95a3
	v_mul_f32_e32 v41, v37, v39
	v_cmp_neq_f32_e64 s1, 0x7f800000, v36
	s_delay_alu instid0(VALU_DEP_3) | instskip(SKIP_2) | instid1(VALU_DEP_3)
	v_fmaak_f32 v39, v39, v40, 0x3f2aaada
	v_ldexp_f32 v40, v37, 1
	v_sub_f32_e32 v37, v37, v38
	v_mul_f32_e32 v39, v41, v39
	v_mul_f32_e32 v41, 0x3f317218, v34
	s_delay_alu instid0(VALU_DEP_2) | instskip(NEXT) | instid1(VALU_DEP_1)
	v_dual_sub_f32 v35, v35, v37 :: v_dual_add_f32 v38, v40, v39
	v_ldexp_f32 v35, v35, 1
	s_delay_alu instid0(VALU_DEP_2) | instskip(NEXT) | instid1(VALU_DEP_4)
	v_sub_f32_e32 v37, v38, v40
	v_fma_f32 v40, 0x3f317218, v34, -v41
	s_delay_alu instid0(VALU_DEP_1) | instskip(NEXT) | instid1(VALU_DEP_1)
	v_dual_sub_f32 v37, v39, v37 :: v_dual_fmamk_f32 v34, v34, 0xb102e308, v40
	v_add_f32_e32 v35, v35, v37
	s_delay_alu instid0(VALU_DEP_2) | instskip(NEXT) | instid1(VALU_DEP_2)
	v_add_f32_e32 v37, v41, v34
	v_add_f32_e32 v39, v38, v35
	s_delay_alu instid0(VALU_DEP_2) | instskip(NEXT) | instid1(VALU_DEP_2)
	v_sub_f32_e32 v41, v37, v41
	v_add_f32_e32 v40, v37, v39
	v_sub_f32_e32 v38, v39, v38
	s_delay_alu instid0(VALU_DEP_3) | instskip(NEXT) | instid1(VALU_DEP_2)
	v_sub_f32_e32 v34, v34, v41
	v_dual_sub_f32 v42, v40, v37 :: v_dual_sub_f32 v35, v35, v38
	s_delay_alu instid0(VALU_DEP_1) | instskip(NEXT) | instid1(VALU_DEP_2)
	v_sub_f32_e32 v43, v40, v42
	v_dual_sub_f32 v38, v39, v42 :: v_dual_add_f32 v39, v34, v35
	s_delay_alu instid0(VALU_DEP_2) | instskip(NEXT) | instid1(VALU_DEP_1)
	v_sub_f32_e32 v37, v37, v43
	v_dual_add_f32 v37, v38, v37 :: v_dual_sub_f32 v38, v39, v34
	s_delay_alu instid0(VALU_DEP_1) | instskip(NEXT) | instid1(VALU_DEP_2)
	v_add_f32_e32 v37, v39, v37
	v_sub_f32_e32 v39, v39, v38
	v_sub_f32_e32 v35, v35, v38
	s_delay_alu instid0(VALU_DEP_2) | instskip(NEXT) | instid1(VALU_DEP_1)
	v_dual_add_f32 v41, v40, v37 :: v_dual_sub_f32 v34, v34, v39
	v_sub_f32_e32 v38, v41, v40
	s_delay_alu instid0(VALU_DEP_2) | instskip(NEXT) | instid1(VALU_DEP_2)
	v_add_f32_e32 v34, v35, v34
	v_sub_f32_e32 v35, v37, v38
	s_delay_alu instid0(VALU_DEP_1) | instskip(NEXT) | instid1(VALU_DEP_1)
	v_add_f32_e32 v34, v34, v35
	v_add_f32_e32 v34, v41, v34
	s_wait_alu 0xf1ff
	s_delay_alu instid0(VALU_DEP_1) | instskip(SKIP_2) | instid1(VALU_DEP_1)
	v_cndmask_b32_e64 v34, 0x7f800000, v34, s1
	v_cmp_gt_f32_e64 s1, 0x33800000, |v36|
	s_wait_alu 0xf1ff
	v_cndmask_b32_e64 v34, v34, v36, s1
	s_delay_alu instid0(VALU_DEP_1)
	v_add_f32_e32 v34, v33, v34
.LBB479_49:
	s_or_b32 exec_lo, exec_lo, s28
	ds_load_u16 v33, v29 offset:4
	v_bfe_u32 v35, v34, 16, 1
	v_cmp_o_f32_e64 s1, v34, v34
	s_delay_alu instid0(VALU_DEP_2) | instskip(SKIP_2) | instid1(VALU_DEP_1)
	v_add3_u32 v35, v34, v35, 0x7fff
	s_wait_dscnt 0x0
	v_lshlrev_b32_e32 v33, 16, v33
	v_dual_max_num_f32 v36, v33, v33 :: v_dual_and_b32 v35, 0xffff0000, v35
	s_wait_alu 0xf1ff
	s_delay_alu instid0(VALU_DEP_1) | instskip(NEXT) | instid1(VALU_DEP_1)
	v_cndmask_b32_e64 v34, 0x7fc00000, v35, s1
	v_max_num_f32_e32 v35, v34, v34
	v_cmp_u_f32_e64 s1, v34, v34
	s_delay_alu instid0(VALU_DEP_2) | instskip(SKIP_2) | instid1(VALU_DEP_2)
	v_min_num_f32_e32 v37, v35, v36
	v_max_num_f32_e32 v35, v35, v36
	s_wait_alu 0xf1ff
	v_cndmask_b32_e64 v36, v37, v34, s1
	s_delay_alu instid0(VALU_DEP_2) | instskip(SKIP_2) | instid1(VALU_DEP_1)
	v_cndmask_b32_e64 v37, v35, v34, s1
	v_cmp_u_f32_e64 s1, v33, v33
	s_wait_alu 0xf1ff
	v_cndmask_b32_e64 v35, v36, v33, s1
	s_delay_alu instid0(VALU_DEP_3) | instskip(NEXT) | instid1(VALU_DEP_2)
	v_cndmask_b32_e64 v33, v37, v33, s1
	v_cmp_class_f32_e64 s28, v35, 0x1f8
	s_delay_alu instid0(VALU_DEP_2)
	v_cmp_neq_f32_e64 s1, v35, v33
	s_or_b32 s1, s1, s28
	s_wait_alu 0xfffe
	s_and_saveexec_b32 s28, s1
	s_cbranch_execz .LBB479_51
; %bb.50:
	v_sub_f32_e32 v34, v35, v33
	s_delay_alu instid0(VALU_DEP_1) | instskip(SKIP_1) | instid1(VALU_DEP_2)
	v_mul_f32_e32 v35, 0x3fb8aa3b, v34
	v_cmp_ngt_f32_e64 s1, 0xc2ce8ed0, v34
	v_fma_f32 v36, 0x3fb8aa3b, v34, -v35
	v_rndne_f32_e32 v37, v35
	s_delay_alu instid0(VALU_DEP_1) | instskip(NEXT) | instid1(VALU_DEP_1)
	v_dual_fmamk_f32 v36, v34, 0x32a5705f, v36 :: v_dual_sub_f32 v35, v35, v37
	v_add_f32_e32 v35, v35, v36
	v_cvt_i32_f32_e32 v36, v37
	s_delay_alu instid0(VALU_DEP_2) | instskip(NEXT) | instid1(TRANS32_DEP_1)
	v_exp_f32_e32 v35, v35
	v_ldexp_f32 v35, v35, v36
	s_wait_alu 0xf1ff
	s_delay_alu instid0(VALU_DEP_1) | instskip(SKIP_2) | instid1(VALU_DEP_1)
	v_cndmask_b32_e64 v35, 0, v35, s1
	v_cmp_nlt_f32_e64 s1, 0x42b17218, v34
	s_wait_alu 0xf1ff
	v_cndmask_b32_e64 v36, 0x7f800000, v35, s1
	s_delay_alu instid0(VALU_DEP_1) | instskip(NEXT) | instid1(VALU_DEP_1)
	v_add_f32_e32 v37, 1.0, v36
	v_cvt_f64_f32_e32 v[34:35], v37
	s_delay_alu instid0(VALU_DEP_1) | instskip(SKIP_1) | instid1(VALU_DEP_1)
	v_frexp_exp_i32_f64_e32 v34, v[34:35]
	v_frexp_mant_f32_e32 v35, v37
	v_cmp_gt_f32_e64 s1, 0x3f2aaaab, v35
	v_add_f32_e32 v35, -1.0, v37
	s_delay_alu instid0(VALU_DEP_1)
	v_sub_f32_e32 v39, v35, v37
	v_sub_f32_e32 v35, v36, v35
	s_wait_alu 0xf1ff
	v_subrev_co_ci_u32_e64 v34, null, 0, v34, s1
	s_mov_b32 s1, 0x3e9b6dac
	v_sub_nc_u32_e32 v38, 0, v34
	v_cvt_f32_i32_e32 v34, v34
	s_delay_alu instid0(VALU_DEP_2) | instskip(NEXT) | instid1(VALU_DEP_1)
	v_ldexp_f32 v37, v37, v38
	v_dual_add_f32 v40, 1.0, v37 :: v_dual_add_f32 v39, 1.0, v39
	s_delay_alu instid0(VALU_DEP_1) | instskip(NEXT) | instid1(VALU_DEP_2)
	v_add_f32_e32 v35, v35, v39
	v_add_f32_e32 v39, -1.0, v40
	s_delay_alu instid0(VALU_DEP_2) | instskip(NEXT) | instid1(VALU_DEP_2)
	v_ldexp_f32 v35, v35, v38
	v_dual_add_f32 v38, -1.0, v37 :: v_dual_sub_f32 v39, v37, v39
	s_delay_alu instid0(VALU_DEP_1) | instskip(NEXT) | instid1(VALU_DEP_2)
	v_add_f32_e32 v41, 1.0, v38
	v_add_f32_e32 v39, v35, v39
	s_delay_alu instid0(VALU_DEP_2) | instskip(NEXT) | instid1(VALU_DEP_2)
	v_sub_f32_e32 v37, v37, v41
	v_add_f32_e32 v41, v40, v39
	s_delay_alu instid0(VALU_DEP_2) | instskip(NEXT) | instid1(VALU_DEP_2)
	v_add_f32_e32 v35, v35, v37
	v_rcp_f32_e32 v37, v41
	v_sub_f32_e32 v40, v40, v41
	s_delay_alu instid0(VALU_DEP_1) | instskip(NEXT) | instid1(VALU_DEP_1)
	v_dual_add_f32 v42, v38, v35 :: v_dual_add_f32 v39, v39, v40
	v_sub_f32_e32 v38, v38, v42
	s_delay_alu instid0(TRANS32_DEP_1) | instskip(NEXT) | instid1(VALU_DEP_1)
	v_mul_f32_e32 v43, v42, v37
	v_dual_add_f32 v35, v35, v38 :: v_dual_mul_f32 v44, v41, v43
	s_delay_alu instid0(VALU_DEP_1) | instskip(NEXT) | instid1(VALU_DEP_1)
	v_fma_f32 v40, v43, v41, -v44
	v_fmac_f32_e32 v40, v43, v39
	s_delay_alu instid0(VALU_DEP_1) | instskip(NEXT) | instid1(VALU_DEP_1)
	v_add_f32_e32 v45, v44, v40
	v_sub_f32_e32 v46, v42, v45
	v_sub_f32_e32 v38, v45, v44
	s_delay_alu instid0(VALU_DEP_2) | instskip(NEXT) | instid1(VALU_DEP_2)
	v_sub_f32_e32 v42, v42, v46
	v_sub_f32_e32 v38, v38, v40
	s_delay_alu instid0(VALU_DEP_2) | instskip(NEXT) | instid1(VALU_DEP_1)
	v_sub_f32_e32 v42, v42, v45
	v_add_f32_e32 v35, v35, v42
	s_delay_alu instid0(VALU_DEP_1) | instskip(NEXT) | instid1(VALU_DEP_1)
	v_add_f32_e32 v35, v38, v35
	v_add_f32_e32 v38, v46, v35
	s_delay_alu instid0(VALU_DEP_1) | instskip(NEXT) | instid1(VALU_DEP_1)
	v_mul_f32_e32 v40, v37, v38
	v_dual_sub_f32 v45, v46, v38 :: v_dual_mul_f32 v42, v41, v40
	s_delay_alu instid0(VALU_DEP_1) | instskip(NEXT) | instid1(VALU_DEP_2)
	v_add_f32_e32 v35, v35, v45
	v_fma_f32 v41, v40, v41, -v42
	s_delay_alu instid0(VALU_DEP_1) | instskip(NEXT) | instid1(VALU_DEP_1)
	v_fmac_f32_e32 v41, v40, v39
	v_add_f32_e32 v39, v42, v41
	s_delay_alu instid0(VALU_DEP_1) | instskip(SKIP_1) | instid1(VALU_DEP_2)
	v_sub_f32_e32 v44, v38, v39
	v_sub_f32_e32 v42, v39, v42
	;; [unrolled: 1-line block ×3, first 2 shown]
	s_delay_alu instid0(VALU_DEP_1) | instskip(NEXT) | instid1(VALU_DEP_3)
	v_sub_f32_e32 v38, v38, v39
	v_sub_f32_e32 v39, v42, v41
	s_delay_alu instid0(VALU_DEP_2) | instskip(SKIP_1) | instid1(VALU_DEP_2)
	v_add_f32_e32 v35, v35, v38
	v_add_f32_e32 v38, v43, v40
	;; [unrolled: 1-line block ×3, first 2 shown]
	s_delay_alu instid0(VALU_DEP_2) | instskip(NEXT) | instid1(VALU_DEP_2)
	v_sub_f32_e32 v39, v38, v43
	v_add_f32_e32 v35, v44, v35
	s_delay_alu instid0(VALU_DEP_2) | instskip(NEXT) | instid1(VALU_DEP_2)
	v_sub_f32_e32 v39, v40, v39
	v_mul_f32_e32 v35, v37, v35
	s_delay_alu instid0(VALU_DEP_1) | instskip(NEXT) | instid1(VALU_DEP_1)
	v_add_f32_e32 v35, v39, v35
	v_add_f32_e32 v37, v38, v35
	s_delay_alu instid0(VALU_DEP_1) | instskip(SKIP_1) | instid1(VALU_DEP_1)
	v_mul_f32_e32 v39, v37, v37
	s_wait_alu 0xfffe
	v_fmaak_f32 v40, s1, v39, 0x3ecc95a3
	v_mul_f32_e32 v41, v37, v39
	v_cmp_neq_f32_e64 s1, 0x7f800000, v36
	s_delay_alu instid0(VALU_DEP_3) | instskip(SKIP_2) | instid1(VALU_DEP_3)
	v_fmaak_f32 v39, v39, v40, 0x3f2aaada
	v_ldexp_f32 v40, v37, 1
	v_sub_f32_e32 v37, v37, v38
	v_mul_f32_e32 v39, v41, v39
	v_mul_f32_e32 v41, 0x3f317218, v34
	s_delay_alu instid0(VALU_DEP_2) | instskip(NEXT) | instid1(VALU_DEP_1)
	v_dual_sub_f32 v35, v35, v37 :: v_dual_add_f32 v38, v40, v39
	v_ldexp_f32 v35, v35, 1
	s_delay_alu instid0(VALU_DEP_2) | instskip(NEXT) | instid1(VALU_DEP_4)
	v_sub_f32_e32 v37, v38, v40
	v_fma_f32 v40, 0x3f317218, v34, -v41
	s_delay_alu instid0(VALU_DEP_1) | instskip(NEXT) | instid1(VALU_DEP_1)
	v_dual_sub_f32 v37, v39, v37 :: v_dual_fmamk_f32 v34, v34, 0xb102e308, v40
	v_add_f32_e32 v35, v35, v37
	s_delay_alu instid0(VALU_DEP_2) | instskip(NEXT) | instid1(VALU_DEP_2)
	v_add_f32_e32 v37, v41, v34
	v_add_f32_e32 v39, v38, v35
	s_delay_alu instid0(VALU_DEP_2) | instskip(NEXT) | instid1(VALU_DEP_2)
	v_sub_f32_e32 v41, v37, v41
	v_add_f32_e32 v40, v37, v39
	v_sub_f32_e32 v38, v39, v38
	s_delay_alu instid0(VALU_DEP_3) | instskip(NEXT) | instid1(VALU_DEP_2)
	v_sub_f32_e32 v34, v34, v41
	v_dual_sub_f32 v42, v40, v37 :: v_dual_sub_f32 v35, v35, v38
	s_delay_alu instid0(VALU_DEP_1) | instskip(NEXT) | instid1(VALU_DEP_2)
	v_sub_f32_e32 v43, v40, v42
	v_dual_sub_f32 v38, v39, v42 :: v_dual_add_f32 v39, v34, v35
	s_delay_alu instid0(VALU_DEP_2) | instskip(NEXT) | instid1(VALU_DEP_1)
	v_sub_f32_e32 v37, v37, v43
	v_dual_add_f32 v37, v38, v37 :: v_dual_sub_f32 v38, v39, v34
	s_delay_alu instid0(VALU_DEP_1) | instskip(NEXT) | instid1(VALU_DEP_2)
	v_add_f32_e32 v37, v39, v37
	v_sub_f32_e32 v39, v39, v38
	v_sub_f32_e32 v35, v35, v38
	s_delay_alu instid0(VALU_DEP_2) | instskip(NEXT) | instid1(VALU_DEP_1)
	v_dual_add_f32 v41, v40, v37 :: v_dual_sub_f32 v34, v34, v39
	v_sub_f32_e32 v38, v41, v40
	s_delay_alu instid0(VALU_DEP_2) | instskip(NEXT) | instid1(VALU_DEP_2)
	v_add_f32_e32 v34, v35, v34
	v_sub_f32_e32 v35, v37, v38
	s_delay_alu instid0(VALU_DEP_1) | instskip(NEXT) | instid1(VALU_DEP_1)
	v_add_f32_e32 v34, v34, v35
	v_add_f32_e32 v34, v41, v34
	s_wait_alu 0xf1ff
	s_delay_alu instid0(VALU_DEP_1) | instskip(SKIP_2) | instid1(VALU_DEP_1)
	v_cndmask_b32_e64 v34, 0x7f800000, v34, s1
	v_cmp_gt_f32_e64 s1, 0x33800000, |v36|
	s_wait_alu 0xf1ff
	v_cndmask_b32_e64 v34, v34, v36, s1
	s_delay_alu instid0(VALU_DEP_1)
	v_add_f32_e32 v34, v33, v34
.LBB479_51:
	s_or_b32 exec_lo, exec_lo, s28
	ds_load_u16 v33, v29 offset:6
	v_bfe_u32 v35, v34, 16, 1
	v_cmp_o_f32_e64 s1, v34, v34
	s_delay_alu instid0(VALU_DEP_2) | instskip(SKIP_2) | instid1(VALU_DEP_1)
	v_add3_u32 v35, v34, v35, 0x7fff
	s_wait_dscnt 0x0
	v_lshlrev_b32_e32 v33, 16, v33
	v_dual_max_num_f32 v36, v33, v33 :: v_dual_and_b32 v35, 0xffff0000, v35
	s_wait_alu 0xf1ff
	s_delay_alu instid0(VALU_DEP_1) | instskip(NEXT) | instid1(VALU_DEP_1)
	v_cndmask_b32_e64 v34, 0x7fc00000, v35, s1
	v_max_num_f32_e32 v35, v34, v34
	v_cmp_u_f32_e64 s1, v34, v34
	s_delay_alu instid0(VALU_DEP_2) | instskip(SKIP_2) | instid1(VALU_DEP_2)
	v_min_num_f32_e32 v37, v35, v36
	v_max_num_f32_e32 v35, v35, v36
	s_wait_alu 0xf1ff
	v_cndmask_b32_e64 v36, v37, v34, s1
	s_delay_alu instid0(VALU_DEP_2) | instskip(SKIP_2) | instid1(VALU_DEP_1)
	v_cndmask_b32_e64 v37, v35, v34, s1
	v_cmp_u_f32_e64 s1, v33, v33
	s_wait_alu 0xf1ff
	v_cndmask_b32_e64 v35, v36, v33, s1
	s_delay_alu instid0(VALU_DEP_3) | instskip(NEXT) | instid1(VALU_DEP_2)
	v_cndmask_b32_e64 v33, v37, v33, s1
	v_cmp_class_f32_e64 s28, v35, 0x1f8
	s_delay_alu instid0(VALU_DEP_2)
	v_cmp_neq_f32_e64 s1, v35, v33
	s_or_b32 s1, s1, s28
	s_wait_alu 0xfffe
	s_and_saveexec_b32 s28, s1
	s_cbranch_execz .LBB479_53
; %bb.52:
	v_sub_f32_e32 v34, v35, v33
	s_delay_alu instid0(VALU_DEP_1) | instskip(SKIP_1) | instid1(VALU_DEP_2)
	v_mul_f32_e32 v35, 0x3fb8aa3b, v34
	v_cmp_ngt_f32_e64 s1, 0xc2ce8ed0, v34
	v_fma_f32 v36, 0x3fb8aa3b, v34, -v35
	v_rndne_f32_e32 v37, v35
	s_delay_alu instid0(VALU_DEP_1) | instskip(NEXT) | instid1(VALU_DEP_1)
	v_dual_fmamk_f32 v36, v34, 0x32a5705f, v36 :: v_dual_sub_f32 v35, v35, v37
	v_add_f32_e32 v35, v35, v36
	v_cvt_i32_f32_e32 v36, v37
	s_delay_alu instid0(VALU_DEP_2) | instskip(NEXT) | instid1(TRANS32_DEP_1)
	v_exp_f32_e32 v35, v35
	v_ldexp_f32 v35, v35, v36
	s_wait_alu 0xf1ff
	s_delay_alu instid0(VALU_DEP_1) | instskip(SKIP_2) | instid1(VALU_DEP_1)
	v_cndmask_b32_e64 v35, 0, v35, s1
	v_cmp_nlt_f32_e64 s1, 0x42b17218, v34
	s_wait_alu 0xf1ff
	v_cndmask_b32_e64 v36, 0x7f800000, v35, s1
	s_delay_alu instid0(VALU_DEP_1) | instskip(NEXT) | instid1(VALU_DEP_1)
	v_add_f32_e32 v37, 1.0, v36
	v_cvt_f64_f32_e32 v[34:35], v37
	s_delay_alu instid0(VALU_DEP_1) | instskip(SKIP_1) | instid1(VALU_DEP_1)
	v_frexp_exp_i32_f64_e32 v34, v[34:35]
	v_frexp_mant_f32_e32 v35, v37
	v_cmp_gt_f32_e64 s1, 0x3f2aaaab, v35
	v_add_f32_e32 v35, -1.0, v37
	s_delay_alu instid0(VALU_DEP_1)
	v_sub_f32_e32 v39, v35, v37
	v_sub_f32_e32 v35, v36, v35
	s_wait_alu 0xf1ff
	v_subrev_co_ci_u32_e64 v34, null, 0, v34, s1
	s_mov_b32 s1, 0x3e9b6dac
	v_sub_nc_u32_e32 v38, 0, v34
	v_cvt_f32_i32_e32 v34, v34
	s_delay_alu instid0(VALU_DEP_2) | instskip(NEXT) | instid1(VALU_DEP_1)
	v_ldexp_f32 v37, v37, v38
	v_dual_add_f32 v40, 1.0, v37 :: v_dual_add_f32 v39, 1.0, v39
	s_delay_alu instid0(VALU_DEP_1) | instskip(NEXT) | instid1(VALU_DEP_2)
	v_add_f32_e32 v35, v35, v39
	v_add_f32_e32 v39, -1.0, v40
	s_delay_alu instid0(VALU_DEP_2) | instskip(NEXT) | instid1(VALU_DEP_2)
	v_ldexp_f32 v35, v35, v38
	v_dual_add_f32 v38, -1.0, v37 :: v_dual_sub_f32 v39, v37, v39
	s_delay_alu instid0(VALU_DEP_1) | instskip(NEXT) | instid1(VALU_DEP_2)
	v_add_f32_e32 v41, 1.0, v38
	v_add_f32_e32 v39, v35, v39
	s_delay_alu instid0(VALU_DEP_2) | instskip(NEXT) | instid1(VALU_DEP_2)
	v_sub_f32_e32 v37, v37, v41
	v_add_f32_e32 v41, v40, v39
	s_delay_alu instid0(VALU_DEP_2) | instskip(NEXT) | instid1(VALU_DEP_2)
	v_add_f32_e32 v35, v35, v37
	v_rcp_f32_e32 v37, v41
	v_sub_f32_e32 v40, v40, v41
	s_delay_alu instid0(VALU_DEP_1) | instskip(NEXT) | instid1(VALU_DEP_1)
	v_dual_add_f32 v42, v38, v35 :: v_dual_add_f32 v39, v39, v40
	v_sub_f32_e32 v38, v38, v42
	s_delay_alu instid0(TRANS32_DEP_1) | instskip(NEXT) | instid1(VALU_DEP_1)
	v_mul_f32_e32 v43, v42, v37
	v_dual_add_f32 v35, v35, v38 :: v_dual_mul_f32 v44, v41, v43
	s_delay_alu instid0(VALU_DEP_1) | instskip(NEXT) | instid1(VALU_DEP_1)
	v_fma_f32 v40, v43, v41, -v44
	v_fmac_f32_e32 v40, v43, v39
	s_delay_alu instid0(VALU_DEP_1) | instskip(NEXT) | instid1(VALU_DEP_1)
	v_add_f32_e32 v45, v44, v40
	v_sub_f32_e32 v46, v42, v45
	v_sub_f32_e32 v38, v45, v44
	s_delay_alu instid0(VALU_DEP_2) | instskip(NEXT) | instid1(VALU_DEP_2)
	v_sub_f32_e32 v42, v42, v46
	v_sub_f32_e32 v38, v38, v40
	s_delay_alu instid0(VALU_DEP_2) | instskip(NEXT) | instid1(VALU_DEP_1)
	v_sub_f32_e32 v42, v42, v45
	v_add_f32_e32 v35, v35, v42
	s_delay_alu instid0(VALU_DEP_1) | instskip(NEXT) | instid1(VALU_DEP_1)
	v_add_f32_e32 v35, v38, v35
	v_add_f32_e32 v38, v46, v35
	s_delay_alu instid0(VALU_DEP_1) | instskip(NEXT) | instid1(VALU_DEP_1)
	v_mul_f32_e32 v40, v37, v38
	v_dual_sub_f32 v45, v46, v38 :: v_dual_mul_f32 v42, v41, v40
	s_delay_alu instid0(VALU_DEP_1) | instskip(NEXT) | instid1(VALU_DEP_2)
	v_add_f32_e32 v35, v35, v45
	v_fma_f32 v41, v40, v41, -v42
	s_delay_alu instid0(VALU_DEP_1) | instskip(NEXT) | instid1(VALU_DEP_1)
	v_fmac_f32_e32 v41, v40, v39
	v_add_f32_e32 v39, v42, v41
	s_delay_alu instid0(VALU_DEP_1) | instskip(SKIP_1) | instid1(VALU_DEP_2)
	v_sub_f32_e32 v44, v38, v39
	v_sub_f32_e32 v42, v39, v42
	;; [unrolled: 1-line block ×3, first 2 shown]
	s_delay_alu instid0(VALU_DEP_1) | instskip(NEXT) | instid1(VALU_DEP_3)
	v_sub_f32_e32 v38, v38, v39
	v_sub_f32_e32 v39, v42, v41
	s_delay_alu instid0(VALU_DEP_2) | instskip(SKIP_1) | instid1(VALU_DEP_2)
	v_add_f32_e32 v35, v35, v38
	v_add_f32_e32 v38, v43, v40
	;; [unrolled: 1-line block ×3, first 2 shown]
	s_delay_alu instid0(VALU_DEP_2) | instskip(NEXT) | instid1(VALU_DEP_2)
	v_sub_f32_e32 v39, v38, v43
	v_add_f32_e32 v35, v44, v35
	s_delay_alu instid0(VALU_DEP_2) | instskip(NEXT) | instid1(VALU_DEP_2)
	v_sub_f32_e32 v39, v40, v39
	v_mul_f32_e32 v35, v37, v35
	s_delay_alu instid0(VALU_DEP_1) | instskip(NEXT) | instid1(VALU_DEP_1)
	v_add_f32_e32 v35, v39, v35
	v_add_f32_e32 v37, v38, v35
	s_delay_alu instid0(VALU_DEP_1) | instskip(SKIP_1) | instid1(VALU_DEP_1)
	v_mul_f32_e32 v39, v37, v37
	s_wait_alu 0xfffe
	v_fmaak_f32 v40, s1, v39, 0x3ecc95a3
	v_mul_f32_e32 v41, v37, v39
	v_cmp_neq_f32_e64 s1, 0x7f800000, v36
	s_delay_alu instid0(VALU_DEP_3) | instskip(SKIP_2) | instid1(VALU_DEP_3)
	v_fmaak_f32 v39, v39, v40, 0x3f2aaada
	v_ldexp_f32 v40, v37, 1
	v_sub_f32_e32 v37, v37, v38
	v_mul_f32_e32 v39, v41, v39
	v_mul_f32_e32 v41, 0x3f317218, v34
	s_delay_alu instid0(VALU_DEP_2) | instskip(NEXT) | instid1(VALU_DEP_1)
	v_dual_sub_f32 v35, v35, v37 :: v_dual_add_f32 v38, v40, v39
	v_ldexp_f32 v35, v35, 1
	s_delay_alu instid0(VALU_DEP_2) | instskip(NEXT) | instid1(VALU_DEP_4)
	v_sub_f32_e32 v37, v38, v40
	v_fma_f32 v40, 0x3f317218, v34, -v41
	s_delay_alu instid0(VALU_DEP_1) | instskip(NEXT) | instid1(VALU_DEP_1)
	v_dual_sub_f32 v37, v39, v37 :: v_dual_fmamk_f32 v34, v34, 0xb102e308, v40
	v_add_f32_e32 v35, v35, v37
	s_delay_alu instid0(VALU_DEP_2) | instskip(NEXT) | instid1(VALU_DEP_2)
	v_add_f32_e32 v37, v41, v34
	v_add_f32_e32 v39, v38, v35
	s_delay_alu instid0(VALU_DEP_2) | instskip(NEXT) | instid1(VALU_DEP_2)
	v_sub_f32_e32 v41, v37, v41
	v_add_f32_e32 v40, v37, v39
	v_sub_f32_e32 v38, v39, v38
	s_delay_alu instid0(VALU_DEP_3) | instskip(NEXT) | instid1(VALU_DEP_2)
	v_sub_f32_e32 v34, v34, v41
	v_dual_sub_f32 v42, v40, v37 :: v_dual_sub_f32 v35, v35, v38
	s_delay_alu instid0(VALU_DEP_1) | instskip(NEXT) | instid1(VALU_DEP_2)
	v_sub_f32_e32 v43, v40, v42
	v_dual_sub_f32 v38, v39, v42 :: v_dual_add_f32 v39, v34, v35
	s_delay_alu instid0(VALU_DEP_2) | instskip(NEXT) | instid1(VALU_DEP_1)
	v_sub_f32_e32 v37, v37, v43
	v_dual_add_f32 v37, v38, v37 :: v_dual_sub_f32 v38, v39, v34
	s_delay_alu instid0(VALU_DEP_1) | instskip(NEXT) | instid1(VALU_DEP_2)
	v_add_f32_e32 v37, v39, v37
	v_sub_f32_e32 v39, v39, v38
	v_sub_f32_e32 v35, v35, v38
	s_delay_alu instid0(VALU_DEP_2) | instskip(NEXT) | instid1(VALU_DEP_1)
	v_dual_add_f32 v41, v40, v37 :: v_dual_sub_f32 v34, v34, v39
	v_sub_f32_e32 v38, v41, v40
	s_delay_alu instid0(VALU_DEP_2) | instskip(NEXT) | instid1(VALU_DEP_2)
	v_add_f32_e32 v34, v35, v34
	v_sub_f32_e32 v35, v37, v38
	s_delay_alu instid0(VALU_DEP_1) | instskip(NEXT) | instid1(VALU_DEP_1)
	v_add_f32_e32 v34, v34, v35
	v_add_f32_e32 v34, v41, v34
	s_wait_alu 0xf1ff
	s_delay_alu instid0(VALU_DEP_1) | instskip(SKIP_2) | instid1(VALU_DEP_1)
	v_cndmask_b32_e64 v34, 0x7f800000, v34, s1
	v_cmp_gt_f32_e64 s1, 0x33800000, |v36|
	s_wait_alu 0xf1ff
	v_cndmask_b32_e64 v34, v34, v36, s1
	s_delay_alu instid0(VALU_DEP_1)
	v_add_f32_e32 v34, v33, v34
.LBB479_53:
	s_or_b32 exec_lo, exec_lo, s28
	ds_load_u16 v33, v29 offset:8
	v_bfe_u32 v35, v34, 16, 1
	v_cmp_o_f32_e64 s1, v34, v34
	s_delay_alu instid0(VALU_DEP_2) | instskip(SKIP_2) | instid1(VALU_DEP_1)
	v_add3_u32 v35, v34, v35, 0x7fff
	s_wait_dscnt 0x0
	v_lshlrev_b32_e32 v33, 16, v33
	v_dual_max_num_f32 v36, v33, v33 :: v_dual_and_b32 v35, 0xffff0000, v35
	s_wait_alu 0xf1ff
	s_delay_alu instid0(VALU_DEP_1) | instskip(NEXT) | instid1(VALU_DEP_1)
	v_cndmask_b32_e64 v34, 0x7fc00000, v35, s1
	v_max_num_f32_e32 v35, v34, v34
	v_cmp_u_f32_e64 s1, v34, v34
	s_delay_alu instid0(VALU_DEP_2) | instskip(SKIP_2) | instid1(VALU_DEP_2)
	v_min_num_f32_e32 v37, v35, v36
	v_max_num_f32_e32 v35, v35, v36
	s_wait_alu 0xf1ff
	v_cndmask_b32_e64 v36, v37, v34, s1
	s_delay_alu instid0(VALU_DEP_2) | instskip(SKIP_2) | instid1(VALU_DEP_1)
	v_cndmask_b32_e64 v37, v35, v34, s1
	v_cmp_u_f32_e64 s1, v33, v33
	s_wait_alu 0xf1ff
	v_cndmask_b32_e64 v35, v36, v33, s1
	s_delay_alu instid0(VALU_DEP_3) | instskip(NEXT) | instid1(VALU_DEP_2)
	v_cndmask_b32_e64 v33, v37, v33, s1
	v_cmp_class_f32_e64 s28, v35, 0x1f8
	s_delay_alu instid0(VALU_DEP_2)
	v_cmp_neq_f32_e64 s1, v35, v33
	s_or_b32 s1, s1, s28
	s_wait_alu 0xfffe
	s_and_saveexec_b32 s28, s1
	s_cbranch_execz .LBB479_55
; %bb.54:
	v_sub_f32_e32 v34, v35, v33
	s_delay_alu instid0(VALU_DEP_1) | instskip(SKIP_1) | instid1(VALU_DEP_2)
	v_mul_f32_e32 v35, 0x3fb8aa3b, v34
	v_cmp_ngt_f32_e64 s1, 0xc2ce8ed0, v34
	v_fma_f32 v36, 0x3fb8aa3b, v34, -v35
	v_rndne_f32_e32 v37, v35
	s_delay_alu instid0(VALU_DEP_1) | instskip(NEXT) | instid1(VALU_DEP_1)
	v_dual_fmamk_f32 v36, v34, 0x32a5705f, v36 :: v_dual_sub_f32 v35, v35, v37
	v_add_f32_e32 v35, v35, v36
	v_cvt_i32_f32_e32 v36, v37
	s_delay_alu instid0(VALU_DEP_2) | instskip(NEXT) | instid1(TRANS32_DEP_1)
	v_exp_f32_e32 v35, v35
	v_ldexp_f32 v35, v35, v36
	s_wait_alu 0xf1ff
	s_delay_alu instid0(VALU_DEP_1) | instskip(SKIP_2) | instid1(VALU_DEP_1)
	v_cndmask_b32_e64 v35, 0, v35, s1
	v_cmp_nlt_f32_e64 s1, 0x42b17218, v34
	s_wait_alu 0xf1ff
	v_cndmask_b32_e64 v36, 0x7f800000, v35, s1
	s_delay_alu instid0(VALU_DEP_1) | instskip(NEXT) | instid1(VALU_DEP_1)
	v_add_f32_e32 v37, 1.0, v36
	v_cvt_f64_f32_e32 v[34:35], v37
	s_delay_alu instid0(VALU_DEP_1) | instskip(SKIP_1) | instid1(VALU_DEP_1)
	v_frexp_exp_i32_f64_e32 v34, v[34:35]
	v_frexp_mant_f32_e32 v35, v37
	v_cmp_gt_f32_e64 s1, 0x3f2aaaab, v35
	v_add_f32_e32 v35, -1.0, v37
	s_delay_alu instid0(VALU_DEP_1)
	v_sub_f32_e32 v39, v35, v37
	v_sub_f32_e32 v35, v36, v35
	s_wait_alu 0xf1ff
	v_subrev_co_ci_u32_e64 v34, null, 0, v34, s1
	s_mov_b32 s1, 0x3e9b6dac
	v_sub_nc_u32_e32 v38, 0, v34
	v_cvt_f32_i32_e32 v34, v34
	s_delay_alu instid0(VALU_DEP_2) | instskip(NEXT) | instid1(VALU_DEP_1)
	v_ldexp_f32 v37, v37, v38
	v_dual_add_f32 v40, 1.0, v37 :: v_dual_add_f32 v39, 1.0, v39
	s_delay_alu instid0(VALU_DEP_1) | instskip(NEXT) | instid1(VALU_DEP_2)
	v_add_f32_e32 v35, v35, v39
	v_add_f32_e32 v39, -1.0, v40
	s_delay_alu instid0(VALU_DEP_2) | instskip(NEXT) | instid1(VALU_DEP_2)
	v_ldexp_f32 v35, v35, v38
	v_dual_add_f32 v38, -1.0, v37 :: v_dual_sub_f32 v39, v37, v39
	s_delay_alu instid0(VALU_DEP_1) | instskip(NEXT) | instid1(VALU_DEP_2)
	v_add_f32_e32 v41, 1.0, v38
	v_add_f32_e32 v39, v35, v39
	s_delay_alu instid0(VALU_DEP_2) | instskip(NEXT) | instid1(VALU_DEP_2)
	v_sub_f32_e32 v37, v37, v41
	v_add_f32_e32 v41, v40, v39
	s_delay_alu instid0(VALU_DEP_2) | instskip(NEXT) | instid1(VALU_DEP_2)
	v_add_f32_e32 v35, v35, v37
	v_rcp_f32_e32 v37, v41
	v_sub_f32_e32 v40, v40, v41
	s_delay_alu instid0(VALU_DEP_1) | instskip(NEXT) | instid1(VALU_DEP_1)
	v_dual_add_f32 v42, v38, v35 :: v_dual_add_f32 v39, v39, v40
	v_sub_f32_e32 v38, v38, v42
	s_delay_alu instid0(TRANS32_DEP_1) | instskip(NEXT) | instid1(VALU_DEP_1)
	v_mul_f32_e32 v43, v42, v37
	v_dual_add_f32 v35, v35, v38 :: v_dual_mul_f32 v44, v41, v43
	s_delay_alu instid0(VALU_DEP_1) | instskip(NEXT) | instid1(VALU_DEP_1)
	v_fma_f32 v40, v43, v41, -v44
	v_fmac_f32_e32 v40, v43, v39
	s_delay_alu instid0(VALU_DEP_1) | instskip(NEXT) | instid1(VALU_DEP_1)
	v_add_f32_e32 v45, v44, v40
	v_sub_f32_e32 v46, v42, v45
	v_sub_f32_e32 v38, v45, v44
	s_delay_alu instid0(VALU_DEP_2) | instskip(NEXT) | instid1(VALU_DEP_2)
	v_sub_f32_e32 v42, v42, v46
	v_sub_f32_e32 v38, v38, v40
	s_delay_alu instid0(VALU_DEP_2) | instskip(NEXT) | instid1(VALU_DEP_1)
	v_sub_f32_e32 v42, v42, v45
	v_add_f32_e32 v35, v35, v42
	s_delay_alu instid0(VALU_DEP_1) | instskip(NEXT) | instid1(VALU_DEP_1)
	v_add_f32_e32 v35, v38, v35
	v_add_f32_e32 v38, v46, v35
	s_delay_alu instid0(VALU_DEP_1) | instskip(NEXT) | instid1(VALU_DEP_1)
	v_mul_f32_e32 v40, v37, v38
	v_dual_sub_f32 v45, v46, v38 :: v_dual_mul_f32 v42, v41, v40
	s_delay_alu instid0(VALU_DEP_1) | instskip(NEXT) | instid1(VALU_DEP_2)
	v_add_f32_e32 v35, v35, v45
	v_fma_f32 v41, v40, v41, -v42
	s_delay_alu instid0(VALU_DEP_1) | instskip(NEXT) | instid1(VALU_DEP_1)
	v_fmac_f32_e32 v41, v40, v39
	v_add_f32_e32 v39, v42, v41
	s_delay_alu instid0(VALU_DEP_1) | instskip(SKIP_1) | instid1(VALU_DEP_2)
	v_sub_f32_e32 v44, v38, v39
	v_sub_f32_e32 v42, v39, v42
	;; [unrolled: 1-line block ×3, first 2 shown]
	s_delay_alu instid0(VALU_DEP_1) | instskip(NEXT) | instid1(VALU_DEP_3)
	v_sub_f32_e32 v38, v38, v39
	v_sub_f32_e32 v39, v42, v41
	s_delay_alu instid0(VALU_DEP_2) | instskip(SKIP_1) | instid1(VALU_DEP_2)
	v_add_f32_e32 v35, v35, v38
	v_add_f32_e32 v38, v43, v40
	v_add_f32_e32 v35, v39, v35
	s_delay_alu instid0(VALU_DEP_2) | instskip(NEXT) | instid1(VALU_DEP_2)
	v_sub_f32_e32 v39, v38, v43
	v_add_f32_e32 v35, v44, v35
	s_delay_alu instid0(VALU_DEP_2) | instskip(NEXT) | instid1(VALU_DEP_2)
	v_sub_f32_e32 v39, v40, v39
	v_mul_f32_e32 v35, v37, v35
	s_delay_alu instid0(VALU_DEP_1) | instskip(NEXT) | instid1(VALU_DEP_1)
	v_add_f32_e32 v35, v39, v35
	v_add_f32_e32 v37, v38, v35
	s_delay_alu instid0(VALU_DEP_1) | instskip(SKIP_1) | instid1(VALU_DEP_1)
	v_mul_f32_e32 v39, v37, v37
	s_wait_alu 0xfffe
	v_fmaak_f32 v40, s1, v39, 0x3ecc95a3
	v_mul_f32_e32 v41, v37, v39
	v_cmp_neq_f32_e64 s1, 0x7f800000, v36
	s_delay_alu instid0(VALU_DEP_3) | instskip(SKIP_2) | instid1(VALU_DEP_3)
	v_fmaak_f32 v39, v39, v40, 0x3f2aaada
	v_ldexp_f32 v40, v37, 1
	v_sub_f32_e32 v37, v37, v38
	v_mul_f32_e32 v39, v41, v39
	v_mul_f32_e32 v41, 0x3f317218, v34
	s_delay_alu instid0(VALU_DEP_2) | instskip(NEXT) | instid1(VALU_DEP_1)
	v_dual_sub_f32 v35, v35, v37 :: v_dual_add_f32 v38, v40, v39
	v_ldexp_f32 v35, v35, 1
	s_delay_alu instid0(VALU_DEP_2) | instskip(NEXT) | instid1(VALU_DEP_4)
	v_sub_f32_e32 v37, v38, v40
	v_fma_f32 v40, 0x3f317218, v34, -v41
	s_delay_alu instid0(VALU_DEP_1) | instskip(NEXT) | instid1(VALU_DEP_1)
	v_dual_sub_f32 v37, v39, v37 :: v_dual_fmamk_f32 v34, v34, 0xb102e308, v40
	v_add_f32_e32 v35, v35, v37
	s_delay_alu instid0(VALU_DEP_2) | instskip(NEXT) | instid1(VALU_DEP_2)
	v_add_f32_e32 v37, v41, v34
	v_add_f32_e32 v39, v38, v35
	s_delay_alu instid0(VALU_DEP_2) | instskip(NEXT) | instid1(VALU_DEP_2)
	v_sub_f32_e32 v41, v37, v41
	v_add_f32_e32 v40, v37, v39
	v_sub_f32_e32 v38, v39, v38
	s_delay_alu instid0(VALU_DEP_3) | instskip(NEXT) | instid1(VALU_DEP_2)
	v_sub_f32_e32 v34, v34, v41
	v_dual_sub_f32 v42, v40, v37 :: v_dual_sub_f32 v35, v35, v38
	s_delay_alu instid0(VALU_DEP_1) | instskip(NEXT) | instid1(VALU_DEP_2)
	v_sub_f32_e32 v43, v40, v42
	v_dual_sub_f32 v38, v39, v42 :: v_dual_add_f32 v39, v34, v35
	s_delay_alu instid0(VALU_DEP_2) | instskip(NEXT) | instid1(VALU_DEP_1)
	v_sub_f32_e32 v37, v37, v43
	v_dual_add_f32 v37, v38, v37 :: v_dual_sub_f32 v38, v39, v34
	s_delay_alu instid0(VALU_DEP_1) | instskip(NEXT) | instid1(VALU_DEP_2)
	v_add_f32_e32 v37, v39, v37
	v_sub_f32_e32 v39, v39, v38
	v_sub_f32_e32 v35, v35, v38
	s_delay_alu instid0(VALU_DEP_2) | instskip(NEXT) | instid1(VALU_DEP_1)
	v_dual_add_f32 v41, v40, v37 :: v_dual_sub_f32 v34, v34, v39
	v_sub_f32_e32 v38, v41, v40
	s_delay_alu instid0(VALU_DEP_2) | instskip(NEXT) | instid1(VALU_DEP_2)
	v_add_f32_e32 v34, v35, v34
	v_sub_f32_e32 v35, v37, v38
	s_delay_alu instid0(VALU_DEP_1) | instskip(NEXT) | instid1(VALU_DEP_1)
	v_add_f32_e32 v34, v34, v35
	v_add_f32_e32 v34, v41, v34
	s_wait_alu 0xf1ff
	s_delay_alu instid0(VALU_DEP_1) | instskip(SKIP_2) | instid1(VALU_DEP_1)
	v_cndmask_b32_e64 v34, 0x7f800000, v34, s1
	v_cmp_gt_f32_e64 s1, 0x33800000, |v36|
	s_wait_alu 0xf1ff
	v_cndmask_b32_e64 v34, v34, v36, s1
	s_delay_alu instid0(VALU_DEP_1)
	v_add_f32_e32 v34, v33, v34
.LBB479_55:
	s_or_b32 exec_lo, exec_lo, s28
	ds_load_u16 v33, v29 offset:10
	v_bfe_u32 v35, v34, 16, 1
	v_cmp_o_f32_e64 s1, v34, v34
	s_delay_alu instid0(VALU_DEP_2) | instskip(SKIP_2) | instid1(VALU_DEP_1)
	v_add3_u32 v35, v34, v35, 0x7fff
	s_wait_dscnt 0x0
	v_lshlrev_b32_e32 v33, 16, v33
	v_dual_max_num_f32 v36, v33, v33 :: v_dual_and_b32 v35, 0xffff0000, v35
	s_wait_alu 0xf1ff
	s_delay_alu instid0(VALU_DEP_1) | instskip(NEXT) | instid1(VALU_DEP_1)
	v_cndmask_b32_e64 v34, 0x7fc00000, v35, s1
	v_max_num_f32_e32 v35, v34, v34
	v_cmp_u_f32_e64 s1, v34, v34
	s_delay_alu instid0(VALU_DEP_2) | instskip(SKIP_2) | instid1(VALU_DEP_2)
	v_min_num_f32_e32 v37, v35, v36
	v_max_num_f32_e32 v35, v35, v36
	s_wait_alu 0xf1ff
	v_cndmask_b32_e64 v36, v37, v34, s1
	s_delay_alu instid0(VALU_DEP_2) | instskip(SKIP_2) | instid1(VALU_DEP_1)
	v_cndmask_b32_e64 v37, v35, v34, s1
	v_cmp_u_f32_e64 s1, v33, v33
	s_wait_alu 0xf1ff
	v_cndmask_b32_e64 v35, v36, v33, s1
	s_delay_alu instid0(VALU_DEP_3) | instskip(NEXT) | instid1(VALU_DEP_2)
	v_cndmask_b32_e64 v33, v37, v33, s1
	v_cmp_class_f32_e64 s28, v35, 0x1f8
	s_delay_alu instid0(VALU_DEP_2)
	v_cmp_neq_f32_e64 s1, v35, v33
	s_or_b32 s1, s1, s28
	s_wait_alu 0xfffe
	s_and_saveexec_b32 s28, s1
	s_cbranch_execz .LBB479_57
; %bb.56:
	v_sub_f32_e32 v34, v35, v33
	s_delay_alu instid0(VALU_DEP_1) | instskip(SKIP_1) | instid1(VALU_DEP_2)
	v_mul_f32_e32 v35, 0x3fb8aa3b, v34
	v_cmp_ngt_f32_e64 s1, 0xc2ce8ed0, v34
	v_fma_f32 v36, 0x3fb8aa3b, v34, -v35
	v_rndne_f32_e32 v37, v35
	s_delay_alu instid0(VALU_DEP_1) | instskip(NEXT) | instid1(VALU_DEP_1)
	v_dual_fmamk_f32 v36, v34, 0x32a5705f, v36 :: v_dual_sub_f32 v35, v35, v37
	v_add_f32_e32 v35, v35, v36
	v_cvt_i32_f32_e32 v36, v37
	s_delay_alu instid0(VALU_DEP_2) | instskip(NEXT) | instid1(TRANS32_DEP_1)
	v_exp_f32_e32 v35, v35
	v_ldexp_f32 v35, v35, v36
	s_wait_alu 0xf1ff
	s_delay_alu instid0(VALU_DEP_1) | instskip(SKIP_2) | instid1(VALU_DEP_1)
	v_cndmask_b32_e64 v35, 0, v35, s1
	v_cmp_nlt_f32_e64 s1, 0x42b17218, v34
	s_wait_alu 0xf1ff
	v_cndmask_b32_e64 v36, 0x7f800000, v35, s1
	s_delay_alu instid0(VALU_DEP_1) | instskip(NEXT) | instid1(VALU_DEP_1)
	v_add_f32_e32 v37, 1.0, v36
	v_cvt_f64_f32_e32 v[34:35], v37
	s_delay_alu instid0(VALU_DEP_1) | instskip(SKIP_1) | instid1(VALU_DEP_1)
	v_frexp_exp_i32_f64_e32 v34, v[34:35]
	v_frexp_mant_f32_e32 v35, v37
	v_cmp_gt_f32_e64 s1, 0x3f2aaaab, v35
	v_add_f32_e32 v35, -1.0, v37
	s_delay_alu instid0(VALU_DEP_1)
	v_sub_f32_e32 v39, v35, v37
	v_sub_f32_e32 v35, v36, v35
	s_wait_alu 0xf1ff
	v_subrev_co_ci_u32_e64 v34, null, 0, v34, s1
	s_mov_b32 s1, 0x3e9b6dac
	v_sub_nc_u32_e32 v38, 0, v34
	v_cvt_f32_i32_e32 v34, v34
	s_delay_alu instid0(VALU_DEP_2) | instskip(NEXT) | instid1(VALU_DEP_1)
	v_ldexp_f32 v37, v37, v38
	v_dual_add_f32 v40, 1.0, v37 :: v_dual_add_f32 v39, 1.0, v39
	s_delay_alu instid0(VALU_DEP_1) | instskip(NEXT) | instid1(VALU_DEP_2)
	v_add_f32_e32 v35, v35, v39
	v_add_f32_e32 v39, -1.0, v40
	s_delay_alu instid0(VALU_DEP_2) | instskip(NEXT) | instid1(VALU_DEP_2)
	v_ldexp_f32 v35, v35, v38
	v_dual_add_f32 v38, -1.0, v37 :: v_dual_sub_f32 v39, v37, v39
	s_delay_alu instid0(VALU_DEP_1) | instskip(NEXT) | instid1(VALU_DEP_2)
	v_add_f32_e32 v41, 1.0, v38
	v_add_f32_e32 v39, v35, v39
	s_delay_alu instid0(VALU_DEP_2) | instskip(NEXT) | instid1(VALU_DEP_2)
	v_sub_f32_e32 v37, v37, v41
	v_add_f32_e32 v41, v40, v39
	s_delay_alu instid0(VALU_DEP_2) | instskip(NEXT) | instid1(VALU_DEP_2)
	v_add_f32_e32 v35, v35, v37
	v_rcp_f32_e32 v37, v41
	v_sub_f32_e32 v40, v40, v41
	s_delay_alu instid0(VALU_DEP_1) | instskip(NEXT) | instid1(VALU_DEP_1)
	v_dual_add_f32 v42, v38, v35 :: v_dual_add_f32 v39, v39, v40
	v_sub_f32_e32 v38, v38, v42
	s_delay_alu instid0(TRANS32_DEP_1) | instskip(NEXT) | instid1(VALU_DEP_1)
	v_mul_f32_e32 v43, v42, v37
	v_dual_add_f32 v35, v35, v38 :: v_dual_mul_f32 v44, v41, v43
	s_delay_alu instid0(VALU_DEP_1) | instskip(NEXT) | instid1(VALU_DEP_1)
	v_fma_f32 v40, v43, v41, -v44
	v_fmac_f32_e32 v40, v43, v39
	s_delay_alu instid0(VALU_DEP_1) | instskip(NEXT) | instid1(VALU_DEP_1)
	v_add_f32_e32 v45, v44, v40
	v_sub_f32_e32 v46, v42, v45
	v_sub_f32_e32 v38, v45, v44
	s_delay_alu instid0(VALU_DEP_2) | instskip(NEXT) | instid1(VALU_DEP_2)
	v_sub_f32_e32 v42, v42, v46
	v_sub_f32_e32 v38, v38, v40
	s_delay_alu instid0(VALU_DEP_2) | instskip(NEXT) | instid1(VALU_DEP_1)
	v_sub_f32_e32 v42, v42, v45
	v_add_f32_e32 v35, v35, v42
	s_delay_alu instid0(VALU_DEP_1) | instskip(NEXT) | instid1(VALU_DEP_1)
	v_add_f32_e32 v35, v38, v35
	v_add_f32_e32 v38, v46, v35
	s_delay_alu instid0(VALU_DEP_1) | instskip(NEXT) | instid1(VALU_DEP_1)
	v_mul_f32_e32 v40, v37, v38
	v_dual_sub_f32 v45, v46, v38 :: v_dual_mul_f32 v42, v41, v40
	s_delay_alu instid0(VALU_DEP_1) | instskip(NEXT) | instid1(VALU_DEP_2)
	v_add_f32_e32 v35, v35, v45
	v_fma_f32 v41, v40, v41, -v42
	s_delay_alu instid0(VALU_DEP_1) | instskip(NEXT) | instid1(VALU_DEP_1)
	v_fmac_f32_e32 v41, v40, v39
	v_add_f32_e32 v39, v42, v41
	s_delay_alu instid0(VALU_DEP_1) | instskip(SKIP_1) | instid1(VALU_DEP_2)
	v_sub_f32_e32 v44, v38, v39
	v_sub_f32_e32 v42, v39, v42
	;; [unrolled: 1-line block ×3, first 2 shown]
	s_delay_alu instid0(VALU_DEP_1) | instskip(NEXT) | instid1(VALU_DEP_3)
	v_sub_f32_e32 v38, v38, v39
	v_sub_f32_e32 v39, v42, v41
	s_delay_alu instid0(VALU_DEP_2) | instskip(SKIP_1) | instid1(VALU_DEP_2)
	v_add_f32_e32 v35, v35, v38
	v_add_f32_e32 v38, v43, v40
	;; [unrolled: 1-line block ×3, first 2 shown]
	s_delay_alu instid0(VALU_DEP_2) | instskip(NEXT) | instid1(VALU_DEP_2)
	v_sub_f32_e32 v39, v38, v43
	v_add_f32_e32 v35, v44, v35
	s_delay_alu instid0(VALU_DEP_2) | instskip(NEXT) | instid1(VALU_DEP_2)
	v_sub_f32_e32 v39, v40, v39
	v_mul_f32_e32 v35, v37, v35
	s_delay_alu instid0(VALU_DEP_1) | instskip(NEXT) | instid1(VALU_DEP_1)
	v_add_f32_e32 v35, v39, v35
	v_add_f32_e32 v37, v38, v35
	s_delay_alu instid0(VALU_DEP_1) | instskip(SKIP_1) | instid1(VALU_DEP_1)
	v_mul_f32_e32 v39, v37, v37
	s_wait_alu 0xfffe
	v_fmaak_f32 v40, s1, v39, 0x3ecc95a3
	v_mul_f32_e32 v41, v37, v39
	v_cmp_neq_f32_e64 s1, 0x7f800000, v36
	s_delay_alu instid0(VALU_DEP_3) | instskip(SKIP_2) | instid1(VALU_DEP_3)
	v_fmaak_f32 v39, v39, v40, 0x3f2aaada
	v_ldexp_f32 v40, v37, 1
	v_sub_f32_e32 v37, v37, v38
	v_mul_f32_e32 v39, v41, v39
	v_mul_f32_e32 v41, 0x3f317218, v34
	s_delay_alu instid0(VALU_DEP_2) | instskip(NEXT) | instid1(VALU_DEP_1)
	v_dual_sub_f32 v35, v35, v37 :: v_dual_add_f32 v38, v40, v39
	v_ldexp_f32 v35, v35, 1
	s_delay_alu instid0(VALU_DEP_2) | instskip(NEXT) | instid1(VALU_DEP_4)
	v_sub_f32_e32 v37, v38, v40
	v_fma_f32 v40, 0x3f317218, v34, -v41
	s_delay_alu instid0(VALU_DEP_1) | instskip(NEXT) | instid1(VALU_DEP_1)
	v_dual_sub_f32 v37, v39, v37 :: v_dual_fmamk_f32 v34, v34, 0xb102e308, v40
	v_add_f32_e32 v35, v35, v37
	s_delay_alu instid0(VALU_DEP_2) | instskip(NEXT) | instid1(VALU_DEP_2)
	v_add_f32_e32 v37, v41, v34
	v_add_f32_e32 v39, v38, v35
	s_delay_alu instid0(VALU_DEP_2) | instskip(NEXT) | instid1(VALU_DEP_2)
	v_sub_f32_e32 v41, v37, v41
	v_add_f32_e32 v40, v37, v39
	v_sub_f32_e32 v38, v39, v38
	s_delay_alu instid0(VALU_DEP_3) | instskip(NEXT) | instid1(VALU_DEP_2)
	v_sub_f32_e32 v34, v34, v41
	v_dual_sub_f32 v42, v40, v37 :: v_dual_sub_f32 v35, v35, v38
	s_delay_alu instid0(VALU_DEP_1) | instskip(NEXT) | instid1(VALU_DEP_2)
	v_sub_f32_e32 v43, v40, v42
	v_dual_sub_f32 v38, v39, v42 :: v_dual_add_f32 v39, v34, v35
	s_delay_alu instid0(VALU_DEP_2) | instskip(NEXT) | instid1(VALU_DEP_1)
	v_sub_f32_e32 v37, v37, v43
	v_dual_add_f32 v37, v38, v37 :: v_dual_sub_f32 v38, v39, v34
	s_delay_alu instid0(VALU_DEP_1) | instskip(NEXT) | instid1(VALU_DEP_2)
	v_add_f32_e32 v37, v39, v37
	v_sub_f32_e32 v39, v39, v38
	v_sub_f32_e32 v35, v35, v38
	s_delay_alu instid0(VALU_DEP_2) | instskip(NEXT) | instid1(VALU_DEP_1)
	v_dual_add_f32 v41, v40, v37 :: v_dual_sub_f32 v34, v34, v39
	v_sub_f32_e32 v38, v41, v40
	s_delay_alu instid0(VALU_DEP_2) | instskip(NEXT) | instid1(VALU_DEP_2)
	v_add_f32_e32 v34, v35, v34
	v_sub_f32_e32 v35, v37, v38
	s_delay_alu instid0(VALU_DEP_1) | instskip(NEXT) | instid1(VALU_DEP_1)
	v_add_f32_e32 v34, v34, v35
	v_add_f32_e32 v34, v41, v34
	s_wait_alu 0xf1ff
	s_delay_alu instid0(VALU_DEP_1) | instskip(SKIP_2) | instid1(VALU_DEP_1)
	v_cndmask_b32_e64 v34, 0x7f800000, v34, s1
	v_cmp_gt_f32_e64 s1, 0x33800000, |v36|
	s_wait_alu 0xf1ff
	v_cndmask_b32_e64 v34, v34, v36, s1
	s_delay_alu instid0(VALU_DEP_1)
	v_add_f32_e32 v34, v33, v34
.LBB479_57:
	s_or_b32 exec_lo, exec_lo, s28
	ds_load_u16 v33, v29 offset:12
	v_bfe_u32 v35, v34, 16, 1
	v_cmp_o_f32_e64 s1, v34, v34
	s_delay_alu instid0(VALU_DEP_2) | instskip(SKIP_2) | instid1(VALU_DEP_1)
	v_add3_u32 v35, v34, v35, 0x7fff
	s_wait_dscnt 0x0
	v_lshlrev_b32_e32 v33, 16, v33
	v_dual_max_num_f32 v36, v33, v33 :: v_dual_and_b32 v35, 0xffff0000, v35
	s_wait_alu 0xf1ff
	s_delay_alu instid0(VALU_DEP_1) | instskip(NEXT) | instid1(VALU_DEP_1)
	v_cndmask_b32_e64 v34, 0x7fc00000, v35, s1
	v_max_num_f32_e32 v35, v34, v34
	v_cmp_u_f32_e64 s1, v34, v34
	s_delay_alu instid0(VALU_DEP_2) | instskip(SKIP_2) | instid1(VALU_DEP_2)
	v_min_num_f32_e32 v37, v35, v36
	v_max_num_f32_e32 v35, v35, v36
	s_wait_alu 0xf1ff
	v_cndmask_b32_e64 v36, v37, v34, s1
	s_delay_alu instid0(VALU_DEP_2) | instskip(SKIP_2) | instid1(VALU_DEP_1)
	v_cndmask_b32_e64 v37, v35, v34, s1
	v_cmp_u_f32_e64 s1, v33, v33
	s_wait_alu 0xf1ff
	v_cndmask_b32_e64 v35, v36, v33, s1
	s_delay_alu instid0(VALU_DEP_3) | instskip(NEXT) | instid1(VALU_DEP_2)
	v_cndmask_b32_e64 v33, v37, v33, s1
	v_cmp_class_f32_e64 s28, v35, 0x1f8
	s_delay_alu instid0(VALU_DEP_2)
	v_cmp_neq_f32_e64 s1, v35, v33
	s_or_b32 s1, s1, s28
	s_wait_alu 0xfffe
	s_and_saveexec_b32 s28, s1
	s_cbranch_execz .LBB479_59
; %bb.58:
	v_sub_f32_e32 v34, v35, v33
	s_delay_alu instid0(VALU_DEP_1) | instskip(SKIP_1) | instid1(VALU_DEP_2)
	v_mul_f32_e32 v35, 0x3fb8aa3b, v34
	v_cmp_ngt_f32_e64 s1, 0xc2ce8ed0, v34
	v_fma_f32 v36, 0x3fb8aa3b, v34, -v35
	v_rndne_f32_e32 v37, v35
	s_delay_alu instid0(VALU_DEP_1) | instskip(NEXT) | instid1(VALU_DEP_1)
	v_dual_fmamk_f32 v36, v34, 0x32a5705f, v36 :: v_dual_sub_f32 v35, v35, v37
	v_add_f32_e32 v35, v35, v36
	v_cvt_i32_f32_e32 v36, v37
	s_delay_alu instid0(VALU_DEP_2) | instskip(NEXT) | instid1(TRANS32_DEP_1)
	v_exp_f32_e32 v35, v35
	v_ldexp_f32 v35, v35, v36
	s_wait_alu 0xf1ff
	s_delay_alu instid0(VALU_DEP_1) | instskip(SKIP_2) | instid1(VALU_DEP_1)
	v_cndmask_b32_e64 v35, 0, v35, s1
	v_cmp_nlt_f32_e64 s1, 0x42b17218, v34
	s_wait_alu 0xf1ff
	v_cndmask_b32_e64 v36, 0x7f800000, v35, s1
	s_delay_alu instid0(VALU_DEP_1) | instskip(NEXT) | instid1(VALU_DEP_1)
	v_add_f32_e32 v37, 1.0, v36
	v_cvt_f64_f32_e32 v[34:35], v37
	s_delay_alu instid0(VALU_DEP_1) | instskip(SKIP_1) | instid1(VALU_DEP_1)
	v_frexp_exp_i32_f64_e32 v34, v[34:35]
	v_frexp_mant_f32_e32 v35, v37
	v_cmp_gt_f32_e64 s1, 0x3f2aaaab, v35
	v_add_f32_e32 v35, -1.0, v37
	s_delay_alu instid0(VALU_DEP_1)
	v_sub_f32_e32 v39, v35, v37
	v_sub_f32_e32 v35, v36, v35
	s_wait_alu 0xf1ff
	v_subrev_co_ci_u32_e64 v34, null, 0, v34, s1
	s_mov_b32 s1, 0x3e9b6dac
	v_sub_nc_u32_e32 v38, 0, v34
	v_cvt_f32_i32_e32 v34, v34
	s_delay_alu instid0(VALU_DEP_2) | instskip(NEXT) | instid1(VALU_DEP_1)
	v_ldexp_f32 v37, v37, v38
	v_dual_add_f32 v40, 1.0, v37 :: v_dual_add_f32 v39, 1.0, v39
	s_delay_alu instid0(VALU_DEP_1) | instskip(NEXT) | instid1(VALU_DEP_2)
	v_add_f32_e32 v35, v35, v39
	v_add_f32_e32 v39, -1.0, v40
	s_delay_alu instid0(VALU_DEP_2) | instskip(NEXT) | instid1(VALU_DEP_2)
	v_ldexp_f32 v35, v35, v38
	v_dual_add_f32 v38, -1.0, v37 :: v_dual_sub_f32 v39, v37, v39
	s_delay_alu instid0(VALU_DEP_1) | instskip(NEXT) | instid1(VALU_DEP_2)
	v_add_f32_e32 v41, 1.0, v38
	v_add_f32_e32 v39, v35, v39
	s_delay_alu instid0(VALU_DEP_2) | instskip(NEXT) | instid1(VALU_DEP_2)
	v_sub_f32_e32 v37, v37, v41
	v_add_f32_e32 v41, v40, v39
	s_delay_alu instid0(VALU_DEP_2) | instskip(NEXT) | instid1(VALU_DEP_2)
	v_add_f32_e32 v35, v35, v37
	v_rcp_f32_e32 v37, v41
	v_sub_f32_e32 v40, v40, v41
	s_delay_alu instid0(VALU_DEP_1) | instskip(NEXT) | instid1(VALU_DEP_1)
	v_dual_add_f32 v42, v38, v35 :: v_dual_add_f32 v39, v39, v40
	v_sub_f32_e32 v38, v38, v42
	s_delay_alu instid0(TRANS32_DEP_1) | instskip(NEXT) | instid1(VALU_DEP_1)
	v_mul_f32_e32 v43, v42, v37
	v_dual_add_f32 v35, v35, v38 :: v_dual_mul_f32 v44, v41, v43
	s_delay_alu instid0(VALU_DEP_1) | instskip(NEXT) | instid1(VALU_DEP_1)
	v_fma_f32 v40, v43, v41, -v44
	v_fmac_f32_e32 v40, v43, v39
	s_delay_alu instid0(VALU_DEP_1) | instskip(NEXT) | instid1(VALU_DEP_1)
	v_add_f32_e32 v45, v44, v40
	v_sub_f32_e32 v46, v42, v45
	v_sub_f32_e32 v38, v45, v44
	s_delay_alu instid0(VALU_DEP_2) | instskip(NEXT) | instid1(VALU_DEP_2)
	v_sub_f32_e32 v42, v42, v46
	v_sub_f32_e32 v38, v38, v40
	s_delay_alu instid0(VALU_DEP_2) | instskip(NEXT) | instid1(VALU_DEP_1)
	v_sub_f32_e32 v42, v42, v45
	v_add_f32_e32 v35, v35, v42
	s_delay_alu instid0(VALU_DEP_1) | instskip(NEXT) | instid1(VALU_DEP_1)
	v_add_f32_e32 v35, v38, v35
	v_add_f32_e32 v38, v46, v35
	s_delay_alu instid0(VALU_DEP_1) | instskip(NEXT) | instid1(VALU_DEP_1)
	v_mul_f32_e32 v40, v37, v38
	v_dual_sub_f32 v45, v46, v38 :: v_dual_mul_f32 v42, v41, v40
	s_delay_alu instid0(VALU_DEP_1) | instskip(NEXT) | instid1(VALU_DEP_2)
	v_add_f32_e32 v35, v35, v45
	v_fma_f32 v41, v40, v41, -v42
	s_delay_alu instid0(VALU_DEP_1) | instskip(NEXT) | instid1(VALU_DEP_1)
	v_fmac_f32_e32 v41, v40, v39
	v_add_f32_e32 v39, v42, v41
	s_delay_alu instid0(VALU_DEP_1) | instskip(SKIP_1) | instid1(VALU_DEP_2)
	v_sub_f32_e32 v44, v38, v39
	v_sub_f32_e32 v42, v39, v42
	;; [unrolled: 1-line block ×3, first 2 shown]
	s_delay_alu instid0(VALU_DEP_1) | instskip(NEXT) | instid1(VALU_DEP_3)
	v_sub_f32_e32 v38, v38, v39
	v_sub_f32_e32 v39, v42, v41
	s_delay_alu instid0(VALU_DEP_2) | instskip(SKIP_1) | instid1(VALU_DEP_2)
	v_add_f32_e32 v35, v35, v38
	v_add_f32_e32 v38, v43, v40
	;; [unrolled: 1-line block ×3, first 2 shown]
	s_delay_alu instid0(VALU_DEP_2) | instskip(NEXT) | instid1(VALU_DEP_2)
	v_sub_f32_e32 v39, v38, v43
	v_add_f32_e32 v35, v44, v35
	s_delay_alu instid0(VALU_DEP_2) | instskip(NEXT) | instid1(VALU_DEP_2)
	v_sub_f32_e32 v39, v40, v39
	v_mul_f32_e32 v35, v37, v35
	s_delay_alu instid0(VALU_DEP_1) | instskip(NEXT) | instid1(VALU_DEP_1)
	v_add_f32_e32 v35, v39, v35
	v_add_f32_e32 v37, v38, v35
	s_delay_alu instid0(VALU_DEP_1) | instskip(SKIP_1) | instid1(VALU_DEP_1)
	v_mul_f32_e32 v39, v37, v37
	s_wait_alu 0xfffe
	v_fmaak_f32 v40, s1, v39, 0x3ecc95a3
	v_mul_f32_e32 v41, v37, v39
	v_cmp_neq_f32_e64 s1, 0x7f800000, v36
	s_delay_alu instid0(VALU_DEP_3) | instskip(SKIP_2) | instid1(VALU_DEP_3)
	v_fmaak_f32 v39, v39, v40, 0x3f2aaada
	v_ldexp_f32 v40, v37, 1
	v_sub_f32_e32 v37, v37, v38
	v_mul_f32_e32 v39, v41, v39
	v_mul_f32_e32 v41, 0x3f317218, v34
	s_delay_alu instid0(VALU_DEP_2) | instskip(NEXT) | instid1(VALU_DEP_1)
	v_dual_sub_f32 v35, v35, v37 :: v_dual_add_f32 v38, v40, v39
	v_ldexp_f32 v35, v35, 1
	s_delay_alu instid0(VALU_DEP_2) | instskip(NEXT) | instid1(VALU_DEP_4)
	v_sub_f32_e32 v37, v38, v40
	v_fma_f32 v40, 0x3f317218, v34, -v41
	s_delay_alu instid0(VALU_DEP_1) | instskip(NEXT) | instid1(VALU_DEP_1)
	v_dual_sub_f32 v37, v39, v37 :: v_dual_fmamk_f32 v34, v34, 0xb102e308, v40
	v_add_f32_e32 v35, v35, v37
	s_delay_alu instid0(VALU_DEP_2) | instskip(NEXT) | instid1(VALU_DEP_2)
	v_add_f32_e32 v37, v41, v34
	v_add_f32_e32 v39, v38, v35
	s_delay_alu instid0(VALU_DEP_2) | instskip(NEXT) | instid1(VALU_DEP_2)
	v_sub_f32_e32 v41, v37, v41
	v_add_f32_e32 v40, v37, v39
	v_sub_f32_e32 v38, v39, v38
	s_delay_alu instid0(VALU_DEP_3) | instskip(NEXT) | instid1(VALU_DEP_2)
	v_sub_f32_e32 v34, v34, v41
	v_dual_sub_f32 v42, v40, v37 :: v_dual_sub_f32 v35, v35, v38
	s_delay_alu instid0(VALU_DEP_1) | instskip(NEXT) | instid1(VALU_DEP_2)
	v_sub_f32_e32 v43, v40, v42
	v_dual_sub_f32 v38, v39, v42 :: v_dual_add_f32 v39, v34, v35
	s_delay_alu instid0(VALU_DEP_2) | instskip(NEXT) | instid1(VALU_DEP_1)
	v_sub_f32_e32 v37, v37, v43
	v_dual_add_f32 v37, v38, v37 :: v_dual_sub_f32 v38, v39, v34
	s_delay_alu instid0(VALU_DEP_1) | instskip(NEXT) | instid1(VALU_DEP_2)
	v_add_f32_e32 v37, v39, v37
	v_sub_f32_e32 v39, v39, v38
	v_sub_f32_e32 v35, v35, v38
	s_delay_alu instid0(VALU_DEP_2) | instskip(NEXT) | instid1(VALU_DEP_1)
	v_dual_add_f32 v41, v40, v37 :: v_dual_sub_f32 v34, v34, v39
	v_sub_f32_e32 v38, v41, v40
	s_delay_alu instid0(VALU_DEP_2) | instskip(NEXT) | instid1(VALU_DEP_2)
	v_add_f32_e32 v34, v35, v34
	v_sub_f32_e32 v35, v37, v38
	s_delay_alu instid0(VALU_DEP_1) | instskip(NEXT) | instid1(VALU_DEP_1)
	v_add_f32_e32 v34, v34, v35
	v_add_f32_e32 v34, v41, v34
	s_wait_alu 0xf1ff
	s_delay_alu instid0(VALU_DEP_1) | instskip(SKIP_2) | instid1(VALU_DEP_1)
	v_cndmask_b32_e64 v34, 0x7f800000, v34, s1
	v_cmp_gt_f32_e64 s1, 0x33800000, |v36|
	s_wait_alu 0xf1ff
	v_cndmask_b32_e64 v34, v34, v36, s1
	s_delay_alu instid0(VALU_DEP_1)
	v_add_f32_e32 v34, v33, v34
.LBB479_59:
	s_or_b32 exec_lo, exec_lo, s28
	ds_load_u16 v33, v29 offset:14
	v_bfe_u32 v35, v34, 16, 1
	v_cmp_o_f32_e64 s1, v34, v34
	s_delay_alu instid0(VALU_DEP_2) | instskip(SKIP_2) | instid1(VALU_DEP_1)
	v_add3_u32 v35, v34, v35, 0x7fff
	s_wait_dscnt 0x0
	v_lshlrev_b32_e32 v33, 16, v33
	v_dual_max_num_f32 v36, v33, v33 :: v_dual_and_b32 v35, 0xffff0000, v35
	s_wait_alu 0xf1ff
	s_delay_alu instid0(VALU_DEP_1) | instskip(NEXT) | instid1(VALU_DEP_1)
	v_cndmask_b32_e64 v34, 0x7fc00000, v35, s1
	v_max_num_f32_e32 v35, v34, v34
	v_cmp_u_f32_e64 s1, v34, v34
	s_delay_alu instid0(VALU_DEP_2) | instskip(SKIP_2) | instid1(VALU_DEP_2)
	v_min_num_f32_e32 v37, v35, v36
	v_max_num_f32_e32 v35, v35, v36
	s_wait_alu 0xf1ff
	v_cndmask_b32_e64 v36, v37, v34, s1
	s_delay_alu instid0(VALU_DEP_2) | instskip(SKIP_2) | instid1(VALU_DEP_1)
	v_cndmask_b32_e64 v37, v35, v34, s1
	v_cmp_u_f32_e64 s1, v33, v33
	s_wait_alu 0xf1ff
	v_cndmask_b32_e64 v35, v36, v33, s1
	s_delay_alu instid0(VALU_DEP_3) | instskip(NEXT) | instid1(VALU_DEP_2)
	v_cndmask_b32_e64 v33, v37, v33, s1
	v_cmp_class_f32_e64 s28, v35, 0x1f8
	s_delay_alu instid0(VALU_DEP_2)
	v_cmp_neq_f32_e64 s1, v35, v33
	s_or_b32 s1, s1, s28
	s_wait_alu 0xfffe
	s_and_saveexec_b32 s28, s1
	s_cbranch_execz .LBB479_61
; %bb.60:
	v_sub_f32_e32 v34, v35, v33
	s_delay_alu instid0(VALU_DEP_1) | instskip(SKIP_1) | instid1(VALU_DEP_2)
	v_mul_f32_e32 v35, 0x3fb8aa3b, v34
	v_cmp_ngt_f32_e64 s1, 0xc2ce8ed0, v34
	v_fma_f32 v36, 0x3fb8aa3b, v34, -v35
	v_rndne_f32_e32 v37, v35
	s_delay_alu instid0(VALU_DEP_1) | instskip(NEXT) | instid1(VALU_DEP_1)
	v_dual_fmamk_f32 v36, v34, 0x32a5705f, v36 :: v_dual_sub_f32 v35, v35, v37
	v_add_f32_e32 v35, v35, v36
	v_cvt_i32_f32_e32 v36, v37
	s_delay_alu instid0(VALU_DEP_2) | instskip(NEXT) | instid1(TRANS32_DEP_1)
	v_exp_f32_e32 v35, v35
	v_ldexp_f32 v35, v35, v36
	s_wait_alu 0xf1ff
	s_delay_alu instid0(VALU_DEP_1) | instskip(SKIP_2) | instid1(VALU_DEP_1)
	v_cndmask_b32_e64 v35, 0, v35, s1
	v_cmp_nlt_f32_e64 s1, 0x42b17218, v34
	s_wait_alu 0xf1ff
	v_cndmask_b32_e64 v36, 0x7f800000, v35, s1
	s_delay_alu instid0(VALU_DEP_1) | instskip(NEXT) | instid1(VALU_DEP_1)
	v_add_f32_e32 v37, 1.0, v36
	v_cvt_f64_f32_e32 v[34:35], v37
	s_delay_alu instid0(VALU_DEP_1) | instskip(SKIP_1) | instid1(VALU_DEP_1)
	v_frexp_exp_i32_f64_e32 v34, v[34:35]
	v_frexp_mant_f32_e32 v35, v37
	v_cmp_gt_f32_e64 s1, 0x3f2aaaab, v35
	v_add_f32_e32 v35, -1.0, v37
	s_delay_alu instid0(VALU_DEP_1)
	v_sub_f32_e32 v39, v35, v37
	v_sub_f32_e32 v35, v36, v35
	s_wait_alu 0xf1ff
	v_subrev_co_ci_u32_e64 v34, null, 0, v34, s1
	s_mov_b32 s1, 0x3e9b6dac
	v_sub_nc_u32_e32 v38, 0, v34
	v_cvt_f32_i32_e32 v34, v34
	s_delay_alu instid0(VALU_DEP_2) | instskip(NEXT) | instid1(VALU_DEP_1)
	v_ldexp_f32 v37, v37, v38
	v_dual_add_f32 v40, 1.0, v37 :: v_dual_add_f32 v39, 1.0, v39
	s_delay_alu instid0(VALU_DEP_1) | instskip(NEXT) | instid1(VALU_DEP_2)
	v_add_f32_e32 v35, v35, v39
	v_add_f32_e32 v39, -1.0, v40
	s_delay_alu instid0(VALU_DEP_2) | instskip(NEXT) | instid1(VALU_DEP_2)
	v_ldexp_f32 v35, v35, v38
	v_dual_add_f32 v38, -1.0, v37 :: v_dual_sub_f32 v39, v37, v39
	s_delay_alu instid0(VALU_DEP_1) | instskip(NEXT) | instid1(VALU_DEP_2)
	v_add_f32_e32 v41, 1.0, v38
	v_add_f32_e32 v39, v35, v39
	s_delay_alu instid0(VALU_DEP_2) | instskip(NEXT) | instid1(VALU_DEP_2)
	v_sub_f32_e32 v37, v37, v41
	v_add_f32_e32 v41, v40, v39
	s_delay_alu instid0(VALU_DEP_2) | instskip(NEXT) | instid1(VALU_DEP_2)
	v_add_f32_e32 v35, v35, v37
	v_rcp_f32_e32 v37, v41
	v_sub_f32_e32 v40, v40, v41
	s_delay_alu instid0(VALU_DEP_1) | instskip(NEXT) | instid1(VALU_DEP_1)
	v_dual_add_f32 v42, v38, v35 :: v_dual_add_f32 v39, v39, v40
	v_sub_f32_e32 v38, v38, v42
	s_delay_alu instid0(TRANS32_DEP_1) | instskip(NEXT) | instid1(VALU_DEP_1)
	v_mul_f32_e32 v43, v42, v37
	v_dual_add_f32 v35, v35, v38 :: v_dual_mul_f32 v44, v41, v43
	s_delay_alu instid0(VALU_DEP_1) | instskip(NEXT) | instid1(VALU_DEP_1)
	v_fma_f32 v40, v43, v41, -v44
	v_fmac_f32_e32 v40, v43, v39
	s_delay_alu instid0(VALU_DEP_1) | instskip(NEXT) | instid1(VALU_DEP_1)
	v_add_f32_e32 v45, v44, v40
	v_sub_f32_e32 v46, v42, v45
	v_sub_f32_e32 v38, v45, v44
	s_delay_alu instid0(VALU_DEP_2) | instskip(NEXT) | instid1(VALU_DEP_2)
	v_sub_f32_e32 v42, v42, v46
	v_sub_f32_e32 v38, v38, v40
	s_delay_alu instid0(VALU_DEP_2) | instskip(NEXT) | instid1(VALU_DEP_1)
	v_sub_f32_e32 v42, v42, v45
	v_add_f32_e32 v35, v35, v42
	s_delay_alu instid0(VALU_DEP_1) | instskip(NEXT) | instid1(VALU_DEP_1)
	v_add_f32_e32 v35, v38, v35
	v_add_f32_e32 v38, v46, v35
	s_delay_alu instid0(VALU_DEP_1) | instskip(NEXT) | instid1(VALU_DEP_1)
	v_mul_f32_e32 v40, v37, v38
	v_dual_sub_f32 v45, v46, v38 :: v_dual_mul_f32 v42, v41, v40
	s_delay_alu instid0(VALU_DEP_1) | instskip(NEXT) | instid1(VALU_DEP_2)
	v_add_f32_e32 v35, v35, v45
	v_fma_f32 v41, v40, v41, -v42
	s_delay_alu instid0(VALU_DEP_1) | instskip(NEXT) | instid1(VALU_DEP_1)
	v_fmac_f32_e32 v41, v40, v39
	v_add_f32_e32 v39, v42, v41
	s_delay_alu instid0(VALU_DEP_1) | instskip(SKIP_1) | instid1(VALU_DEP_2)
	v_sub_f32_e32 v44, v38, v39
	v_sub_f32_e32 v42, v39, v42
	;; [unrolled: 1-line block ×3, first 2 shown]
	s_delay_alu instid0(VALU_DEP_1) | instskip(NEXT) | instid1(VALU_DEP_3)
	v_sub_f32_e32 v38, v38, v39
	v_sub_f32_e32 v39, v42, v41
	s_delay_alu instid0(VALU_DEP_2) | instskip(SKIP_1) | instid1(VALU_DEP_2)
	v_add_f32_e32 v35, v35, v38
	v_add_f32_e32 v38, v43, v40
	;; [unrolled: 1-line block ×3, first 2 shown]
	s_delay_alu instid0(VALU_DEP_2) | instskip(NEXT) | instid1(VALU_DEP_2)
	v_sub_f32_e32 v39, v38, v43
	v_add_f32_e32 v35, v44, v35
	s_delay_alu instid0(VALU_DEP_2) | instskip(NEXT) | instid1(VALU_DEP_2)
	v_sub_f32_e32 v39, v40, v39
	v_mul_f32_e32 v35, v37, v35
	s_delay_alu instid0(VALU_DEP_1) | instskip(NEXT) | instid1(VALU_DEP_1)
	v_add_f32_e32 v35, v39, v35
	v_add_f32_e32 v37, v38, v35
	s_delay_alu instid0(VALU_DEP_1) | instskip(SKIP_1) | instid1(VALU_DEP_1)
	v_mul_f32_e32 v39, v37, v37
	s_wait_alu 0xfffe
	v_fmaak_f32 v40, s1, v39, 0x3ecc95a3
	v_mul_f32_e32 v41, v37, v39
	v_cmp_neq_f32_e64 s1, 0x7f800000, v36
	s_delay_alu instid0(VALU_DEP_3) | instskip(SKIP_2) | instid1(VALU_DEP_3)
	v_fmaak_f32 v39, v39, v40, 0x3f2aaada
	v_ldexp_f32 v40, v37, 1
	v_sub_f32_e32 v37, v37, v38
	v_mul_f32_e32 v39, v41, v39
	v_mul_f32_e32 v41, 0x3f317218, v34
	s_delay_alu instid0(VALU_DEP_2) | instskip(NEXT) | instid1(VALU_DEP_1)
	v_dual_sub_f32 v35, v35, v37 :: v_dual_add_f32 v38, v40, v39
	v_ldexp_f32 v35, v35, 1
	s_delay_alu instid0(VALU_DEP_2) | instskip(NEXT) | instid1(VALU_DEP_4)
	v_sub_f32_e32 v37, v38, v40
	v_fma_f32 v40, 0x3f317218, v34, -v41
	s_delay_alu instid0(VALU_DEP_1) | instskip(NEXT) | instid1(VALU_DEP_1)
	v_dual_sub_f32 v37, v39, v37 :: v_dual_fmamk_f32 v34, v34, 0xb102e308, v40
	v_add_f32_e32 v35, v35, v37
	s_delay_alu instid0(VALU_DEP_2) | instskip(NEXT) | instid1(VALU_DEP_2)
	v_add_f32_e32 v37, v41, v34
	v_add_f32_e32 v39, v38, v35
	s_delay_alu instid0(VALU_DEP_2) | instskip(NEXT) | instid1(VALU_DEP_2)
	v_sub_f32_e32 v41, v37, v41
	v_add_f32_e32 v40, v37, v39
	v_sub_f32_e32 v38, v39, v38
	s_delay_alu instid0(VALU_DEP_3) | instskip(NEXT) | instid1(VALU_DEP_2)
	v_sub_f32_e32 v34, v34, v41
	v_dual_sub_f32 v42, v40, v37 :: v_dual_sub_f32 v35, v35, v38
	s_delay_alu instid0(VALU_DEP_1) | instskip(NEXT) | instid1(VALU_DEP_2)
	v_sub_f32_e32 v43, v40, v42
	v_dual_sub_f32 v38, v39, v42 :: v_dual_add_f32 v39, v34, v35
	s_delay_alu instid0(VALU_DEP_2) | instskip(NEXT) | instid1(VALU_DEP_1)
	v_sub_f32_e32 v37, v37, v43
	v_dual_add_f32 v37, v38, v37 :: v_dual_sub_f32 v38, v39, v34
	s_delay_alu instid0(VALU_DEP_1) | instskip(NEXT) | instid1(VALU_DEP_2)
	v_add_f32_e32 v37, v39, v37
	v_sub_f32_e32 v39, v39, v38
	v_sub_f32_e32 v35, v35, v38
	s_delay_alu instid0(VALU_DEP_2) | instskip(NEXT) | instid1(VALU_DEP_1)
	v_dual_add_f32 v41, v40, v37 :: v_dual_sub_f32 v34, v34, v39
	v_sub_f32_e32 v38, v41, v40
	s_delay_alu instid0(VALU_DEP_2) | instskip(NEXT) | instid1(VALU_DEP_2)
	v_add_f32_e32 v34, v35, v34
	v_sub_f32_e32 v35, v37, v38
	s_delay_alu instid0(VALU_DEP_1) | instskip(NEXT) | instid1(VALU_DEP_1)
	v_add_f32_e32 v34, v34, v35
	v_add_f32_e32 v34, v41, v34
	s_wait_alu 0xf1ff
	s_delay_alu instid0(VALU_DEP_1) | instskip(SKIP_2) | instid1(VALU_DEP_1)
	v_cndmask_b32_e64 v34, 0x7f800000, v34, s1
	v_cmp_gt_f32_e64 s1, 0x33800000, |v36|
	s_wait_alu 0xf1ff
	v_cndmask_b32_e64 v34, v34, v36, s1
	s_delay_alu instid0(VALU_DEP_1)
	v_add_f32_e32 v34, v33, v34
.LBB479_61:
	s_or_b32 exec_lo, exec_lo, s28
	s_delay_alu instid0(VALU_DEP_1) | instskip(SKIP_3) | instid1(VALU_DEP_1)
	v_bfe_u32 v33, v34, 16, 1
	v_cmp_o_f32_e64 s1, v34, v34
	s_mov_b32 s28, exec_lo
	v_add3_u32 v33, v34, v33, 0x7fff
	v_lshrrev_b32_e32 v33, 16, v33
	s_wait_alu 0xf1ff
	s_delay_alu instid0(VALU_DEP_1) | instskip(SKIP_1) | instid1(VALU_DEP_2)
	v_cndmask_b32_e64 v35, 0x7fc0, v33, s1
	v_mbcnt_lo_u32_b32 v33, -1, 0
	v_and_b32_e32 v36, 0xffff, v35
	s_delay_alu instid0(VALU_DEP_2) | instskip(NEXT) | instid1(VALU_DEP_2)
	v_and_b32_e32 v34, 15, v33
	v_mov_b32_dpp v37, v36 row_shr:1 row_mask:0xf bank_mask:0xf
	s_delay_alu instid0(VALU_DEP_2)
	v_cmpx_ne_u32_e32 0, v34
	s_xor_b32 s28, exec_lo, s28
	s_cbranch_execz .LBB479_65
; %bb.62:
	v_lshlrev_b32_e32 v35, 16, v36
	s_delay_alu instid0(VALU_DEP_1) | instskip(NEXT) | instid1(VALU_DEP_1)
	v_dual_max_num_f32 v37, v35, v35 :: v_dual_lshlrev_b32 v36, 16, v37
	v_max_num_f32_e32 v38, v36, v36
	v_cmp_u_f32_e64 s1, v36, v36
	s_delay_alu instid0(VALU_DEP_2) | instskip(SKIP_2) | instid1(VALU_DEP_2)
	v_min_num_f32_e32 v39, v38, v37
	v_max_num_f32_e32 v37, v38, v37
	s_wait_alu 0xf1ff
	v_cndmask_b32_e64 v38, v39, v36, s1
	s_delay_alu instid0(VALU_DEP_2) | instskip(SKIP_2) | instid1(VALU_DEP_1)
	v_cndmask_b32_e64 v39, v37, v36, s1
	v_cmp_u_f32_e64 s1, v35, v35
	s_wait_alu 0xf1ff
	v_cndmask_b32_e64 v37, v38, v35, s1
	s_delay_alu instid0(VALU_DEP_3) | instskip(NEXT) | instid1(VALU_DEP_2)
	v_cndmask_b32_e64 v35, v39, v35, s1
	v_cmp_class_f32_e64 s29, v37, 0x1f8
	s_delay_alu instid0(VALU_DEP_2)
	v_cmp_neq_f32_e64 s1, v37, v35
	s_or_b32 s1, s1, s29
	s_wait_alu 0xfffe
	s_and_saveexec_b32 s29, s1
	s_cbranch_execz .LBB479_64
; %bb.63:
	v_sub_f32_e32 v36, v37, v35
	s_delay_alu instid0(VALU_DEP_1) | instskip(SKIP_1) | instid1(VALU_DEP_2)
	v_mul_f32_e32 v37, 0x3fb8aa3b, v36
	v_cmp_ngt_f32_e64 s1, 0xc2ce8ed0, v36
	v_fma_f32 v38, 0x3fb8aa3b, v36, -v37
	v_rndne_f32_e32 v39, v37
	s_delay_alu instid0(VALU_DEP_1) | instskip(NEXT) | instid1(VALU_DEP_1)
	v_dual_fmamk_f32 v38, v36, 0x32a5705f, v38 :: v_dual_sub_f32 v37, v37, v39
	v_add_f32_e32 v37, v37, v38
	v_cvt_i32_f32_e32 v38, v39
	s_delay_alu instid0(VALU_DEP_2) | instskip(NEXT) | instid1(TRANS32_DEP_1)
	v_exp_f32_e32 v37, v37
	v_ldexp_f32 v37, v37, v38
	s_wait_alu 0xf1ff
	s_delay_alu instid0(VALU_DEP_1) | instskip(SKIP_2) | instid1(VALU_DEP_1)
	v_cndmask_b32_e64 v37, 0, v37, s1
	v_cmp_nlt_f32_e64 s1, 0x42b17218, v36
	s_wait_alu 0xf1ff
	v_cndmask_b32_e64 v38, 0x7f800000, v37, s1
	s_delay_alu instid0(VALU_DEP_1) | instskip(NEXT) | instid1(VALU_DEP_1)
	v_add_f32_e32 v39, 1.0, v38
	v_cvt_f64_f32_e32 v[36:37], v39
	s_delay_alu instid0(VALU_DEP_1) | instskip(SKIP_1) | instid1(VALU_DEP_1)
	v_frexp_exp_i32_f64_e32 v36, v[36:37]
	v_frexp_mant_f32_e32 v37, v39
	v_cmp_gt_f32_e64 s1, 0x3f2aaaab, v37
	v_add_f32_e32 v37, -1.0, v39
	s_delay_alu instid0(VALU_DEP_1)
	v_sub_f32_e32 v41, v37, v39
	v_sub_f32_e32 v37, v38, v37
	s_wait_alu 0xf1ff
	v_subrev_co_ci_u32_e64 v36, null, 0, v36, s1
	s_mov_b32 s1, 0x3e9b6dac
	v_sub_nc_u32_e32 v40, 0, v36
	v_cvt_f32_i32_e32 v36, v36
	s_delay_alu instid0(VALU_DEP_2) | instskip(NEXT) | instid1(VALU_DEP_1)
	v_ldexp_f32 v39, v39, v40
	v_dual_add_f32 v42, 1.0, v39 :: v_dual_add_f32 v41, 1.0, v41
	s_delay_alu instid0(VALU_DEP_1) | instskip(NEXT) | instid1(VALU_DEP_2)
	v_add_f32_e32 v37, v37, v41
	v_add_f32_e32 v41, -1.0, v42
	s_delay_alu instid0(VALU_DEP_2) | instskip(NEXT) | instid1(VALU_DEP_2)
	v_ldexp_f32 v37, v37, v40
	v_dual_add_f32 v40, -1.0, v39 :: v_dual_sub_f32 v41, v39, v41
	s_delay_alu instid0(VALU_DEP_1) | instskip(NEXT) | instid1(VALU_DEP_2)
	v_add_f32_e32 v43, 1.0, v40
	v_add_f32_e32 v41, v37, v41
	s_delay_alu instid0(VALU_DEP_2) | instskip(NEXT) | instid1(VALU_DEP_2)
	v_sub_f32_e32 v39, v39, v43
	v_add_f32_e32 v43, v42, v41
	s_delay_alu instid0(VALU_DEP_2) | instskip(NEXT) | instid1(VALU_DEP_2)
	v_add_f32_e32 v37, v37, v39
	v_rcp_f32_e32 v39, v43
	v_sub_f32_e32 v42, v42, v43
	s_delay_alu instid0(VALU_DEP_1) | instskip(NEXT) | instid1(VALU_DEP_1)
	v_dual_add_f32 v44, v40, v37 :: v_dual_add_f32 v41, v41, v42
	v_sub_f32_e32 v40, v40, v44
	s_delay_alu instid0(TRANS32_DEP_1) | instskip(NEXT) | instid1(VALU_DEP_1)
	v_mul_f32_e32 v45, v44, v39
	v_dual_add_f32 v37, v37, v40 :: v_dual_mul_f32 v46, v43, v45
	s_delay_alu instid0(VALU_DEP_1) | instskip(NEXT) | instid1(VALU_DEP_1)
	v_fma_f32 v42, v45, v43, -v46
	v_fmac_f32_e32 v42, v45, v41
	s_delay_alu instid0(VALU_DEP_1) | instskip(NEXT) | instid1(VALU_DEP_1)
	v_add_f32_e32 v47, v46, v42
	v_sub_f32_e32 v48, v44, v47
	v_sub_f32_e32 v40, v47, v46
	s_delay_alu instid0(VALU_DEP_2) | instskip(NEXT) | instid1(VALU_DEP_2)
	v_sub_f32_e32 v44, v44, v48
	v_sub_f32_e32 v40, v40, v42
	s_delay_alu instid0(VALU_DEP_2) | instskip(NEXT) | instid1(VALU_DEP_1)
	v_sub_f32_e32 v44, v44, v47
	v_add_f32_e32 v37, v37, v44
	s_delay_alu instid0(VALU_DEP_1) | instskip(NEXT) | instid1(VALU_DEP_1)
	v_add_f32_e32 v37, v40, v37
	v_add_f32_e32 v40, v48, v37
	s_delay_alu instid0(VALU_DEP_1) | instskip(NEXT) | instid1(VALU_DEP_1)
	v_mul_f32_e32 v42, v39, v40
	v_dual_sub_f32 v47, v48, v40 :: v_dual_mul_f32 v44, v43, v42
	s_delay_alu instid0(VALU_DEP_1) | instskip(NEXT) | instid1(VALU_DEP_2)
	v_add_f32_e32 v37, v37, v47
	v_fma_f32 v43, v42, v43, -v44
	s_delay_alu instid0(VALU_DEP_1) | instskip(NEXT) | instid1(VALU_DEP_1)
	v_fmac_f32_e32 v43, v42, v41
	v_add_f32_e32 v41, v44, v43
	s_delay_alu instid0(VALU_DEP_1) | instskip(SKIP_1) | instid1(VALU_DEP_2)
	v_sub_f32_e32 v46, v40, v41
	v_sub_f32_e32 v44, v41, v44
	;; [unrolled: 1-line block ×3, first 2 shown]
	s_delay_alu instid0(VALU_DEP_1) | instskip(NEXT) | instid1(VALU_DEP_3)
	v_sub_f32_e32 v40, v40, v41
	v_sub_f32_e32 v41, v44, v43
	s_delay_alu instid0(VALU_DEP_2) | instskip(SKIP_1) | instid1(VALU_DEP_2)
	v_add_f32_e32 v37, v37, v40
	v_add_f32_e32 v40, v45, v42
	;; [unrolled: 1-line block ×3, first 2 shown]
	s_delay_alu instid0(VALU_DEP_2) | instskip(NEXT) | instid1(VALU_DEP_2)
	v_sub_f32_e32 v41, v40, v45
	v_add_f32_e32 v37, v46, v37
	s_delay_alu instid0(VALU_DEP_2) | instskip(NEXT) | instid1(VALU_DEP_2)
	v_sub_f32_e32 v41, v42, v41
	v_mul_f32_e32 v37, v39, v37
	s_delay_alu instid0(VALU_DEP_1) | instskip(NEXT) | instid1(VALU_DEP_1)
	v_add_f32_e32 v37, v41, v37
	v_add_f32_e32 v39, v40, v37
	s_delay_alu instid0(VALU_DEP_1) | instskip(SKIP_1) | instid1(VALU_DEP_1)
	v_mul_f32_e32 v41, v39, v39
	s_wait_alu 0xfffe
	v_fmaak_f32 v42, s1, v41, 0x3ecc95a3
	v_mul_f32_e32 v43, v39, v41
	v_cmp_neq_f32_e64 s1, 0x7f800000, v38
	s_delay_alu instid0(VALU_DEP_3) | instskip(SKIP_2) | instid1(VALU_DEP_3)
	v_fmaak_f32 v41, v41, v42, 0x3f2aaada
	v_ldexp_f32 v42, v39, 1
	v_sub_f32_e32 v39, v39, v40
	v_mul_f32_e32 v41, v43, v41
	v_mul_f32_e32 v43, 0x3f317218, v36
	s_delay_alu instid0(VALU_DEP_2) | instskip(NEXT) | instid1(VALU_DEP_1)
	v_dual_sub_f32 v37, v37, v39 :: v_dual_add_f32 v40, v42, v41
	v_ldexp_f32 v37, v37, 1
	s_delay_alu instid0(VALU_DEP_2) | instskip(NEXT) | instid1(VALU_DEP_4)
	v_sub_f32_e32 v39, v40, v42
	v_fma_f32 v42, 0x3f317218, v36, -v43
	s_delay_alu instid0(VALU_DEP_1) | instskip(NEXT) | instid1(VALU_DEP_1)
	v_dual_sub_f32 v39, v41, v39 :: v_dual_fmamk_f32 v36, v36, 0xb102e308, v42
	v_add_f32_e32 v37, v37, v39
	s_delay_alu instid0(VALU_DEP_2) | instskip(NEXT) | instid1(VALU_DEP_2)
	v_add_f32_e32 v39, v43, v36
	v_add_f32_e32 v41, v40, v37
	s_delay_alu instid0(VALU_DEP_2) | instskip(NEXT) | instid1(VALU_DEP_2)
	v_sub_f32_e32 v43, v39, v43
	v_add_f32_e32 v42, v39, v41
	v_sub_f32_e32 v40, v41, v40
	s_delay_alu instid0(VALU_DEP_3) | instskip(NEXT) | instid1(VALU_DEP_2)
	v_sub_f32_e32 v36, v36, v43
	v_dual_sub_f32 v44, v42, v39 :: v_dual_sub_f32 v37, v37, v40
	s_delay_alu instid0(VALU_DEP_1) | instskip(NEXT) | instid1(VALU_DEP_2)
	v_sub_f32_e32 v45, v42, v44
	v_dual_sub_f32 v40, v41, v44 :: v_dual_add_f32 v41, v36, v37
	s_delay_alu instid0(VALU_DEP_2) | instskip(NEXT) | instid1(VALU_DEP_1)
	v_sub_f32_e32 v39, v39, v45
	v_dual_add_f32 v39, v40, v39 :: v_dual_sub_f32 v40, v41, v36
	s_delay_alu instid0(VALU_DEP_1) | instskip(NEXT) | instid1(VALU_DEP_2)
	v_add_f32_e32 v39, v41, v39
	v_sub_f32_e32 v41, v41, v40
	v_sub_f32_e32 v37, v37, v40
	s_delay_alu instid0(VALU_DEP_2) | instskip(NEXT) | instid1(VALU_DEP_1)
	v_dual_add_f32 v43, v42, v39 :: v_dual_sub_f32 v36, v36, v41
	v_sub_f32_e32 v40, v43, v42
	s_delay_alu instid0(VALU_DEP_2) | instskip(NEXT) | instid1(VALU_DEP_2)
	v_add_f32_e32 v36, v37, v36
	v_sub_f32_e32 v37, v39, v40
	s_delay_alu instid0(VALU_DEP_1) | instskip(NEXT) | instid1(VALU_DEP_1)
	v_add_f32_e32 v36, v36, v37
	v_add_f32_e32 v36, v43, v36
	s_wait_alu 0xf1ff
	s_delay_alu instid0(VALU_DEP_1) | instskip(SKIP_2) | instid1(VALU_DEP_1)
	v_cndmask_b32_e64 v36, 0x7f800000, v36, s1
	v_cmp_gt_f32_e64 s1, 0x33800000, |v38|
	s_wait_alu 0xf1ff
	v_cndmask_b32_e64 v36, v36, v38, s1
	s_delay_alu instid0(VALU_DEP_1)
	v_add_f32_e32 v36, v35, v36
.LBB479_64:
	s_or_b32 exec_lo, exec_lo, s29
	s_delay_alu instid0(VALU_DEP_1) | instskip(SKIP_1) | instid1(VALU_DEP_2)
	v_bfe_u32 v35, v36, 16, 1
	v_cmp_o_f32_e64 s1, v36, v36
	v_add3_u32 v35, v36, v35, 0x7fff
	s_delay_alu instid0(VALU_DEP_1) | instskip(SKIP_1) | instid1(VALU_DEP_1)
	v_lshrrev_b32_e32 v35, 16, v35
	s_wait_alu 0xf1ff
	v_cndmask_b32_e64 v35, 0x7fc0, v35, s1
	s_delay_alu instid0(VALU_DEP_1)
	v_and_b32_e32 v36, 0xffff, v35
.LBB479_65:
	s_or_b32 exec_lo, exec_lo, s28
	s_delay_alu instid0(VALU_DEP_1)
	v_mov_b32_dpp v37, v36 row_shr:2 row_mask:0xf bank_mask:0xf
	s_mov_b32 s28, exec_lo
	v_cmpx_lt_u32_e32 1, v34
	s_cbranch_execz .LBB479_69
; %bb.66:
	v_lshlrev_b32_e32 v35, 16, v36
	s_delay_alu instid0(VALU_DEP_1) | instskip(NEXT) | instid1(VALU_DEP_1)
	v_dual_max_num_f32 v37, v35, v35 :: v_dual_lshlrev_b32 v36, 16, v37
	v_max_num_f32_e32 v38, v36, v36
	v_cmp_u_f32_e64 s1, v36, v36
	s_delay_alu instid0(VALU_DEP_2) | instskip(SKIP_2) | instid1(VALU_DEP_2)
	v_min_num_f32_e32 v39, v38, v37
	v_max_num_f32_e32 v37, v38, v37
	s_wait_alu 0xf1ff
	v_cndmask_b32_e64 v38, v39, v36, s1
	s_delay_alu instid0(VALU_DEP_2) | instskip(SKIP_2) | instid1(VALU_DEP_1)
	v_cndmask_b32_e64 v39, v37, v36, s1
	v_cmp_u_f32_e64 s1, v35, v35
	s_wait_alu 0xf1ff
	v_cndmask_b32_e64 v37, v38, v35, s1
	s_delay_alu instid0(VALU_DEP_3) | instskip(NEXT) | instid1(VALU_DEP_2)
	v_cndmask_b32_e64 v35, v39, v35, s1
	v_cmp_class_f32_e64 s29, v37, 0x1f8
	s_delay_alu instid0(VALU_DEP_2)
	v_cmp_neq_f32_e64 s1, v37, v35
	s_or_b32 s1, s1, s29
	s_wait_alu 0xfffe
	s_and_saveexec_b32 s29, s1
	s_cbranch_execz .LBB479_68
; %bb.67:
	v_sub_f32_e32 v36, v37, v35
	s_delay_alu instid0(VALU_DEP_1) | instskip(SKIP_1) | instid1(VALU_DEP_2)
	v_mul_f32_e32 v37, 0x3fb8aa3b, v36
	v_cmp_ngt_f32_e64 s1, 0xc2ce8ed0, v36
	v_fma_f32 v38, 0x3fb8aa3b, v36, -v37
	v_rndne_f32_e32 v39, v37
	s_delay_alu instid0(VALU_DEP_1) | instskip(NEXT) | instid1(VALU_DEP_1)
	v_dual_fmamk_f32 v38, v36, 0x32a5705f, v38 :: v_dual_sub_f32 v37, v37, v39
	v_add_f32_e32 v37, v37, v38
	v_cvt_i32_f32_e32 v38, v39
	s_delay_alu instid0(VALU_DEP_2) | instskip(NEXT) | instid1(TRANS32_DEP_1)
	v_exp_f32_e32 v37, v37
	v_ldexp_f32 v37, v37, v38
	s_wait_alu 0xf1ff
	s_delay_alu instid0(VALU_DEP_1) | instskip(SKIP_2) | instid1(VALU_DEP_1)
	v_cndmask_b32_e64 v37, 0, v37, s1
	v_cmp_nlt_f32_e64 s1, 0x42b17218, v36
	s_wait_alu 0xf1ff
	v_cndmask_b32_e64 v38, 0x7f800000, v37, s1
	s_delay_alu instid0(VALU_DEP_1) | instskip(NEXT) | instid1(VALU_DEP_1)
	v_add_f32_e32 v39, 1.0, v38
	v_cvt_f64_f32_e32 v[36:37], v39
	s_delay_alu instid0(VALU_DEP_1) | instskip(SKIP_1) | instid1(VALU_DEP_1)
	v_frexp_exp_i32_f64_e32 v36, v[36:37]
	v_frexp_mant_f32_e32 v37, v39
	v_cmp_gt_f32_e64 s1, 0x3f2aaaab, v37
	v_add_f32_e32 v37, -1.0, v39
	s_delay_alu instid0(VALU_DEP_1)
	v_sub_f32_e32 v41, v37, v39
	v_sub_f32_e32 v37, v38, v37
	s_wait_alu 0xf1ff
	v_subrev_co_ci_u32_e64 v36, null, 0, v36, s1
	s_mov_b32 s1, 0x3e9b6dac
	v_sub_nc_u32_e32 v40, 0, v36
	v_cvt_f32_i32_e32 v36, v36
	s_delay_alu instid0(VALU_DEP_2) | instskip(NEXT) | instid1(VALU_DEP_1)
	v_ldexp_f32 v39, v39, v40
	v_dual_add_f32 v42, 1.0, v39 :: v_dual_add_f32 v41, 1.0, v41
	s_delay_alu instid0(VALU_DEP_1) | instskip(NEXT) | instid1(VALU_DEP_2)
	v_add_f32_e32 v37, v37, v41
	v_add_f32_e32 v41, -1.0, v42
	s_delay_alu instid0(VALU_DEP_2) | instskip(NEXT) | instid1(VALU_DEP_2)
	v_ldexp_f32 v37, v37, v40
	v_dual_add_f32 v40, -1.0, v39 :: v_dual_sub_f32 v41, v39, v41
	s_delay_alu instid0(VALU_DEP_1) | instskip(NEXT) | instid1(VALU_DEP_2)
	v_add_f32_e32 v43, 1.0, v40
	v_add_f32_e32 v41, v37, v41
	s_delay_alu instid0(VALU_DEP_2) | instskip(NEXT) | instid1(VALU_DEP_2)
	v_sub_f32_e32 v39, v39, v43
	v_add_f32_e32 v43, v42, v41
	s_delay_alu instid0(VALU_DEP_2) | instskip(NEXT) | instid1(VALU_DEP_2)
	v_add_f32_e32 v37, v37, v39
	v_rcp_f32_e32 v39, v43
	v_sub_f32_e32 v42, v42, v43
	s_delay_alu instid0(VALU_DEP_1) | instskip(NEXT) | instid1(VALU_DEP_1)
	v_dual_add_f32 v44, v40, v37 :: v_dual_add_f32 v41, v41, v42
	v_sub_f32_e32 v40, v40, v44
	s_delay_alu instid0(TRANS32_DEP_1) | instskip(NEXT) | instid1(VALU_DEP_1)
	v_mul_f32_e32 v45, v44, v39
	v_dual_add_f32 v37, v37, v40 :: v_dual_mul_f32 v46, v43, v45
	s_delay_alu instid0(VALU_DEP_1) | instskip(NEXT) | instid1(VALU_DEP_1)
	v_fma_f32 v42, v45, v43, -v46
	v_fmac_f32_e32 v42, v45, v41
	s_delay_alu instid0(VALU_DEP_1) | instskip(NEXT) | instid1(VALU_DEP_1)
	v_add_f32_e32 v47, v46, v42
	v_sub_f32_e32 v48, v44, v47
	v_sub_f32_e32 v40, v47, v46
	s_delay_alu instid0(VALU_DEP_2) | instskip(NEXT) | instid1(VALU_DEP_2)
	v_sub_f32_e32 v44, v44, v48
	v_sub_f32_e32 v40, v40, v42
	s_delay_alu instid0(VALU_DEP_2) | instskip(NEXT) | instid1(VALU_DEP_1)
	v_sub_f32_e32 v44, v44, v47
	v_add_f32_e32 v37, v37, v44
	s_delay_alu instid0(VALU_DEP_1) | instskip(NEXT) | instid1(VALU_DEP_1)
	v_add_f32_e32 v37, v40, v37
	v_add_f32_e32 v40, v48, v37
	s_delay_alu instid0(VALU_DEP_1) | instskip(NEXT) | instid1(VALU_DEP_1)
	v_mul_f32_e32 v42, v39, v40
	v_dual_sub_f32 v47, v48, v40 :: v_dual_mul_f32 v44, v43, v42
	s_delay_alu instid0(VALU_DEP_1) | instskip(NEXT) | instid1(VALU_DEP_2)
	v_add_f32_e32 v37, v37, v47
	v_fma_f32 v43, v42, v43, -v44
	s_delay_alu instid0(VALU_DEP_1) | instskip(NEXT) | instid1(VALU_DEP_1)
	v_fmac_f32_e32 v43, v42, v41
	v_add_f32_e32 v41, v44, v43
	s_delay_alu instid0(VALU_DEP_1) | instskip(SKIP_1) | instid1(VALU_DEP_2)
	v_sub_f32_e32 v46, v40, v41
	v_sub_f32_e32 v44, v41, v44
	;; [unrolled: 1-line block ×3, first 2 shown]
	s_delay_alu instid0(VALU_DEP_1) | instskip(NEXT) | instid1(VALU_DEP_3)
	v_sub_f32_e32 v40, v40, v41
	v_sub_f32_e32 v41, v44, v43
	s_delay_alu instid0(VALU_DEP_2) | instskip(SKIP_1) | instid1(VALU_DEP_2)
	v_add_f32_e32 v37, v37, v40
	v_add_f32_e32 v40, v45, v42
	;; [unrolled: 1-line block ×3, first 2 shown]
	s_delay_alu instid0(VALU_DEP_2) | instskip(NEXT) | instid1(VALU_DEP_2)
	v_sub_f32_e32 v41, v40, v45
	v_add_f32_e32 v37, v46, v37
	s_delay_alu instid0(VALU_DEP_2) | instskip(NEXT) | instid1(VALU_DEP_2)
	v_sub_f32_e32 v41, v42, v41
	v_mul_f32_e32 v37, v39, v37
	s_delay_alu instid0(VALU_DEP_1) | instskip(NEXT) | instid1(VALU_DEP_1)
	v_add_f32_e32 v37, v41, v37
	v_add_f32_e32 v39, v40, v37
	s_delay_alu instid0(VALU_DEP_1) | instskip(SKIP_1) | instid1(VALU_DEP_1)
	v_mul_f32_e32 v41, v39, v39
	s_wait_alu 0xfffe
	v_fmaak_f32 v42, s1, v41, 0x3ecc95a3
	v_mul_f32_e32 v43, v39, v41
	v_cmp_neq_f32_e64 s1, 0x7f800000, v38
	s_delay_alu instid0(VALU_DEP_3) | instskip(SKIP_2) | instid1(VALU_DEP_3)
	v_fmaak_f32 v41, v41, v42, 0x3f2aaada
	v_ldexp_f32 v42, v39, 1
	v_sub_f32_e32 v39, v39, v40
	v_mul_f32_e32 v41, v43, v41
	v_mul_f32_e32 v43, 0x3f317218, v36
	s_delay_alu instid0(VALU_DEP_2) | instskip(NEXT) | instid1(VALU_DEP_1)
	v_dual_sub_f32 v37, v37, v39 :: v_dual_add_f32 v40, v42, v41
	v_ldexp_f32 v37, v37, 1
	s_delay_alu instid0(VALU_DEP_2) | instskip(NEXT) | instid1(VALU_DEP_4)
	v_sub_f32_e32 v39, v40, v42
	v_fma_f32 v42, 0x3f317218, v36, -v43
	s_delay_alu instid0(VALU_DEP_1) | instskip(NEXT) | instid1(VALU_DEP_1)
	v_dual_sub_f32 v39, v41, v39 :: v_dual_fmamk_f32 v36, v36, 0xb102e308, v42
	v_add_f32_e32 v37, v37, v39
	s_delay_alu instid0(VALU_DEP_2) | instskip(NEXT) | instid1(VALU_DEP_2)
	v_add_f32_e32 v39, v43, v36
	v_add_f32_e32 v41, v40, v37
	s_delay_alu instid0(VALU_DEP_2) | instskip(NEXT) | instid1(VALU_DEP_2)
	v_sub_f32_e32 v43, v39, v43
	v_add_f32_e32 v42, v39, v41
	v_sub_f32_e32 v40, v41, v40
	s_delay_alu instid0(VALU_DEP_3) | instskip(NEXT) | instid1(VALU_DEP_2)
	v_sub_f32_e32 v36, v36, v43
	v_dual_sub_f32 v44, v42, v39 :: v_dual_sub_f32 v37, v37, v40
	s_delay_alu instid0(VALU_DEP_1) | instskip(NEXT) | instid1(VALU_DEP_2)
	v_sub_f32_e32 v45, v42, v44
	v_dual_sub_f32 v40, v41, v44 :: v_dual_add_f32 v41, v36, v37
	s_delay_alu instid0(VALU_DEP_2) | instskip(NEXT) | instid1(VALU_DEP_1)
	v_sub_f32_e32 v39, v39, v45
	v_dual_add_f32 v39, v40, v39 :: v_dual_sub_f32 v40, v41, v36
	s_delay_alu instid0(VALU_DEP_1) | instskip(NEXT) | instid1(VALU_DEP_2)
	v_add_f32_e32 v39, v41, v39
	v_sub_f32_e32 v41, v41, v40
	v_sub_f32_e32 v37, v37, v40
	s_delay_alu instid0(VALU_DEP_2) | instskip(NEXT) | instid1(VALU_DEP_1)
	v_dual_add_f32 v43, v42, v39 :: v_dual_sub_f32 v36, v36, v41
	v_sub_f32_e32 v40, v43, v42
	s_delay_alu instid0(VALU_DEP_2) | instskip(NEXT) | instid1(VALU_DEP_2)
	v_add_f32_e32 v36, v37, v36
	v_sub_f32_e32 v37, v39, v40
	s_delay_alu instid0(VALU_DEP_1) | instskip(NEXT) | instid1(VALU_DEP_1)
	v_add_f32_e32 v36, v36, v37
	v_add_f32_e32 v36, v43, v36
	s_wait_alu 0xf1ff
	s_delay_alu instid0(VALU_DEP_1) | instskip(SKIP_2) | instid1(VALU_DEP_1)
	v_cndmask_b32_e64 v36, 0x7f800000, v36, s1
	v_cmp_gt_f32_e64 s1, 0x33800000, |v38|
	s_wait_alu 0xf1ff
	v_cndmask_b32_e64 v36, v36, v38, s1
	s_delay_alu instid0(VALU_DEP_1)
	v_add_f32_e32 v36, v35, v36
.LBB479_68:
	s_or_b32 exec_lo, exec_lo, s29
	s_delay_alu instid0(VALU_DEP_1) | instskip(SKIP_1) | instid1(VALU_DEP_2)
	v_bfe_u32 v35, v36, 16, 1
	v_cmp_o_f32_e64 s1, v36, v36
	v_add3_u32 v35, v36, v35, 0x7fff
	s_delay_alu instid0(VALU_DEP_1) | instskip(SKIP_1) | instid1(VALU_DEP_1)
	v_lshrrev_b32_e32 v35, 16, v35
	s_wait_alu 0xf1ff
	v_cndmask_b32_e64 v35, 0x7fc0, v35, s1
	s_delay_alu instid0(VALU_DEP_1)
	v_and_b32_e32 v36, 0xffff, v35
.LBB479_69:
	s_or_b32 exec_lo, exec_lo, s28
	s_delay_alu instid0(VALU_DEP_1)
	v_mov_b32_dpp v37, v36 row_shr:4 row_mask:0xf bank_mask:0xf
	s_mov_b32 s28, exec_lo
	v_cmpx_lt_u32_e32 3, v34
	s_cbranch_execz .LBB479_73
; %bb.70:
	v_lshlrev_b32_e32 v35, 16, v36
	s_delay_alu instid0(VALU_DEP_1) | instskip(NEXT) | instid1(VALU_DEP_1)
	v_dual_max_num_f32 v37, v35, v35 :: v_dual_lshlrev_b32 v36, 16, v37
	v_max_num_f32_e32 v38, v36, v36
	v_cmp_u_f32_e64 s1, v36, v36
	s_delay_alu instid0(VALU_DEP_2) | instskip(SKIP_2) | instid1(VALU_DEP_2)
	v_min_num_f32_e32 v39, v38, v37
	v_max_num_f32_e32 v37, v38, v37
	s_wait_alu 0xf1ff
	v_cndmask_b32_e64 v38, v39, v36, s1
	s_delay_alu instid0(VALU_DEP_2) | instskip(SKIP_2) | instid1(VALU_DEP_1)
	v_cndmask_b32_e64 v39, v37, v36, s1
	v_cmp_u_f32_e64 s1, v35, v35
	s_wait_alu 0xf1ff
	v_cndmask_b32_e64 v37, v38, v35, s1
	s_delay_alu instid0(VALU_DEP_3) | instskip(NEXT) | instid1(VALU_DEP_2)
	v_cndmask_b32_e64 v35, v39, v35, s1
	v_cmp_class_f32_e64 s29, v37, 0x1f8
	s_delay_alu instid0(VALU_DEP_2)
	v_cmp_neq_f32_e64 s1, v37, v35
	s_or_b32 s1, s1, s29
	s_wait_alu 0xfffe
	s_and_saveexec_b32 s29, s1
	s_cbranch_execz .LBB479_72
; %bb.71:
	v_sub_f32_e32 v36, v37, v35
	s_delay_alu instid0(VALU_DEP_1) | instskip(SKIP_1) | instid1(VALU_DEP_2)
	v_mul_f32_e32 v37, 0x3fb8aa3b, v36
	v_cmp_ngt_f32_e64 s1, 0xc2ce8ed0, v36
	v_fma_f32 v38, 0x3fb8aa3b, v36, -v37
	v_rndne_f32_e32 v39, v37
	s_delay_alu instid0(VALU_DEP_1) | instskip(NEXT) | instid1(VALU_DEP_1)
	v_dual_fmamk_f32 v38, v36, 0x32a5705f, v38 :: v_dual_sub_f32 v37, v37, v39
	v_add_f32_e32 v37, v37, v38
	v_cvt_i32_f32_e32 v38, v39
	s_delay_alu instid0(VALU_DEP_2) | instskip(NEXT) | instid1(TRANS32_DEP_1)
	v_exp_f32_e32 v37, v37
	v_ldexp_f32 v37, v37, v38
	s_wait_alu 0xf1ff
	s_delay_alu instid0(VALU_DEP_1) | instskip(SKIP_2) | instid1(VALU_DEP_1)
	v_cndmask_b32_e64 v37, 0, v37, s1
	v_cmp_nlt_f32_e64 s1, 0x42b17218, v36
	s_wait_alu 0xf1ff
	v_cndmask_b32_e64 v38, 0x7f800000, v37, s1
	s_delay_alu instid0(VALU_DEP_1) | instskip(NEXT) | instid1(VALU_DEP_1)
	v_add_f32_e32 v39, 1.0, v38
	v_cvt_f64_f32_e32 v[36:37], v39
	s_delay_alu instid0(VALU_DEP_1) | instskip(SKIP_1) | instid1(VALU_DEP_1)
	v_frexp_exp_i32_f64_e32 v36, v[36:37]
	v_frexp_mant_f32_e32 v37, v39
	v_cmp_gt_f32_e64 s1, 0x3f2aaaab, v37
	v_add_f32_e32 v37, -1.0, v39
	s_delay_alu instid0(VALU_DEP_1)
	v_sub_f32_e32 v41, v37, v39
	v_sub_f32_e32 v37, v38, v37
	s_wait_alu 0xf1ff
	v_subrev_co_ci_u32_e64 v36, null, 0, v36, s1
	s_mov_b32 s1, 0x3e9b6dac
	v_sub_nc_u32_e32 v40, 0, v36
	v_cvt_f32_i32_e32 v36, v36
	s_delay_alu instid0(VALU_DEP_2) | instskip(NEXT) | instid1(VALU_DEP_1)
	v_ldexp_f32 v39, v39, v40
	v_dual_add_f32 v42, 1.0, v39 :: v_dual_add_f32 v41, 1.0, v41
	s_delay_alu instid0(VALU_DEP_1) | instskip(NEXT) | instid1(VALU_DEP_2)
	v_add_f32_e32 v37, v37, v41
	v_add_f32_e32 v41, -1.0, v42
	s_delay_alu instid0(VALU_DEP_2) | instskip(NEXT) | instid1(VALU_DEP_2)
	v_ldexp_f32 v37, v37, v40
	v_dual_add_f32 v40, -1.0, v39 :: v_dual_sub_f32 v41, v39, v41
	s_delay_alu instid0(VALU_DEP_1) | instskip(NEXT) | instid1(VALU_DEP_2)
	v_add_f32_e32 v43, 1.0, v40
	v_add_f32_e32 v41, v37, v41
	s_delay_alu instid0(VALU_DEP_2) | instskip(NEXT) | instid1(VALU_DEP_2)
	v_sub_f32_e32 v39, v39, v43
	v_add_f32_e32 v43, v42, v41
	s_delay_alu instid0(VALU_DEP_2) | instskip(NEXT) | instid1(VALU_DEP_2)
	v_add_f32_e32 v37, v37, v39
	v_rcp_f32_e32 v39, v43
	v_sub_f32_e32 v42, v42, v43
	s_delay_alu instid0(VALU_DEP_1) | instskip(NEXT) | instid1(VALU_DEP_1)
	v_dual_add_f32 v44, v40, v37 :: v_dual_add_f32 v41, v41, v42
	v_sub_f32_e32 v40, v40, v44
	s_delay_alu instid0(TRANS32_DEP_1) | instskip(NEXT) | instid1(VALU_DEP_1)
	v_mul_f32_e32 v45, v44, v39
	v_dual_add_f32 v37, v37, v40 :: v_dual_mul_f32 v46, v43, v45
	s_delay_alu instid0(VALU_DEP_1) | instskip(NEXT) | instid1(VALU_DEP_1)
	v_fma_f32 v42, v45, v43, -v46
	v_fmac_f32_e32 v42, v45, v41
	s_delay_alu instid0(VALU_DEP_1) | instskip(NEXT) | instid1(VALU_DEP_1)
	v_add_f32_e32 v47, v46, v42
	v_sub_f32_e32 v48, v44, v47
	v_sub_f32_e32 v40, v47, v46
	s_delay_alu instid0(VALU_DEP_2) | instskip(NEXT) | instid1(VALU_DEP_2)
	v_sub_f32_e32 v44, v44, v48
	v_sub_f32_e32 v40, v40, v42
	s_delay_alu instid0(VALU_DEP_2) | instskip(NEXT) | instid1(VALU_DEP_1)
	v_sub_f32_e32 v44, v44, v47
	v_add_f32_e32 v37, v37, v44
	s_delay_alu instid0(VALU_DEP_1) | instskip(NEXT) | instid1(VALU_DEP_1)
	v_add_f32_e32 v37, v40, v37
	v_add_f32_e32 v40, v48, v37
	s_delay_alu instid0(VALU_DEP_1) | instskip(NEXT) | instid1(VALU_DEP_1)
	v_mul_f32_e32 v42, v39, v40
	v_dual_sub_f32 v47, v48, v40 :: v_dual_mul_f32 v44, v43, v42
	s_delay_alu instid0(VALU_DEP_1) | instskip(NEXT) | instid1(VALU_DEP_2)
	v_add_f32_e32 v37, v37, v47
	v_fma_f32 v43, v42, v43, -v44
	s_delay_alu instid0(VALU_DEP_1) | instskip(NEXT) | instid1(VALU_DEP_1)
	v_fmac_f32_e32 v43, v42, v41
	v_add_f32_e32 v41, v44, v43
	s_delay_alu instid0(VALU_DEP_1) | instskip(SKIP_1) | instid1(VALU_DEP_2)
	v_sub_f32_e32 v46, v40, v41
	v_sub_f32_e32 v44, v41, v44
	;; [unrolled: 1-line block ×3, first 2 shown]
	s_delay_alu instid0(VALU_DEP_1) | instskip(NEXT) | instid1(VALU_DEP_3)
	v_sub_f32_e32 v40, v40, v41
	v_sub_f32_e32 v41, v44, v43
	s_delay_alu instid0(VALU_DEP_2) | instskip(SKIP_1) | instid1(VALU_DEP_2)
	v_add_f32_e32 v37, v37, v40
	v_add_f32_e32 v40, v45, v42
	;; [unrolled: 1-line block ×3, first 2 shown]
	s_delay_alu instid0(VALU_DEP_2) | instskip(NEXT) | instid1(VALU_DEP_2)
	v_sub_f32_e32 v41, v40, v45
	v_add_f32_e32 v37, v46, v37
	s_delay_alu instid0(VALU_DEP_2) | instskip(NEXT) | instid1(VALU_DEP_2)
	v_sub_f32_e32 v41, v42, v41
	v_mul_f32_e32 v37, v39, v37
	s_delay_alu instid0(VALU_DEP_1) | instskip(NEXT) | instid1(VALU_DEP_1)
	v_add_f32_e32 v37, v41, v37
	v_add_f32_e32 v39, v40, v37
	s_delay_alu instid0(VALU_DEP_1) | instskip(SKIP_1) | instid1(VALU_DEP_1)
	v_mul_f32_e32 v41, v39, v39
	s_wait_alu 0xfffe
	v_fmaak_f32 v42, s1, v41, 0x3ecc95a3
	v_mul_f32_e32 v43, v39, v41
	v_cmp_neq_f32_e64 s1, 0x7f800000, v38
	s_delay_alu instid0(VALU_DEP_3) | instskip(SKIP_2) | instid1(VALU_DEP_3)
	v_fmaak_f32 v41, v41, v42, 0x3f2aaada
	v_ldexp_f32 v42, v39, 1
	v_sub_f32_e32 v39, v39, v40
	v_mul_f32_e32 v41, v43, v41
	v_mul_f32_e32 v43, 0x3f317218, v36
	s_delay_alu instid0(VALU_DEP_2) | instskip(NEXT) | instid1(VALU_DEP_1)
	v_dual_sub_f32 v37, v37, v39 :: v_dual_add_f32 v40, v42, v41
	v_ldexp_f32 v37, v37, 1
	s_delay_alu instid0(VALU_DEP_2) | instskip(NEXT) | instid1(VALU_DEP_4)
	v_sub_f32_e32 v39, v40, v42
	v_fma_f32 v42, 0x3f317218, v36, -v43
	s_delay_alu instid0(VALU_DEP_1) | instskip(NEXT) | instid1(VALU_DEP_1)
	v_dual_sub_f32 v39, v41, v39 :: v_dual_fmamk_f32 v36, v36, 0xb102e308, v42
	v_add_f32_e32 v37, v37, v39
	s_delay_alu instid0(VALU_DEP_2) | instskip(NEXT) | instid1(VALU_DEP_2)
	v_add_f32_e32 v39, v43, v36
	v_add_f32_e32 v41, v40, v37
	s_delay_alu instid0(VALU_DEP_2) | instskip(NEXT) | instid1(VALU_DEP_2)
	v_sub_f32_e32 v43, v39, v43
	v_add_f32_e32 v42, v39, v41
	v_sub_f32_e32 v40, v41, v40
	s_delay_alu instid0(VALU_DEP_3) | instskip(NEXT) | instid1(VALU_DEP_2)
	v_sub_f32_e32 v36, v36, v43
	v_dual_sub_f32 v44, v42, v39 :: v_dual_sub_f32 v37, v37, v40
	s_delay_alu instid0(VALU_DEP_1) | instskip(NEXT) | instid1(VALU_DEP_2)
	v_sub_f32_e32 v45, v42, v44
	v_dual_sub_f32 v40, v41, v44 :: v_dual_add_f32 v41, v36, v37
	s_delay_alu instid0(VALU_DEP_2) | instskip(NEXT) | instid1(VALU_DEP_1)
	v_sub_f32_e32 v39, v39, v45
	v_dual_add_f32 v39, v40, v39 :: v_dual_sub_f32 v40, v41, v36
	s_delay_alu instid0(VALU_DEP_1) | instskip(NEXT) | instid1(VALU_DEP_2)
	v_add_f32_e32 v39, v41, v39
	v_sub_f32_e32 v41, v41, v40
	v_sub_f32_e32 v37, v37, v40
	s_delay_alu instid0(VALU_DEP_2) | instskip(NEXT) | instid1(VALU_DEP_1)
	v_dual_add_f32 v43, v42, v39 :: v_dual_sub_f32 v36, v36, v41
	v_sub_f32_e32 v40, v43, v42
	s_delay_alu instid0(VALU_DEP_2) | instskip(NEXT) | instid1(VALU_DEP_2)
	v_add_f32_e32 v36, v37, v36
	v_sub_f32_e32 v37, v39, v40
	s_delay_alu instid0(VALU_DEP_1) | instskip(NEXT) | instid1(VALU_DEP_1)
	v_add_f32_e32 v36, v36, v37
	v_add_f32_e32 v36, v43, v36
	s_wait_alu 0xf1ff
	s_delay_alu instid0(VALU_DEP_1) | instskip(SKIP_2) | instid1(VALU_DEP_1)
	v_cndmask_b32_e64 v36, 0x7f800000, v36, s1
	v_cmp_gt_f32_e64 s1, 0x33800000, |v38|
	s_wait_alu 0xf1ff
	v_cndmask_b32_e64 v36, v36, v38, s1
	s_delay_alu instid0(VALU_DEP_1)
	v_add_f32_e32 v36, v35, v36
.LBB479_72:
	s_or_b32 exec_lo, exec_lo, s29
	s_delay_alu instid0(VALU_DEP_1) | instskip(SKIP_1) | instid1(VALU_DEP_2)
	v_bfe_u32 v35, v36, 16, 1
	v_cmp_o_f32_e64 s1, v36, v36
	v_add3_u32 v35, v36, v35, 0x7fff
	s_delay_alu instid0(VALU_DEP_1) | instskip(SKIP_1) | instid1(VALU_DEP_1)
	v_lshrrev_b32_e32 v35, 16, v35
	s_wait_alu 0xf1ff
	v_cndmask_b32_e64 v35, 0x7fc0, v35, s1
	s_delay_alu instid0(VALU_DEP_1)
	v_and_b32_e32 v36, 0xffff, v35
.LBB479_73:
	s_or_b32 exec_lo, exec_lo, s28
	s_delay_alu instid0(VALU_DEP_1)
	v_mov_b32_dpp v37, v36 row_shr:8 row_mask:0xf bank_mask:0xf
	s_mov_b32 s28, exec_lo
	v_cmpx_lt_u32_e32 7, v34
	s_cbranch_execz .LBB479_77
; %bb.74:
	s_delay_alu instid0(VALU_DEP_2) | instskip(NEXT) | instid1(VALU_DEP_1)
	v_lshlrev_b32_e32 v35, 16, v37
	v_dual_max_num_f32 v37, v35, v35 :: v_dual_lshlrev_b32 v34, 16, v36
	s_delay_alu instid0(VALU_DEP_1) | instskip(SKIP_1) | instid1(VALU_DEP_2)
	v_max_num_f32_e32 v36, v34, v34
	v_cmp_u_f32_e64 s1, v35, v35
	v_min_num_f32_e32 v38, v37, v36
	v_max_num_f32_e32 v36, v37, v36
	s_wait_alu 0xf1ff
	s_delay_alu instid0(VALU_DEP_2) | instskip(NEXT) | instid1(VALU_DEP_2)
	v_cndmask_b32_e64 v37, v38, v35, s1
	v_cndmask_b32_e64 v38, v36, v35, s1
	v_cmp_u_f32_e64 s1, v34, v34
	s_wait_alu 0xf1ff
	s_delay_alu instid0(VALU_DEP_1) | instskip(NEXT) | instid1(VALU_DEP_3)
	v_cndmask_b32_e64 v36, v37, v34, s1
	v_cndmask_b32_e64 v34, v38, v34, s1
	s_delay_alu instid0(VALU_DEP_2) | instskip(NEXT) | instid1(VALU_DEP_2)
	v_cmp_class_f32_e64 s29, v36, 0x1f8
	v_cmp_neq_f32_e64 s1, v36, v34
	s_or_b32 s1, s1, s29
	s_wait_alu 0xfffe
	s_and_saveexec_b32 s29, s1
	s_cbranch_execz .LBB479_76
; %bb.75:
	v_sub_f32_e32 v35, v36, v34
	s_delay_alu instid0(VALU_DEP_1) | instskip(SKIP_1) | instid1(VALU_DEP_2)
	v_mul_f32_e32 v36, 0x3fb8aa3b, v35
	v_cmp_ngt_f32_e64 s1, 0xc2ce8ed0, v35
	v_fma_f32 v37, 0x3fb8aa3b, v35, -v36
	v_rndne_f32_e32 v38, v36
	s_delay_alu instid0(VALU_DEP_1) | instskip(NEXT) | instid1(VALU_DEP_1)
	v_dual_fmamk_f32 v37, v35, 0x32a5705f, v37 :: v_dual_sub_f32 v36, v36, v38
	v_add_f32_e32 v36, v36, v37
	v_cvt_i32_f32_e32 v37, v38
	s_delay_alu instid0(VALU_DEP_2) | instskip(NEXT) | instid1(TRANS32_DEP_1)
	v_exp_f32_e32 v36, v36
	v_ldexp_f32 v36, v36, v37
	s_wait_alu 0xf1ff
	s_delay_alu instid0(VALU_DEP_1) | instskip(SKIP_2) | instid1(VALU_DEP_1)
	v_cndmask_b32_e64 v36, 0, v36, s1
	v_cmp_nlt_f32_e64 s1, 0x42b17218, v35
	s_wait_alu 0xf1ff
	v_cndmask_b32_e64 v37, 0x7f800000, v36, s1
	s_delay_alu instid0(VALU_DEP_1) | instskip(NEXT) | instid1(VALU_DEP_1)
	v_add_f32_e32 v38, 1.0, v37
	v_cvt_f64_f32_e32 v[35:36], v38
	s_delay_alu instid0(VALU_DEP_1) | instskip(SKIP_1) | instid1(VALU_DEP_1)
	v_frexp_exp_i32_f64_e32 v35, v[35:36]
	v_frexp_mant_f32_e32 v36, v38
	v_cmp_gt_f32_e64 s1, 0x3f2aaaab, v36
	v_add_f32_e32 v36, -1.0, v38
	s_delay_alu instid0(VALU_DEP_1)
	v_sub_f32_e32 v40, v36, v38
	v_sub_f32_e32 v36, v37, v36
	s_wait_alu 0xf1ff
	v_subrev_co_ci_u32_e64 v35, null, 0, v35, s1
	s_mov_b32 s1, 0x3e9b6dac
	v_sub_nc_u32_e32 v39, 0, v35
	v_cvt_f32_i32_e32 v35, v35
	s_delay_alu instid0(VALU_DEP_2) | instskip(NEXT) | instid1(VALU_DEP_1)
	v_ldexp_f32 v38, v38, v39
	v_dual_add_f32 v41, 1.0, v38 :: v_dual_add_f32 v40, 1.0, v40
	s_delay_alu instid0(VALU_DEP_1) | instskip(NEXT) | instid1(VALU_DEP_2)
	v_add_f32_e32 v36, v36, v40
	v_add_f32_e32 v40, -1.0, v41
	s_delay_alu instid0(VALU_DEP_2) | instskip(NEXT) | instid1(VALU_DEP_2)
	v_ldexp_f32 v36, v36, v39
	v_dual_add_f32 v39, -1.0, v38 :: v_dual_sub_f32 v40, v38, v40
	s_delay_alu instid0(VALU_DEP_1) | instskip(NEXT) | instid1(VALU_DEP_2)
	v_add_f32_e32 v42, 1.0, v39
	v_add_f32_e32 v40, v36, v40
	s_delay_alu instid0(VALU_DEP_2) | instskip(NEXT) | instid1(VALU_DEP_2)
	v_sub_f32_e32 v38, v38, v42
	v_add_f32_e32 v42, v41, v40
	s_delay_alu instid0(VALU_DEP_2) | instskip(NEXT) | instid1(VALU_DEP_2)
	v_add_f32_e32 v36, v36, v38
	v_rcp_f32_e32 v38, v42
	v_sub_f32_e32 v41, v41, v42
	s_delay_alu instid0(VALU_DEP_1) | instskip(NEXT) | instid1(VALU_DEP_1)
	v_dual_add_f32 v43, v39, v36 :: v_dual_add_f32 v40, v40, v41
	v_sub_f32_e32 v39, v39, v43
	s_delay_alu instid0(TRANS32_DEP_1) | instskip(NEXT) | instid1(VALU_DEP_1)
	v_mul_f32_e32 v44, v43, v38
	v_dual_add_f32 v36, v36, v39 :: v_dual_mul_f32 v45, v42, v44
	s_delay_alu instid0(VALU_DEP_1) | instskip(NEXT) | instid1(VALU_DEP_1)
	v_fma_f32 v41, v44, v42, -v45
	v_fmac_f32_e32 v41, v44, v40
	s_delay_alu instid0(VALU_DEP_1) | instskip(NEXT) | instid1(VALU_DEP_1)
	v_add_f32_e32 v46, v45, v41
	v_sub_f32_e32 v47, v43, v46
	v_sub_f32_e32 v39, v46, v45
	s_delay_alu instid0(VALU_DEP_2) | instskip(NEXT) | instid1(VALU_DEP_2)
	v_sub_f32_e32 v43, v43, v47
	v_sub_f32_e32 v39, v39, v41
	s_delay_alu instid0(VALU_DEP_2) | instskip(NEXT) | instid1(VALU_DEP_1)
	v_sub_f32_e32 v43, v43, v46
	v_add_f32_e32 v36, v36, v43
	s_delay_alu instid0(VALU_DEP_1) | instskip(NEXT) | instid1(VALU_DEP_1)
	v_add_f32_e32 v36, v39, v36
	v_add_f32_e32 v39, v47, v36
	s_delay_alu instid0(VALU_DEP_1) | instskip(NEXT) | instid1(VALU_DEP_1)
	v_mul_f32_e32 v41, v38, v39
	v_dual_sub_f32 v46, v47, v39 :: v_dual_mul_f32 v43, v42, v41
	s_delay_alu instid0(VALU_DEP_1) | instskip(NEXT) | instid1(VALU_DEP_2)
	v_add_f32_e32 v36, v36, v46
	v_fma_f32 v42, v41, v42, -v43
	s_delay_alu instid0(VALU_DEP_1) | instskip(NEXT) | instid1(VALU_DEP_1)
	v_fmac_f32_e32 v42, v41, v40
	v_add_f32_e32 v40, v43, v42
	s_delay_alu instid0(VALU_DEP_1) | instskip(SKIP_1) | instid1(VALU_DEP_2)
	v_sub_f32_e32 v45, v39, v40
	v_sub_f32_e32 v43, v40, v43
	;; [unrolled: 1-line block ×3, first 2 shown]
	s_delay_alu instid0(VALU_DEP_1) | instskip(NEXT) | instid1(VALU_DEP_3)
	v_sub_f32_e32 v39, v39, v40
	v_sub_f32_e32 v40, v43, v42
	s_delay_alu instid0(VALU_DEP_2) | instskip(SKIP_1) | instid1(VALU_DEP_2)
	v_add_f32_e32 v36, v36, v39
	v_add_f32_e32 v39, v44, v41
	;; [unrolled: 1-line block ×3, first 2 shown]
	s_delay_alu instid0(VALU_DEP_2) | instskip(NEXT) | instid1(VALU_DEP_2)
	v_sub_f32_e32 v40, v39, v44
	v_add_f32_e32 v36, v45, v36
	s_delay_alu instid0(VALU_DEP_2) | instskip(NEXT) | instid1(VALU_DEP_2)
	v_sub_f32_e32 v40, v41, v40
	v_mul_f32_e32 v36, v38, v36
	s_delay_alu instid0(VALU_DEP_1) | instskip(NEXT) | instid1(VALU_DEP_1)
	v_add_f32_e32 v36, v40, v36
	v_add_f32_e32 v38, v39, v36
	s_delay_alu instid0(VALU_DEP_1) | instskip(SKIP_1) | instid1(VALU_DEP_1)
	v_mul_f32_e32 v40, v38, v38
	s_wait_alu 0xfffe
	v_fmaak_f32 v41, s1, v40, 0x3ecc95a3
	v_mul_f32_e32 v42, v38, v40
	v_cmp_neq_f32_e64 s1, 0x7f800000, v37
	s_delay_alu instid0(VALU_DEP_3) | instskip(SKIP_2) | instid1(VALU_DEP_3)
	v_fmaak_f32 v40, v40, v41, 0x3f2aaada
	v_ldexp_f32 v41, v38, 1
	v_sub_f32_e32 v38, v38, v39
	v_mul_f32_e32 v40, v42, v40
	v_mul_f32_e32 v42, 0x3f317218, v35
	s_delay_alu instid0(VALU_DEP_2) | instskip(NEXT) | instid1(VALU_DEP_1)
	v_dual_sub_f32 v36, v36, v38 :: v_dual_add_f32 v39, v41, v40
	v_ldexp_f32 v36, v36, 1
	s_delay_alu instid0(VALU_DEP_2) | instskip(NEXT) | instid1(VALU_DEP_4)
	v_sub_f32_e32 v38, v39, v41
	v_fma_f32 v41, 0x3f317218, v35, -v42
	s_delay_alu instid0(VALU_DEP_1) | instskip(NEXT) | instid1(VALU_DEP_1)
	v_dual_sub_f32 v38, v40, v38 :: v_dual_fmamk_f32 v35, v35, 0xb102e308, v41
	v_add_f32_e32 v36, v36, v38
	s_delay_alu instid0(VALU_DEP_2) | instskip(NEXT) | instid1(VALU_DEP_2)
	v_add_f32_e32 v38, v42, v35
	v_add_f32_e32 v40, v39, v36
	s_delay_alu instid0(VALU_DEP_2) | instskip(NEXT) | instid1(VALU_DEP_2)
	v_sub_f32_e32 v42, v38, v42
	v_add_f32_e32 v41, v38, v40
	v_sub_f32_e32 v39, v40, v39
	s_delay_alu instid0(VALU_DEP_3) | instskip(NEXT) | instid1(VALU_DEP_2)
	v_sub_f32_e32 v35, v35, v42
	v_dual_sub_f32 v43, v41, v38 :: v_dual_sub_f32 v36, v36, v39
	s_delay_alu instid0(VALU_DEP_1) | instskip(NEXT) | instid1(VALU_DEP_2)
	v_sub_f32_e32 v44, v41, v43
	v_dual_sub_f32 v39, v40, v43 :: v_dual_add_f32 v40, v35, v36
	s_delay_alu instid0(VALU_DEP_2) | instskip(NEXT) | instid1(VALU_DEP_1)
	v_sub_f32_e32 v38, v38, v44
	v_dual_add_f32 v38, v39, v38 :: v_dual_sub_f32 v39, v40, v35
	s_delay_alu instid0(VALU_DEP_1) | instskip(NEXT) | instid1(VALU_DEP_2)
	v_add_f32_e32 v38, v40, v38
	v_sub_f32_e32 v40, v40, v39
	v_sub_f32_e32 v36, v36, v39
	s_delay_alu instid0(VALU_DEP_2) | instskip(NEXT) | instid1(VALU_DEP_1)
	v_dual_add_f32 v42, v41, v38 :: v_dual_sub_f32 v35, v35, v40
	v_sub_f32_e32 v39, v42, v41
	s_delay_alu instid0(VALU_DEP_2) | instskip(NEXT) | instid1(VALU_DEP_2)
	v_add_f32_e32 v35, v36, v35
	v_sub_f32_e32 v36, v38, v39
	s_delay_alu instid0(VALU_DEP_1) | instskip(NEXT) | instid1(VALU_DEP_1)
	v_add_f32_e32 v35, v35, v36
	v_add_f32_e32 v35, v42, v35
	s_wait_alu 0xf1ff
	s_delay_alu instid0(VALU_DEP_1) | instskip(SKIP_2) | instid1(VALU_DEP_1)
	v_cndmask_b32_e64 v35, 0x7f800000, v35, s1
	v_cmp_gt_f32_e64 s1, 0x33800000, |v37|
	s_wait_alu 0xf1ff
	v_cndmask_b32_e64 v35, v35, v37, s1
	s_delay_alu instid0(VALU_DEP_1)
	v_add_f32_e32 v35, v34, v35
.LBB479_76:
	s_or_b32 exec_lo, exec_lo, s29
	s_delay_alu instid0(VALU_DEP_1) | instskip(SKIP_1) | instid1(VALU_DEP_2)
	v_bfe_u32 v34, v35, 16, 1
	v_cmp_o_f32_e64 s1, v35, v35
	v_add3_u32 v34, v35, v34, 0x7fff
	s_delay_alu instid0(VALU_DEP_1) | instskip(SKIP_1) | instid1(VALU_DEP_1)
	v_lshrrev_b32_e32 v34, 16, v34
	s_wait_alu 0xf1ff
	v_cndmask_b32_e64 v35, 0x7fc0, v34, s1
	s_delay_alu instid0(VALU_DEP_1)
	v_and_b32_e32 v36, 0xffff, v35
.LBB479_77:
	s_or_b32 exec_lo, exec_lo, s28
	ds_swizzle_b32 v34, v36 offset:swizzle(BROADCAST,32,15)
	v_and_b32_e32 v37, 16, v33
	s_mov_b32 s28, exec_lo
	s_delay_alu instid0(VALU_DEP_1)
	v_cmpx_ne_u32_e32 0, v37
	s_cbranch_execz .LBB479_81
; %bb.78:
	s_wait_dscnt 0x0
	v_lshlrev_b32_e32 v35, 16, v34
	s_delay_alu instid0(VALU_DEP_1) | instskip(NEXT) | instid1(VALU_DEP_1)
	v_dual_max_num_f32 v36, v35, v35 :: v_dual_lshlrev_b32 v37, 16, v36
	v_max_num_f32_e32 v34, v37, v37
	v_cmp_u_f32_e64 s1, v35, v35
	s_delay_alu instid0(VALU_DEP_2) | instskip(SKIP_2) | instid1(VALU_DEP_2)
	v_min_num_f32_e32 v38, v36, v34
	v_max_num_f32_e32 v34, v36, v34
	s_wait_alu 0xf1ff
	v_cndmask_b32_e64 v36, v38, v35, s1
	s_delay_alu instid0(VALU_DEP_2) | instskip(SKIP_2) | instid1(VALU_DEP_1)
	v_cndmask_b32_e64 v34, v34, v35, s1
	v_cmp_u_f32_e64 s1, v37, v37
	s_wait_alu 0xf1ff
	v_cndmask_b32_e64 v36, v36, v37, s1
	s_delay_alu instid0(VALU_DEP_3) | instskip(NEXT) | instid1(VALU_DEP_2)
	v_cndmask_b32_e64 v34, v34, v37, s1
	v_cmp_class_f32_e64 s29, v36, 0x1f8
	s_delay_alu instid0(VALU_DEP_2)
	v_cmp_neq_f32_e64 s1, v36, v34
	s_or_b32 s1, s1, s29
	s_wait_alu 0xfffe
	s_and_saveexec_b32 s29, s1
	s_cbranch_execz .LBB479_80
; %bb.79:
	v_sub_f32_e32 v35, v36, v34
	s_delay_alu instid0(VALU_DEP_1) | instskip(SKIP_1) | instid1(VALU_DEP_2)
	v_mul_f32_e32 v36, 0x3fb8aa3b, v35
	v_cmp_ngt_f32_e64 s1, 0xc2ce8ed0, v35
	v_fma_f32 v37, 0x3fb8aa3b, v35, -v36
	v_rndne_f32_e32 v38, v36
	s_delay_alu instid0(VALU_DEP_1) | instskip(NEXT) | instid1(VALU_DEP_1)
	v_dual_fmamk_f32 v37, v35, 0x32a5705f, v37 :: v_dual_sub_f32 v36, v36, v38
	v_add_f32_e32 v36, v36, v37
	v_cvt_i32_f32_e32 v37, v38
	s_delay_alu instid0(VALU_DEP_2) | instskip(NEXT) | instid1(TRANS32_DEP_1)
	v_exp_f32_e32 v36, v36
	v_ldexp_f32 v36, v36, v37
	s_wait_alu 0xf1ff
	s_delay_alu instid0(VALU_DEP_1) | instskip(SKIP_2) | instid1(VALU_DEP_1)
	v_cndmask_b32_e64 v36, 0, v36, s1
	v_cmp_nlt_f32_e64 s1, 0x42b17218, v35
	s_wait_alu 0xf1ff
	v_cndmask_b32_e64 v37, 0x7f800000, v36, s1
	s_delay_alu instid0(VALU_DEP_1) | instskip(NEXT) | instid1(VALU_DEP_1)
	v_add_f32_e32 v38, 1.0, v37
	v_cvt_f64_f32_e32 v[35:36], v38
	s_delay_alu instid0(VALU_DEP_1) | instskip(SKIP_1) | instid1(VALU_DEP_1)
	v_frexp_exp_i32_f64_e32 v35, v[35:36]
	v_frexp_mant_f32_e32 v36, v38
	v_cmp_gt_f32_e64 s1, 0x3f2aaaab, v36
	v_add_f32_e32 v36, -1.0, v38
	s_delay_alu instid0(VALU_DEP_1)
	v_sub_f32_e32 v40, v36, v38
	v_sub_f32_e32 v36, v37, v36
	s_wait_alu 0xf1ff
	v_subrev_co_ci_u32_e64 v35, null, 0, v35, s1
	s_mov_b32 s1, 0x3e9b6dac
	v_sub_nc_u32_e32 v39, 0, v35
	v_cvt_f32_i32_e32 v35, v35
	s_delay_alu instid0(VALU_DEP_2) | instskip(NEXT) | instid1(VALU_DEP_1)
	v_ldexp_f32 v38, v38, v39
	v_dual_add_f32 v41, 1.0, v38 :: v_dual_add_f32 v40, 1.0, v40
	s_delay_alu instid0(VALU_DEP_1) | instskip(NEXT) | instid1(VALU_DEP_2)
	v_add_f32_e32 v36, v36, v40
	v_add_f32_e32 v40, -1.0, v41
	s_delay_alu instid0(VALU_DEP_2) | instskip(NEXT) | instid1(VALU_DEP_2)
	v_ldexp_f32 v36, v36, v39
	v_dual_add_f32 v39, -1.0, v38 :: v_dual_sub_f32 v40, v38, v40
	s_delay_alu instid0(VALU_DEP_1) | instskip(NEXT) | instid1(VALU_DEP_2)
	v_add_f32_e32 v42, 1.0, v39
	v_add_f32_e32 v40, v36, v40
	s_delay_alu instid0(VALU_DEP_2) | instskip(NEXT) | instid1(VALU_DEP_2)
	v_sub_f32_e32 v38, v38, v42
	v_add_f32_e32 v42, v41, v40
	s_delay_alu instid0(VALU_DEP_2) | instskip(NEXT) | instid1(VALU_DEP_2)
	v_add_f32_e32 v36, v36, v38
	v_rcp_f32_e32 v38, v42
	v_sub_f32_e32 v41, v41, v42
	s_delay_alu instid0(VALU_DEP_1) | instskip(NEXT) | instid1(VALU_DEP_1)
	v_dual_add_f32 v43, v39, v36 :: v_dual_add_f32 v40, v40, v41
	v_sub_f32_e32 v39, v39, v43
	s_delay_alu instid0(TRANS32_DEP_1) | instskip(NEXT) | instid1(VALU_DEP_1)
	v_mul_f32_e32 v44, v43, v38
	v_dual_add_f32 v36, v36, v39 :: v_dual_mul_f32 v45, v42, v44
	s_delay_alu instid0(VALU_DEP_1) | instskip(NEXT) | instid1(VALU_DEP_1)
	v_fma_f32 v41, v44, v42, -v45
	v_fmac_f32_e32 v41, v44, v40
	s_delay_alu instid0(VALU_DEP_1) | instskip(NEXT) | instid1(VALU_DEP_1)
	v_add_f32_e32 v46, v45, v41
	v_sub_f32_e32 v47, v43, v46
	v_sub_f32_e32 v39, v46, v45
	s_delay_alu instid0(VALU_DEP_2) | instskip(NEXT) | instid1(VALU_DEP_2)
	v_sub_f32_e32 v43, v43, v47
	v_sub_f32_e32 v39, v39, v41
	s_delay_alu instid0(VALU_DEP_2) | instskip(NEXT) | instid1(VALU_DEP_1)
	v_sub_f32_e32 v43, v43, v46
	v_add_f32_e32 v36, v36, v43
	s_delay_alu instid0(VALU_DEP_1) | instskip(NEXT) | instid1(VALU_DEP_1)
	v_add_f32_e32 v36, v39, v36
	v_add_f32_e32 v39, v47, v36
	s_delay_alu instid0(VALU_DEP_1) | instskip(NEXT) | instid1(VALU_DEP_1)
	v_mul_f32_e32 v41, v38, v39
	v_dual_sub_f32 v46, v47, v39 :: v_dual_mul_f32 v43, v42, v41
	s_delay_alu instid0(VALU_DEP_1) | instskip(NEXT) | instid1(VALU_DEP_2)
	v_add_f32_e32 v36, v36, v46
	v_fma_f32 v42, v41, v42, -v43
	s_delay_alu instid0(VALU_DEP_1) | instskip(NEXT) | instid1(VALU_DEP_1)
	v_fmac_f32_e32 v42, v41, v40
	v_add_f32_e32 v40, v43, v42
	s_delay_alu instid0(VALU_DEP_1) | instskip(SKIP_1) | instid1(VALU_DEP_2)
	v_sub_f32_e32 v45, v39, v40
	v_sub_f32_e32 v43, v40, v43
	;; [unrolled: 1-line block ×3, first 2 shown]
	s_delay_alu instid0(VALU_DEP_1) | instskip(NEXT) | instid1(VALU_DEP_3)
	v_sub_f32_e32 v39, v39, v40
	v_sub_f32_e32 v40, v43, v42
	s_delay_alu instid0(VALU_DEP_2) | instskip(SKIP_1) | instid1(VALU_DEP_2)
	v_add_f32_e32 v36, v36, v39
	v_add_f32_e32 v39, v44, v41
	;; [unrolled: 1-line block ×3, first 2 shown]
	s_delay_alu instid0(VALU_DEP_2) | instskip(NEXT) | instid1(VALU_DEP_2)
	v_sub_f32_e32 v40, v39, v44
	v_add_f32_e32 v36, v45, v36
	s_delay_alu instid0(VALU_DEP_2) | instskip(NEXT) | instid1(VALU_DEP_2)
	v_sub_f32_e32 v40, v41, v40
	v_mul_f32_e32 v36, v38, v36
	s_delay_alu instid0(VALU_DEP_1) | instskip(NEXT) | instid1(VALU_DEP_1)
	v_add_f32_e32 v36, v40, v36
	v_add_f32_e32 v38, v39, v36
	s_delay_alu instid0(VALU_DEP_1) | instskip(SKIP_1) | instid1(VALU_DEP_1)
	v_mul_f32_e32 v40, v38, v38
	s_wait_alu 0xfffe
	v_fmaak_f32 v41, s1, v40, 0x3ecc95a3
	v_mul_f32_e32 v42, v38, v40
	v_cmp_neq_f32_e64 s1, 0x7f800000, v37
	s_delay_alu instid0(VALU_DEP_3) | instskip(SKIP_2) | instid1(VALU_DEP_3)
	v_fmaak_f32 v40, v40, v41, 0x3f2aaada
	v_ldexp_f32 v41, v38, 1
	v_sub_f32_e32 v38, v38, v39
	v_mul_f32_e32 v40, v42, v40
	v_mul_f32_e32 v42, 0x3f317218, v35
	s_delay_alu instid0(VALU_DEP_2) | instskip(NEXT) | instid1(VALU_DEP_1)
	v_dual_sub_f32 v36, v36, v38 :: v_dual_add_f32 v39, v41, v40
	v_ldexp_f32 v36, v36, 1
	s_delay_alu instid0(VALU_DEP_2) | instskip(NEXT) | instid1(VALU_DEP_4)
	v_sub_f32_e32 v38, v39, v41
	v_fma_f32 v41, 0x3f317218, v35, -v42
	s_delay_alu instid0(VALU_DEP_1) | instskip(NEXT) | instid1(VALU_DEP_1)
	v_dual_sub_f32 v38, v40, v38 :: v_dual_fmamk_f32 v35, v35, 0xb102e308, v41
	v_add_f32_e32 v36, v36, v38
	s_delay_alu instid0(VALU_DEP_2) | instskip(NEXT) | instid1(VALU_DEP_2)
	v_add_f32_e32 v38, v42, v35
	v_add_f32_e32 v40, v39, v36
	s_delay_alu instid0(VALU_DEP_2) | instskip(NEXT) | instid1(VALU_DEP_2)
	v_sub_f32_e32 v42, v38, v42
	v_add_f32_e32 v41, v38, v40
	v_sub_f32_e32 v39, v40, v39
	s_delay_alu instid0(VALU_DEP_3) | instskip(NEXT) | instid1(VALU_DEP_2)
	v_sub_f32_e32 v35, v35, v42
	v_dual_sub_f32 v43, v41, v38 :: v_dual_sub_f32 v36, v36, v39
	s_delay_alu instid0(VALU_DEP_1) | instskip(NEXT) | instid1(VALU_DEP_2)
	v_sub_f32_e32 v44, v41, v43
	v_dual_sub_f32 v39, v40, v43 :: v_dual_add_f32 v40, v35, v36
	s_delay_alu instid0(VALU_DEP_2) | instskip(NEXT) | instid1(VALU_DEP_1)
	v_sub_f32_e32 v38, v38, v44
	v_dual_add_f32 v38, v39, v38 :: v_dual_sub_f32 v39, v40, v35
	s_delay_alu instid0(VALU_DEP_1) | instskip(NEXT) | instid1(VALU_DEP_2)
	v_add_f32_e32 v38, v40, v38
	v_sub_f32_e32 v40, v40, v39
	v_sub_f32_e32 v36, v36, v39
	s_delay_alu instid0(VALU_DEP_2) | instskip(NEXT) | instid1(VALU_DEP_1)
	v_dual_add_f32 v42, v41, v38 :: v_dual_sub_f32 v35, v35, v40
	v_sub_f32_e32 v39, v42, v41
	s_delay_alu instid0(VALU_DEP_2) | instskip(NEXT) | instid1(VALU_DEP_2)
	v_add_f32_e32 v35, v36, v35
	v_sub_f32_e32 v36, v38, v39
	s_delay_alu instid0(VALU_DEP_1) | instskip(NEXT) | instid1(VALU_DEP_1)
	v_add_f32_e32 v35, v35, v36
	v_add_f32_e32 v35, v42, v35
	s_wait_alu 0xf1ff
	s_delay_alu instid0(VALU_DEP_1) | instskip(SKIP_2) | instid1(VALU_DEP_1)
	v_cndmask_b32_e64 v35, 0x7f800000, v35, s1
	v_cmp_gt_f32_e64 s1, 0x33800000, |v37|
	s_wait_alu 0xf1ff
	v_cndmask_b32_e64 v35, v35, v37, s1
	s_delay_alu instid0(VALU_DEP_1)
	v_add_f32_e32 v35, v34, v35
.LBB479_80:
	s_or_b32 exec_lo, exec_lo, s29
	s_delay_alu instid0(VALU_DEP_1) | instskip(SKIP_1) | instid1(VALU_DEP_2)
	v_bfe_u32 v34, v35, 16, 1
	v_cmp_o_f32_e64 s1, v35, v35
	v_add3_u32 v34, v35, v34, 0x7fff
	s_delay_alu instid0(VALU_DEP_1) | instskip(SKIP_1) | instid1(VALU_DEP_1)
	v_lshrrev_b32_e32 v34, 16, v34
	s_wait_alu 0xf1ff
	v_cndmask_b32_e64 v35, 0x7fc0, v34, s1
.LBB479_81:
	s_or_b32 exec_lo, exec_lo, s28
	s_wait_dscnt 0x0
	v_add_nc_u32_e32 v34, -1, v33
	s_delay_alu instid0(VALU_DEP_1) | instskip(SKIP_1) | instid1(VALU_DEP_1)
	v_cmp_gt_i32_e64 s1, 0, v34
	s_wait_alu 0xf1ff
	v_cndmask_b32_e64 v33, v34, v33, s1
	v_and_b32_e32 v34, 0xffff, v35
	s_delay_alu instid0(VALU_DEP_2) | instskip(SKIP_3) | instid1(VALU_DEP_1)
	v_lshlrev_b32_e32 v33, 2, v33
	ds_bpermute_b32 v33, v33, v34
	s_wait_dscnt 0x0
	v_lshlrev_b32_e32 v33, 16, v33
	v_max_num_f32_e32 v34, v33, v33
	v_cmp_u_f32_e64 s1, v33, v33
	s_delay_alu instid0(VALU_DEP_2) | instskip(SKIP_2) | instid1(VALU_DEP_2)
	v_min_num_f32_e32 v35, v34, v32
	v_max_num_f32_e32 v32, v34, v32
	s_wait_alu 0xf1ff
	v_cndmask_b32_e64 v34, v35, v33, s1
	s_delay_alu instid0(VALU_DEP_2) | instskip(NEXT) | instid1(VALU_DEP_2)
	v_cndmask_b32_e64 v35, v32, v33, s1
	v_cndmask_b32_e64 v32, v34, v31, s0
	s_delay_alu instid0(VALU_DEP_2) | instskip(NEXT) | instid1(VALU_DEP_2)
	v_cndmask_b32_e64 v31, v35, v31, s0
	v_cmp_class_f32_e64 s1, v32, 0x1f8
	s_delay_alu instid0(VALU_DEP_2)
	v_cmp_neq_f32_e64 s0, v32, v31
	s_or_b32 s0, s0, s1
	s_wait_alu 0xfffe
	s_and_saveexec_b32 s1, s0
	s_cbranch_execz .LBB479_83
; %bb.82:
	v_sub_f32_e32 v32, v32, v31
	s_delay_alu instid0(VALU_DEP_1) | instskip(NEXT) | instid1(VALU_DEP_1)
	v_mul_f32_e32 v33, 0x3fb8aa3b, v32
	v_fma_f32 v34, 0x3fb8aa3b, v32, -v33
	v_rndne_f32_e32 v35, v33
	s_delay_alu instid0(VALU_DEP_1) | instskip(NEXT) | instid1(VALU_DEP_1)
	v_dual_fmamk_f32 v34, v32, 0x32a5705f, v34 :: v_dual_sub_f32 v33, v33, v35
	v_add_f32_e32 v33, v33, v34
	v_cvt_i32_f32_e32 v34, v35
	v_cmp_ngt_f32_e64 s0, 0xc2ce8ed0, v32
	s_delay_alu instid0(VALU_DEP_3) | instskip(NEXT) | instid1(TRANS32_DEP_1)
	v_exp_f32_e32 v33, v33
	v_ldexp_f32 v33, v33, v34
	s_wait_alu 0xf1ff
	s_delay_alu instid0(VALU_DEP_1) | instskip(SKIP_2) | instid1(VALU_DEP_1)
	v_cndmask_b32_e64 v33, 0, v33, s0
	v_cmp_nlt_f32_e64 s0, 0x42b17218, v32
	s_wait_alu 0xf1ff
	v_cndmask_b32_e64 v34, 0x7f800000, v33, s0
	s_delay_alu instid0(VALU_DEP_1) | instskip(NEXT) | instid1(VALU_DEP_1)
	v_add_f32_e32 v35, 1.0, v34
	v_cvt_f64_f32_e32 v[32:33], v35
	s_delay_alu instid0(VALU_DEP_1) | instskip(SKIP_1) | instid1(VALU_DEP_1)
	v_frexp_exp_i32_f64_e32 v32, v[32:33]
	v_frexp_mant_f32_e32 v33, v35
	v_cmp_gt_f32_e64 s0, 0x3f2aaaab, v33
	v_add_f32_e32 v33, -1.0, v35
	s_delay_alu instid0(VALU_DEP_1) | instskip(SKIP_1) | instid1(VALU_DEP_3)
	v_sub_f32_e32 v37, v33, v35
	s_wait_alu 0xf1ff
	v_subrev_co_ci_u32_e64 v32, null, 0, v32, s0
	s_mov_b32 s0, 0x3e9b6dac
	v_sub_nc_u32_e32 v36, 0, v32
	v_cvt_f32_i32_e32 v32, v32
	s_delay_alu instid0(VALU_DEP_2) | instskip(NEXT) | instid1(VALU_DEP_1)
	v_ldexp_f32 v35, v35, v36
	v_dual_sub_f32 v33, v34, v33 :: v_dual_add_f32 v38, 1.0, v35
	v_add_f32_e32 v37, 1.0, v37
	s_delay_alu instid0(VALU_DEP_1) | instskip(NEXT) | instid1(VALU_DEP_3)
	v_add_f32_e32 v33, v33, v37
	v_add_f32_e32 v37, -1.0, v38
	s_delay_alu instid0(VALU_DEP_2) | instskip(NEXT) | instid1(VALU_DEP_2)
	v_ldexp_f32 v33, v33, v36
	v_dual_add_f32 v36, -1.0, v35 :: v_dual_sub_f32 v37, v35, v37
	s_delay_alu instid0(VALU_DEP_1) | instskip(NEXT) | instid1(VALU_DEP_2)
	v_add_f32_e32 v39, 1.0, v36
	v_add_f32_e32 v37, v33, v37
	s_delay_alu instid0(VALU_DEP_2) | instskip(NEXT) | instid1(VALU_DEP_2)
	v_sub_f32_e32 v35, v35, v39
	v_add_f32_e32 v39, v38, v37
	s_delay_alu instid0(VALU_DEP_2) | instskip(NEXT) | instid1(VALU_DEP_2)
	v_add_f32_e32 v33, v33, v35
	v_rcp_f32_e32 v35, v39
	v_sub_f32_e32 v38, v38, v39
	s_delay_alu instid0(VALU_DEP_1) | instskip(NEXT) | instid1(VALU_DEP_1)
	v_dual_add_f32 v40, v36, v33 :: v_dual_add_f32 v37, v37, v38
	v_sub_f32_e32 v36, v36, v40
	s_delay_alu instid0(TRANS32_DEP_1) | instskip(NEXT) | instid1(VALU_DEP_1)
	v_mul_f32_e32 v41, v40, v35
	v_dual_add_f32 v33, v33, v36 :: v_dual_mul_f32 v42, v39, v41
	s_delay_alu instid0(VALU_DEP_1) | instskip(NEXT) | instid1(VALU_DEP_1)
	v_fma_f32 v38, v41, v39, -v42
	v_fmac_f32_e32 v38, v41, v37
	s_delay_alu instid0(VALU_DEP_1) | instskip(NEXT) | instid1(VALU_DEP_1)
	v_add_f32_e32 v43, v42, v38
	v_sub_f32_e32 v44, v40, v43
	v_sub_f32_e32 v36, v43, v42
	s_delay_alu instid0(VALU_DEP_2) | instskip(NEXT) | instid1(VALU_DEP_2)
	v_sub_f32_e32 v40, v40, v44
	v_sub_f32_e32 v36, v36, v38
	s_delay_alu instid0(VALU_DEP_2) | instskip(NEXT) | instid1(VALU_DEP_1)
	v_sub_f32_e32 v40, v40, v43
	v_add_f32_e32 v33, v33, v40
	s_delay_alu instid0(VALU_DEP_1) | instskip(NEXT) | instid1(VALU_DEP_1)
	v_add_f32_e32 v33, v36, v33
	v_add_f32_e32 v36, v44, v33
	s_delay_alu instid0(VALU_DEP_1) | instskip(NEXT) | instid1(VALU_DEP_1)
	v_mul_f32_e32 v38, v35, v36
	v_dual_sub_f32 v43, v44, v36 :: v_dual_mul_f32 v40, v39, v38
	s_delay_alu instid0(VALU_DEP_1) | instskip(NEXT) | instid1(VALU_DEP_2)
	v_add_f32_e32 v33, v33, v43
	v_fma_f32 v39, v38, v39, -v40
	s_delay_alu instid0(VALU_DEP_1) | instskip(NEXT) | instid1(VALU_DEP_1)
	v_fmac_f32_e32 v39, v38, v37
	v_add_f32_e32 v37, v40, v39
	s_delay_alu instid0(VALU_DEP_1) | instskip(SKIP_1) | instid1(VALU_DEP_2)
	v_sub_f32_e32 v42, v36, v37
	v_sub_f32_e32 v40, v37, v40
	;; [unrolled: 1-line block ×3, first 2 shown]
	s_delay_alu instid0(VALU_DEP_1) | instskip(NEXT) | instid1(VALU_DEP_3)
	v_sub_f32_e32 v36, v36, v37
	v_sub_f32_e32 v37, v40, v39
	s_delay_alu instid0(VALU_DEP_2) | instskip(SKIP_1) | instid1(VALU_DEP_2)
	v_add_f32_e32 v33, v33, v36
	v_add_f32_e32 v36, v41, v38
	;; [unrolled: 1-line block ×3, first 2 shown]
	s_delay_alu instid0(VALU_DEP_2) | instskip(NEXT) | instid1(VALU_DEP_2)
	v_sub_f32_e32 v37, v36, v41
	v_add_f32_e32 v33, v42, v33
	s_delay_alu instid0(VALU_DEP_2) | instskip(NEXT) | instid1(VALU_DEP_2)
	v_sub_f32_e32 v37, v38, v37
	v_mul_f32_e32 v33, v35, v33
	s_delay_alu instid0(VALU_DEP_1) | instskip(NEXT) | instid1(VALU_DEP_1)
	v_add_f32_e32 v33, v37, v33
	v_add_f32_e32 v35, v36, v33
	s_delay_alu instid0(VALU_DEP_1) | instskip(SKIP_1) | instid1(VALU_DEP_1)
	v_mul_f32_e32 v37, v35, v35
	s_wait_alu 0xfffe
	v_fmaak_f32 v38, s0, v37, 0x3ecc95a3
	v_mul_f32_e32 v39, v35, v37
	v_cmp_neq_f32_e64 s0, 0x7f800000, v34
	s_delay_alu instid0(VALU_DEP_3) | instskip(SKIP_2) | instid1(VALU_DEP_3)
	v_fmaak_f32 v37, v37, v38, 0x3f2aaada
	v_ldexp_f32 v38, v35, 1
	v_sub_f32_e32 v35, v35, v36
	v_mul_f32_e32 v37, v39, v37
	v_mul_f32_e32 v39, 0x3f317218, v32
	s_delay_alu instid0(VALU_DEP_2) | instskip(NEXT) | instid1(VALU_DEP_1)
	v_dual_sub_f32 v33, v33, v35 :: v_dual_add_f32 v36, v38, v37
	v_ldexp_f32 v33, v33, 1
	s_delay_alu instid0(VALU_DEP_2) | instskip(NEXT) | instid1(VALU_DEP_4)
	v_sub_f32_e32 v35, v36, v38
	v_fma_f32 v38, 0x3f317218, v32, -v39
	s_delay_alu instid0(VALU_DEP_1) | instskip(NEXT) | instid1(VALU_DEP_1)
	v_dual_sub_f32 v35, v37, v35 :: v_dual_fmamk_f32 v32, v32, 0xb102e308, v38
	v_add_f32_e32 v33, v33, v35
	s_delay_alu instid0(VALU_DEP_2) | instskip(NEXT) | instid1(VALU_DEP_2)
	v_add_f32_e32 v35, v39, v32
	v_add_f32_e32 v37, v36, v33
	s_delay_alu instid0(VALU_DEP_2) | instskip(NEXT) | instid1(VALU_DEP_2)
	v_sub_f32_e32 v39, v35, v39
	v_add_f32_e32 v38, v35, v37
	v_sub_f32_e32 v36, v37, v36
	s_delay_alu instid0(VALU_DEP_3) | instskip(NEXT) | instid1(VALU_DEP_2)
	v_sub_f32_e32 v32, v32, v39
	v_dual_sub_f32 v40, v38, v35 :: v_dual_sub_f32 v33, v33, v36
	s_delay_alu instid0(VALU_DEP_1) | instskip(NEXT) | instid1(VALU_DEP_2)
	v_sub_f32_e32 v41, v38, v40
	v_dual_sub_f32 v36, v37, v40 :: v_dual_add_f32 v37, v32, v33
	s_delay_alu instid0(VALU_DEP_2) | instskip(NEXT) | instid1(VALU_DEP_1)
	v_sub_f32_e32 v35, v35, v41
	v_dual_add_f32 v35, v36, v35 :: v_dual_sub_f32 v36, v37, v32
	s_delay_alu instid0(VALU_DEP_1) | instskip(NEXT) | instid1(VALU_DEP_2)
	v_add_f32_e32 v35, v37, v35
	v_sub_f32_e32 v37, v37, v36
	v_sub_f32_e32 v33, v33, v36
	s_delay_alu instid0(VALU_DEP_2) | instskip(NEXT) | instid1(VALU_DEP_1)
	v_dual_add_f32 v39, v38, v35 :: v_dual_sub_f32 v32, v32, v37
	v_sub_f32_e32 v36, v39, v38
	s_delay_alu instid0(VALU_DEP_2) | instskip(NEXT) | instid1(VALU_DEP_2)
	v_add_f32_e32 v32, v33, v32
	v_sub_f32_e32 v33, v35, v36
	s_delay_alu instid0(VALU_DEP_1) | instskip(NEXT) | instid1(VALU_DEP_1)
	v_add_f32_e32 v32, v32, v33
	v_add_f32_e32 v32, v39, v32
	s_wait_alu 0xf1ff
	s_delay_alu instid0(VALU_DEP_1) | instskip(SKIP_2) | instid1(VALU_DEP_1)
	v_cndmask_b32_e64 v32, 0x7f800000, v32, s0
	v_cmp_gt_f32_e64 s0, 0x33800000, |v34|
	s_wait_alu 0xf1ff
	v_cndmask_b32_e64 v32, v32, v34, s0
	s_delay_alu instid0(VALU_DEP_1)
	v_add_f32_e32 v33, v31, v32
.LBB479_83:
	s_wait_alu 0xfffe
	s_or_b32 exec_lo, exec_lo, s1
	s_delay_alu instid0(VALU_DEP_1) | instskip(SKIP_1) | instid1(VALU_DEP_2)
	v_bfe_u32 v31, v33, 16, 1
	v_cmp_o_f32_e64 s0, v33, v33
	; wave barrier
	v_add3_u32 v31, v33, v31, 0x7fff
	s_delay_alu instid0(VALU_DEP_1) | instskip(SKIP_1) | instid1(VALU_DEP_1)
	v_lshrrev_b32_e32 v31, 16, v31
	s_wait_alu 0xf1ff
	v_cndmask_b32_e64 v31, 0x7fc0, v31, s0
	v_cmp_eq_u32_e64 s0, 0, v0
	s_wait_alu 0xf1ff
	s_delay_alu instid0(VALU_DEP_1)
	v_cndmask_b32_e64 v30, v31, v30, s0
	ds_store_b16 v29, v30
	; wave barrier
	ds_load_u16 v32, v29 offset:2
	v_lshlrev_b32_e32 v31, 16, v30
	s_wait_dscnt 0x0
	v_lshlrev_b32_e32 v30, 16, v32
	s_delay_alu instid0(VALU_DEP_1) | instskip(NEXT) | instid1(VALU_DEP_1)
	v_dual_max_num_f32 v32, v31, v31 :: v_dual_max_num_f32 v33, v30, v30
	v_min_num_f32_e32 v34, v32, v33
	v_max_num_f32_e32 v32, v32, v33
	v_cmp_u_f32_e64 s0, v31, v31
	s_wait_alu 0xf1ff
	s_delay_alu instid0(VALU_DEP_1) | instskip(NEXT) | instid1(VALU_DEP_3)
	v_cndmask_b32_e64 v33, v34, v31, s0
	v_cndmask_b32_e64 v34, v32, v31, s0
	v_cmp_u_f32_e64 s0, v30, v30
	s_wait_alu 0xf1ff
	s_delay_alu instid0(VALU_DEP_1) | instskip(NEXT) | instid1(VALU_DEP_3)
	v_cndmask_b32_e64 v32, v33, v30, s0
	v_cndmask_b32_e64 v30, v34, v30, s0
	s_delay_alu instid0(VALU_DEP_2) | instskip(NEXT) | instid1(VALU_DEP_2)
	v_cmp_class_f32_e64 s1, v32, 0x1f8
	v_cmp_neq_f32_e64 s0, v32, v30
	s_or_b32 s0, s0, s1
	s_wait_alu 0xfffe
	s_and_saveexec_b32 s1, s0
	s_cbranch_execz .LBB479_85
; %bb.84:
	v_sub_f32_e32 v31, v32, v30
	s_delay_alu instid0(VALU_DEP_1) | instskip(SKIP_1) | instid1(VALU_DEP_2)
	v_mul_f32_e32 v32, 0x3fb8aa3b, v31
	v_cmp_ngt_f32_e64 s0, 0xc2ce8ed0, v31
	v_fma_f32 v33, 0x3fb8aa3b, v31, -v32
	v_rndne_f32_e32 v34, v32
	s_delay_alu instid0(VALU_DEP_1) | instskip(NEXT) | instid1(VALU_DEP_1)
	v_dual_fmamk_f32 v33, v31, 0x32a5705f, v33 :: v_dual_sub_f32 v32, v32, v34
	v_add_f32_e32 v32, v32, v33
	v_cvt_i32_f32_e32 v33, v34
	s_delay_alu instid0(VALU_DEP_2) | instskip(NEXT) | instid1(TRANS32_DEP_1)
	v_exp_f32_e32 v32, v32
	v_ldexp_f32 v32, v32, v33
	s_wait_alu 0xf1ff
	s_delay_alu instid0(VALU_DEP_1) | instskip(SKIP_2) | instid1(VALU_DEP_1)
	v_cndmask_b32_e64 v32, 0, v32, s0
	v_cmp_nlt_f32_e64 s0, 0x42b17218, v31
	s_wait_alu 0xf1ff
	v_cndmask_b32_e64 v33, 0x7f800000, v32, s0
	s_delay_alu instid0(VALU_DEP_1) | instskip(NEXT) | instid1(VALU_DEP_1)
	v_add_f32_e32 v34, 1.0, v33
	v_cvt_f64_f32_e32 v[31:32], v34
	s_delay_alu instid0(VALU_DEP_1) | instskip(SKIP_1) | instid1(VALU_DEP_1)
	v_frexp_exp_i32_f64_e32 v31, v[31:32]
	v_frexp_mant_f32_e32 v32, v34
	v_cmp_gt_f32_e64 s0, 0x3f2aaaab, v32
	v_add_f32_e32 v32, -1.0, v34
	s_delay_alu instid0(VALU_DEP_1)
	v_sub_f32_e32 v36, v32, v34
	v_sub_f32_e32 v32, v33, v32
	s_wait_alu 0xf1ff
	v_subrev_co_ci_u32_e64 v31, null, 0, v31, s0
	s_mov_b32 s0, 0x3e9b6dac
	v_sub_nc_u32_e32 v35, 0, v31
	v_cvt_f32_i32_e32 v31, v31
	s_delay_alu instid0(VALU_DEP_2) | instskip(NEXT) | instid1(VALU_DEP_1)
	v_ldexp_f32 v34, v34, v35
	v_dual_add_f32 v37, 1.0, v34 :: v_dual_add_f32 v36, 1.0, v36
	s_delay_alu instid0(VALU_DEP_1) | instskip(NEXT) | instid1(VALU_DEP_2)
	v_add_f32_e32 v32, v32, v36
	v_add_f32_e32 v36, -1.0, v37
	s_delay_alu instid0(VALU_DEP_2) | instskip(NEXT) | instid1(VALU_DEP_2)
	v_ldexp_f32 v32, v32, v35
	v_dual_add_f32 v35, -1.0, v34 :: v_dual_sub_f32 v36, v34, v36
	s_delay_alu instid0(VALU_DEP_1) | instskip(NEXT) | instid1(VALU_DEP_2)
	v_add_f32_e32 v38, 1.0, v35
	v_add_f32_e32 v36, v32, v36
	s_delay_alu instid0(VALU_DEP_2) | instskip(NEXT) | instid1(VALU_DEP_2)
	v_sub_f32_e32 v34, v34, v38
	v_add_f32_e32 v38, v37, v36
	s_delay_alu instid0(VALU_DEP_2) | instskip(NEXT) | instid1(VALU_DEP_2)
	v_add_f32_e32 v32, v32, v34
	v_rcp_f32_e32 v34, v38
	v_sub_f32_e32 v37, v37, v38
	s_delay_alu instid0(VALU_DEP_1) | instskip(NEXT) | instid1(VALU_DEP_1)
	v_dual_add_f32 v39, v35, v32 :: v_dual_add_f32 v36, v36, v37
	v_sub_f32_e32 v35, v35, v39
	s_delay_alu instid0(TRANS32_DEP_1) | instskip(NEXT) | instid1(VALU_DEP_1)
	v_mul_f32_e32 v40, v39, v34
	v_dual_add_f32 v32, v32, v35 :: v_dual_mul_f32 v41, v38, v40
	s_delay_alu instid0(VALU_DEP_1) | instskip(NEXT) | instid1(VALU_DEP_1)
	v_fma_f32 v37, v40, v38, -v41
	v_fmac_f32_e32 v37, v40, v36
	s_delay_alu instid0(VALU_DEP_1) | instskip(NEXT) | instid1(VALU_DEP_1)
	v_add_f32_e32 v42, v41, v37
	v_sub_f32_e32 v43, v39, v42
	v_sub_f32_e32 v35, v42, v41
	s_delay_alu instid0(VALU_DEP_2) | instskip(NEXT) | instid1(VALU_DEP_2)
	v_sub_f32_e32 v39, v39, v43
	v_sub_f32_e32 v35, v35, v37
	s_delay_alu instid0(VALU_DEP_2) | instskip(NEXT) | instid1(VALU_DEP_1)
	v_sub_f32_e32 v39, v39, v42
	v_add_f32_e32 v32, v32, v39
	s_delay_alu instid0(VALU_DEP_1) | instskip(NEXT) | instid1(VALU_DEP_1)
	v_add_f32_e32 v32, v35, v32
	v_add_f32_e32 v35, v43, v32
	s_delay_alu instid0(VALU_DEP_1) | instskip(NEXT) | instid1(VALU_DEP_1)
	v_mul_f32_e32 v37, v34, v35
	v_dual_sub_f32 v42, v43, v35 :: v_dual_mul_f32 v39, v38, v37
	s_delay_alu instid0(VALU_DEP_1) | instskip(NEXT) | instid1(VALU_DEP_2)
	v_add_f32_e32 v32, v32, v42
	v_fma_f32 v38, v37, v38, -v39
	s_delay_alu instid0(VALU_DEP_1) | instskip(NEXT) | instid1(VALU_DEP_1)
	v_fmac_f32_e32 v38, v37, v36
	v_add_f32_e32 v36, v39, v38
	s_delay_alu instid0(VALU_DEP_1) | instskip(SKIP_1) | instid1(VALU_DEP_2)
	v_sub_f32_e32 v41, v35, v36
	v_sub_f32_e32 v39, v36, v39
	;; [unrolled: 1-line block ×3, first 2 shown]
	s_delay_alu instid0(VALU_DEP_1) | instskip(NEXT) | instid1(VALU_DEP_3)
	v_sub_f32_e32 v35, v35, v36
	v_sub_f32_e32 v36, v39, v38
	s_delay_alu instid0(VALU_DEP_2) | instskip(SKIP_1) | instid1(VALU_DEP_2)
	v_add_f32_e32 v32, v32, v35
	v_add_f32_e32 v35, v40, v37
	;; [unrolled: 1-line block ×3, first 2 shown]
	s_delay_alu instid0(VALU_DEP_2) | instskip(NEXT) | instid1(VALU_DEP_2)
	v_sub_f32_e32 v36, v35, v40
	v_add_f32_e32 v32, v41, v32
	s_delay_alu instid0(VALU_DEP_2) | instskip(NEXT) | instid1(VALU_DEP_2)
	v_sub_f32_e32 v36, v37, v36
	v_mul_f32_e32 v32, v34, v32
	s_delay_alu instid0(VALU_DEP_1) | instskip(NEXT) | instid1(VALU_DEP_1)
	v_add_f32_e32 v32, v36, v32
	v_add_f32_e32 v34, v35, v32
	s_delay_alu instid0(VALU_DEP_1) | instskip(SKIP_1) | instid1(VALU_DEP_1)
	v_mul_f32_e32 v36, v34, v34
	s_wait_alu 0xfffe
	v_fmaak_f32 v37, s0, v36, 0x3ecc95a3
	v_mul_f32_e32 v38, v34, v36
	v_cmp_neq_f32_e64 s0, 0x7f800000, v33
	s_delay_alu instid0(VALU_DEP_3) | instskip(SKIP_2) | instid1(VALU_DEP_3)
	v_fmaak_f32 v36, v36, v37, 0x3f2aaada
	v_ldexp_f32 v37, v34, 1
	v_sub_f32_e32 v34, v34, v35
	v_mul_f32_e32 v36, v38, v36
	v_mul_f32_e32 v38, 0x3f317218, v31
	s_delay_alu instid0(VALU_DEP_2) | instskip(NEXT) | instid1(VALU_DEP_1)
	v_dual_sub_f32 v32, v32, v34 :: v_dual_add_f32 v35, v37, v36
	v_ldexp_f32 v32, v32, 1
	s_delay_alu instid0(VALU_DEP_2) | instskip(NEXT) | instid1(VALU_DEP_4)
	v_sub_f32_e32 v34, v35, v37
	v_fma_f32 v37, 0x3f317218, v31, -v38
	s_delay_alu instid0(VALU_DEP_1) | instskip(NEXT) | instid1(VALU_DEP_1)
	v_dual_sub_f32 v34, v36, v34 :: v_dual_fmamk_f32 v31, v31, 0xb102e308, v37
	v_add_f32_e32 v32, v32, v34
	s_delay_alu instid0(VALU_DEP_2) | instskip(NEXT) | instid1(VALU_DEP_2)
	v_add_f32_e32 v34, v38, v31
	v_add_f32_e32 v36, v35, v32
	s_delay_alu instid0(VALU_DEP_2) | instskip(NEXT) | instid1(VALU_DEP_2)
	v_sub_f32_e32 v38, v34, v38
	v_add_f32_e32 v37, v34, v36
	v_sub_f32_e32 v35, v36, v35
	s_delay_alu instid0(VALU_DEP_3) | instskip(NEXT) | instid1(VALU_DEP_2)
	v_sub_f32_e32 v31, v31, v38
	v_dual_sub_f32 v39, v37, v34 :: v_dual_sub_f32 v32, v32, v35
	s_delay_alu instid0(VALU_DEP_1) | instskip(NEXT) | instid1(VALU_DEP_2)
	v_sub_f32_e32 v40, v37, v39
	v_dual_sub_f32 v35, v36, v39 :: v_dual_add_f32 v36, v31, v32
	s_delay_alu instid0(VALU_DEP_2) | instskip(NEXT) | instid1(VALU_DEP_1)
	v_sub_f32_e32 v34, v34, v40
	v_dual_add_f32 v34, v35, v34 :: v_dual_sub_f32 v35, v36, v31
	s_delay_alu instid0(VALU_DEP_1) | instskip(NEXT) | instid1(VALU_DEP_2)
	v_add_f32_e32 v34, v36, v34
	v_sub_f32_e32 v36, v36, v35
	v_sub_f32_e32 v32, v32, v35
	s_delay_alu instid0(VALU_DEP_2) | instskip(NEXT) | instid1(VALU_DEP_1)
	v_dual_add_f32 v38, v37, v34 :: v_dual_sub_f32 v31, v31, v36
	v_sub_f32_e32 v35, v38, v37
	s_delay_alu instid0(VALU_DEP_2) | instskip(NEXT) | instid1(VALU_DEP_2)
	v_add_f32_e32 v31, v32, v31
	v_sub_f32_e32 v32, v34, v35
	s_delay_alu instid0(VALU_DEP_1) | instskip(NEXT) | instid1(VALU_DEP_1)
	v_add_f32_e32 v31, v31, v32
	v_add_f32_e32 v31, v38, v31
	s_wait_alu 0xf1ff
	s_delay_alu instid0(VALU_DEP_1) | instskip(SKIP_2) | instid1(VALU_DEP_1)
	v_cndmask_b32_e64 v31, 0x7f800000, v31, s0
	v_cmp_gt_f32_e64 s0, 0x33800000, |v33|
	s_wait_alu 0xf1ff
	v_cndmask_b32_e64 v31, v31, v33, s0
	s_delay_alu instid0(VALU_DEP_1)
	v_add_f32_e32 v31, v30, v31
.LBB479_85:
	s_wait_alu 0xfffe
	s_or_b32 exec_lo, exec_lo, s1
	s_delay_alu instid0(VALU_DEP_1) | instskip(SKIP_3) | instid1(VALU_DEP_1)
	v_bfe_u32 v30, v31, 16, 1
	ds_load_u16 v32, v29 offset:4
	v_cmp_o_f32_e64 s0, v31, v31
	v_add3_u32 v30, v31, v30, 0x7fff
	v_lshrrev_b32_e32 v30, 16, v30
	s_wait_alu 0xf1ff
	s_delay_alu instid0(VALU_DEP_1) | instskip(SKIP_3) | instid1(VALU_DEP_1)
	v_cndmask_b32_e64 v33, 0x7fc0, v30, s0
	ds_store_b16 v29, v33 offset:2
	s_wait_dscnt 0x1
	v_lshlrev_b32_e32 v30, 16, v32
	v_dual_max_num_f32 v34, v30, v30 :: v_dual_lshlrev_b32 v31, 16, v33
	s_delay_alu instid0(VALU_DEP_1) | instskip(SKIP_1) | instid1(VALU_DEP_2)
	v_max_num_f32_e32 v32, v31, v31
	v_cmp_u_f32_e64 s0, v31, v31
	v_min_num_f32_e32 v35, v32, v34
	v_max_num_f32_e32 v32, v32, v34
	s_wait_alu 0xf1ff
	s_delay_alu instid0(VALU_DEP_2) | instskip(NEXT) | instid1(VALU_DEP_2)
	v_cndmask_b32_e64 v34, v35, v31, s0
	v_cndmask_b32_e64 v35, v32, v31, s0
	v_cmp_u_f32_e64 s0, v30, v30
	s_wait_alu 0xf1ff
	s_delay_alu instid0(VALU_DEP_1) | instskip(NEXT) | instid1(VALU_DEP_3)
	v_cndmask_b32_e64 v32, v34, v30, s0
	v_cndmask_b32_e64 v30, v35, v30, s0
	s_delay_alu instid0(VALU_DEP_2) | instskip(NEXT) | instid1(VALU_DEP_2)
	v_cmp_class_f32_e64 s1, v32, 0x1f8
	v_cmp_neq_f32_e64 s0, v32, v30
	s_or_b32 s0, s0, s1
	s_wait_alu 0xfffe
	s_and_saveexec_b32 s1, s0
	s_cbranch_execz .LBB479_87
; %bb.86:
	v_sub_f32_e32 v31, v32, v30
	s_delay_alu instid0(VALU_DEP_1) | instskip(SKIP_1) | instid1(VALU_DEP_2)
	v_mul_f32_e32 v32, 0x3fb8aa3b, v31
	v_cmp_ngt_f32_e64 s0, 0xc2ce8ed0, v31
	v_fma_f32 v33, 0x3fb8aa3b, v31, -v32
	v_rndne_f32_e32 v34, v32
	s_delay_alu instid0(VALU_DEP_1) | instskip(NEXT) | instid1(VALU_DEP_1)
	v_dual_fmamk_f32 v33, v31, 0x32a5705f, v33 :: v_dual_sub_f32 v32, v32, v34
	v_add_f32_e32 v32, v32, v33
	v_cvt_i32_f32_e32 v33, v34
	s_delay_alu instid0(VALU_DEP_2) | instskip(NEXT) | instid1(TRANS32_DEP_1)
	v_exp_f32_e32 v32, v32
	v_ldexp_f32 v32, v32, v33
	s_wait_alu 0xf1ff
	s_delay_alu instid0(VALU_DEP_1) | instskip(SKIP_2) | instid1(VALU_DEP_1)
	v_cndmask_b32_e64 v32, 0, v32, s0
	v_cmp_nlt_f32_e64 s0, 0x42b17218, v31
	s_wait_alu 0xf1ff
	v_cndmask_b32_e64 v33, 0x7f800000, v32, s0
	s_delay_alu instid0(VALU_DEP_1) | instskip(NEXT) | instid1(VALU_DEP_1)
	v_add_f32_e32 v34, 1.0, v33
	v_cvt_f64_f32_e32 v[31:32], v34
	s_delay_alu instid0(VALU_DEP_1) | instskip(SKIP_1) | instid1(VALU_DEP_1)
	v_frexp_exp_i32_f64_e32 v31, v[31:32]
	v_frexp_mant_f32_e32 v32, v34
	v_cmp_gt_f32_e64 s0, 0x3f2aaaab, v32
	v_add_f32_e32 v32, -1.0, v34
	s_delay_alu instid0(VALU_DEP_1)
	v_sub_f32_e32 v36, v32, v34
	v_sub_f32_e32 v32, v33, v32
	s_wait_alu 0xf1ff
	v_subrev_co_ci_u32_e64 v31, null, 0, v31, s0
	s_mov_b32 s0, 0x3e9b6dac
	v_sub_nc_u32_e32 v35, 0, v31
	v_cvt_f32_i32_e32 v31, v31
	s_delay_alu instid0(VALU_DEP_2) | instskip(NEXT) | instid1(VALU_DEP_1)
	v_ldexp_f32 v34, v34, v35
	v_dual_add_f32 v37, 1.0, v34 :: v_dual_add_f32 v36, 1.0, v36
	s_delay_alu instid0(VALU_DEP_1) | instskip(NEXT) | instid1(VALU_DEP_2)
	v_add_f32_e32 v32, v32, v36
	v_add_f32_e32 v36, -1.0, v37
	s_delay_alu instid0(VALU_DEP_2) | instskip(NEXT) | instid1(VALU_DEP_2)
	v_ldexp_f32 v32, v32, v35
	v_dual_add_f32 v35, -1.0, v34 :: v_dual_sub_f32 v36, v34, v36
	s_delay_alu instid0(VALU_DEP_1) | instskip(NEXT) | instid1(VALU_DEP_2)
	v_add_f32_e32 v38, 1.0, v35
	v_add_f32_e32 v36, v32, v36
	s_delay_alu instid0(VALU_DEP_2) | instskip(NEXT) | instid1(VALU_DEP_2)
	v_sub_f32_e32 v34, v34, v38
	v_add_f32_e32 v38, v37, v36
	s_delay_alu instid0(VALU_DEP_2) | instskip(NEXT) | instid1(VALU_DEP_2)
	v_add_f32_e32 v32, v32, v34
	v_rcp_f32_e32 v34, v38
	v_sub_f32_e32 v37, v37, v38
	s_delay_alu instid0(VALU_DEP_1) | instskip(NEXT) | instid1(VALU_DEP_1)
	v_dual_add_f32 v39, v35, v32 :: v_dual_add_f32 v36, v36, v37
	v_sub_f32_e32 v35, v35, v39
	s_delay_alu instid0(TRANS32_DEP_1) | instskip(NEXT) | instid1(VALU_DEP_1)
	v_mul_f32_e32 v40, v39, v34
	v_dual_add_f32 v32, v32, v35 :: v_dual_mul_f32 v41, v38, v40
	s_delay_alu instid0(VALU_DEP_1) | instskip(NEXT) | instid1(VALU_DEP_1)
	v_fma_f32 v37, v40, v38, -v41
	v_fmac_f32_e32 v37, v40, v36
	s_delay_alu instid0(VALU_DEP_1) | instskip(NEXT) | instid1(VALU_DEP_1)
	v_add_f32_e32 v42, v41, v37
	v_sub_f32_e32 v43, v39, v42
	v_sub_f32_e32 v35, v42, v41
	s_delay_alu instid0(VALU_DEP_2) | instskip(NEXT) | instid1(VALU_DEP_2)
	v_sub_f32_e32 v39, v39, v43
	v_sub_f32_e32 v35, v35, v37
	s_delay_alu instid0(VALU_DEP_2) | instskip(NEXT) | instid1(VALU_DEP_1)
	v_sub_f32_e32 v39, v39, v42
	v_add_f32_e32 v32, v32, v39
	s_delay_alu instid0(VALU_DEP_1) | instskip(NEXT) | instid1(VALU_DEP_1)
	v_add_f32_e32 v32, v35, v32
	v_add_f32_e32 v35, v43, v32
	s_delay_alu instid0(VALU_DEP_1) | instskip(NEXT) | instid1(VALU_DEP_1)
	v_mul_f32_e32 v37, v34, v35
	v_dual_sub_f32 v42, v43, v35 :: v_dual_mul_f32 v39, v38, v37
	s_delay_alu instid0(VALU_DEP_1) | instskip(NEXT) | instid1(VALU_DEP_2)
	v_add_f32_e32 v32, v32, v42
	v_fma_f32 v38, v37, v38, -v39
	s_delay_alu instid0(VALU_DEP_1) | instskip(NEXT) | instid1(VALU_DEP_1)
	v_fmac_f32_e32 v38, v37, v36
	v_add_f32_e32 v36, v39, v38
	s_delay_alu instid0(VALU_DEP_1) | instskip(SKIP_1) | instid1(VALU_DEP_2)
	v_sub_f32_e32 v41, v35, v36
	v_sub_f32_e32 v39, v36, v39
	;; [unrolled: 1-line block ×3, first 2 shown]
	s_delay_alu instid0(VALU_DEP_1) | instskip(NEXT) | instid1(VALU_DEP_3)
	v_sub_f32_e32 v35, v35, v36
	v_sub_f32_e32 v36, v39, v38
	s_delay_alu instid0(VALU_DEP_2) | instskip(SKIP_1) | instid1(VALU_DEP_2)
	v_add_f32_e32 v32, v32, v35
	v_add_f32_e32 v35, v40, v37
	;; [unrolled: 1-line block ×3, first 2 shown]
	s_delay_alu instid0(VALU_DEP_2) | instskip(NEXT) | instid1(VALU_DEP_2)
	v_sub_f32_e32 v36, v35, v40
	v_add_f32_e32 v32, v41, v32
	s_delay_alu instid0(VALU_DEP_2) | instskip(NEXT) | instid1(VALU_DEP_2)
	v_sub_f32_e32 v36, v37, v36
	v_mul_f32_e32 v32, v34, v32
	s_delay_alu instid0(VALU_DEP_1) | instskip(NEXT) | instid1(VALU_DEP_1)
	v_add_f32_e32 v32, v36, v32
	v_add_f32_e32 v34, v35, v32
	s_delay_alu instid0(VALU_DEP_1) | instskip(SKIP_1) | instid1(VALU_DEP_1)
	v_mul_f32_e32 v36, v34, v34
	s_wait_alu 0xfffe
	v_fmaak_f32 v37, s0, v36, 0x3ecc95a3
	v_mul_f32_e32 v38, v34, v36
	v_cmp_neq_f32_e64 s0, 0x7f800000, v33
	s_delay_alu instid0(VALU_DEP_3) | instskip(SKIP_2) | instid1(VALU_DEP_3)
	v_fmaak_f32 v36, v36, v37, 0x3f2aaada
	v_ldexp_f32 v37, v34, 1
	v_sub_f32_e32 v34, v34, v35
	v_mul_f32_e32 v36, v38, v36
	v_mul_f32_e32 v38, 0x3f317218, v31
	s_delay_alu instid0(VALU_DEP_2) | instskip(NEXT) | instid1(VALU_DEP_1)
	v_dual_sub_f32 v32, v32, v34 :: v_dual_add_f32 v35, v37, v36
	v_ldexp_f32 v32, v32, 1
	s_delay_alu instid0(VALU_DEP_2) | instskip(NEXT) | instid1(VALU_DEP_4)
	v_sub_f32_e32 v34, v35, v37
	v_fma_f32 v37, 0x3f317218, v31, -v38
	s_delay_alu instid0(VALU_DEP_1) | instskip(NEXT) | instid1(VALU_DEP_1)
	v_dual_sub_f32 v34, v36, v34 :: v_dual_fmamk_f32 v31, v31, 0xb102e308, v37
	v_add_f32_e32 v32, v32, v34
	s_delay_alu instid0(VALU_DEP_2) | instskip(NEXT) | instid1(VALU_DEP_2)
	v_add_f32_e32 v34, v38, v31
	v_add_f32_e32 v36, v35, v32
	s_delay_alu instid0(VALU_DEP_2) | instskip(NEXT) | instid1(VALU_DEP_2)
	v_sub_f32_e32 v38, v34, v38
	v_add_f32_e32 v37, v34, v36
	v_sub_f32_e32 v35, v36, v35
	s_delay_alu instid0(VALU_DEP_3) | instskip(NEXT) | instid1(VALU_DEP_2)
	v_sub_f32_e32 v31, v31, v38
	v_dual_sub_f32 v39, v37, v34 :: v_dual_sub_f32 v32, v32, v35
	s_delay_alu instid0(VALU_DEP_1) | instskip(NEXT) | instid1(VALU_DEP_2)
	v_sub_f32_e32 v40, v37, v39
	v_dual_sub_f32 v35, v36, v39 :: v_dual_add_f32 v36, v31, v32
	s_delay_alu instid0(VALU_DEP_2) | instskip(NEXT) | instid1(VALU_DEP_1)
	v_sub_f32_e32 v34, v34, v40
	v_dual_add_f32 v34, v35, v34 :: v_dual_sub_f32 v35, v36, v31
	s_delay_alu instid0(VALU_DEP_1) | instskip(NEXT) | instid1(VALU_DEP_2)
	v_add_f32_e32 v34, v36, v34
	v_sub_f32_e32 v36, v36, v35
	v_sub_f32_e32 v32, v32, v35
	s_delay_alu instid0(VALU_DEP_2) | instskip(NEXT) | instid1(VALU_DEP_1)
	v_dual_add_f32 v38, v37, v34 :: v_dual_sub_f32 v31, v31, v36
	v_sub_f32_e32 v35, v38, v37
	s_delay_alu instid0(VALU_DEP_2) | instskip(NEXT) | instid1(VALU_DEP_2)
	v_add_f32_e32 v31, v32, v31
	v_sub_f32_e32 v32, v34, v35
	s_delay_alu instid0(VALU_DEP_1) | instskip(NEXT) | instid1(VALU_DEP_1)
	v_add_f32_e32 v31, v31, v32
	v_add_f32_e32 v31, v38, v31
	s_wait_alu 0xf1ff
	s_delay_alu instid0(VALU_DEP_1) | instskip(SKIP_2) | instid1(VALU_DEP_1)
	v_cndmask_b32_e64 v31, 0x7f800000, v31, s0
	v_cmp_gt_f32_e64 s0, 0x33800000, |v33|
	s_wait_alu 0xf1ff
	v_cndmask_b32_e64 v31, v31, v33, s0
	s_delay_alu instid0(VALU_DEP_1)
	v_add_f32_e32 v31, v30, v31
.LBB479_87:
	s_wait_alu 0xfffe
	s_or_b32 exec_lo, exec_lo, s1
	s_delay_alu instid0(VALU_DEP_1) | instskip(SKIP_3) | instid1(VALU_DEP_1)
	v_bfe_u32 v30, v31, 16, 1
	ds_load_u16 v32, v29 offset:6
	v_cmp_o_f32_e64 s0, v31, v31
	v_add3_u32 v30, v31, v30, 0x7fff
	v_lshrrev_b32_e32 v30, 16, v30
	s_wait_alu 0xf1ff
	s_delay_alu instid0(VALU_DEP_1) | instskip(SKIP_3) | instid1(VALU_DEP_1)
	v_cndmask_b32_e64 v33, 0x7fc0, v30, s0
	ds_store_b16 v29, v33 offset:4
	s_wait_dscnt 0x1
	v_lshlrev_b32_e32 v30, 16, v32
	v_dual_max_num_f32 v34, v30, v30 :: v_dual_lshlrev_b32 v31, 16, v33
	s_delay_alu instid0(VALU_DEP_1) | instskip(SKIP_1) | instid1(VALU_DEP_2)
	v_max_num_f32_e32 v32, v31, v31
	v_cmp_u_f32_e64 s0, v31, v31
	v_min_num_f32_e32 v35, v32, v34
	v_max_num_f32_e32 v32, v32, v34
	s_wait_alu 0xf1ff
	s_delay_alu instid0(VALU_DEP_2) | instskip(NEXT) | instid1(VALU_DEP_2)
	v_cndmask_b32_e64 v34, v35, v31, s0
	v_cndmask_b32_e64 v35, v32, v31, s0
	v_cmp_u_f32_e64 s0, v30, v30
	s_wait_alu 0xf1ff
	s_delay_alu instid0(VALU_DEP_1) | instskip(NEXT) | instid1(VALU_DEP_3)
	v_cndmask_b32_e64 v32, v34, v30, s0
	v_cndmask_b32_e64 v30, v35, v30, s0
	s_delay_alu instid0(VALU_DEP_2) | instskip(NEXT) | instid1(VALU_DEP_2)
	v_cmp_class_f32_e64 s1, v32, 0x1f8
	v_cmp_neq_f32_e64 s0, v32, v30
	s_or_b32 s0, s0, s1
	s_wait_alu 0xfffe
	s_and_saveexec_b32 s1, s0
	s_cbranch_execz .LBB479_89
; %bb.88:
	v_sub_f32_e32 v31, v32, v30
	s_delay_alu instid0(VALU_DEP_1) | instskip(SKIP_1) | instid1(VALU_DEP_2)
	v_mul_f32_e32 v32, 0x3fb8aa3b, v31
	v_cmp_ngt_f32_e64 s0, 0xc2ce8ed0, v31
	v_fma_f32 v33, 0x3fb8aa3b, v31, -v32
	v_rndne_f32_e32 v34, v32
	s_delay_alu instid0(VALU_DEP_1) | instskip(NEXT) | instid1(VALU_DEP_1)
	v_dual_fmamk_f32 v33, v31, 0x32a5705f, v33 :: v_dual_sub_f32 v32, v32, v34
	v_add_f32_e32 v32, v32, v33
	v_cvt_i32_f32_e32 v33, v34
	s_delay_alu instid0(VALU_DEP_2) | instskip(NEXT) | instid1(TRANS32_DEP_1)
	v_exp_f32_e32 v32, v32
	v_ldexp_f32 v32, v32, v33
	s_wait_alu 0xf1ff
	s_delay_alu instid0(VALU_DEP_1) | instskip(SKIP_2) | instid1(VALU_DEP_1)
	v_cndmask_b32_e64 v32, 0, v32, s0
	v_cmp_nlt_f32_e64 s0, 0x42b17218, v31
	s_wait_alu 0xf1ff
	v_cndmask_b32_e64 v33, 0x7f800000, v32, s0
	s_delay_alu instid0(VALU_DEP_1) | instskip(NEXT) | instid1(VALU_DEP_1)
	v_add_f32_e32 v34, 1.0, v33
	v_cvt_f64_f32_e32 v[31:32], v34
	s_delay_alu instid0(VALU_DEP_1) | instskip(SKIP_1) | instid1(VALU_DEP_1)
	v_frexp_exp_i32_f64_e32 v31, v[31:32]
	v_frexp_mant_f32_e32 v32, v34
	v_cmp_gt_f32_e64 s0, 0x3f2aaaab, v32
	v_add_f32_e32 v32, -1.0, v34
	s_delay_alu instid0(VALU_DEP_1)
	v_sub_f32_e32 v36, v32, v34
	v_sub_f32_e32 v32, v33, v32
	s_wait_alu 0xf1ff
	v_subrev_co_ci_u32_e64 v31, null, 0, v31, s0
	s_mov_b32 s0, 0x3e9b6dac
	v_sub_nc_u32_e32 v35, 0, v31
	v_cvt_f32_i32_e32 v31, v31
	s_delay_alu instid0(VALU_DEP_2) | instskip(NEXT) | instid1(VALU_DEP_1)
	v_ldexp_f32 v34, v34, v35
	v_dual_add_f32 v37, 1.0, v34 :: v_dual_add_f32 v36, 1.0, v36
	s_delay_alu instid0(VALU_DEP_1) | instskip(NEXT) | instid1(VALU_DEP_2)
	v_add_f32_e32 v32, v32, v36
	v_add_f32_e32 v36, -1.0, v37
	s_delay_alu instid0(VALU_DEP_2) | instskip(NEXT) | instid1(VALU_DEP_2)
	v_ldexp_f32 v32, v32, v35
	v_dual_add_f32 v35, -1.0, v34 :: v_dual_sub_f32 v36, v34, v36
	s_delay_alu instid0(VALU_DEP_1) | instskip(NEXT) | instid1(VALU_DEP_2)
	v_add_f32_e32 v38, 1.0, v35
	v_add_f32_e32 v36, v32, v36
	s_delay_alu instid0(VALU_DEP_2) | instskip(NEXT) | instid1(VALU_DEP_2)
	v_sub_f32_e32 v34, v34, v38
	v_add_f32_e32 v38, v37, v36
	s_delay_alu instid0(VALU_DEP_2) | instskip(NEXT) | instid1(VALU_DEP_2)
	v_add_f32_e32 v32, v32, v34
	v_rcp_f32_e32 v34, v38
	v_sub_f32_e32 v37, v37, v38
	s_delay_alu instid0(VALU_DEP_1) | instskip(NEXT) | instid1(VALU_DEP_1)
	v_dual_add_f32 v39, v35, v32 :: v_dual_add_f32 v36, v36, v37
	v_sub_f32_e32 v35, v35, v39
	s_delay_alu instid0(TRANS32_DEP_1) | instskip(NEXT) | instid1(VALU_DEP_1)
	v_mul_f32_e32 v40, v39, v34
	v_dual_add_f32 v32, v32, v35 :: v_dual_mul_f32 v41, v38, v40
	s_delay_alu instid0(VALU_DEP_1) | instskip(NEXT) | instid1(VALU_DEP_1)
	v_fma_f32 v37, v40, v38, -v41
	v_fmac_f32_e32 v37, v40, v36
	s_delay_alu instid0(VALU_DEP_1) | instskip(NEXT) | instid1(VALU_DEP_1)
	v_add_f32_e32 v42, v41, v37
	v_sub_f32_e32 v43, v39, v42
	v_sub_f32_e32 v35, v42, v41
	s_delay_alu instid0(VALU_DEP_2) | instskip(NEXT) | instid1(VALU_DEP_2)
	v_sub_f32_e32 v39, v39, v43
	v_sub_f32_e32 v35, v35, v37
	s_delay_alu instid0(VALU_DEP_2) | instskip(NEXT) | instid1(VALU_DEP_1)
	v_sub_f32_e32 v39, v39, v42
	v_add_f32_e32 v32, v32, v39
	s_delay_alu instid0(VALU_DEP_1) | instskip(NEXT) | instid1(VALU_DEP_1)
	v_add_f32_e32 v32, v35, v32
	v_add_f32_e32 v35, v43, v32
	s_delay_alu instid0(VALU_DEP_1) | instskip(NEXT) | instid1(VALU_DEP_1)
	v_mul_f32_e32 v37, v34, v35
	v_dual_sub_f32 v42, v43, v35 :: v_dual_mul_f32 v39, v38, v37
	s_delay_alu instid0(VALU_DEP_1) | instskip(NEXT) | instid1(VALU_DEP_2)
	v_add_f32_e32 v32, v32, v42
	v_fma_f32 v38, v37, v38, -v39
	s_delay_alu instid0(VALU_DEP_1) | instskip(NEXT) | instid1(VALU_DEP_1)
	v_fmac_f32_e32 v38, v37, v36
	v_add_f32_e32 v36, v39, v38
	s_delay_alu instid0(VALU_DEP_1) | instskip(SKIP_1) | instid1(VALU_DEP_2)
	v_sub_f32_e32 v41, v35, v36
	v_sub_f32_e32 v39, v36, v39
	;; [unrolled: 1-line block ×3, first 2 shown]
	s_delay_alu instid0(VALU_DEP_1) | instskip(NEXT) | instid1(VALU_DEP_3)
	v_sub_f32_e32 v35, v35, v36
	v_sub_f32_e32 v36, v39, v38
	s_delay_alu instid0(VALU_DEP_2) | instskip(SKIP_1) | instid1(VALU_DEP_2)
	v_add_f32_e32 v32, v32, v35
	v_add_f32_e32 v35, v40, v37
	;; [unrolled: 1-line block ×3, first 2 shown]
	s_delay_alu instid0(VALU_DEP_2) | instskip(NEXT) | instid1(VALU_DEP_2)
	v_sub_f32_e32 v36, v35, v40
	v_add_f32_e32 v32, v41, v32
	s_delay_alu instid0(VALU_DEP_2) | instskip(NEXT) | instid1(VALU_DEP_2)
	v_sub_f32_e32 v36, v37, v36
	v_mul_f32_e32 v32, v34, v32
	s_delay_alu instid0(VALU_DEP_1) | instskip(NEXT) | instid1(VALU_DEP_1)
	v_add_f32_e32 v32, v36, v32
	v_add_f32_e32 v34, v35, v32
	s_delay_alu instid0(VALU_DEP_1) | instskip(SKIP_1) | instid1(VALU_DEP_1)
	v_mul_f32_e32 v36, v34, v34
	s_wait_alu 0xfffe
	v_fmaak_f32 v37, s0, v36, 0x3ecc95a3
	v_mul_f32_e32 v38, v34, v36
	v_cmp_neq_f32_e64 s0, 0x7f800000, v33
	s_delay_alu instid0(VALU_DEP_3) | instskip(SKIP_2) | instid1(VALU_DEP_3)
	v_fmaak_f32 v36, v36, v37, 0x3f2aaada
	v_ldexp_f32 v37, v34, 1
	v_sub_f32_e32 v34, v34, v35
	v_mul_f32_e32 v36, v38, v36
	v_mul_f32_e32 v38, 0x3f317218, v31
	s_delay_alu instid0(VALU_DEP_2) | instskip(NEXT) | instid1(VALU_DEP_1)
	v_dual_sub_f32 v32, v32, v34 :: v_dual_add_f32 v35, v37, v36
	v_ldexp_f32 v32, v32, 1
	s_delay_alu instid0(VALU_DEP_2) | instskip(NEXT) | instid1(VALU_DEP_4)
	v_sub_f32_e32 v34, v35, v37
	v_fma_f32 v37, 0x3f317218, v31, -v38
	s_delay_alu instid0(VALU_DEP_1) | instskip(NEXT) | instid1(VALU_DEP_1)
	v_dual_sub_f32 v34, v36, v34 :: v_dual_fmamk_f32 v31, v31, 0xb102e308, v37
	v_add_f32_e32 v32, v32, v34
	s_delay_alu instid0(VALU_DEP_2) | instskip(NEXT) | instid1(VALU_DEP_2)
	v_add_f32_e32 v34, v38, v31
	v_add_f32_e32 v36, v35, v32
	s_delay_alu instid0(VALU_DEP_2) | instskip(NEXT) | instid1(VALU_DEP_2)
	v_sub_f32_e32 v38, v34, v38
	v_add_f32_e32 v37, v34, v36
	v_sub_f32_e32 v35, v36, v35
	s_delay_alu instid0(VALU_DEP_3) | instskip(NEXT) | instid1(VALU_DEP_2)
	v_sub_f32_e32 v31, v31, v38
	v_dual_sub_f32 v39, v37, v34 :: v_dual_sub_f32 v32, v32, v35
	s_delay_alu instid0(VALU_DEP_1) | instskip(NEXT) | instid1(VALU_DEP_2)
	v_sub_f32_e32 v40, v37, v39
	v_dual_sub_f32 v35, v36, v39 :: v_dual_add_f32 v36, v31, v32
	s_delay_alu instid0(VALU_DEP_2) | instskip(NEXT) | instid1(VALU_DEP_1)
	v_sub_f32_e32 v34, v34, v40
	v_dual_add_f32 v34, v35, v34 :: v_dual_sub_f32 v35, v36, v31
	s_delay_alu instid0(VALU_DEP_1) | instskip(NEXT) | instid1(VALU_DEP_2)
	v_add_f32_e32 v34, v36, v34
	v_sub_f32_e32 v36, v36, v35
	v_sub_f32_e32 v32, v32, v35
	s_delay_alu instid0(VALU_DEP_2) | instskip(NEXT) | instid1(VALU_DEP_1)
	v_dual_add_f32 v38, v37, v34 :: v_dual_sub_f32 v31, v31, v36
	v_sub_f32_e32 v35, v38, v37
	s_delay_alu instid0(VALU_DEP_2) | instskip(NEXT) | instid1(VALU_DEP_2)
	v_add_f32_e32 v31, v32, v31
	v_sub_f32_e32 v32, v34, v35
	s_delay_alu instid0(VALU_DEP_1) | instskip(NEXT) | instid1(VALU_DEP_1)
	v_add_f32_e32 v31, v31, v32
	v_add_f32_e32 v31, v38, v31
	s_wait_alu 0xf1ff
	s_delay_alu instid0(VALU_DEP_1) | instskip(SKIP_2) | instid1(VALU_DEP_1)
	v_cndmask_b32_e64 v31, 0x7f800000, v31, s0
	v_cmp_gt_f32_e64 s0, 0x33800000, |v33|
	s_wait_alu 0xf1ff
	v_cndmask_b32_e64 v31, v31, v33, s0
	s_delay_alu instid0(VALU_DEP_1)
	v_add_f32_e32 v31, v30, v31
.LBB479_89:
	s_wait_alu 0xfffe
	s_or_b32 exec_lo, exec_lo, s1
	s_delay_alu instid0(VALU_DEP_1) | instskip(SKIP_3) | instid1(VALU_DEP_1)
	v_bfe_u32 v30, v31, 16, 1
	ds_load_u16 v32, v29 offset:8
	v_cmp_o_f32_e64 s0, v31, v31
	v_add3_u32 v30, v31, v30, 0x7fff
	v_lshrrev_b32_e32 v30, 16, v30
	s_wait_alu 0xf1ff
	s_delay_alu instid0(VALU_DEP_1) | instskip(SKIP_3) | instid1(VALU_DEP_1)
	v_cndmask_b32_e64 v33, 0x7fc0, v30, s0
	ds_store_b16 v29, v33 offset:6
	s_wait_dscnt 0x1
	v_lshlrev_b32_e32 v30, 16, v32
	v_dual_max_num_f32 v34, v30, v30 :: v_dual_lshlrev_b32 v31, 16, v33
	s_delay_alu instid0(VALU_DEP_1) | instskip(SKIP_1) | instid1(VALU_DEP_2)
	v_max_num_f32_e32 v32, v31, v31
	v_cmp_u_f32_e64 s0, v31, v31
	v_min_num_f32_e32 v35, v32, v34
	v_max_num_f32_e32 v32, v32, v34
	s_wait_alu 0xf1ff
	s_delay_alu instid0(VALU_DEP_2) | instskip(NEXT) | instid1(VALU_DEP_2)
	v_cndmask_b32_e64 v34, v35, v31, s0
	v_cndmask_b32_e64 v35, v32, v31, s0
	v_cmp_u_f32_e64 s0, v30, v30
	s_wait_alu 0xf1ff
	s_delay_alu instid0(VALU_DEP_1) | instskip(NEXT) | instid1(VALU_DEP_3)
	v_cndmask_b32_e64 v32, v34, v30, s0
	v_cndmask_b32_e64 v30, v35, v30, s0
	s_delay_alu instid0(VALU_DEP_2) | instskip(NEXT) | instid1(VALU_DEP_2)
	v_cmp_class_f32_e64 s1, v32, 0x1f8
	v_cmp_neq_f32_e64 s0, v32, v30
	s_or_b32 s0, s0, s1
	s_wait_alu 0xfffe
	s_and_saveexec_b32 s1, s0
	s_cbranch_execz .LBB479_91
; %bb.90:
	v_sub_f32_e32 v31, v32, v30
	s_delay_alu instid0(VALU_DEP_1) | instskip(SKIP_1) | instid1(VALU_DEP_2)
	v_mul_f32_e32 v32, 0x3fb8aa3b, v31
	v_cmp_ngt_f32_e64 s0, 0xc2ce8ed0, v31
	v_fma_f32 v33, 0x3fb8aa3b, v31, -v32
	v_rndne_f32_e32 v34, v32
	s_delay_alu instid0(VALU_DEP_1) | instskip(NEXT) | instid1(VALU_DEP_1)
	v_dual_fmamk_f32 v33, v31, 0x32a5705f, v33 :: v_dual_sub_f32 v32, v32, v34
	v_add_f32_e32 v32, v32, v33
	v_cvt_i32_f32_e32 v33, v34
	s_delay_alu instid0(VALU_DEP_2) | instskip(NEXT) | instid1(TRANS32_DEP_1)
	v_exp_f32_e32 v32, v32
	v_ldexp_f32 v32, v32, v33
	s_wait_alu 0xf1ff
	s_delay_alu instid0(VALU_DEP_1) | instskip(SKIP_2) | instid1(VALU_DEP_1)
	v_cndmask_b32_e64 v32, 0, v32, s0
	v_cmp_nlt_f32_e64 s0, 0x42b17218, v31
	s_wait_alu 0xf1ff
	v_cndmask_b32_e64 v33, 0x7f800000, v32, s0
	s_delay_alu instid0(VALU_DEP_1) | instskip(NEXT) | instid1(VALU_DEP_1)
	v_add_f32_e32 v34, 1.0, v33
	v_cvt_f64_f32_e32 v[31:32], v34
	s_delay_alu instid0(VALU_DEP_1) | instskip(SKIP_1) | instid1(VALU_DEP_1)
	v_frexp_exp_i32_f64_e32 v31, v[31:32]
	v_frexp_mant_f32_e32 v32, v34
	v_cmp_gt_f32_e64 s0, 0x3f2aaaab, v32
	v_add_f32_e32 v32, -1.0, v34
	s_delay_alu instid0(VALU_DEP_1)
	v_sub_f32_e32 v36, v32, v34
	v_sub_f32_e32 v32, v33, v32
	s_wait_alu 0xf1ff
	v_subrev_co_ci_u32_e64 v31, null, 0, v31, s0
	s_mov_b32 s0, 0x3e9b6dac
	v_sub_nc_u32_e32 v35, 0, v31
	v_cvt_f32_i32_e32 v31, v31
	s_delay_alu instid0(VALU_DEP_2) | instskip(NEXT) | instid1(VALU_DEP_1)
	v_ldexp_f32 v34, v34, v35
	v_dual_add_f32 v37, 1.0, v34 :: v_dual_add_f32 v36, 1.0, v36
	s_delay_alu instid0(VALU_DEP_1) | instskip(NEXT) | instid1(VALU_DEP_2)
	v_add_f32_e32 v32, v32, v36
	v_add_f32_e32 v36, -1.0, v37
	s_delay_alu instid0(VALU_DEP_2) | instskip(NEXT) | instid1(VALU_DEP_2)
	v_ldexp_f32 v32, v32, v35
	v_dual_add_f32 v35, -1.0, v34 :: v_dual_sub_f32 v36, v34, v36
	s_delay_alu instid0(VALU_DEP_1) | instskip(NEXT) | instid1(VALU_DEP_2)
	v_add_f32_e32 v38, 1.0, v35
	v_add_f32_e32 v36, v32, v36
	s_delay_alu instid0(VALU_DEP_2) | instskip(NEXT) | instid1(VALU_DEP_2)
	v_sub_f32_e32 v34, v34, v38
	v_add_f32_e32 v38, v37, v36
	s_delay_alu instid0(VALU_DEP_2) | instskip(NEXT) | instid1(VALU_DEP_2)
	v_add_f32_e32 v32, v32, v34
	v_rcp_f32_e32 v34, v38
	v_sub_f32_e32 v37, v37, v38
	s_delay_alu instid0(VALU_DEP_1) | instskip(NEXT) | instid1(VALU_DEP_1)
	v_dual_add_f32 v39, v35, v32 :: v_dual_add_f32 v36, v36, v37
	v_sub_f32_e32 v35, v35, v39
	s_delay_alu instid0(TRANS32_DEP_1) | instskip(NEXT) | instid1(VALU_DEP_1)
	v_mul_f32_e32 v40, v39, v34
	v_dual_add_f32 v32, v32, v35 :: v_dual_mul_f32 v41, v38, v40
	s_delay_alu instid0(VALU_DEP_1) | instskip(NEXT) | instid1(VALU_DEP_1)
	v_fma_f32 v37, v40, v38, -v41
	v_fmac_f32_e32 v37, v40, v36
	s_delay_alu instid0(VALU_DEP_1) | instskip(NEXT) | instid1(VALU_DEP_1)
	v_add_f32_e32 v42, v41, v37
	v_sub_f32_e32 v43, v39, v42
	v_sub_f32_e32 v35, v42, v41
	s_delay_alu instid0(VALU_DEP_2) | instskip(NEXT) | instid1(VALU_DEP_2)
	v_sub_f32_e32 v39, v39, v43
	v_sub_f32_e32 v35, v35, v37
	s_delay_alu instid0(VALU_DEP_2) | instskip(NEXT) | instid1(VALU_DEP_1)
	v_sub_f32_e32 v39, v39, v42
	v_add_f32_e32 v32, v32, v39
	s_delay_alu instid0(VALU_DEP_1) | instskip(NEXT) | instid1(VALU_DEP_1)
	v_add_f32_e32 v32, v35, v32
	v_add_f32_e32 v35, v43, v32
	s_delay_alu instid0(VALU_DEP_1) | instskip(NEXT) | instid1(VALU_DEP_1)
	v_mul_f32_e32 v37, v34, v35
	v_dual_sub_f32 v42, v43, v35 :: v_dual_mul_f32 v39, v38, v37
	s_delay_alu instid0(VALU_DEP_1) | instskip(NEXT) | instid1(VALU_DEP_2)
	v_add_f32_e32 v32, v32, v42
	v_fma_f32 v38, v37, v38, -v39
	s_delay_alu instid0(VALU_DEP_1) | instskip(NEXT) | instid1(VALU_DEP_1)
	v_fmac_f32_e32 v38, v37, v36
	v_add_f32_e32 v36, v39, v38
	s_delay_alu instid0(VALU_DEP_1) | instskip(SKIP_1) | instid1(VALU_DEP_2)
	v_sub_f32_e32 v41, v35, v36
	v_sub_f32_e32 v39, v36, v39
	;; [unrolled: 1-line block ×3, first 2 shown]
	s_delay_alu instid0(VALU_DEP_1) | instskip(NEXT) | instid1(VALU_DEP_3)
	v_sub_f32_e32 v35, v35, v36
	v_sub_f32_e32 v36, v39, v38
	s_delay_alu instid0(VALU_DEP_2) | instskip(SKIP_1) | instid1(VALU_DEP_2)
	v_add_f32_e32 v32, v32, v35
	v_add_f32_e32 v35, v40, v37
	;; [unrolled: 1-line block ×3, first 2 shown]
	s_delay_alu instid0(VALU_DEP_2) | instskip(NEXT) | instid1(VALU_DEP_2)
	v_sub_f32_e32 v36, v35, v40
	v_add_f32_e32 v32, v41, v32
	s_delay_alu instid0(VALU_DEP_2) | instskip(NEXT) | instid1(VALU_DEP_2)
	v_sub_f32_e32 v36, v37, v36
	v_mul_f32_e32 v32, v34, v32
	s_delay_alu instid0(VALU_DEP_1) | instskip(NEXT) | instid1(VALU_DEP_1)
	v_add_f32_e32 v32, v36, v32
	v_add_f32_e32 v34, v35, v32
	s_delay_alu instid0(VALU_DEP_1) | instskip(SKIP_1) | instid1(VALU_DEP_1)
	v_mul_f32_e32 v36, v34, v34
	s_wait_alu 0xfffe
	v_fmaak_f32 v37, s0, v36, 0x3ecc95a3
	v_mul_f32_e32 v38, v34, v36
	v_cmp_neq_f32_e64 s0, 0x7f800000, v33
	s_delay_alu instid0(VALU_DEP_3) | instskip(SKIP_2) | instid1(VALU_DEP_3)
	v_fmaak_f32 v36, v36, v37, 0x3f2aaada
	v_ldexp_f32 v37, v34, 1
	v_sub_f32_e32 v34, v34, v35
	v_mul_f32_e32 v36, v38, v36
	v_mul_f32_e32 v38, 0x3f317218, v31
	s_delay_alu instid0(VALU_DEP_2) | instskip(NEXT) | instid1(VALU_DEP_1)
	v_dual_sub_f32 v32, v32, v34 :: v_dual_add_f32 v35, v37, v36
	v_ldexp_f32 v32, v32, 1
	s_delay_alu instid0(VALU_DEP_2) | instskip(NEXT) | instid1(VALU_DEP_4)
	v_sub_f32_e32 v34, v35, v37
	v_fma_f32 v37, 0x3f317218, v31, -v38
	s_delay_alu instid0(VALU_DEP_1) | instskip(NEXT) | instid1(VALU_DEP_1)
	v_dual_sub_f32 v34, v36, v34 :: v_dual_fmamk_f32 v31, v31, 0xb102e308, v37
	v_add_f32_e32 v32, v32, v34
	s_delay_alu instid0(VALU_DEP_2) | instskip(NEXT) | instid1(VALU_DEP_2)
	v_add_f32_e32 v34, v38, v31
	v_add_f32_e32 v36, v35, v32
	s_delay_alu instid0(VALU_DEP_2) | instskip(NEXT) | instid1(VALU_DEP_2)
	v_sub_f32_e32 v38, v34, v38
	v_add_f32_e32 v37, v34, v36
	v_sub_f32_e32 v35, v36, v35
	s_delay_alu instid0(VALU_DEP_3) | instskip(NEXT) | instid1(VALU_DEP_2)
	v_sub_f32_e32 v31, v31, v38
	v_dual_sub_f32 v39, v37, v34 :: v_dual_sub_f32 v32, v32, v35
	s_delay_alu instid0(VALU_DEP_1) | instskip(NEXT) | instid1(VALU_DEP_2)
	v_sub_f32_e32 v40, v37, v39
	v_dual_sub_f32 v35, v36, v39 :: v_dual_add_f32 v36, v31, v32
	s_delay_alu instid0(VALU_DEP_2) | instskip(NEXT) | instid1(VALU_DEP_1)
	v_sub_f32_e32 v34, v34, v40
	v_dual_add_f32 v34, v35, v34 :: v_dual_sub_f32 v35, v36, v31
	s_delay_alu instid0(VALU_DEP_1) | instskip(NEXT) | instid1(VALU_DEP_2)
	v_add_f32_e32 v34, v36, v34
	v_sub_f32_e32 v36, v36, v35
	v_sub_f32_e32 v32, v32, v35
	s_delay_alu instid0(VALU_DEP_2) | instskip(NEXT) | instid1(VALU_DEP_1)
	v_dual_add_f32 v38, v37, v34 :: v_dual_sub_f32 v31, v31, v36
	v_sub_f32_e32 v35, v38, v37
	s_delay_alu instid0(VALU_DEP_2) | instskip(NEXT) | instid1(VALU_DEP_2)
	v_add_f32_e32 v31, v32, v31
	v_sub_f32_e32 v32, v34, v35
	s_delay_alu instid0(VALU_DEP_1) | instskip(NEXT) | instid1(VALU_DEP_1)
	v_add_f32_e32 v31, v31, v32
	v_add_f32_e32 v31, v38, v31
	s_wait_alu 0xf1ff
	s_delay_alu instid0(VALU_DEP_1) | instskip(SKIP_2) | instid1(VALU_DEP_1)
	v_cndmask_b32_e64 v31, 0x7f800000, v31, s0
	v_cmp_gt_f32_e64 s0, 0x33800000, |v33|
	s_wait_alu 0xf1ff
	v_cndmask_b32_e64 v31, v31, v33, s0
	s_delay_alu instid0(VALU_DEP_1)
	v_add_f32_e32 v31, v30, v31
.LBB479_91:
	s_wait_alu 0xfffe
	s_or_b32 exec_lo, exec_lo, s1
	s_delay_alu instid0(VALU_DEP_1) | instskip(SKIP_3) | instid1(VALU_DEP_1)
	v_bfe_u32 v30, v31, 16, 1
	ds_load_u16 v32, v29 offset:10
	v_cmp_o_f32_e64 s0, v31, v31
	v_add3_u32 v30, v31, v30, 0x7fff
	v_lshrrev_b32_e32 v30, 16, v30
	s_wait_alu 0xf1ff
	s_delay_alu instid0(VALU_DEP_1) | instskip(SKIP_3) | instid1(VALU_DEP_1)
	v_cndmask_b32_e64 v33, 0x7fc0, v30, s0
	ds_store_b16 v29, v33 offset:8
	s_wait_dscnt 0x1
	v_lshlrev_b32_e32 v30, 16, v32
	v_dual_max_num_f32 v34, v30, v30 :: v_dual_lshlrev_b32 v31, 16, v33
	s_delay_alu instid0(VALU_DEP_1) | instskip(SKIP_1) | instid1(VALU_DEP_2)
	v_max_num_f32_e32 v32, v31, v31
	v_cmp_u_f32_e64 s0, v31, v31
	v_min_num_f32_e32 v35, v32, v34
	v_max_num_f32_e32 v32, v32, v34
	s_wait_alu 0xf1ff
	s_delay_alu instid0(VALU_DEP_2) | instskip(NEXT) | instid1(VALU_DEP_2)
	v_cndmask_b32_e64 v34, v35, v31, s0
	v_cndmask_b32_e64 v35, v32, v31, s0
	v_cmp_u_f32_e64 s0, v30, v30
	s_wait_alu 0xf1ff
	s_delay_alu instid0(VALU_DEP_1) | instskip(NEXT) | instid1(VALU_DEP_3)
	v_cndmask_b32_e64 v32, v34, v30, s0
	v_cndmask_b32_e64 v30, v35, v30, s0
	s_delay_alu instid0(VALU_DEP_2) | instskip(NEXT) | instid1(VALU_DEP_2)
	v_cmp_class_f32_e64 s1, v32, 0x1f8
	v_cmp_neq_f32_e64 s0, v32, v30
	s_or_b32 s0, s0, s1
	s_wait_alu 0xfffe
	s_and_saveexec_b32 s1, s0
	s_cbranch_execz .LBB479_93
; %bb.92:
	v_sub_f32_e32 v31, v32, v30
	s_delay_alu instid0(VALU_DEP_1) | instskip(SKIP_1) | instid1(VALU_DEP_2)
	v_mul_f32_e32 v32, 0x3fb8aa3b, v31
	v_cmp_ngt_f32_e64 s0, 0xc2ce8ed0, v31
	v_fma_f32 v33, 0x3fb8aa3b, v31, -v32
	v_rndne_f32_e32 v34, v32
	s_delay_alu instid0(VALU_DEP_1) | instskip(NEXT) | instid1(VALU_DEP_1)
	v_dual_fmamk_f32 v33, v31, 0x32a5705f, v33 :: v_dual_sub_f32 v32, v32, v34
	v_add_f32_e32 v32, v32, v33
	v_cvt_i32_f32_e32 v33, v34
	s_delay_alu instid0(VALU_DEP_2) | instskip(NEXT) | instid1(TRANS32_DEP_1)
	v_exp_f32_e32 v32, v32
	v_ldexp_f32 v32, v32, v33
	s_wait_alu 0xf1ff
	s_delay_alu instid0(VALU_DEP_1) | instskip(SKIP_2) | instid1(VALU_DEP_1)
	v_cndmask_b32_e64 v32, 0, v32, s0
	v_cmp_nlt_f32_e64 s0, 0x42b17218, v31
	s_wait_alu 0xf1ff
	v_cndmask_b32_e64 v33, 0x7f800000, v32, s0
	s_delay_alu instid0(VALU_DEP_1) | instskip(NEXT) | instid1(VALU_DEP_1)
	v_add_f32_e32 v34, 1.0, v33
	v_cvt_f64_f32_e32 v[31:32], v34
	s_delay_alu instid0(VALU_DEP_1) | instskip(SKIP_1) | instid1(VALU_DEP_1)
	v_frexp_exp_i32_f64_e32 v31, v[31:32]
	v_frexp_mant_f32_e32 v32, v34
	v_cmp_gt_f32_e64 s0, 0x3f2aaaab, v32
	v_add_f32_e32 v32, -1.0, v34
	s_delay_alu instid0(VALU_DEP_1)
	v_sub_f32_e32 v36, v32, v34
	v_sub_f32_e32 v32, v33, v32
	s_wait_alu 0xf1ff
	v_subrev_co_ci_u32_e64 v31, null, 0, v31, s0
	s_mov_b32 s0, 0x3e9b6dac
	v_sub_nc_u32_e32 v35, 0, v31
	v_cvt_f32_i32_e32 v31, v31
	s_delay_alu instid0(VALU_DEP_2) | instskip(NEXT) | instid1(VALU_DEP_1)
	v_ldexp_f32 v34, v34, v35
	v_dual_add_f32 v37, 1.0, v34 :: v_dual_add_f32 v36, 1.0, v36
	s_delay_alu instid0(VALU_DEP_1) | instskip(NEXT) | instid1(VALU_DEP_2)
	v_add_f32_e32 v32, v32, v36
	v_add_f32_e32 v36, -1.0, v37
	s_delay_alu instid0(VALU_DEP_2) | instskip(NEXT) | instid1(VALU_DEP_2)
	v_ldexp_f32 v32, v32, v35
	v_dual_add_f32 v35, -1.0, v34 :: v_dual_sub_f32 v36, v34, v36
	s_delay_alu instid0(VALU_DEP_1) | instskip(NEXT) | instid1(VALU_DEP_2)
	v_add_f32_e32 v38, 1.0, v35
	v_add_f32_e32 v36, v32, v36
	s_delay_alu instid0(VALU_DEP_2) | instskip(NEXT) | instid1(VALU_DEP_2)
	v_sub_f32_e32 v34, v34, v38
	v_add_f32_e32 v38, v37, v36
	s_delay_alu instid0(VALU_DEP_2) | instskip(NEXT) | instid1(VALU_DEP_2)
	v_add_f32_e32 v32, v32, v34
	v_rcp_f32_e32 v34, v38
	v_sub_f32_e32 v37, v37, v38
	s_delay_alu instid0(VALU_DEP_1) | instskip(NEXT) | instid1(VALU_DEP_1)
	v_dual_add_f32 v39, v35, v32 :: v_dual_add_f32 v36, v36, v37
	v_sub_f32_e32 v35, v35, v39
	s_delay_alu instid0(TRANS32_DEP_1) | instskip(NEXT) | instid1(VALU_DEP_1)
	v_mul_f32_e32 v40, v39, v34
	v_dual_add_f32 v32, v32, v35 :: v_dual_mul_f32 v41, v38, v40
	s_delay_alu instid0(VALU_DEP_1) | instskip(NEXT) | instid1(VALU_DEP_1)
	v_fma_f32 v37, v40, v38, -v41
	v_fmac_f32_e32 v37, v40, v36
	s_delay_alu instid0(VALU_DEP_1) | instskip(NEXT) | instid1(VALU_DEP_1)
	v_add_f32_e32 v42, v41, v37
	v_sub_f32_e32 v43, v39, v42
	v_sub_f32_e32 v35, v42, v41
	s_delay_alu instid0(VALU_DEP_2) | instskip(NEXT) | instid1(VALU_DEP_2)
	v_sub_f32_e32 v39, v39, v43
	v_sub_f32_e32 v35, v35, v37
	s_delay_alu instid0(VALU_DEP_2) | instskip(NEXT) | instid1(VALU_DEP_1)
	v_sub_f32_e32 v39, v39, v42
	v_add_f32_e32 v32, v32, v39
	s_delay_alu instid0(VALU_DEP_1) | instskip(NEXT) | instid1(VALU_DEP_1)
	v_add_f32_e32 v32, v35, v32
	v_add_f32_e32 v35, v43, v32
	s_delay_alu instid0(VALU_DEP_1) | instskip(NEXT) | instid1(VALU_DEP_1)
	v_mul_f32_e32 v37, v34, v35
	v_dual_sub_f32 v42, v43, v35 :: v_dual_mul_f32 v39, v38, v37
	s_delay_alu instid0(VALU_DEP_1) | instskip(NEXT) | instid1(VALU_DEP_2)
	v_add_f32_e32 v32, v32, v42
	v_fma_f32 v38, v37, v38, -v39
	s_delay_alu instid0(VALU_DEP_1) | instskip(NEXT) | instid1(VALU_DEP_1)
	v_fmac_f32_e32 v38, v37, v36
	v_add_f32_e32 v36, v39, v38
	s_delay_alu instid0(VALU_DEP_1) | instskip(SKIP_1) | instid1(VALU_DEP_2)
	v_sub_f32_e32 v41, v35, v36
	v_sub_f32_e32 v39, v36, v39
	;; [unrolled: 1-line block ×3, first 2 shown]
	s_delay_alu instid0(VALU_DEP_1) | instskip(NEXT) | instid1(VALU_DEP_3)
	v_sub_f32_e32 v35, v35, v36
	v_sub_f32_e32 v36, v39, v38
	s_delay_alu instid0(VALU_DEP_2) | instskip(SKIP_1) | instid1(VALU_DEP_2)
	v_add_f32_e32 v32, v32, v35
	v_add_f32_e32 v35, v40, v37
	;; [unrolled: 1-line block ×3, first 2 shown]
	s_delay_alu instid0(VALU_DEP_2) | instskip(NEXT) | instid1(VALU_DEP_2)
	v_sub_f32_e32 v36, v35, v40
	v_add_f32_e32 v32, v41, v32
	s_delay_alu instid0(VALU_DEP_2) | instskip(NEXT) | instid1(VALU_DEP_2)
	v_sub_f32_e32 v36, v37, v36
	v_mul_f32_e32 v32, v34, v32
	s_delay_alu instid0(VALU_DEP_1) | instskip(NEXT) | instid1(VALU_DEP_1)
	v_add_f32_e32 v32, v36, v32
	v_add_f32_e32 v34, v35, v32
	s_delay_alu instid0(VALU_DEP_1) | instskip(SKIP_1) | instid1(VALU_DEP_1)
	v_mul_f32_e32 v36, v34, v34
	s_wait_alu 0xfffe
	v_fmaak_f32 v37, s0, v36, 0x3ecc95a3
	v_mul_f32_e32 v38, v34, v36
	v_cmp_neq_f32_e64 s0, 0x7f800000, v33
	s_delay_alu instid0(VALU_DEP_3) | instskip(SKIP_2) | instid1(VALU_DEP_3)
	v_fmaak_f32 v36, v36, v37, 0x3f2aaada
	v_ldexp_f32 v37, v34, 1
	v_sub_f32_e32 v34, v34, v35
	v_mul_f32_e32 v36, v38, v36
	v_mul_f32_e32 v38, 0x3f317218, v31
	s_delay_alu instid0(VALU_DEP_2) | instskip(NEXT) | instid1(VALU_DEP_1)
	v_dual_sub_f32 v32, v32, v34 :: v_dual_add_f32 v35, v37, v36
	v_ldexp_f32 v32, v32, 1
	s_delay_alu instid0(VALU_DEP_2) | instskip(NEXT) | instid1(VALU_DEP_4)
	v_sub_f32_e32 v34, v35, v37
	v_fma_f32 v37, 0x3f317218, v31, -v38
	s_delay_alu instid0(VALU_DEP_1) | instskip(NEXT) | instid1(VALU_DEP_1)
	v_dual_sub_f32 v34, v36, v34 :: v_dual_fmamk_f32 v31, v31, 0xb102e308, v37
	v_add_f32_e32 v32, v32, v34
	s_delay_alu instid0(VALU_DEP_2) | instskip(NEXT) | instid1(VALU_DEP_2)
	v_add_f32_e32 v34, v38, v31
	v_add_f32_e32 v36, v35, v32
	s_delay_alu instid0(VALU_DEP_2) | instskip(NEXT) | instid1(VALU_DEP_2)
	v_sub_f32_e32 v38, v34, v38
	v_add_f32_e32 v37, v34, v36
	v_sub_f32_e32 v35, v36, v35
	s_delay_alu instid0(VALU_DEP_3) | instskip(NEXT) | instid1(VALU_DEP_2)
	v_sub_f32_e32 v31, v31, v38
	v_dual_sub_f32 v39, v37, v34 :: v_dual_sub_f32 v32, v32, v35
	s_delay_alu instid0(VALU_DEP_1) | instskip(NEXT) | instid1(VALU_DEP_2)
	v_sub_f32_e32 v40, v37, v39
	v_dual_sub_f32 v35, v36, v39 :: v_dual_add_f32 v36, v31, v32
	s_delay_alu instid0(VALU_DEP_2) | instskip(NEXT) | instid1(VALU_DEP_1)
	v_sub_f32_e32 v34, v34, v40
	v_dual_add_f32 v34, v35, v34 :: v_dual_sub_f32 v35, v36, v31
	s_delay_alu instid0(VALU_DEP_1) | instskip(NEXT) | instid1(VALU_DEP_2)
	v_add_f32_e32 v34, v36, v34
	v_sub_f32_e32 v36, v36, v35
	v_sub_f32_e32 v32, v32, v35
	s_delay_alu instid0(VALU_DEP_2) | instskip(NEXT) | instid1(VALU_DEP_1)
	v_dual_add_f32 v38, v37, v34 :: v_dual_sub_f32 v31, v31, v36
	v_sub_f32_e32 v35, v38, v37
	s_delay_alu instid0(VALU_DEP_2) | instskip(NEXT) | instid1(VALU_DEP_2)
	v_add_f32_e32 v31, v32, v31
	v_sub_f32_e32 v32, v34, v35
	s_delay_alu instid0(VALU_DEP_1) | instskip(NEXT) | instid1(VALU_DEP_1)
	v_add_f32_e32 v31, v31, v32
	v_add_f32_e32 v31, v38, v31
	s_wait_alu 0xf1ff
	s_delay_alu instid0(VALU_DEP_1) | instskip(SKIP_2) | instid1(VALU_DEP_1)
	v_cndmask_b32_e64 v31, 0x7f800000, v31, s0
	v_cmp_gt_f32_e64 s0, 0x33800000, |v33|
	s_wait_alu 0xf1ff
	v_cndmask_b32_e64 v31, v31, v33, s0
	s_delay_alu instid0(VALU_DEP_1)
	v_add_f32_e32 v31, v30, v31
.LBB479_93:
	s_wait_alu 0xfffe
	s_or_b32 exec_lo, exec_lo, s1
	s_delay_alu instid0(VALU_DEP_1) | instskip(SKIP_3) | instid1(VALU_DEP_1)
	v_bfe_u32 v30, v31, 16, 1
	ds_load_u16 v32, v29 offset:12
	v_cmp_o_f32_e64 s0, v31, v31
	v_add3_u32 v30, v31, v30, 0x7fff
	v_lshrrev_b32_e32 v30, 16, v30
	s_wait_alu 0xf1ff
	s_delay_alu instid0(VALU_DEP_1) | instskip(SKIP_3) | instid1(VALU_DEP_1)
	v_cndmask_b32_e64 v33, 0x7fc0, v30, s0
	ds_store_b16 v29, v33 offset:10
	s_wait_dscnt 0x1
	v_lshlrev_b32_e32 v30, 16, v32
	v_dual_max_num_f32 v34, v30, v30 :: v_dual_lshlrev_b32 v31, 16, v33
	s_delay_alu instid0(VALU_DEP_1) | instskip(SKIP_1) | instid1(VALU_DEP_2)
	v_max_num_f32_e32 v32, v31, v31
	v_cmp_u_f32_e64 s0, v31, v31
	v_min_num_f32_e32 v35, v32, v34
	v_max_num_f32_e32 v32, v32, v34
	s_wait_alu 0xf1ff
	s_delay_alu instid0(VALU_DEP_2) | instskip(NEXT) | instid1(VALU_DEP_2)
	v_cndmask_b32_e64 v34, v35, v31, s0
	v_cndmask_b32_e64 v35, v32, v31, s0
	v_cmp_u_f32_e64 s0, v30, v30
	s_wait_alu 0xf1ff
	s_delay_alu instid0(VALU_DEP_1) | instskip(NEXT) | instid1(VALU_DEP_3)
	v_cndmask_b32_e64 v32, v34, v30, s0
	v_cndmask_b32_e64 v30, v35, v30, s0
	s_delay_alu instid0(VALU_DEP_2) | instskip(NEXT) | instid1(VALU_DEP_2)
	v_cmp_class_f32_e64 s1, v32, 0x1f8
	v_cmp_neq_f32_e64 s0, v32, v30
	s_or_b32 s0, s0, s1
	s_wait_alu 0xfffe
	s_and_saveexec_b32 s1, s0
	s_cbranch_execz .LBB479_95
; %bb.94:
	v_sub_f32_e32 v31, v32, v30
	s_delay_alu instid0(VALU_DEP_1) | instskip(SKIP_1) | instid1(VALU_DEP_2)
	v_mul_f32_e32 v32, 0x3fb8aa3b, v31
	v_cmp_ngt_f32_e64 s0, 0xc2ce8ed0, v31
	v_fma_f32 v33, 0x3fb8aa3b, v31, -v32
	v_rndne_f32_e32 v34, v32
	s_delay_alu instid0(VALU_DEP_1) | instskip(NEXT) | instid1(VALU_DEP_1)
	v_dual_fmamk_f32 v33, v31, 0x32a5705f, v33 :: v_dual_sub_f32 v32, v32, v34
	v_add_f32_e32 v32, v32, v33
	v_cvt_i32_f32_e32 v33, v34
	s_delay_alu instid0(VALU_DEP_2) | instskip(NEXT) | instid1(TRANS32_DEP_1)
	v_exp_f32_e32 v32, v32
	v_ldexp_f32 v32, v32, v33
	s_wait_alu 0xf1ff
	s_delay_alu instid0(VALU_DEP_1) | instskip(SKIP_2) | instid1(VALU_DEP_1)
	v_cndmask_b32_e64 v32, 0, v32, s0
	v_cmp_nlt_f32_e64 s0, 0x42b17218, v31
	s_wait_alu 0xf1ff
	v_cndmask_b32_e64 v33, 0x7f800000, v32, s0
	s_delay_alu instid0(VALU_DEP_1) | instskip(NEXT) | instid1(VALU_DEP_1)
	v_add_f32_e32 v34, 1.0, v33
	v_cvt_f64_f32_e32 v[31:32], v34
	s_delay_alu instid0(VALU_DEP_1) | instskip(SKIP_1) | instid1(VALU_DEP_1)
	v_frexp_exp_i32_f64_e32 v31, v[31:32]
	v_frexp_mant_f32_e32 v32, v34
	v_cmp_gt_f32_e64 s0, 0x3f2aaaab, v32
	v_add_f32_e32 v32, -1.0, v34
	s_delay_alu instid0(VALU_DEP_1)
	v_sub_f32_e32 v36, v32, v34
	v_sub_f32_e32 v32, v33, v32
	s_wait_alu 0xf1ff
	v_subrev_co_ci_u32_e64 v31, null, 0, v31, s0
	s_mov_b32 s0, 0x3e9b6dac
	v_sub_nc_u32_e32 v35, 0, v31
	v_cvt_f32_i32_e32 v31, v31
	s_delay_alu instid0(VALU_DEP_2) | instskip(NEXT) | instid1(VALU_DEP_1)
	v_ldexp_f32 v34, v34, v35
	v_dual_add_f32 v37, 1.0, v34 :: v_dual_add_f32 v36, 1.0, v36
	s_delay_alu instid0(VALU_DEP_1) | instskip(NEXT) | instid1(VALU_DEP_2)
	v_add_f32_e32 v32, v32, v36
	v_add_f32_e32 v36, -1.0, v37
	s_delay_alu instid0(VALU_DEP_2) | instskip(NEXT) | instid1(VALU_DEP_2)
	v_ldexp_f32 v32, v32, v35
	v_dual_add_f32 v35, -1.0, v34 :: v_dual_sub_f32 v36, v34, v36
	s_delay_alu instid0(VALU_DEP_1) | instskip(NEXT) | instid1(VALU_DEP_2)
	v_add_f32_e32 v38, 1.0, v35
	v_add_f32_e32 v36, v32, v36
	s_delay_alu instid0(VALU_DEP_2) | instskip(NEXT) | instid1(VALU_DEP_2)
	v_sub_f32_e32 v34, v34, v38
	v_add_f32_e32 v38, v37, v36
	s_delay_alu instid0(VALU_DEP_2) | instskip(NEXT) | instid1(VALU_DEP_2)
	v_add_f32_e32 v32, v32, v34
	v_rcp_f32_e32 v34, v38
	v_sub_f32_e32 v37, v37, v38
	s_delay_alu instid0(VALU_DEP_1) | instskip(NEXT) | instid1(VALU_DEP_1)
	v_dual_add_f32 v39, v35, v32 :: v_dual_add_f32 v36, v36, v37
	v_sub_f32_e32 v35, v35, v39
	s_delay_alu instid0(TRANS32_DEP_1) | instskip(NEXT) | instid1(VALU_DEP_1)
	v_mul_f32_e32 v40, v39, v34
	v_dual_add_f32 v32, v32, v35 :: v_dual_mul_f32 v41, v38, v40
	s_delay_alu instid0(VALU_DEP_1) | instskip(NEXT) | instid1(VALU_DEP_1)
	v_fma_f32 v37, v40, v38, -v41
	v_fmac_f32_e32 v37, v40, v36
	s_delay_alu instid0(VALU_DEP_1) | instskip(NEXT) | instid1(VALU_DEP_1)
	v_add_f32_e32 v42, v41, v37
	v_sub_f32_e32 v43, v39, v42
	v_sub_f32_e32 v35, v42, v41
	s_delay_alu instid0(VALU_DEP_2) | instskip(NEXT) | instid1(VALU_DEP_2)
	v_sub_f32_e32 v39, v39, v43
	v_sub_f32_e32 v35, v35, v37
	s_delay_alu instid0(VALU_DEP_2) | instskip(NEXT) | instid1(VALU_DEP_1)
	v_sub_f32_e32 v39, v39, v42
	v_add_f32_e32 v32, v32, v39
	s_delay_alu instid0(VALU_DEP_1) | instskip(NEXT) | instid1(VALU_DEP_1)
	v_add_f32_e32 v32, v35, v32
	v_add_f32_e32 v35, v43, v32
	s_delay_alu instid0(VALU_DEP_1) | instskip(NEXT) | instid1(VALU_DEP_1)
	v_mul_f32_e32 v37, v34, v35
	v_dual_sub_f32 v42, v43, v35 :: v_dual_mul_f32 v39, v38, v37
	s_delay_alu instid0(VALU_DEP_1) | instskip(NEXT) | instid1(VALU_DEP_2)
	v_add_f32_e32 v32, v32, v42
	v_fma_f32 v38, v37, v38, -v39
	s_delay_alu instid0(VALU_DEP_1) | instskip(NEXT) | instid1(VALU_DEP_1)
	v_fmac_f32_e32 v38, v37, v36
	v_add_f32_e32 v36, v39, v38
	s_delay_alu instid0(VALU_DEP_1) | instskip(SKIP_1) | instid1(VALU_DEP_2)
	v_sub_f32_e32 v41, v35, v36
	v_sub_f32_e32 v39, v36, v39
	;; [unrolled: 1-line block ×3, first 2 shown]
	s_delay_alu instid0(VALU_DEP_1) | instskip(NEXT) | instid1(VALU_DEP_3)
	v_sub_f32_e32 v35, v35, v36
	v_sub_f32_e32 v36, v39, v38
	s_delay_alu instid0(VALU_DEP_2) | instskip(SKIP_1) | instid1(VALU_DEP_2)
	v_add_f32_e32 v32, v32, v35
	v_add_f32_e32 v35, v40, v37
	;; [unrolled: 1-line block ×3, first 2 shown]
	s_delay_alu instid0(VALU_DEP_2) | instskip(NEXT) | instid1(VALU_DEP_2)
	v_sub_f32_e32 v36, v35, v40
	v_add_f32_e32 v32, v41, v32
	s_delay_alu instid0(VALU_DEP_2) | instskip(NEXT) | instid1(VALU_DEP_2)
	v_sub_f32_e32 v36, v37, v36
	v_mul_f32_e32 v32, v34, v32
	s_delay_alu instid0(VALU_DEP_1) | instskip(NEXT) | instid1(VALU_DEP_1)
	v_add_f32_e32 v32, v36, v32
	v_add_f32_e32 v34, v35, v32
	s_delay_alu instid0(VALU_DEP_1) | instskip(SKIP_1) | instid1(VALU_DEP_1)
	v_mul_f32_e32 v36, v34, v34
	s_wait_alu 0xfffe
	v_fmaak_f32 v37, s0, v36, 0x3ecc95a3
	v_mul_f32_e32 v38, v34, v36
	v_cmp_neq_f32_e64 s0, 0x7f800000, v33
	s_delay_alu instid0(VALU_DEP_3) | instskip(SKIP_2) | instid1(VALU_DEP_3)
	v_fmaak_f32 v36, v36, v37, 0x3f2aaada
	v_ldexp_f32 v37, v34, 1
	v_sub_f32_e32 v34, v34, v35
	v_mul_f32_e32 v36, v38, v36
	v_mul_f32_e32 v38, 0x3f317218, v31
	s_delay_alu instid0(VALU_DEP_2) | instskip(NEXT) | instid1(VALU_DEP_1)
	v_dual_sub_f32 v32, v32, v34 :: v_dual_add_f32 v35, v37, v36
	v_ldexp_f32 v32, v32, 1
	s_delay_alu instid0(VALU_DEP_2) | instskip(NEXT) | instid1(VALU_DEP_4)
	v_sub_f32_e32 v34, v35, v37
	v_fma_f32 v37, 0x3f317218, v31, -v38
	s_delay_alu instid0(VALU_DEP_1) | instskip(NEXT) | instid1(VALU_DEP_1)
	v_dual_sub_f32 v34, v36, v34 :: v_dual_fmamk_f32 v31, v31, 0xb102e308, v37
	v_add_f32_e32 v32, v32, v34
	s_delay_alu instid0(VALU_DEP_2) | instskip(NEXT) | instid1(VALU_DEP_2)
	v_add_f32_e32 v34, v38, v31
	v_add_f32_e32 v36, v35, v32
	s_delay_alu instid0(VALU_DEP_2) | instskip(NEXT) | instid1(VALU_DEP_2)
	v_sub_f32_e32 v38, v34, v38
	v_add_f32_e32 v37, v34, v36
	v_sub_f32_e32 v35, v36, v35
	s_delay_alu instid0(VALU_DEP_3) | instskip(NEXT) | instid1(VALU_DEP_2)
	v_sub_f32_e32 v31, v31, v38
	v_dual_sub_f32 v39, v37, v34 :: v_dual_sub_f32 v32, v32, v35
	s_delay_alu instid0(VALU_DEP_1) | instskip(NEXT) | instid1(VALU_DEP_2)
	v_sub_f32_e32 v40, v37, v39
	v_dual_sub_f32 v35, v36, v39 :: v_dual_add_f32 v36, v31, v32
	s_delay_alu instid0(VALU_DEP_2) | instskip(NEXT) | instid1(VALU_DEP_1)
	v_sub_f32_e32 v34, v34, v40
	v_dual_add_f32 v34, v35, v34 :: v_dual_sub_f32 v35, v36, v31
	s_delay_alu instid0(VALU_DEP_1) | instskip(NEXT) | instid1(VALU_DEP_2)
	v_add_f32_e32 v34, v36, v34
	v_sub_f32_e32 v36, v36, v35
	v_sub_f32_e32 v32, v32, v35
	s_delay_alu instid0(VALU_DEP_2) | instskip(NEXT) | instid1(VALU_DEP_1)
	v_dual_add_f32 v38, v37, v34 :: v_dual_sub_f32 v31, v31, v36
	v_sub_f32_e32 v35, v38, v37
	s_delay_alu instid0(VALU_DEP_2) | instskip(NEXT) | instid1(VALU_DEP_2)
	v_add_f32_e32 v31, v32, v31
	v_sub_f32_e32 v32, v34, v35
	s_delay_alu instid0(VALU_DEP_1) | instskip(NEXT) | instid1(VALU_DEP_1)
	v_add_f32_e32 v31, v31, v32
	v_add_f32_e32 v31, v38, v31
	s_wait_alu 0xf1ff
	s_delay_alu instid0(VALU_DEP_1) | instskip(SKIP_2) | instid1(VALU_DEP_1)
	v_cndmask_b32_e64 v31, 0x7f800000, v31, s0
	v_cmp_gt_f32_e64 s0, 0x33800000, |v33|
	s_wait_alu 0xf1ff
	v_cndmask_b32_e64 v31, v31, v33, s0
	s_delay_alu instid0(VALU_DEP_1)
	v_add_f32_e32 v31, v30, v31
.LBB479_95:
	s_wait_alu 0xfffe
	s_or_b32 exec_lo, exec_lo, s1
	s_delay_alu instid0(VALU_DEP_1) | instskip(SKIP_3) | instid1(VALU_DEP_1)
	v_bfe_u32 v30, v31, 16, 1
	ds_load_u16 v32, v29 offset:14
	v_cmp_o_f32_e64 s0, v31, v31
	v_add3_u32 v30, v31, v30, 0x7fff
	v_lshrrev_b32_e32 v30, 16, v30
	s_wait_alu 0xf1ff
	s_delay_alu instid0(VALU_DEP_1) | instskip(SKIP_3) | instid1(VALU_DEP_1)
	v_cndmask_b32_e64 v33, 0x7fc0, v30, s0
	ds_store_b16 v29, v33 offset:12
	s_wait_dscnt 0x1
	v_lshlrev_b32_e32 v30, 16, v32
	v_dual_max_num_f32 v34, v30, v30 :: v_dual_lshlrev_b32 v31, 16, v33
	s_delay_alu instid0(VALU_DEP_1) | instskip(SKIP_1) | instid1(VALU_DEP_2)
	v_max_num_f32_e32 v32, v31, v31
	v_cmp_u_f32_e64 s0, v31, v31
	v_min_num_f32_e32 v35, v32, v34
	v_max_num_f32_e32 v32, v32, v34
	s_wait_alu 0xf1ff
	s_delay_alu instid0(VALU_DEP_2) | instskip(NEXT) | instid1(VALU_DEP_2)
	v_cndmask_b32_e64 v34, v35, v31, s0
	v_cndmask_b32_e64 v35, v32, v31, s0
	v_cmp_u_f32_e64 s0, v30, v30
	s_wait_alu 0xf1ff
	s_delay_alu instid0(VALU_DEP_1) | instskip(NEXT) | instid1(VALU_DEP_3)
	v_cndmask_b32_e64 v32, v34, v30, s0
	v_cndmask_b32_e64 v30, v35, v30, s0
	s_delay_alu instid0(VALU_DEP_2) | instskip(NEXT) | instid1(VALU_DEP_2)
	v_cmp_class_f32_e64 s1, v32, 0x1f8
	v_cmp_neq_f32_e64 s0, v32, v30
	s_or_b32 s0, s0, s1
	s_wait_alu 0xfffe
	s_and_saveexec_b32 s1, s0
	s_cbranch_execz .LBB479_97
; %bb.96:
	v_sub_f32_e32 v31, v32, v30
	s_delay_alu instid0(VALU_DEP_1) | instskip(SKIP_1) | instid1(VALU_DEP_2)
	v_mul_f32_e32 v32, 0x3fb8aa3b, v31
	v_cmp_ngt_f32_e64 s0, 0xc2ce8ed0, v31
	v_fma_f32 v33, 0x3fb8aa3b, v31, -v32
	v_rndne_f32_e32 v34, v32
	s_delay_alu instid0(VALU_DEP_1) | instskip(NEXT) | instid1(VALU_DEP_1)
	v_dual_fmamk_f32 v33, v31, 0x32a5705f, v33 :: v_dual_sub_f32 v32, v32, v34
	v_add_f32_e32 v32, v32, v33
	v_cvt_i32_f32_e32 v33, v34
	s_delay_alu instid0(VALU_DEP_2) | instskip(NEXT) | instid1(TRANS32_DEP_1)
	v_exp_f32_e32 v32, v32
	v_ldexp_f32 v32, v32, v33
	s_wait_alu 0xf1ff
	s_delay_alu instid0(VALU_DEP_1) | instskip(SKIP_2) | instid1(VALU_DEP_1)
	v_cndmask_b32_e64 v32, 0, v32, s0
	v_cmp_nlt_f32_e64 s0, 0x42b17218, v31
	s_wait_alu 0xf1ff
	v_cndmask_b32_e64 v33, 0x7f800000, v32, s0
	s_delay_alu instid0(VALU_DEP_1) | instskip(NEXT) | instid1(VALU_DEP_1)
	v_add_f32_e32 v34, 1.0, v33
	v_cvt_f64_f32_e32 v[31:32], v34
	s_delay_alu instid0(VALU_DEP_1) | instskip(SKIP_1) | instid1(VALU_DEP_1)
	v_frexp_exp_i32_f64_e32 v31, v[31:32]
	v_frexp_mant_f32_e32 v32, v34
	v_cmp_gt_f32_e64 s0, 0x3f2aaaab, v32
	v_add_f32_e32 v32, -1.0, v34
	s_delay_alu instid0(VALU_DEP_1)
	v_sub_f32_e32 v36, v32, v34
	v_sub_f32_e32 v32, v33, v32
	s_wait_alu 0xf1ff
	v_subrev_co_ci_u32_e64 v31, null, 0, v31, s0
	s_mov_b32 s0, 0x3e9b6dac
	v_sub_nc_u32_e32 v35, 0, v31
	v_cvt_f32_i32_e32 v31, v31
	s_delay_alu instid0(VALU_DEP_2) | instskip(NEXT) | instid1(VALU_DEP_1)
	v_ldexp_f32 v34, v34, v35
	v_dual_add_f32 v37, 1.0, v34 :: v_dual_add_f32 v36, 1.0, v36
	s_delay_alu instid0(VALU_DEP_1) | instskip(NEXT) | instid1(VALU_DEP_2)
	v_add_f32_e32 v32, v32, v36
	v_add_f32_e32 v36, -1.0, v37
	s_delay_alu instid0(VALU_DEP_2) | instskip(NEXT) | instid1(VALU_DEP_2)
	v_ldexp_f32 v32, v32, v35
	v_dual_add_f32 v35, -1.0, v34 :: v_dual_sub_f32 v36, v34, v36
	s_delay_alu instid0(VALU_DEP_1) | instskip(NEXT) | instid1(VALU_DEP_2)
	v_add_f32_e32 v38, 1.0, v35
	v_add_f32_e32 v36, v32, v36
	s_delay_alu instid0(VALU_DEP_2) | instskip(NEXT) | instid1(VALU_DEP_2)
	v_sub_f32_e32 v34, v34, v38
	v_add_f32_e32 v38, v37, v36
	s_delay_alu instid0(VALU_DEP_2) | instskip(NEXT) | instid1(VALU_DEP_2)
	v_add_f32_e32 v32, v32, v34
	v_rcp_f32_e32 v34, v38
	v_sub_f32_e32 v37, v37, v38
	s_delay_alu instid0(VALU_DEP_1) | instskip(NEXT) | instid1(VALU_DEP_1)
	v_dual_add_f32 v39, v35, v32 :: v_dual_add_f32 v36, v36, v37
	v_sub_f32_e32 v35, v35, v39
	s_delay_alu instid0(TRANS32_DEP_1) | instskip(NEXT) | instid1(VALU_DEP_1)
	v_mul_f32_e32 v40, v39, v34
	v_dual_add_f32 v32, v32, v35 :: v_dual_mul_f32 v41, v38, v40
	s_delay_alu instid0(VALU_DEP_1) | instskip(NEXT) | instid1(VALU_DEP_1)
	v_fma_f32 v37, v40, v38, -v41
	v_fmac_f32_e32 v37, v40, v36
	s_delay_alu instid0(VALU_DEP_1) | instskip(NEXT) | instid1(VALU_DEP_1)
	v_add_f32_e32 v42, v41, v37
	v_sub_f32_e32 v43, v39, v42
	v_sub_f32_e32 v35, v42, v41
	s_delay_alu instid0(VALU_DEP_2) | instskip(NEXT) | instid1(VALU_DEP_2)
	v_sub_f32_e32 v39, v39, v43
	v_sub_f32_e32 v35, v35, v37
	s_delay_alu instid0(VALU_DEP_2) | instskip(NEXT) | instid1(VALU_DEP_1)
	v_sub_f32_e32 v39, v39, v42
	v_add_f32_e32 v32, v32, v39
	s_delay_alu instid0(VALU_DEP_1) | instskip(NEXT) | instid1(VALU_DEP_1)
	v_add_f32_e32 v32, v35, v32
	v_add_f32_e32 v35, v43, v32
	s_delay_alu instid0(VALU_DEP_1) | instskip(NEXT) | instid1(VALU_DEP_1)
	v_mul_f32_e32 v37, v34, v35
	v_dual_sub_f32 v42, v43, v35 :: v_dual_mul_f32 v39, v38, v37
	s_delay_alu instid0(VALU_DEP_1) | instskip(NEXT) | instid1(VALU_DEP_2)
	v_add_f32_e32 v32, v32, v42
	v_fma_f32 v38, v37, v38, -v39
	s_delay_alu instid0(VALU_DEP_1) | instskip(NEXT) | instid1(VALU_DEP_1)
	v_fmac_f32_e32 v38, v37, v36
	v_add_f32_e32 v36, v39, v38
	s_delay_alu instid0(VALU_DEP_1) | instskip(SKIP_1) | instid1(VALU_DEP_2)
	v_sub_f32_e32 v41, v35, v36
	v_sub_f32_e32 v39, v36, v39
	;; [unrolled: 1-line block ×3, first 2 shown]
	s_delay_alu instid0(VALU_DEP_1) | instskip(NEXT) | instid1(VALU_DEP_3)
	v_sub_f32_e32 v35, v35, v36
	v_sub_f32_e32 v36, v39, v38
	s_delay_alu instid0(VALU_DEP_2) | instskip(SKIP_1) | instid1(VALU_DEP_2)
	v_add_f32_e32 v32, v32, v35
	v_add_f32_e32 v35, v40, v37
	;; [unrolled: 1-line block ×3, first 2 shown]
	s_delay_alu instid0(VALU_DEP_2) | instskip(NEXT) | instid1(VALU_DEP_2)
	v_sub_f32_e32 v36, v35, v40
	v_add_f32_e32 v32, v41, v32
	s_delay_alu instid0(VALU_DEP_2) | instskip(NEXT) | instid1(VALU_DEP_2)
	v_sub_f32_e32 v36, v37, v36
	v_mul_f32_e32 v32, v34, v32
	s_delay_alu instid0(VALU_DEP_1) | instskip(NEXT) | instid1(VALU_DEP_1)
	v_add_f32_e32 v32, v36, v32
	v_add_f32_e32 v34, v35, v32
	s_delay_alu instid0(VALU_DEP_1) | instskip(SKIP_1) | instid1(VALU_DEP_1)
	v_mul_f32_e32 v36, v34, v34
	s_wait_alu 0xfffe
	v_fmaak_f32 v37, s0, v36, 0x3ecc95a3
	v_mul_f32_e32 v38, v34, v36
	v_cmp_neq_f32_e64 s0, 0x7f800000, v33
	s_delay_alu instid0(VALU_DEP_3) | instskip(SKIP_2) | instid1(VALU_DEP_3)
	v_fmaak_f32 v36, v36, v37, 0x3f2aaada
	v_ldexp_f32 v37, v34, 1
	v_sub_f32_e32 v34, v34, v35
	v_mul_f32_e32 v36, v38, v36
	v_mul_f32_e32 v38, 0x3f317218, v31
	s_delay_alu instid0(VALU_DEP_2) | instskip(NEXT) | instid1(VALU_DEP_1)
	v_dual_sub_f32 v32, v32, v34 :: v_dual_add_f32 v35, v37, v36
	v_ldexp_f32 v32, v32, 1
	s_delay_alu instid0(VALU_DEP_2) | instskip(NEXT) | instid1(VALU_DEP_4)
	v_sub_f32_e32 v34, v35, v37
	v_fma_f32 v37, 0x3f317218, v31, -v38
	s_delay_alu instid0(VALU_DEP_1) | instskip(NEXT) | instid1(VALU_DEP_1)
	v_dual_sub_f32 v34, v36, v34 :: v_dual_fmamk_f32 v31, v31, 0xb102e308, v37
	v_add_f32_e32 v32, v32, v34
	s_delay_alu instid0(VALU_DEP_2) | instskip(NEXT) | instid1(VALU_DEP_2)
	v_add_f32_e32 v34, v38, v31
	v_add_f32_e32 v36, v35, v32
	s_delay_alu instid0(VALU_DEP_2) | instskip(NEXT) | instid1(VALU_DEP_2)
	v_sub_f32_e32 v38, v34, v38
	v_add_f32_e32 v37, v34, v36
	v_sub_f32_e32 v35, v36, v35
	s_delay_alu instid0(VALU_DEP_3) | instskip(NEXT) | instid1(VALU_DEP_2)
	v_sub_f32_e32 v31, v31, v38
	v_dual_sub_f32 v39, v37, v34 :: v_dual_sub_f32 v32, v32, v35
	s_delay_alu instid0(VALU_DEP_1) | instskip(NEXT) | instid1(VALU_DEP_2)
	v_sub_f32_e32 v40, v37, v39
	v_dual_sub_f32 v35, v36, v39 :: v_dual_add_f32 v36, v31, v32
	s_delay_alu instid0(VALU_DEP_2) | instskip(NEXT) | instid1(VALU_DEP_1)
	v_sub_f32_e32 v34, v34, v40
	v_dual_add_f32 v34, v35, v34 :: v_dual_sub_f32 v35, v36, v31
	s_delay_alu instid0(VALU_DEP_1) | instskip(NEXT) | instid1(VALU_DEP_2)
	v_add_f32_e32 v34, v36, v34
	v_sub_f32_e32 v36, v36, v35
	v_sub_f32_e32 v32, v32, v35
	s_delay_alu instid0(VALU_DEP_2) | instskip(NEXT) | instid1(VALU_DEP_1)
	v_dual_add_f32 v38, v37, v34 :: v_dual_sub_f32 v31, v31, v36
	v_sub_f32_e32 v35, v38, v37
	s_delay_alu instid0(VALU_DEP_2) | instskip(NEXT) | instid1(VALU_DEP_2)
	v_add_f32_e32 v31, v32, v31
	v_sub_f32_e32 v32, v34, v35
	s_delay_alu instid0(VALU_DEP_1) | instskip(NEXT) | instid1(VALU_DEP_1)
	v_add_f32_e32 v31, v31, v32
	v_add_f32_e32 v31, v38, v31
	s_wait_alu 0xf1ff
	s_delay_alu instid0(VALU_DEP_1) | instskip(SKIP_2) | instid1(VALU_DEP_1)
	v_cndmask_b32_e64 v31, 0x7f800000, v31, s0
	v_cmp_gt_f32_e64 s0, 0x33800000, |v33|
	s_wait_alu 0xf1ff
	v_cndmask_b32_e64 v31, v31, v33, s0
	s_delay_alu instid0(VALU_DEP_1)
	v_add_f32_e32 v31, v30, v31
.LBB479_97:
	s_wait_alu 0xfffe
	s_or_b32 exec_lo, exec_lo, s1
	s_delay_alu instid0(VALU_DEP_1) | instskip(SKIP_1) | instid1(VALU_DEP_2)
	v_bfe_u32 v30, v31, 16, 1
	v_cmp_o_f32_e64 s0, v31, v31
	v_add3_u32 v30, v31, v30, 0x7fff
	s_delay_alu instid0(VALU_DEP_1) | instskip(SKIP_1) | instid1(VALU_DEP_1)
	v_lshrrev_b32_e32 v30, 16, v30
	s_wait_alu 0xf1ff
	v_cndmask_b32_e64 v30, 0x7fc0, v30, s0
	ds_store_b16 v29, v30 offset:14
.LBB479_98:
	s_wait_alu 0xfffe
	s_or_b32 exec_lo, exec_lo, s25
	v_mul_u32_u24_e32 v29, 22, v0
	s_mov_b32 s1, exec_lo
	s_wait_loadcnt_dscnt 0x0
	s_barrier_signal -1
	s_barrier_wait -1
	global_inv scope:SCOPE_SE
	v_cmpx_ne_u32_e32 0, v0
	s_cbranch_execz .LBB479_102
; %bb.99:
	v_add_nc_u32_e32 v1, -1, v0
	s_delay_alu instid0(VALU_DEP_1) | instskip(NEXT) | instid1(VALU_DEP_1)
	v_lshrrev_b32_e32 v26, 4, v1
	v_and_b32_e32 v26, 0xffffffe, v26
	s_delay_alu instid0(VALU_DEP_1) | instskip(SKIP_3) | instid1(VALU_DEP_1)
	v_lshl_add_u32 v1, v1, 1, v26
	ds_load_u16 v1, v1
	s_wait_dscnt 0x0
	v_lshlrev_b32_e32 v26, 16, v1
	v_max_num_f32_e32 v1, v26, v26
	s_delay_alu instid0(VALU_DEP_1) | instskip(SKIP_3) | instid1(VALU_DEP_1)
	v_min_num_f32_e32 v27, v1, v28
	v_max_num_f32_e32 v1, v1, v28
	v_cmp_u_f32_e64 s0, v26, v26
	s_wait_alu 0xf1ff
	v_cndmask_b32_e64 v27, v27, v26, s0
	s_delay_alu instid0(VALU_DEP_3) | instskip(NEXT) | instid1(VALU_DEP_2)
	v_cndmask_b32_e64 v1, v1, v26, s0
	v_cndmask_b32_e64 v27, v27, v25, s24
	s_delay_alu instid0(VALU_DEP_2) | instskip(NEXT) | instid1(VALU_DEP_2)
	v_cndmask_b32_e64 v1, v1, v25, s24
	v_cmp_class_f32_e64 s24, v27, 0x1f8
	s_delay_alu instid0(VALU_DEP_2)
	v_cmp_neq_f32_e64 s0, v27, v1
	s_or_b32 s0, s0, s24
	s_wait_alu 0xfffe
	s_and_saveexec_b32 s24, s0
	s_cbranch_execz .LBB479_101
; %bb.100:
	v_sub_f32_e32 v25, v27, v1
	s_delay_alu instid0(VALU_DEP_1) | instskip(NEXT) | instid1(VALU_DEP_1)
	v_mul_f32_e32 v26, 0x3fb8aa3b, v25
	v_fma_f32 v27, 0x3fb8aa3b, v25, -v26
	v_rndne_f32_e32 v28, v26
	s_delay_alu instid0(VALU_DEP_1) | instskip(SKIP_1) | instid1(VALU_DEP_2)
	v_dual_sub_f32 v26, v26, v28 :: v_dual_fmamk_f32 v27, v25, 0x32a5705f, v27
	v_cmp_ngt_f32_e64 s0, 0xc2ce8ed0, v25
	v_add_f32_e32 v26, v26, v27
	v_cvt_i32_f32_e32 v27, v28
	s_delay_alu instid0(VALU_DEP_2) | instskip(NEXT) | instid1(TRANS32_DEP_1)
	v_exp_f32_e32 v26, v26
	v_ldexp_f32 v26, v26, v27
	s_wait_alu 0xf1ff
	s_delay_alu instid0(VALU_DEP_1) | instskip(SKIP_2) | instid1(VALU_DEP_1)
	v_cndmask_b32_e64 v26, 0, v26, s0
	v_cmp_nlt_f32_e64 s0, 0x42b17218, v25
	s_wait_alu 0xf1ff
	v_cndmask_b32_e64 v27, 0x7f800000, v26, s0
	s_delay_alu instid0(VALU_DEP_1) | instskip(NEXT) | instid1(VALU_DEP_1)
	v_add_f32_e32 v28, 1.0, v27
	v_cvt_f64_f32_e32 v[25:26], v28
	s_delay_alu instid0(VALU_DEP_1) | instskip(SKIP_1) | instid1(VALU_DEP_1)
	v_frexp_exp_i32_f64_e32 v25, v[25:26]
	v_frexp_mant_f32_e32 v26, v28
	v_cmp_gt_f32_e64 s0, 0x3f2aaaab, v26
	v_add_f32_e32 v26, -1.0, v28
	s_delay_alu instid0(VALU_DEP_1) | instskip(NEXT) | instid1(VALU_DEP_1)
	v_dual_sub_f32 v31, v26, v28 :: v_dual_sub_f32 v26, v27, v26
	v_add_f32_e32 v31, 1.0, v31
	s_delay_alu instid0(VALU_DEP_1)
	v_add_f32_e32 v26, v26, v31
	s_wait_alu 0xf1ff
	v_subrev_co_ci_u32_e64 v25, null, 0, v25, s0
	s_mov_b32 s0, 0x3e9b6dac
	v_sub_nc_u32_e32 v30, 0, v25
	v_cvt_f32_i32_e32 v25, v25
	s_delay_alu instid0(VALU_DEP_2) | instskip(SKIP_1) | instid1(VALU_DEP_2)
	v_ldexp_f32 v28, v28, v30
	v_ldexp_f32 v26, v26, v30
	v_add_f32_e32 v32, 1.0, v28
	s_delay_alu instid0(VALU_DEP_1) | instskip(NEXT) | instid1(VALU_DEP_1)
	v_add_f32_e32 v31, -1.0, v32
	v_dual_sub_f32 v31, v28, v31 :: v_dual_add_f32 v30, -1.0, v28
	s_delay_alu instid0(VALU_DEP_1) | instskip(NEXT) | instid1(VALU_DEP_2)
	v_add_f32_e32 v31, v26, v31
	v_add_f32_e32 v33, 1.0, v30
	s_delay_alu instid0(VALU_DEP_1) | instskip(NEXT) | instid1(VALU_DEP_1)
	v_sub_f32_e32 v28, v28, v33
	v_dual_add_f32 v33, v32, v31 :: v_dual_add_f32 v26, v26, v28
	s_delay_alu instid0(VALU_DEP_1) | instskip(SKIP_1) | instid1(VALU_DEP_1)
	v_rcp_f32_e32 v28, v33
	v_sub_f32_e32 v32, v32, v33
	v_dual_add_f32 v34, v30, v26 :: v_dual_add_f32 v31, v31, v32
	s_delay_alu instid0(TRANS32_DEP_1) | instid1(VALU_DEP_1)
	v_mul_f32_e32 v35, v34, v28
	s_delay_alu instid0(VALU_DEP_1) | instskip(NEXT) | instid1(VALU_DEP_1)
	v_mul_f32_e32 v36, v33, v35
	v_fma_f32 v32, v35, v33, -v36
	s_delay_alu instid0(VALU_DEP_1) | instskip(NEXT) | instid1(VALU_DEP_1)
	v_fmac_f32_e32 v32, v35, v31
	v_dual_add_f32 v37, v36, v32 :: v_dual_sub_f32 v30, v30, v34
	s_delay_alu instid0(VALU_DEP_1) | instskip(NEXT) | instid1(VALU_DEP_2)
	v_sub_f32_e32 v38, v34, v37
	v_add_f32_e32 v26, v26, v30
	v_sub_f32_e32 v30, v37, v36
	s_delay_alu instid0(VALU_DEP_3) | instskip(NEXT) | instid1(VALU_DEP_2)
	v_sub_f32_e32 v34, v34, v38
	v_sub_f32_e32 v30, v30, v32
	s_delay_alu instid0(VALU_DEP_2) | instskip(NEXT) | instid1(VALU_DEP_1)
	v_sub_f32_e32 v34, v34, v37
	v_add_f32_e32 v26, v26, v34
	s_delay_alu instid0(VALU_DEP_1) | instskip(NEXT) | instid1(VALU_DEP_1)
	v_add_f32_e32 v26, v30, v26
	v_add_f32_e32 v30, v38, v26
	s_delay_alu instid0(VALU_DEP_1) | instskip(NEXT) | instid1(VALU_DEP_1)
	v_mul_f32_e32 v32, v28, v30
	v_mul_f32_e32 v34, v33, v32
	s_delay_alu instid0(VALU_DEP_1) | instskip(NEXT) | instid1(VALU_DEP_1)
	v_fma_f32 v33, v32, v33, -v34
	v_fmac_f32_e32 v33, v32, v31
	v_sub_f32_e32 v37, v38, v30
	s_delay_alu instid0(VALU_DEP_2) | instskip(NEXT) | instid1(VALU_DEP_2)
	v_add_f32_e32 v31, v34, v33
	v_add_f32_e32 v26, v26, v37
	s_delay_alu instid0(VALU_DEP_2) | instskip(SKIP_1) | instid1(VALU_DEP_2)
	v_sub_f32_e32 v36, v30, v31
	v_sub_f32_e32 v34, v31, v34
	;; [unrolled: 1-line block ×3, first 2 shown]
	s_delay_alu instid0(VALU_DEP_1) | instskip(NEXT) | instid1(VALU_DEP_3)
	v_sub_f32_e32 v30, v30, v31
	v_sub_f32_e32 v31, v34, v33
	s_delay_alu instid0(VALU_DEP_2) | instskip(SKIP_1) | instid1(VALU_DEP_1)
	v_add_f32_e32 v26, v26, v30
	v_add_f32_e32 v30, v35, v32
	v_dual_add_f32 v26, v31, v26 :: v_dual_sub_f32 v31, v30, v35
	s_delay_alu instid0(VALU_DEP_1) | instskip(NEXT) | instid1(VALU_DEP_2)
	v_add_f32_e32 v26, v36, v26
	v_sub_f32_e32 v31, v32, v31
	s_delay_alu instid0(VALU_DEP_2) | instskip(NEXT) | instid1(VALU_DEP_1)
	v_mul_f32_e32 v26, v28, v26
	v_add_f32_e32 v26, v31, v26
	s_delay_alu instid0(VALU_DEP_1) | instskip(NEXT) | instid1(VALU_DEP_1)
	v_add_f32_e32 v28, v30, v26
	v_mul_f32_e32 v31, v28, v28
	s_wait_alu 0xfffe
	s_delay_alu instid0(VALU_DEP_1) | instskip(SKIP_2) | instid1(VALU_DEP_3)
	v_fmaak_f32 v32, s0, v31, 0x3ecc95a3
	v_mul_f32_e32 v33, v28, v31
	v_cmp_neq_f32_e64 s0, 0x7f800000, v27
	v_fmaak_f32 v31, v31, v32, 0x3f2aaada
	v_ldexp_f32 v32, v28, 1
	s_delay_alu instid0(VALU_DEP_2) | instskip(NEXT) | instid1(VALU_DEP_1)
	v_dual_sub_f32 v28, v28, v30 :: v_dual_mul_f32 v31, v33, v31
	v_dual_mul_f32 v33, 0x3f317218, v25 :: v_dual_sub_f32 v26, v26, v28
	s_delay_alu instid0(VALU_DEP_2) | instskip(NEXT) | instid1(VALU_DEP_2)
	v_add_f32_e32 v30, v32, v31
	v_ldexp_f32 v26, v26, 1
	s_delay_alu instid0(VALU_DEP_2) | instskip(NEXT) | instid1(VALU_DEP_4)
	v_sub_f32_e32 v28, v30, v32
	v_fma_f32 v32, 0x3f317218, v25, -v33
	s_delay_alu instid0(VALU_DEP_1) | instskip(NEXT) | instid1(VALU_DEP_1)
	v_dual_sub_f32 v28, v31, v28 :: v_dual_fmamk_f32 v25, v25, 0xb102e308, v32
	v_add_f32_e32 v26, v26, v28
	s_delay_alu instid0(VALU_DEP_1) | instskip(NEXT) | instid1(VALU_DEP_1)
	v_dual_add_f32 v28, v33, v25 :: v_dual_add_f32 v31, v30, v26
	v_sub_f32_e32 v33, v28, v33
	s_delay_alu instid0(VALU_DEP_2) | instskip(NEXT) | instid1(VALU_DEP_2)
	v_add_f32_e32 v32, v28, v31
	v_dual_sub_f32 v30, v31, v30 :: v_dual_sub_f32 v25, v25, v33
	s_delay_alu instid0(VALU_DEP_2) | instskip(NEXT) | instid1(VALU_DEP_2)
	v_sub_f32_e32 v34, v32, v28
	v_sub_f32_e32 v26, v26, v30
	s_delay_alu instid0(VALU_DEP_2) | instskip(SKIP_1) | instid1(VALU_DEP_2)
	v_sub_f32_e32 v35, v32, v34
	v_sub_f32_e32 v30, v31, v34
	v_dual_add_f32 v31, v25, v26 :: v_dual_sub_f32 v28, v28, v35
	s_delay_alu instid0(VALU_DEP_1) | instskip(NEXT) | instid1(VALU_DEP_2)
	v_add_f32_e32 v28, v30, v28
	v_sub_f32_e32 v30, v31, v25
	s_delay_alu instid0(VALU_DEP_2) | instskip(NEXT) | instid1(VALU_DEP_2)
	v_add_f32_e32 v28, v31, v28
	v_sub_f32_e32 v31, v31, v30
	s_delay_alu instid0(VALU_DEP_2) | instskip(NEXT) | instid1(VALU_DEP_2)
	v_dual_sub_f32 v26, v26, v30 :: v_dual_add_f32 v33, v32, v28
	v_sub_f32_e32 v25, v25, v31
	s_delay_alu instid0(VALU_DEP_1) | instskip(NEXT) | instid1(VALU_DEP_1)
	v_dual_sub_f32 v30, v33, v32 :: v_dual_add_f32 v25, v26, v25
	v_sub_f32_e32 v26, v28, v30
	s_delay_alu instid0(VALU_DEP_1) | instskip(NEXT) | instid1(VALU_DEP_1)
	v_add_f32_e32 v25, v25, v26
	v_add_f32_e32 v25, v33, v25
	s_wait_alu 0xf1ff
	s_delay_alu instid0(VALU_DEP_1) | instskip(SKIP_2) | instid1(VALU_DEP_1)
	v_cndmask_b32_e64 v25, 0x7f800000, v25, s0
	v_cmp_gt_f32_e64 s0, 0x33800000, |v27|
	s_wait_alu 0xf1ff
	v_cndmask_b32_e64 v25, v25, v27, s0
	s_delay_alu instid0(VALU_DEP_1)
	v_add_f32_e32 v26, v1, v25
.LBB479_101:
	s_wait_alu 0xfffe
	s_or_b32 exec_lo, exec_lo, s24
	s_delay_alu instid0(VALU_DEP_1) | instskip(SKIP_2) | instid1(VALU_DEP_2)
	v_bfe_u32 v1, v26, 16, 1
	v_cmp_o_f32_e64 s0, v26, v26
	;;#ASMSTART
	;;#ASMEND
	v_add3_u32 v1, v26, v1, 0x7fff
	s_delay_alu instid0(VALU_DEP_1) | instskip(SKIP_1) | instid1(VALU_DEP_1)
	v_lshrrev_b32_e32 v1, 16, v1
	s_wait_alu 0xf1ff
	v_cndmask_b32_e64 v1, 0x7fc0, v1, s0
	s_delay_alu instid0(VALU_DEP_1) | instskip(NEXT) | instid1(VALU_DEP_1)
	v_lshlrev_b32_e32 v25, 16, v1
	v_max_num_f32_e32 v27, v25, v25
	s_delay_alu instid0(VALU_DEP_1)
	v_min_num_f32_e32 v26, v27, v12
	v_max_num_f32_e32 v27, v27, v12
.LBB479_102:
	s_wait_alu 0xfffe
	s_or_b32 exec_lo, exec_lo, s1
	v_cmp_u_f32_e64 s0, v25, v25
	s_wait_alu 0xf1ff
	s_delay_alu instid0(VALU_DEP_1) | instskip(SKIP_1) | instid1(VALU_DEP_2)
	v_cndmask_b32_e64 v12, v26, v25, s0
	v_cndmask_b32_e64 v26, v27, v25, s0
	;; [unrolled: 1-line block ×3, first 2 shown]
	s_delay_alu instid0(VALU_DEP_2) | instskip(NEXT) | instid1(VALU_DEP_2)
	v_cndmask_b32_e64 v8, v26, v8, s13
	v_cmp_class_f32_e64 s1, v12, 0x1f8
	s_delay_alu instid0(VALU_DEP_2)
	v_cmp_neq_f32_e64 s0, v12, v8
	s_or_b32 s0, s0, s1
	s_wait_alu 0xfffe
	s_and_saveexec_b32 s1, s0
	s_cbranch_execz .LBB479_104
; %bb.103:
	v_sub_f32_e32 v12, v12, v8
	s_delay_alu instid0(VALU_DEP_1) | instskip(NEXT) | instid1(VALU_DEP_1)
	v_mul_f32_e32 v25, 0x3fb8aa3b, v12
	v_fma_f32 v26, 0x3fb8aa3b, v12, -v25
	v_rndne_f32_e32 v27, v25
	s_delay_alu instid0(VALU_DEP_1) | instskip(SKIP_1) | instid1(VALU_DEP_2)
	v_dual_sub_f32 v25, v25, v27 :: v_dual_fmamk_f32 v26, v12, 0x32a5705f, v26
	v_cmp_ngt_f32_e64 s0, 0xc2ce8ed0, v12
	v_add_f32_e32 v25, v25, v26
	v_cvt_i32_f32_e32 v26, v27
	s_delay_alu instid0(VALU_DEP_2) | instskip(NEXT) | instid1(TRANS32_DEP_1)
	v_exp_f32_e32 v25, v25
	v_ldexp_f32 v25, v25, v26
	s_wait_alu 0xf1ff
	s_delay_alu instid0(VALU_DEP_1) | instskip(SKIP_2) | instid1(VALU_DEP_1)
	v_cndmask_b32_e64 v25, 0, v25, s0
	v_cmp_nlt_f32_e64 s0, 0x42b17218, v12
	s_wait_alu 0xf1ff
	v_cndmask_b32_e64 v12, 0x7f800000, v25, s0
	s_delay_alu instid0(VALU_DEP_1) | instskip(NEXT) | instid1(VALU_DEP_1)
	v_add_f32_e32 v27, 1.0, v12
	v_cvt_f64_f32_e32 v[25:26], v27
	s_delay_alu instid0(VALU_DEP_1) | instskip(SKIP_1) | instid1(VALU_DEP_1)
	v_frexp_exp_i32_f64_e32 v25, v[25:26]
	v_frexp_mant_f32_e32 v26, v27
	v_cmp_gt_f32_e64 s0, 0x3f2aaaab, v26
	v_add_f32_e32 v26, -1.0, v27
	s_delay_alu instid0(VALU_DEP_1) | instskip(SKIP_1) | instid1(VALU_DEP_3)
	v_sub_f32_e32 v30, v26, v27
	s_wait_alu 0xf1ff
	v_subrev_co_ci_u32_e64 v25, null, 0, v25, s0
	s_mov_b32 s0, 0x3e9b6dac
	v_sub_nc_u32_e32 v28, 0, v25
	v_cvt_f32_i32_e32 v25, v25
	s_delay_alu instid0(VALU_DEP_2) | instskip(SKIP_1) | instid1(VALU_DEP_2)
	v_ldexp_f32 v27, v27, v28
	v_sub_f32_e32 v26, v12, v26
	v_dual_add_f32 v30, 1.0, v30 :: v_dual_add_f32 v31, 1.0, v27
	s_delay_alu instid0(VALU_DEP_1) | instskip(NEXT) | instid1(VALU_DEP_1)
	v_add_f32_e32 v26, v26, v30
	v_ldexp_f32 v26, v26, v28
	v_add_f32_e32 v28, -1.0, v27
	s_delay_alu instid0(VALU_DEP_4) | instskip(NEXT) | instid1(VALU_DEP_2)
	v_add_f32_e32 v30, -1.0, v31
	v_add_f32_e32 v32, 1.0, v28
	s_delay_alu instid0(VALU_DEP_2) | instskip(NEXT) | instid1(VALU_DEP_1)
	v_sub_f32_e32 v30, v27, v30
	v_dual_sub_f32 v27, v27, v32 :: v_dual_add_f32 v30, v26, v30
	s_delay_alu instid0(VALU_DEP_1) | instskip(NEXT) | instid1(VALU_DEP_2)
	v_add_f32_e32 v26, v26, v27
	v_add_f32_e32 v32, v31, v30
	s_delay_alu instid0(VALU_DEP_2) | instskip(NEXT) | instid1(VALU_DEP_2)
	v_add_f32_e32 v33, v28, v26
	v_rcp_f32_e32 v27, v32
	v_sub_f32_e32 v31, v31, v32
	s_delay_alu instid0(VALU_DEP_1) | instskip(NEXT) | instid1(TRANS32_DEP_1)
	v_add_f32_e32 v30, v30, v31
	v_mul_f32_e32 v34, v33, v27
	s_delay_alu instid0(VALU_DEP_1) | instskip(SKIP_1) | instid1(VALU_DEP_2)
	v_mul_f32_e32 v35, v32, v34
	v_sub_f32_e32 v28, v28, v33
	v_fma_f32 v31, v34, v32, -v35
	s_delay_alu instid0(VALU_DEP_2) | instskip(NEXT) | instid1(VALU_DEP_2)
	v_add_f32_e32 v26, v26, v28
	v_fmac_f32_e32 v31, v34, v30
	s_delay_alu instid0(VALU_DEP_1) | instskip(NEXT) | instid1(VALU_DEP_1)
	v_add_f32_e32 v36, v35, v31
	v_dual_sub_f32 v37, v33, v36 :: v_dual_sub_f32 v28, v36, v35
	s_delay_alu instid0(VALU_DEP_1) | instskip(NEXT) | instid1(VALU_DEP_1)
	v_dual_sub_f32 v33, v33, v37 :: v_dual_sub_f32 v28, v28, v31
	v_sub_f32_e32 v33, v33, v36
	s_delay_alu instid0(VALU_DEP_1) | instskip(NEXT) | instid1(VALU_DEP_1)
	v_add_f32_e32 v26, v26, v33
	v_add_f32_e32 v26, v28, v26
	s_delay_alu instid0(VALU_DEP_1) | instskip(NEXT) | instid1(VALU_DEP_1)
	v_add_f32_e32 v28, v37, v26
	v_mul_f32_e32 v31, v27, v28
	s_delay_alu instid0(VALU_DEP_1) | instskip(NEXT) | instid1(VALU_DEP_1)
	v_dual_sub_f32 v36, v37, v28 :: v_dual_mul_f32 v33, v32, v31
	v_add_f32_e32 v26, v26, v36
	s_delay_alu instid0(VALU_DEP_2) | instskip(NEXT) | instid1(VALU_DEP_1)
	v_fma_f32 v32, v31, v32, -v33
	v_fmac_f32_e32 v32, v31, v30
	s_delay_alu instid0(VALU_DEP_1) | instskip(NEXT) | instid1(VALU_DEP_1)
	v_add_f32_e32 v30, v33, v32
	v_sub_f32_e32 v35, v28, v30
	s_delay_alu instid0(VALU_DEP_1) | instskip(NEXT) | instid1(VALU_DEP_1)
	v_dual_sub_f32 v33, v30, v33 :: v_dual_sub_f32 v28, v28, v35
	v_sub_f32_e32 v28, v28, v30
	s_delay_alu instid0(VALU_DEP_2) | instskip(NEXT) | instid1(VALU_DEP_2)
	v_sub_f32_e32 v30, v33, v32
	v_add_f32_e32 v26, v26, v28
	v_add_f32_e32 v28, v34, v31
	s_delay_alu instid0(VALU_DEP_2) | instskip(NEXT) | instid1(VALU_DEP_2)
	v_add_f32_e32 v26, v30, v26
	v_sub_f32_e32 v30, v28, v34
	s_delay_alu instid0(VALU_DEP_2) | instskip(NEXT) | instid1(VALU_DEP_2)
	v_add_f32_e32 v26, v35, v26
	v_sub_f32_e32 v30, v31, v30
	s_delay_alu instid0(VALU_DEP_2) | instskip(NEXT) | instid1(VALU_DEP_1)
	v_mul_f32_e32 v26, v27, v26
	v_add_f32_e32 v26, v30, v26
	s_delay_alu instid0(VALU_DEP_1) | instskip(NEXT) | instid1(VALU_DEP_1)
	v_add_f32_e32 v27, v28, v26
	v_mul_f32_e32 v30, v27, v27
	s_wait_alu 0xfffe
	s_delay_alu instid0(VALU_DEP_1) | instskip(SKIP_2) | instid1(VALU_DEP_3)
	v_fmaak_f32 v31, s0, v30, 0x3ecc95a3
	v_mul_f32_e32 v32, v27, v30
	v_cmp_neq_f32_e64 s0, 0x7f800000, v12
	v_fmaak_f32 v30, v30, v31, 0x3f2aaada
	v_ldexp_f32 v31, v27, 1
	s_delay_alu instid0(VALU_DEP_2) | instskip(SKIP_1) | instid1(VALU_DEP_2)
	v_dual_sub_f32 v27, v27, v28 :: v_dual_mul_f32 v30, v32, v30
	v_mul_f32_e32 v32, 0x3f317218, v25
	v_sub_f32_e32 v26, v26, v27
	s_delay_alu instid0(VALU_DEP_3) | instskip(NEXT) | instid1(VALU_DEP_2)
	v_add_f32_e32 v28, v31, v30
	v_ldexp_f32 v26, v26, 1
	s_delay_alu instid0(VALU_DEP_2) | instskip(SKIP_1) | instid1(VALU_DEP_2)
	v_sub_f32_e32 v27, v28, v31
	v_fma_f32 v31, 0x3f317218, v25, -v32
	v_sub_f32_e32 v27, v30, v27
	s_delay_alu instid0(VALU_DEP_1) | instskip(NEXT) | instid1(VALU_DEP_1)
	v_dual_fmamk_f32 v25, v25, 0xb102e308, v31 :: v_dual_add_f32 v26, v26, v27
	v_add_f32_e32 v27, v32, v25
	s_delay_alu instid0(VALU_DEP_2) | instskip(NEXT) | instid1(VALU_DEP_2)
	v_add_f32_e32 v30, v28, v26
	v_sub_f32_e32 v32, v27, v32
	s_delay_alu instid0(VALU_DEP_2) | instskip(NEXT) | instid1(VALU_DEP_2)
	v_dual_add_f32 v31, v27, v30 :: v_dual_sub_f32 v28, v30, v28
	v_sub_f32_e32 v25, v25, v32
	s_delay_alu instid0(VALU_DEP_2) | instskip(NEXT) | instid1(VALU_DEP_1)
	v_dual_sub_f32 v33, v31, v27 :: v_dual_sub_f32 v26, v26, v28
	v_sub_f32_e32 v34, v31, v33
	v_sub_f32_e32 v28, v30, v33
	s_delay_alu instid0(VALU_DEP_3) | instskip(NEXT) | instid1(VALU_DEP_3)
	v_add_f32_e32 v30, v25, v26
	v_sub_f32_e32 v27, v27, v34
	s_delay_alu instid0(VALU_DEP_1) | instskip(NEXT) | instid1(VALU_DEP_1)
	v_dual_add_f32 v27, v28, v27 :: v_dual_sub_f32 v28, v30, v25
	v_add_f32_e32 v27, v30, v27
	s_delay_alu instid0(VALU_DEP_2) | instskip(SKIP_1) | instid1(VALU_DEP_2)
	v_sub_f32_e32 v30, v30, v28
	v_sub_f32_e32 v26, v26, v28
	v_dual_add_f32 v32, v31, v27 :: v_dual_sub_f32 v25, v25, v30
	s_delay_alu instid0(VALU_DEP_1) | instskip(NEXT) | instid1(VALU_DEP_1)
	v_dual_sub_f32 v28, v32, v31 :: v_dual_add_f32 v25, v26, v25
	v_sub_f32_e32 v26, v27, v28
	s_delay_alu instid0(VALU_DEP_1) | instskip(NEXT) | instid1(VALU_DEP_1)
	v_add_f32_e32 v25, v25, v26
	v_add_f32_e32 v25, v32, v25
	s_wait_alu 0xf1ff
	s_delay_alu instid0(VALU_DEP_1) | instskip(SKIP_2) | instid1(VALU_DEP_1)
	v_cndmask_b32_e64 v25, 0x7f800000, v25, s0
	v_cmp_gt_f32_e64 s0, 0x33800000, |v12|
	s_wait_alu 0xf1ff
	v_cndmask_b32_e64 v12, v25, v12, s0
	s_delay_alu instid0(VALU_DEP_1)
	v_add_f32_e32 v25, v8, v12
.LBB479_104:
	s_wait_alu 0xfffe
	s_or_b32 exec_lo, exec_lo, s1
	s_delay_alu instid0(VALU_DEP_1) | instskip(SKIP_1) | instid1(VALU_DEP_2)
	v_bfe_u32 v8, v25, 16, 1
	v_cmp_o_f32_e64 s0, v25, v25
	v_add3_u32 v8, v25, v8, 0x7fff
	s_delay_alu instid0(VALU_DEP_1) | instskip(SKIP_1) | instid1(VALU_DEP_1)
	v_lshrrev_b32_e32 v8, 16, v8
	s_wait_alu 0xf1ff
	v_cndmask_b32_e64 v8, 0x7fc0, v8, s0
	s_delay_alu instid0(VALU_DEP_1) | instskip(NEXT) | instid1(VALU_DEP_1)
	v_lshlrev_b32_e32 v12, 16, v8
	v_max_num_f32_e32 v25, v12, v12
	s_delay_alu instid0(VALU_DEP_1) | instskip(SKIP_3) | instid1(VALU_DEP_1)
	v_min_num_f32_e32 v26, v25, v11
	v_max_num_f32_e32 v11, v25, v11
	v_cmp_u_f32_e64 s0, v12, v12
	s_wait_alu 0xf1ff
	v_cndmask_b32_e64 v25, v26, v12, s0
	s_delay_alu instid0(VALU_DEP_3) | instskip(NEXT) | instid1(VALU_DEP_2)
	v_cndmask_b32_e64 v26, v11, v12, s0
	v_cndmask_b32_e64 v11, v25, v9, s14
	s_delay_alu instid0(VALU_DEP_2) | instskip(NEXT) | instid1(VALU_DEP_2)
	v_cndmask_b32_e64 v9, v26, v9, s14
	v_cmp_class_f32_e64 s1, v11, 0x1f8
	s_delay_alu instid0(VALU_DEP_2)
	v_cmp_neq_f32_e64 s0, v11, v9
	s_or_b32 s0, s0, s1
	s_wait_alu 0xfffe
	s_and_saveexec_b32 s1, s0
	s_cbranch_execz .LBB479_106
; %bb.105:
	v_sub_f32_e32 v11, v11, v9
	s_delay_alu instid0(VALU_DEP_1) | instskip(NEXT) | instid1(VALU_DEP_1)
	v_mul_f32_e32 v12, 0x3fb8aa3b, v11
	v_fma_f32 v25, 0x3fb8aa3b, v11, -v12
	v_rndne_f32_e32 v26, v12
	s_delay_alu instid0(VALU_DEP_1) | instskip(SKIP_1) | instid1(VALU_DEP_2)
	v_dual_sub_f32 v12, v12, v26 :: v_dual_fmamk_f32 v25, v11, 0x32a5705f, v25
	v_cmp_ngt_f32_e64 s0, 0xc2ce8ed0, v11
	v_add_f32_e32 v12, v12, v25
	v_cvt_i32_f32_e32 v25, v26
	s_delay_alu instid0(VALU_DEP_2) | instskip(NEXT) | instid1(TRANS32_DEP_1)
	v_exp_f32_e32 v12, v12
	v_ldexp_f32 v12, v12, v25
	s_wait_alu 0xf1ff
	s_delay_alu instid0(VALU_DEP_1) | instskip(SKIP_2) | instid1(VALU_DEP_1)
	v_cndmask_b32_e64 v12, 0, v12, s0
	v_cmp_nlt_f32_e64 s0, 0x42b17218, v11
	s_wait_alu 0xf1ff
	v_cndmask_b32_e64 v25, 0x7f800000, v12, s0
	s_delay_alu instid0(VALU_DEP_1) | instskip(NEXT) | instid1(VALU_DEP_1)
	v_add_f32_e32 v26, 1.0, v25
	v_cvt_f64_f32_e32 v[11:12], v26
	s_delay_alu instid0(VALU_DEP_1) | instskip(SKIP_1) | instid1(VALU_DEP_1)
	v_frexp_exp_i32_f64_e32 v11, v[11:12]
	v_frexp_mant_f32_e32 v12, v26
	v_cmp_gt_f32_e64 s0, 0x3f2aaaab, v12
	v_add_f32_e32 v12, -1.0, v26
	s_delay_alu instid0(VALU_DEP_1) | instskip(SKIP_1) | instid1(VALU_DEP_2)
	v_sub_f32_e32 v28, v12, v26
	v_sub_f32_e32 v12, v25, v12
	v_add_f32_e32 v28, 1.0, v28
	s_delay_alu instid0(VALU_DEP_1)
	v_add_f32_e32 v12, v12, v28
	s_wait_alu 0xf1ff
	v_subrev_co_ci_u32_e64 v11, null, 0, v11, s0
	s_mov_b32 s0, 0x3e9b6dac
	v_sub_nc_u32_e32 v27, 0, v11
	v_cvt_f32_i32_e32 v11, v11
	s_delay_alu instid0(VALU_DEP_2) | instskip(SKIP_1) | instid1(VALU_DEP_2)
	v_ldexp_f32 v26, v26, v27
	v_ldexp_f32 v12, v12, v27
	v_add_f32_e32 v30, 1.0, v26
	v_add_f32_e32 v27, -1.0, v26
	s_delay_alu instid0(VALU_DEP_1) | instskip(NEXT) | instid1(VALU_DEP_1)
	v_dual_add_f32 v28, -1.0, v30 :: v_dual_add_f32 v31, 1.0, v27
	v_sub_f32_e32 v28, v26, v28
	s_delay_alu instid0(VALU_DEP_2) | instskip(NEXT) | instid1(VALU_DEP_2)
	v_sub_f32_e32 v26, v26, v31
	v_add_f32_e32 v28, v12, v28
	s_delay_alu instid0(VALU_DEP_1) | instskip(NEXT) | instid1(VALU_DEP_1)
	v_add_f32_e32 v31, v30, v28
	v_sub_f32_e32 v30, v30, v31
	s_delay_alu instid0(VALU_DEP_1) | instskip(SKIP_2) | instid1(VALU_DEP_1)
	v_add_f32_e32 v28, v28, v30
	v_add_f32_e32 v12, v12, v26
	v_rcp_f32_e32 v26, v31
	v_add_f32_e32 v32, v27, v12
	s_delay_alu instid0(VALU_DEP_1) | instskip(NEXT) | instid1(TRANS32_DEP_1)
	v_sub_f32_e32 v27, v27, v32
	v_mul_f32_e32 v33, v32, v26
	s_delay_alu instid0(VALU_DEP_2) | instskip(NEXT) | instid1(VALU_DEP_2)
	v_add_f32_e32 v12, v12, v27
	v_mul_f32_e32 v34, v31, v33
	s_delay_alu instid0(VALU_DEP_1) | instskip(NEXT) | instid1(VALU_DEP_1)
	v_fma_f32 v30, v33, v31, -v34
	v_fmac_f32_e32 v30, v33, v28
	s_delay_alu instid0(VALU_DEP_1) | instskip(NEXT) | instid1(VALU_DEP_1)
	v_add_f32_e32 v35, v34, v30
	v_dual_sub_f32 v36, v32, v35 :: v_dual_sub_f32 v27, v35, v34
	s_delay_alu instid0(VALU_DEP_1) | instskip(NEXT) | instid1(VALU_DEP_1)
	v_dual_sub_f32 v32, v32, v36 :: v_dual_sub_f32 v27, v27, v30
	v_sub_f32_e32 v32, v32, v35
	s_delay_alu instid0(VALU_DEP_1) | instskip(NEXT) | instid1(VALU_DEP_1)
	v_add_f32_e32 v12, v12, v32
	v_add_f32_e32 v12, v27, v12
	s_delay_alu instid0(VALU_DEP_1) | instskip(NEXT) | instid1(VALU_DEP_1)
	v_add_f32_e32 v27, v36, v12
	v_mul_f32_e32 v30, v26, v27
	s_delay_alu instid0(VALU_DEP_1) | instskip(NEXT) | instid1(VALU_DEP_1)
	v_dual_sub_f32 v35, v36, v27 :: v_dual_mul_f32 v32, v31, v30
	v_add_f32_e32 v12, v12, v35
	s_delay_alu instid0(VALU_DEP_2) | instskip(NEXT) | instid1(VALU_DEP_1)
	v_fma_f32 v31, v30, v31, -v32
	v_fmac_f32_e32 v31, v30, v28
	s_delay_alu instid0(VALU_DEP_1) | instskip(NEXT) | instid1(VALU_DEP_1)
	v_add_f32_e32 v28, v32, v31
	v_sub_f32_e32 v34, v27, v28
	s_delay_alu instid0(VALU_DEP_1) | instskip(NEXT) | instid1(VALU_DEP_1)
	v_dual_sub_f32 v32, v28, v32 :: v_dual_sub_f32 v27, v27, v34
	v_dual_sub_f32 v27, v27, v28 :: v_dual_sub_f32 v28, v32, v31
	s_delay_alu instid0(VALU_DEP_1) | instskip(NEXT) | instid1(VALU_DEP_1)
	v_dual_add_f32 v12, v12, v27 :: v_dual_add_f32 v27, v33, v30
	v_add_f32_e32 v12, v28, v12
	s_delay_alu instid0(VALU_DEP_2) | instskip(NEXT) | instid1(VALU_DEP_2)
	v_sub_f32_e32 v28, v27, v33
	v_add_f32_e32 v12, v34, v12
	s_delay_alu instid0(VALU_DEP_2) | instskip(NEXT) | instid1(VALU_DEP_2)
	v_sub_f32_e32 v28, v30, v28
	v_mul_f32_e32 v12, v26, v12
	s_delay_alu instid0(VALU_DEP_1) | instskip(NEXT) | instid1(VALU_DEP_1)
	v_add_f32_e32 v12, v28, v12
	v_add_f32_e32 v26, v27, v12
	s_delay_alu instid0(VALU_DEP_1) | instskip(SKIP_1) | instid1(VALU_DEP_1)
	v_mul_f32_e32 v28, v26, v26
	s_wait_alu 0xfffe
	v_fmaak_f32 v30, s0, v28, 0x3ecc95a3
	v_mul_f32_e32 v31, v26, v28
	v_cmp_neq_f32_e64 s0, 0x7f800000, v25
	s_delay_alu instid0(VALU_DEP_3) | instskip(SKIP_2) | instid1(VALU_DEP_3)
	v_fmaak_f32 v28, v28, v30, 0x3f2aaada
	v_ldexp_f32 v30, v26, 1
	v_sub_f32_e32 v26, v26, v27
	v_dual_mul_f32 v28, v31, v28 :: v_dual_mul_f32 v31, 0x3f317218, v11
	s_delay_alu instid0(VALU_DEP_1) | instskip(NEXT) | instid1(VALU_DEP_1)
	v_dual_sub_f32 v12, v12, v26 :: v_dual_add_f32 v27, v30, v28
	v_ldexp_f32 v12, v12, 1
	s_delay_alu instid0(VALU_DEP_2) | instskip(NEXT) | instid1(VALU_DEP_4)
	v_sub_f32_e32 v26, v27, v30
	v_fma_f32 v30, 0x3f317218, v11, -v31
	s_delay_alu instid0(VALU_DEP_1) | instskip(NEXT) | instid1(VALU_DEP_1)
	v_dual_sub_f32 v26, v28, v26 :: v_dual_fmamk_f32 v11, v11, 0xb102e308, v30
	v_add_f32_e32 v12, v12, v26
	s_delay_alu instid0(VALU_DEP_2) | instskip(NEXT) | instid1(VALU_DEP_1)
	v_add_f32_e32 v26, v31, v11
	v_dual_add_f32 v28, v27, v12 :: v_dual_sub_f32 v31, v26, v31
	s_delay_alu instid0(VALU_DEP_1) | instskip(NEXT) | instid1(VALU_DEP_1)
	v_dual_add_f32 v30, v26, v28 :: v_dual_sub_f32 v27, v28, v27
	v_dual_sub_f32 v11, v11, v31 :: v_dual_sub_f32 v32, v30, v26
	s_delay_alu instid0(VALU_DEP_1) | instskip(SKIP_1) | instid1(VALU_DEP_2)
	v_dual_sub_f32 v12, v12, v27 :: v_dual_sub_f32 v33, v30, v32
	v_sub_f32_e32 v27, v28, v32
	v_add_f32_e32 v28, v11, v12
	s_delay_alu instid0(VALU_DEP_3) | instskip(NEXT) | instid1(VALU_DEP_1)
	v_sub_f32_e32 v26, v26, v33
	v_dual_add_f32 v26, v27, v26 :: v_dual_sub_f32 v27, v28, v11
	s_delay_alu instid0(VALU_DEP_1) | instskip(NEXT) | instid1(VALU_DEP_2)
	v_add_f32_e32 v26, v28, v26
	v_sub_f32_e32 v28, v28, v27
	s_delay_alu instid0(VALU_DEP_2) | instskip(NEXT) | instid1(VALU_DEP_2)
	v_dual_sub_f32 v12, v12, v27 :: v_dual_add_f32 v31, v30, v26
	v_sub_f32_e32 v11, v11, v28
	s_delay_alu instid0(VALU_DEP_2) | instskip(NEXT) | instid1(VALU_DEP_2)
	v_sub_f32_e32 v27, v31, v30
	v_add_f32_e32 v11, v12, v11
	s_delay_alu instid0(VALU_DEP_2) | instskip(NEXT) | instid1(VALU_DEP_1)
	v_sub_f32_e32 v12, v26, v27
	v_add_f32_e32 v11, v11, v12
	s_delay_alu instid0(VALU_DEP_1) | instskip(SKIP_1) | instid1(VALU_DEP_1)
	v_add_f32_e32 v11, v31, v11
	s_wait_alu 0xf1ff
	v_cndmask_b32_e64 v11, 0x7f800000, v11, s0
	v_cmp_gt_f32_e64 s0, 0x33800000, |v25|
	s_wait_alu 0xf1ff
	s_delay_alu instid0(VALU_DEP_1) | instskip(NEXT) | instid1(VALU_DEP_1)
	v_cndmask_b32_e64 v11, v11, v25, s0
	v_add_f32_e32 v12, v9, v11
.LBB479_106:
	s_wait_alu 0xfffe
	s_or_b32 exec_lo, exec_lo, s1
	s_delay_alu instid0(VALU_DEP_1) | instskip(SKIP_1) | instid1(VALU_DEP_2)
	v_bfe_u32 v9, v12, 16, 1
	v_cmp_o_f32_e64 s0, v12, v12
	v_add3_u32 v9, v12, v9, 0x7fff
	s_delay_alu instid0(VALU_DEP_1) | instskip(SKIP_1) | instid1(VALU_DEP_1)
	v_lshrrev_b32_e32 v9, 16, v9
	s_wait_alu 0xf1ff
	v_cndmask_b32_e64 v9, 0x7fc0, v9, s0
	s_delay_alu instid0(VALU_DEP_1) | instskip(NEXT) | instid1(VALU_DEP_1)
	v_lshlrev_b32_e32 v11, 16, v9
	v_max_num_f32_e32 v12, v11, v11
	v_cmp_u_f32_e64 s0, v11, v11
	s_delay_alu instid0(VALU_DEP_2) | instskip(SKIP_2) | instid1(VALU_DEP_2)
	v_min_num_f32_e32 v25, v12, v13
	v_max_num_f32_e32 v12, v12, v13
	s_wait_alu 0xf1ff
	v_cndmask_b32_e64 v13, v25, v11, s0
	s_delay_alu instid0(VALU_DEP_2) | instskip(NEXT) | instid1(VALU_DEP_2)
	v_cndmask_b32_e64 v25, v12, v11, s0
	v_cndmask_b32_e64 v12, v13, v2, s15
	s_delay_alu instid0(VALU_DEP_2) | instskip(NEXT) | instid1(VALU_DEP_2)
	v_cndmask_b32_e64 v2, v25, v2, s15
	v_cmp_class_f32_e64 s1, v12, 0x1f8
	s_delay_alu instid0(VALU_DEP_2)
	v_cmp_neq_f32_e64 s0, v12, v2
	s_or_b32 s0, s0, s1
	s_wait_alu 0xfffe
	s_and_saveexec_b32 s1, s0
	s_cbranch_execz .LBB479_108
; %bb.107:
	v_sub_f32_e32 v11, v12, v2
	s_delay_alu instid0(VALU_DEP_1) | instskip(SKIP_1) | instid1(VALU_DEP_2)
	v_mul_f32_e32 v12, 0x3fb8aa3b, v11
	v_cmp_ngt_f32_e64 s0, 0xc2ce8ed0, v11
	v_fma_f32 v13, 0x3fb8aa3b, v11, -v12
	v_rndne_f32_e32 v25, v12
	s_delay_alu instid0(VALU_DEP_1) | instskip(NEXT) | instid1(VALU_DEP_1)
	v_dual_fmamk_f32 v13, v11, 0x32a5705f, v13 :: v_dual_sub_f32 v12, v12, v25
	v_add_f32_e32 v12, v12, v13
	v_cvt_i32_f32_e32 v13, v25
	s_delay_alu instid0(VALU_DEP_2) | instskip(NEXT) | instid1(TRANS32_DEP_1)
	v_exp_f32_e32 v12, v12
	v_ldexp_f32 v12, v12, v13
	s_wait_alu 0xf1ff
	s_delay_alu instid0(VALU_DEP_1) | instskip(SKIP_2) | instid1(VALU_DEP_1)
	v_cndmask_b32_e64 v12, 0, v12, s0
	v_cmp_nlt_f32_e64 s0, 0x42b17218, v11
	s_wait_alu 0xf1ff
	v_cndmask_b32_e64 v13, 0x7f800000, v12, s0
	s_delay_alu instid0(VALU_DEP_1) | instskip(NEXT) | instid1(VALU_DEP_1)
	v_add_f32_e32 v25, 1.0, v13
	v_cvt_f64_f32_e32 v[11:12], v25
	s_delay_alu instid0(VALU_DEP_1) | instskip(SKIP_1) | instid1(VALU_DEP_1)
	v_frexp_exp_i32_f64_e32 v11, v[11:12]
	v_frexp_mant_f32_e32 v12, v25
	v_cmp_gt_f32_e64 s0, 0x3f2aaaab, v12
	v_add_f32_e32 v12, -1.0, v25
	s_delay_alu instid0(VALU_DEP_1) | instskip(NEXT) | instid1(VALU_DEP_1)
	v_dual_sub_f32 v27, v12, v25 :: v_dual_sub_f32 v12, v13, v12
	v_add_f32_e32 v27, 1.0, v27
	s_wait_alu 0xf1ff
	v_subrev_co_ci_u32_e64 v11, null, 0, v11, s0
	s_mov_b32 s0, 0x3e9b6dac
	v_sub_nc_u32_e32 v26, 0, v11
	v_cvt_f32_i32_e32 v11, v11
	s_delay_alu instid0(VALU_DEP_2) | instskip(NEXT) | instid1(VALU_DEP_1)
	v_ldexp_f32 v25, v25, v26
	v_add_f32_e32 v28, 1.0, v25
	s_delay_alu instid0(VALU_DEP_1) | instskip(NEXT) | instid1(VALU_DEP_1)
	v_dual_add_f32 v12, v12, v27 :: v_dual_add_f32 v27, -1.0, v28
	v_ldexp_f32 v12, v12, v26
	s_delay_alu instid0(VALU_DEP_2) | instskip(NEXT) | instid1(VALU_DEP_1)
	v_dual_sub_f32 v27, v25, v27 :: v_dual_add_f32 v26, -1.0, v25
	v_dual_add_f32 v27, v12, v27 :: v_dual_add_f32 v30, 1.0, v26
	s_delay_alu instid0(VALU_DEP_1) | instskip(NEXT) | instid1(VALU_DEP_1)
	v_dual_sub_f32 v25, v25, v30 :: v_dual_add_f32 v30, v28, v27
	v_add_f32_e32 v12, v12, v25
	s_delay_alu instid0(VALU_DEP_2) | instskip(NEXT) | instid1(VALU_DEP_1)
	v_rcp_f32_e32 v25, v30
	v_dual_add_f32 v31, v26, v12 :: v_dual_sub_f32 v28, v28, v30
	s_delay_alu instid0(VALU_DEP_1) | instskip(NEXT) | instid1(TRANS32_DEP_1)
	v_dual_sub_f32 v26, v26, v31 :: v_dual_add_f32 v27, v27, v28
	v_mul_f32_e32 v32, v31, v25
	s_delay_alu instid0(VALU_DEP_1) | instskip(NEXT) | instid1(VALU_DEP_1)
	v_dual_mul_f32 v33, v30, v32 :: v_dual_add_f32 v12, v12, v26
	v_fma_f32 v28, v32, v30, -v33
	s_delay_alu instid0(VALU_DEP_1) | instskip(NEXT) | instid1(VALU_DEP_1)
	v_fmac_f32_e32 v28, v32, v27
	v_add_f32_e32 v34, v33, v28
	s_delay_alu instid0(VALU_DEP_1) | instskip(NEXT) | instid1(VALU_DEP_1)
	v_sub_f32_e32 v35, v31, v34
	v_dual_sub_f32 v31, v31, v35 :: v_dual_sub_f32 v26, v34, v33
	s_delay_alu instid0(VALU_DEP_1) | instskip(NEXT) | instid1(VALU_DEP_1)
	v_dual_sub_f32 v31, v31, v34 :: v_dual_sub_f32 v26, v26, v28
	v_add_f32_e32 v12, v12, v31
	s_delay_alu instid0(VALU_DEP_1) | instskip(NEXT) | instid1(VALU_DEP_1)
	v_add_f32_e32 v12, v26, v12
	v_add_f32_e32 v26, v35, v12
	s_delay_alu instid0(VALU_DEP_1) | instskip(NEXT) | instid1(VALU_DEP_1)
	v_mul_f32_e32 v28, v25, v26
	v_dual_sub_f32 v34, v35, v26 :: v_dual_mul_f32 v31, v30, v28
	s_delay_alu instid0(VALU_DEP_1) | instskip(NEXT) | instid1(VALU_DEP_2)
	v_add_f32_e32 v12, v12, v34
	v_fma_f32 v30, v28, v30, -v31
	s_delay_alu instid0(VALU_DEP_1) | instskip(NEXT) | instid1(VALU_DEP_1)
	v_fmac_f32_e32 v30, v28, v27
	v_add_f32_e32 v27, v31, v30
	s_delay_alu instid0(VALU_DEP_1) | instskip(NEXT) | instid1(VALU_DEP_1)
	v_sub_f32_e32 v33, v26, v27
	v_dual_sub_f32 v31, v27, v31 :: v_dual_sub_f32 v26, v26, v33
	s_delay_alu instid0(VALU_DEP_1) | instskip(NEXT) | instid1(VALU_DEP_1)
	v_dual_sub_f32 v26, v26, v27 :: v_dual_sub_f32 v27, v31, v30
	v_add_f32_e32 v12, v12, v26
	v_add_f32_e32 v26, v32, v28
	s_delay_alu instid0(VALU_DEP_2) | instskip(NEXT) | instid1(VALU_DEP_2)
	v_add_f32_e32 v12, v27, v12
	v_sub_f32_e32 v27, v26, v32
	s_delay_alu instid0(VALU_DEP_1) | instskip(NEXT) | instid1(VALU_DEP_1)
	v_dual_add_f32 v12, v33, v12 :: v_dual_sub_f32 v27, v28, v27
	v_mul_f32_e32 v12, v25, v12
	s_delay_alu instid0(VALU_DEP_1) | instskip(NEXT) | instid1(VALU_DEP_1)
	v_add_f32_e32 v12, v27, v12
	v_add_f32_e32 v25, v26, v12
	s_delay_alu instid0(VALU_DEP_1) | instskip(SKIP_1) | instid1(VALU_DEP_1)
	v_mul_f32_e32 v27, v25, v25
	s_wait_alu 0xfffe
	v_fmaak_f32 v28, s0, v27, 0x3ecc95a3
	v_mul_f32_e32 v30, v25, v27
	v_cmp_neq_f32_e64 s0, 0x7f800000, v13
	s_delay_alu instid0(VALU_DEP_3) | instskip(SKIP_2) | instid1(VALU_DEP_3)
	v_fmaak_f32 v27, v27, v28, 0x3f2aaada
	v_ldexp_f32 v28, v25, 1
	v_sub_f32_e32 v25, v25, v26
	v_mul_f32_e32 v27, v30, v27
	v_mul_f32_e32 v30, 0x3f317218, v11
	s_delay_alu instid0(VALU_DEP_3) | instskip(NEXT) | instid1(VALU_DEP_3)
	v_sub_f32_e32 v12, v12, v25
	v_add_f32_e32 v26, v28, v27
	s_delay_alu instid0(VALU_DEP_2) | instskip(NEXT) | instid1(VALU_DEP_2)
	v_ldexp_f32 v12, v12, 1
	v_sub_f32_e32 v25, v26, v28
	v_fma_f32 v28, 0x3f317218, v11, -v30
	s_delay_alu instid0(VALU_DEP_2) | instskip(NEXT) | instid1(VALU_DEP_1)
	v_sub_f32_e32 v25, v27, v25
	v_dual_fmamk_f32 v11, v11, 0xb102e308, v28 :: v_dual_add_f32 v12, v12, v25
	s_delay_alu instid0(VALU_DEP_1) | instskip(NEXT) | instid1(VALU_DEP_1)
	v_add_f32_e32 v25, v30, v11
	v_dual_add_f32 v27, v26, v12 :: v_dual_sub_f32 v30, v25, v30
	s_delay_alu instid0(VALU_DEP_1) | instskip(NEXT) | instid1(VALU_DEP_1)
	v_dual_add_f32 v28, v25, v27 :: v_dual_sub_f32 v11, v11, v30
	v_sub_f32_e32 v31, v28, v25
	s_delay_alu instid0(VALU_DEP_1) | instskip(NEXT) | instid1(VALU_DEP_1)
	v_sub_f32_e32 v32, v28, v31
	v_dual_sub_f32 v25, v25, v32 :: v_dual_sub_f32 v26, v27, v26
	s_delay_alu instid0(VALU_DEP_1) | instskip(SKIP_1) | instid1(VALU_DEP_2)
	v_sub_f32_e32 v12, v12, v26
	v_sub_f32_e32 v26, v27, v31
	v_add_f32_e32 v27, v11, v12
	s_delay_alu instid0(VALU_DEP_1) | instskip(NEXT) | instid1(VALU_DEP_1)
	v_dual_add_f32 v25, v26, v25 :: v_dual_sub_f32 v26, v27, v11
	v_add_f32_e32 v25, v27, v25
	s_delay_alu instid0(VALU_DEP_1) | instskip(NEXT) | instid1(VALU_DEP_1)
	v_dual_sub_f32 v27, v27, v26 :: v_dual_add_f32 v30, v28, v25
	v_dual_sub_f32 v12, v12, v26 :: v_dual_sub_f32 v11, v11, v27
	s_delay_alu instid0(VALU_DEP_1) | instskip(NEXT) | instid1(VALU_DEP_1)
	v_dual_sub_f32 v26, v30, v28 :: v_dual_add_f32 v11, v12, v11
	v_sub_f32_e32 v12, v25, v26
	s_delay_alu instid0(VALU_DEP_1) | instskip(NEXT) | instid1(VALU_DEP_1)
	v_add_f32_e32 v11, v11, v12
	v_add_f32_e32 v11, v30, v11
	s_wait_alu 0xf1ff
	s_delay_alu instid0(VALU_DEP_1) | instskip(SKIP_2) | instid1(VALU_DEP_1)
	v_cndmask_b32_e64 v11, 0x7f800000, v11, s0
	v_cmp_gt_f32_e64 s0, 0x33800000, |v13|
	s_wait_alu 0xf1ff
	v_cndmask_b32_e64 v11, v11, v13, s0
	s_delay_alu instid0(VALU_DEP_1)
	v_add_f32_e32 v11, v2, v11
.LBB479_108:
	s_wait_alu 0xfffe
	s_or_b32 exec_lo, exec_lo, s1
	s_delay_alu instid0(VALU_DEP_1) | instskip(SKIP_1) | instid1(VALU_DEP_2)
	v_bfe_u32 v2, v11, 16, 1
	v_cmp_o_f32_e64 s0, v11, v11
	v_add3_u32 v2, v11, v2, 0x7fff
	s_delay_alu instid0(VALU_DEP_1) | instskip(SKIP_1) | instid1(VALU_DEP_1)
	v_lshrrev_b32_e32 v2, 16, v2
	s_wait_alu 0xf1ff
	v_cndmask_b32_e64 v2, 0x7fc0, v2, s0
	s_delay_alu instid0(VALU_DEP_1) | instskip(NEXT) | instid1(VALU_DEP_1)
	v_lshlrev_b32_e32 v11, 16, v2
	v_max_num_f32_e32 v12, v11, v11
	s_delay_alu instid0(VALU_DEP_1) | instskip(SKIP_3) | instid1(VALU_DEP_1)
	v_min_num_f32_e32 v13, v12, v15
	v_max_num_f32_e32 v12, v12, v15
	v_cmp_u_f32_e64 s0, v11, v11
	s_wait_alu 0xf1ff
	v_cndmask_b32_e64 v13, v13, v11, s0
	s_delay_alu instid0(VALU_DEP_3) | instskip(NEXT) | instid1(VALU_DEP_2)
	v_cndmask_b32_e64 v15, v12, v11, s0
	v_cndmask_b32_e64 v12, v13, v10, s16
	s_delay_alu instid0(VALU_DEP_2) | instskip(NEXT) | instid1(VALU_DEP_2)
	v_cndmask_b32_e64 v10, v15, v10, s16
	v_cmp_class_f32_e64 s1, v12, 0x1f8
	s_delay_alu instid0(VALU_DEP_2)
	v_cmp_neq_f32_e64 s0, v12, v10
	s_or_b32 s0, s0, s1
	s_wait_alu 0xfffe
	s_and_saveexec_b32 s1, s0
	s_cbranch_execz .LBB479_110
; %bb.109:
	v_sub_f32_e32 v11, v12, v10
	s_delay_alu instid0(VALU_DEP_1) | instskip(SKIP_1) | instid1(VALU_DEP_2)
	v_mul_f32_e32 v12, 0x3fb8aa3b, v11
	v_cmp_ngt_f32_e64 s0, 0xc2ce8ed0, v11
	v_fma_f32 v13, 0x3fb8aa3b, v11, -v12
	v_rndne_f32_e32 v15, v12
	s_delay_alu instid0(VALU_DEP_1) | instskip(NEXT) | instid1(VALU_DEP_1)
	v_dual_fmamk_f32 v13, v11, 0x32a5705f, v13 :: v_dual_sub_f32 v12, v12, v15
	v_add_f32_e32 v12, v12, v13
	v_cvt_i32_f32_e32 v13, v15
	s_delay_alu instid0(VALU_DEP_2) | instskip(NEXT) | instid1(TRANS32_DEP_1)
	v_exp_f32_e32 v12, v12
	v_ldexp_f32 v12, v12, v13
	s_wait_alu 0xf1ff
	s_delay_alu instid0(VALU_DEP_1) | instskip(SKIP_2) | instid1(VALU_DEP_1)
	v_cndmask_b32_e64 v12, 0, v12, s0
	v_cmp_nlt_f32_e64 s0, 0x42b17218, v11
	s_wait_alu 0xf1ff
	v_cndmask_b32_e64 v13, 0x7f800000, v12, s0
	s_delay_alu instid0(VALU_DEP_1) | instskip(NEXT) | instid1(VALU_DEP_1)
	v_add_f32_e32 v15, 1.0, v13
	v_cvt_f64_f32_e32 v[11:12], v15
	s_delay_alu instid0(VALU_DEP_1) | instskip(SKIP_1) | instid1(VALU_DEP_1)
	v_frexp_exp_i32_f64_e32 v11, v[11:12]
	v_frexp_mant_f32_e32 v12, v15
	v_cmp_gt_f32_e64 s0, 0x3f2aaaab, v12
	v_add_f32_e32 v12, -1.0, v15
	s_delay_alu instid0(VALU_DEP_1) | instskip(NEXT) | instid1(VALU_DEP_1)
	v_sub_f32_e32 v26, v12, v15
	v_add_f32_e32 v26, 1.0, v26
	s_wait_alu 0xf1ff
	v_subrev_co_ci_u32_e64 v11, null, 0, v11, s0
	s_mov_b32 s0, 0x3e9b6dac
	v_sub_nc_u32_e32 v25, 0, v11
	v_cvt_f32_i32_e32 v11, v11
	s_delay_alu instid0(VALU_DEP_2) | instskip(NEXT) | instid1(VALU_DEP_1)
	v_ldexp_f32 v15, v15, v25
	v_dual_sub_f32 v12, v13, v12 :: v_dual_add_f32 v27, 1.0, v15
	s_delay_alu instid0(VALU_DEP_1) | instskip(NEXT) | instid1(VALU_DEP_1)
	v_add_f32_e32 v12, v12, v26
	v_ldexp_f32 v12, v12, v25
	v_add_f32_e32 v25, -1.0, v15
	s_delay_alu instid0(VALU_DEP_4) | instskip(NEXT) | instid1(VALU_DEP_2)
	v_add_f32_e32 v26, -1.0, v27
	v_add_f32_e32 v28, 1.0, v25
	s_delay_alu instid0(VALU_DEP_2) | instskip(NEXT) | instid1(VALU_DEP_1)
	v_sub_f32_e32 v26, v15, v26
	v_dual_sub_f32 v15, v15, v28 :: v_dual_add_f32 v26, v12, v26
	s_delay_alu instid0(VALU_DEP_1) | instskip(NEXT) | instid1(VALU_DEP_2)
	v_add_f32_e32 v12, v12, v15
	v_add_f32_e32 v28, v27, v26
	s_delay_alu instid0(VALU_DEP_2) | instskip(NEXT) | instid1(VALU_DEP_2)
	v_add_f32_e32 v30, v25, v12
	v_rcp_f32_e32 v15, v28
	v_sub_f32_e32 v27, v27, v28
	s_delay_alu instid0(VALU_DEP_1)
	v_dual_sub_f32 v25, v25, v30 :: v_dual_add_f32 v26, v26, v27
	s_delay_alu instid0(TRANS32_DEP_1) | instid1(VALU_DEP_1)
	v_dual_add_f32 v12, v12, v25 :: v_dual_mul_f32 v31, v30, v15
	s_delay_alu instid0(VALU_DEP_1) | instskip(NEXT) | instid1(VALU_DEP_1)
	v_mul_f32_e32 v32, v28, v31
	v_fma_f32 v27, v31, v28, -v32
	s_delay_alu instid0(VALU_DEP_1) | instskip(NEXT) | instid1(VALU_DEP_1)
	v_fmac_f32_e32 v27, v31, v26
	v_add_f32_e32 v33, v32, v27
	s_delay_alu instid0(VALU_DEP_1) | instskip(NEXT) | instid1(VALU_DEP_1)
	v_dual_sub_f32 v34, v30, v33 :: v_dual_sub_f32 v25, v33, v32
	v_dual_sub_f32 v30, v30, v34 :: v_dual_sub_f32 v25, v25, v27
	s_delay_alu instid0(VALU_DEP_1) | instskip(NEXT) | instid1(VALU_DEP_1)
	v_sub_f32_e32 v30, v30, v33
	v_add_f32_e32 v12, v12, v30
	s_delay_alu instid0(VALU_DEP_1) | instskip(NEXT) | instid1(VALU_DEP_1)
	v_add_f32_e32 v12, v25, v12
	v_add_f32_e32 v25, v34, v12
	s_delay_alu instid0(VALU_DEP_1) | instskip(NEXT) | instid1(VALU_DEP_1)
	v_mul_f32_e32 v27, v15, v25
	v_dual_sub_f32 v33, v34, v25 :: v_dual_mul_f32 v30, v28, v27
	s_delay_alu instid0(VALU_DEP_1) | instskip(NEXT) | instid1(VALU_DEP_2)
	v_add_f32_e32 v12, v12, v33
	v_fma_f32 v28, v27, v28, -v30
	s_delay_alu instid0(VALU_DEP_1) | instskip(NEXT) | instid1(VALU_DEP_1)
	v_fmac_f32_e32 v28, v27, v26
	v_add_f32_e32 v26, v30, v28
	s_delay_alu instid0(VALU_DEP_1) | instskip(NEXT) | instid1(VALU_DEP_1)
	v_sub_f32_e32 v32, v25, v26
	v_dual_sub_f32 v30, v26, v30 :: v_dual_sub_f32 v25, v25, v32
	s_delay_alu instid0(VALU_DEP_1) | instskip(NEXT) | instid1(VALU_DEP_1)
	v_dual_sub_f32 v25, v25, v26 :: v_dual_sub_f32 v26, v30, v28
	v_dual_add_f32 v12, v12, v25 :: v_dual_add_f32 v25, v31, v27
	s_delay_alu instid0(VALU_DEP_1) | instskip(NEXT) | instid1(VALU_DEP_2)
	v_add_f32_e32 v12, v26, v12
	v_sub_f32_e32 v26, v25, v31
	s_delay_alu instid0(VALU_DEP_2) | instskip(NEXT) | instid1(VALU_DEP_2)
	v_add_f32_e32 v12, v32, v12
	v_sub_f32_e32 v26, v27, v26
	s_delay_alu instid0(VALU_DEP_2) | instskip(NEXT) | instid1(VALU_DEP_1)
	v_mul_f32_e32 v12, v15, v12
	v_add_f32_e32 v12, v26, v12
	s_delay_alu instid0(VALU_DEP_1) | instskip(NEXT) | instid1(VALU_DEP_1)
	v_add_f32_e32 v15, v25, v12
	v_mul_f32_e32 v26, v15, v15
	s_wait_alu 0xfffe
	s_delay_alu instid0(VALU_DEP_1) | instskip(SKIP_2) | instid1(VALU_DEP_3)
	v_fmaak_f32 v27, s0, v26, 0x3ecc95a3
	v_mul_f32_e32 v28, v15, v26
	v_cmp_neq_f32_e64 s0, 0x7f800000, v13
	v_fmaak_f32 v26, v26, v27, 0x3f2aaada
	v_ldexp_f32 v27, v15, 1
	s_delay_alu instid0(VALU_DEP_2) | instskip(SKIP_1) | instid1(VALU_DEP_2)
	v_dual_sub_f32 v15, v15, v25 :: v_dual_mul_f32 v26, v28, v26
	v_mul_f32_e32 v28, 0x3f317218, v11
	v_dual_sub_f32 v12, v12, v15 :: v_dual_add_f32 v25, v27, v26
	s_delay_alu instid0(VALU_DEP_1) | instskip(NEXT) | instid1(VALU_DEP_2)
	v_ldexp_f32 v12, v12, 1
	v_sub_f32_e32 v15, v25, v27
	s_delay_alu instid0(VALU_DEP_4) | instskip(NEXT) | instid1(VALU_DEP_2)
	v_fma_f32 v27, 0x3f317218, v11, -v28
	v_sub_f32_e32 v15, v26, v15
	s_delay_alu instid0(VALU_DEP_1) | instskip(NEXT) | instid1(VALU_DEP_1)
	v_dual_fmamk_f32 v11, v11, 0xb102e308, v27 :: v_dual_add_f32 v12, v12, v15
	v_dual_add_f32 v15, v28, v11 :: v_dual_add_f32 v26, v25, v12
	s_delay_alu instid0(VALU_DEP_1) | instskip(NEXT) | instid1(VALU_DEP_2)
	v_sub_f32_e32 v28, v15, v28
	v_add_f32_e32 v27, v15, v26
	v_sub_f32_e32 v25, v26, v25
	s_delay_alu instid0(VALU_DEP_3) | instskip(NEXT) | instid1(VALU_DEP_3)
	v_sub_f32_e32 v11, v11, v28
	v_sub_f32_e32 v30, v27, v15
	s_delay_alu instid0(VALU_DEP_1) | instskip(NEXT) | instid1(VALU_DEP_1)
	v_dual_sub_f32 v12, v12, v25 :: v_dual_sub_f32 v31, v27, v30
	v_dual_sub_f32 v25, v26, v30 :: v_dual_add_f32 v26, v11, v12
	s_delay_alu instid0(VALU_DEP_2) | instskip(NEXT) | instid1(VALU_DEP_1)
	v_sub_f32_e32 v15, v15, v31
	v_add_f32_e32 v15, v25, v15
	s_delay_alu instid0(VALU_DEP_3) | instskip(NEXT) | instid1(VALU_DEP_2)
	v_sub_f32_e32 v25, v26, v11
	v_add_f32_e32 v15, v26, v15
	s_delay_alu instid0(VALU_DEP_2) | instskip(SKIP_1) | instid1(VALU_DEP_3)
	v_sub_f32_e32 v26, v26, v25
	v_sub_f32_e32 v12, v12, v25
	v_add_f32_e32 v28, v27, v15
	s_delay_alu instid0(VALU_DEP_3) | instskip(NEXT) | instid1(VALU_DEP_2)
	v_sub_f32_e32 v11, v11, v26
	v_sub_f32_e32 v25, v28, v27
	s_delay_alu instid0(VALU_DEP_1) | instskip(NEXT) | instid1(VALU_DEP_1)
	v_dual_add_f32 v11, v12, v11 :: v_dual_sub_f32 v12, v15, v25
	v_add_f32_e32 v11, v11, v12
	s_delay_alu instid0(VALU_DEP_1) | instskip(SKIP_1) | instid1(VALU_DEP_1)
	v_add_f32_e32 v11, v28, v11
	s_wait_alu 0xf1ff
	v_cndmask_b32_e64 v11, 0x7f800000, v11, s0
	v_cmp_gt_f32_e64 s0, 0x33800000, |v13|
	s_wait_alu 0xf1ff
	s_delay_alu instid0(VALU_DEP_1) | instskip(NEXT) | instid1(VALU_DEP_1)
	v_cndmask_b32_e64 v11, v11, v13, s0
	v_add_f32_e32 v11, v10, v11
.LBB479_110:
	s_wait_alu 0xfffe
	s_or_b32 exec_lo, exec_lo, s1
	s_delay_alu instid0(VALU_DEP_1) | instskip(SKIP_1) | instid1(VALU_DEP_2)
	v_bfe_u32 v10, v11, 16, 1
	v_cmp_o_f32_e64 s0, v11, v11
	v_add3_u32 v10, v11, v10, 0x7fff
	s_delay_alu instid0(VALU_DEP_1) | instskip(SKIP_1) | instid1(VALU_DEP_1)
	v_lshrrev_b32_e32 v10, 16, v10
	s_wait_alu 0xf1ff
	v_cndmask_b32_e64 v10, 0x7fc0, v10, s0
	s_delay_alu instid0(VALU_DEP_1) | instskip(NEXT) | instid1(VALU_DEP_1)
	v_lshlrev_b32_e32 v11, 16, v10
	v_max_num_f32_e32 v12, v11, v11
	s_delay_alu instid0(VALU_DEP_1) | instskip(SKIP_3) | instid1(VALU_DEP_1)
	v_min_num_f32_e32 v13, v12, v16
	v_max_num_f32_e32 v12, v12, v16
	v_cmp_u_f32_e64 s0, v11, v11
	s_wait_alu 0xf1ff
	v_cndmask_b32_e64 v13, v13, v11, s0
	s_delay_alu instid0(VALU_DEP_3) | instskip(NEXT) | instid1(VALU_DEP_2)
	v_cndmask_b32_e64 v15, v12, v11, s0
	v_cndmask_b32_e64 v12, v13, v3, s17
	s_delay_alu instid0(VALU_DEP_2) | instskip(NEXT) | instid1(VALU_DEP_2)
	v_cndmask_b32_e64 v3, v15, v3, s17
	v_cmp_class_f32_e64 s1, v12, 0x1f8
	s_delay_alu instid0(VALU_DEP_2)
	v_cmp_neq_f32_e64 s0, v12, v3
	s_or_b32 s0, s0, s1
	s_wait_alu 0xfffe
	s_and_saveexec_b32 s1, s0
	s_cbranch_execz .LBB479_112
; %bb.111:
	v_sub_f32_e32 v11, v12, v3
	s_delay_alu instid0(VALU_DEP_1) | instskip(SKIP_1) | instid1(VALU_DEP_2)
	v_mul_f32_e32 v12, 0x3fb8aa3b, v11
	v_cmp_ngt_f32_e64 s0, 0xc2ce8ed0, v11
	v_fma_f32 v13, 0x3fb8aa3b, v11, -v12
	v_rndne_f32_e32 v15, v12
	s_delay_alu instid0(VALU_DEP_1) | instskip(NEXT) | instid1(VALU_DEP_1)
	v_dual_fmamk_f32 v13, v11, 0x32a5705f, v13 :: v_dual_sub_f32 v12, v12, v15
	v_add_f32_e32 v12, v12, v13
	v_cvt_i32_f32_e32 v13, v15
	s_delay_alu instid0(VALU_DEP_2) | instskip(NEXT) | instid1(TRANS32_DEP_1)
	v_exp_f32_e32 v12, v12
	v_ldexp_f32 v12, v12, v13
	s_wait_alu 0xf1ff
	s_delay_alu instid0(VALU_DEP_1) | instskip(SKIP_2) | instid1(VALU_DEP_1)
	v_cndmask_b32_e64 v12, 0, v12, s0
	v_cmp_nlt_f32_e64 s0, 0x42b17218, v11
	s_wait_alu 0xf1ff
	v_cndmask_b32_e64 v13, 0x7f800000, v12, s0
	s_delay_alu instid0(VALU_DEP_1) | instskip(NEXT) | instid1(VALU_DEP_1)
	v_add_f32_e32 v15, 1.0, v13
	v_cvt_f64_f32_e32 v[11:12], v15
	s_delay_alu instid0(VALU_DEP_1) | instskip(SKIP_1) | instid1(VALU_DEP_1)
	v_frexp_exp_i32_f64_e32 v11, v[11:12]
	v_frexp_mant_f32_e32 v12, v15
	v_cmp_gt_f32_e64 s0, 0x3f2aaaab, v12
	v_add_f32_e32 v12, -1.0, v15
	s_delay_alu instid0(VALU_DEP_1) | instskip(NEXT) | instid1(VALU_DEP_1)
	v_sub_f32_e32 v25, v12, v15
	v_dual_add_f32 v25, 1.0, v25 :: v_dual_sub_f32 v12, v13, v12
	s_delay_alu instid0(VALU_DEP_1)
	v_add_f32_e32 v12, v12, v25
	s_wait_alu 0xf1ff
	v_subrev_co_ci_u32_e64 v11, null, 0, v11, s0
	s_mov_b32 s0, 0x3e9b6dac
	v_sub_nc_u32_e32 v16, 0, v11
	v_cvt_f32_i32_e32 v11, v11
	s_delay_alu instid0(VALU_DEP_2) | instskip(SKIP_1) | instid1(VALU_DEP_2)
	v_ldexp_f32 v15, v15, v16
	v_ldexp_f32 v12, v12, v16
	v_add_f32_e32 v26, 1.0, v15
	s_delay_alu instid0(VALU_DEP_1) | instskip(NEXT) | instid1(VALU_DEP_1)
	v_add_f32_e32 v25, -1.0, v26
	v_dual_sub_f32 v25, v15, v25 :: v_dual_add_f32 v16, -1.0, v15
	s_delay_alu instid0(VALU_DEP_1) | instskip(NEXT) | instid1(VALU_DEP_2)
	v_add_f32_e32 v25, v12, v25
	v_add_f32_e32 v27, 1.0, v16
	s_delay_alu instid0(VALU_DEP_1) | instskip(NEXT) | instid1(VALU_DEP_1)
	v_sub_f32_e32 v15, v15, v27
	v_dual_add_f32 v27, v26, v25 :: v_dual_add_f32 v12, v12, v15
	s_delay_alu instid0(VALU_DEP_1) | instskip(SKIP_1) | instid1(VALU_DEP_1)
	v_rcp_f32_e32 v15, v27
	v_sub_f32_e32 v26, v26, v27
	v_dual_add_f32 v28, v16, v12 :: v_dual_add_f32 v25, v25, v26
	s_delay_alu instid0(VALU_DEP_1) | instskip(NEXT) | instid1(TRANS32_DEP_1)
	v_sub_f32_e32 v16, v16, v28
	v_mul_f32_e32 v30, v28, v15
	s_delay_alu instid0(VALU_DEP_1) | instskip(NEXT) | instid1(VALU_DEP_1)
	v_dual_add_f32 v12, v12, v16 :: v_dual_mul_f32 v31, v27, v30
	v_fma_f32 v26, v30, v27, -v31
	s_delay_alu instid0(VALU_DEP_1) | instskip(NEXT) | instid1(VALU_DEP_1)
	v_fmac_f32_e32 v26, v30, v25
	v_add_f32_e32 v32, v31, v26
	s_delay_alu instid0(VALU_DEP_1) | instskip(SKIP_1) | instid1(VALU_DEP_2)
	v_sub_f32_e32 v33, v28, v32
	v_sub_f32_e32 v16, v32, v31
	;; [unrolled: 1-line block ×3, first 2 shown]
	s_delay_alu instid0(VALU_DEP_2) | instskip(NEXT) | instid1(VALU_DEP_2)
	v_sub_f32_e32 v16, v16, v26
	v_sub_f32_e32 v28, v28, v32
	s_delay_alu instid0(VALU_DEP_1) | instskip(NEXT) | instid1(VALU_DEP_1)
	v_add_f32_e32 v12, v12, v28
	v_add_f32_e32 v12, v16, v12
	s_delay_alu instid0(VALU_DEP_1) | instskip(NEXT) | instid1(VALU_DEP_1)
	v_add_f32_e32 v16, v33, v12
	v_mul_f32_e32 v26, v15, v16
	s_delay_alu instid0(VALU_DEP_1) | instskip(NEXT) | instid1(VALU_DEP_1)
	v_mul_f32_e32 v28, v27, v26
	v_fma_f32 v27, v26, v27, -v28
	s_delay_alu instid0(VALU_DEP_1) | instskip(NEXT) | instid1(VALU_DEP_1)
	v_fmac_f32_e32 v27, v26, v25
	v_add_f32_e32 v25, v28, v27
	s_delay_alu instid0(VALU_DEP_1) | instskip(SKIP_1) | instid1(VALU_DEP_2)
	v_dual_sub_f32 v31, v16, v25 :: v_dual_sub_f32 v28, v25, v28
	v_sub_f32_e32 v32, v33, v16
	v_sub_f32_e32 v16, v16, v31
	s_delay_alu instid0(VALU_DEP_1) | instskip(NEXT) | instid1(VALU_DEP_4)
	v_sub_f32_e32 v16, v16, v25
	v_sub_f32_e32 v25, v28, v27
	s_delay_alu instid0(VALU_DEP_4) | instskip(NEXT) | instid1(VALU_DEP_1)
	v_add_f32_e32 v12, v12, v32
	v_add_f32_e32 v12, v12, v16
	v_add_f32_e32 v16, v30, v26
	s_delay_alu instid0(VALU_DEP_1) | instskip(NEXT) | instid1(VALU_DEP_1)
	v_dual_add_f32 v12, v25, v12 :: v_dual_sub_f32 v25, v16, v30
	v_dual_add_f32 v12, v31, v12 :: v_dual_sub_f32 v25, v26, v25
	s_delay_alu instid0(VALU_DEP_1) | instskip(NEXT) | instid1(VALU_DEP_1)
	v_mul_f32_e32 v12, v15, v12
	v_add_f32_e32 v12, v25, v12
	s_delay_alu instid0(VALU_DEP_1) | instskip(NEXT) | instid1(VALU_DEP_1)
	v_add_f32_e32 v15, v16, v12
	v_mul_f32_e32 v25, v15, v15
	s_wait_alu 0xfffe
	s_delay_alu instid0(VALU_DEP_1) | instskip(SKIP_2) | instid1(VALU_DEP_3)
	v_fmaak_f32 v26, s0, v25, 0x3ecc95a3
	v_mul_f32_e32 v27, v15, v25
	v_cmp_neq_f32_e64 s0, 0x7f800000, v13
	v_fmaak_f32 v25, v25, v26, 0x3f2aaada
	v_ldexp_f32 v26, v15, 1
	v_sub_f32_e32 v15, v15, v16
	s_delay_alu instid0(VALU_DEP_3) | instskip(SKIP_1) | instid1(VALU_DEP_3)
	v_mul_f32_e32 v25, v27, v25
	v_mul_f32_e32 v27, 0x3f317218, v11
	v_sub_f32_e32 v12, v12, v15
	s_delay_alu instid0(VALU_DEP_3) | instskip(NEXT) | instid1(VALU_DEP_2)
	v_add_f32_e32 v16, v26, v25
	v_ldexp_f32 v12, v12, 1
	s_delay_alu instid0(VALU_DEP_2) | instskip(SKIP_1) | instid1(VALU_DEP_2)
	v_sub_f32_e32 v15, v16, v26
	v_fma_f32 v26, 0x3f317218, v11, -v27
	v_sub_f32_e32 v15, v25, v15
	s_delay_alu instid0(VALU_DEP_1) | instskip(NEXT) | instid1(VALU_DEP_1)
	v_dual_fmamk_f32 v11, v11, 0xb102e308, v26 :: v_dual_add_f32 v12, v12, v15
	v_add_f32_e32 v15, v27, v11
	s_delay_alu instid0(VALU_DEP_2) | instskip(NEXT) | instid1(VALU_DEP_2)
	v_add_f32_e32 v25, v16, v12
	v_sub_f32_e32 v27, v15, v27
	s_delay_alu instid0(VALU_DEP_2) | instskip(NEXT) | instid1(VALU_DEP_2)
	v_add_f32_e32 v26, v15, v25
	v_sub_f32_e32 v11, v11, v27
	s_delay_alu instid0(VALU_DEP_2) | instskip(SKIP_1) | instid1(VALU_DEP_2)
	v_sub_f32_e32 v28, v26, v15
	v_sub_f32_e32 v16, v25, v16
	;; [unrolled: 1-line block ×3, first 2 shown]
	s_delay_alu instid0(VALU_DEP_2) | instskip(NEXT) | instid1(VALU_DEP_2)
	v_sub_f32_e32 v12, v12, v16
	v_dual_sub_f32 v16, v25, v28 :: v_dual_sub_f32 v15, v15, v30
	s_delay_alu instid0(VALU_DEP_2) | instskip(NEXT) | instid1(VALU_DEP_2)
	v_add_f32_e32 v25, v11, v12
	v_add_f32_e32 v15, v16, v15
	s_delay_alu instid0(VALU_DEP_2) | instskip(NEXT) | instid1(VALU_DEP_2)
	v_sub_f32_e32 v16, v25, v11
	v_add_f32_e32 v15, v25, v15
	s_delay_alu instid0(VALU_DEP_2) | instskip(NEXT) | instid1(VALU_DEP_2)
	v_sub_f32_e32 v25, v25, v16
	v_dual_sub_f32 v12, v12, v16 :: v_dual_add_f32 v27, v26, v15
	s_delay_alu instid0(VALU_DEP_2) | instskip(NEXT) | instid1(VALU_DEP_1)
	v_sub_f32_e32 v11, v11, v25
	v_dual_sub_f32 v16, v27, v26 :: v_dual_add_f32 v11, v12, v11
	s_delay_alu instid0(VALU_DEP_1) | instskip(NEXT) | instid1(VALU_DEP_1)
	v_sub_f32_e32 v12, v15, v16
	v_add_f32_e32 v11, v11, v12
	s_delay_alu instid0(VALU_DEP_1) | instskip(SKIP_1) | instid1(VALU_DEP_1)
	v_add_f32_e32 v11, v27, v11
	s_wait_alu 0xf1ff
	v_cndmask_b32_e64 v11, 0x7f800000, v11, s0
	v_cmp_gt_f32_e64 s0, 0x33800000, |v13|
	s_wait_alu 0xf1ff
	s_delay_alu instid0(VALU_DEP_1) | instskip(NEXT) | instid1(VALU_DEP_1)
	v_cndmask_b32_e64 v11, v11, v13, s0
	v_add_f32_e32 v11, v3, v11
.LBB479_112:
	s_wait_alu 0xfffe
	s_or_b32 exec_lo, exec_lo, s1
	s_delay_alu instid0(VALU_DEP_1) | instskip(SKIP_1) | instid1(VALU_DEP_2)
	v_bfe_u32 v3, v11, 16, 1
	v_cmp_o_f32_e64 s0, v11, v11
	v_add3_u32 v3, v11, v3, 0x7fff
	s_delay_alu instid0(VALU_DEP_1) | instskip(SKIP_1) | instid1(VALU_DEP_1)
	v_lshrrev_b32_e32 v3, 16, v3
	s_wait_alu 0xf1ff
	v_cndmask_b32_e64 v3, 0x7fc0, v3, s0
	s_delay_alu instid0(VALU_DEP_1) | instskip(NEXT) | instid1(VALU_DEP_1)
	v_lshlrev_b32_e32 v12, 16, v3
	v_max_num_f32_e32 v11, v12, v12
	s_delay_alu instid0(VALU_DEP_1) | instskip(SKIP_3) | instid1(VALU_DEP_1)
	v_min_num_f32_e32 v13, v11, v18
	v_max_num_f32_e32 v11, v11, v18
	v_cmp_u_f32_e64 s0, v12, v12
	s_wait_alu 0xf1ff
	v_cndmask_b32_e64 v13, v13, v12, s0
	s_delay_alu instid0(VALU_DEP_3) | instskip(NEXT) | instid1(VALU_DEP_2)
	v_cndmask_b32_e64 v11, v11, v12, s0
	v_cndmask_b32_e64 v13, v13, v14, s18
	s_delay_alu instid0(VALU_DEP_2) | instskip(NEXT) | instid1(VALU_DEP_2)
	v_cndmask_b32_e64 v11, v11, v14, s18
	v_cmp_class_f32_e64 s1, v13, 0x1f8
	s_delay_alu instid0(VALU_DEP_2)
	v_cmp_neq_f32_e64 s0, v13, v11
	s_or_b32 s0, s0, s1
	s_wait_alu 0xfffe
	s_and_saveexec_b32 s1, s0
	s_cbranch_execz .LBB479_114
; %bb.113:
	v_sub_f32_e32 v12, v13, v11
	s_delay_alu instid0(VALU_DEP_1) | instskip(SKIP_1) | instid1(VALU_DEP_2)
	v_mul_f32_e32 v13, 0x3fb8aa3b, v12
	v_cmp_ngt_f32_e64 s0, 0xc2ce8ed0, v12
	v_fma_f32 v14, 0x3fb8aa3b, v12, -v13
	v_rndne_f32_e32 v15, v13
	s_delay_alu instid0(VALU_DEP_1) | instskip(NEXT) | instid1(VALU_DEP_1)
	v_dual_fmamk_f32 v14, v12, 0x32a5705f, v14 :: v_dual_sub_f32 v13, v13, v15
	v_add_f32_e32 v13, v13, v14
	v_cvt_i32_f32_e32 v14, v15
	s_delay_alu instid0(VALU_DEP_2) | instskip(NEXT) | instid1(TRANS32_DEP_1)
	v_exp_f32_e32 v13, v13
	v_ldexp_f32 v13, v13, v14
	s_wait_alu 0xf1ff
	s_delay_alu instid0(VALU_DEP_1) | instskip(SKIP_2) | instid1(VALU_DEP_1)
	v_cndmask_b32_e64 v13, 0, v13, s0
	v_cmp_nlt_f32_e64 s0, 0x42b17218, v12
	s_wait_alu 0xf1ff
	v_cndmask_b32_e64 v14, 0x7f800000, v13, s0
	s_delay_alu instid0(VALU_DEP_1) | instskip(NEXT) | instid1(VALU_DEP_1)
	v_add_f32_e32 v15, 1.0, v14
	v_cvt_f64_f32_e32 v[12:13], v15
	s_delay_alu instid0(VALU_DEP_1) | instskip(SKIP_1) | instid1(VALU_DEP_1)
	v_frexp_exp_i32_f64_e32 v12, v[12:13]
	v_frexp_mant_f32_e32 v13, v15
	v_cmp_gt_f32_e64 s0, 0x3f2aaaab, v13
	v_add_f32_e32 v13, -1.0, v15
	s_delay_alu instid0(VALU_DEP_1) | instskip(NEXT) | instid1(VALU_DEP_1)
	v_dual_sub_f32 v18, v13, v15 :: v_dual_sub_f32 v13, v14, v13
	v_add_f32_e32 v18, 1.0, v18
	s_wait_alu 0xf1ff
	v_subrev_co_ci_u32_e64 v12, null, 0, v12, s0
	s_mov_b32 s0, 0x3e9b6dac
	v_sub_nc_u32_e32 v16, 0, v12
	v_cvt_f32_i32_e32 v12, v12
	s_delay_alu instid0(VALU_DEP_2) | instskip(SKIP_1) | instid1(VALU_DEP_1)
	v_ldexp_f32 v15, v15, v16
	v_add_f32_e32 v13, v13, v18
	v_ldexp_f32 v13, v13, v16
	s_delay_alu instid0(VALU_DEP_3) | instskip(NEXT) | instid1(VALU_DEP_1)
	v_add_f32_e32 v16, -1.0, v15
	v_dual_add_f32 v25, 1.0, v15 :: v_dual_add_f32 v26, 1.0, v16
	s_delay_alu instid0(VALU_DEP_1) | instskip(NEXT) | instid1(VALU_DEP_1)
	v_add_f32_e32 v18, -1.0, v25
	v_sub_f32_e32 v18, v15, v18
	s_delay_alu instid0(VALU_DEP_3) | instskip(NEXT) | instid1(VALU_DEP_2)
	v_sub_f32_e32 v15, v15, v26
	v_add_f32_e32 v18, v13, v18
	s_delay_alu instid0(VALU_DEP_2) | instskip(NEXT) | instid1(VALU_DEP_1)
	v_add_f32_e32 v13, v13, v15
	v_dual_add_f32 v27, v16, v13 :: v_dual_add_f32 v26, v25, v18
	s_delay_alu instid0(VALU_DEP_1) | instskip(SKIP_1) | instid1(VALU_DEP_1)
	v_rcp_f32_e32 v15, v26
	v_sub_f32_e32 v25, v25, v26
	v_add_f32_e32 v18, v18, v25
	s_delay_alu instid0(TRANS32_DEP_1) | instskip(NEXT) | instid1(VALU_DEP_1)
	v_mul_f32_e32 v28, v27, v15
	v_mul_f32_e32 v30, v26, v28
	s_delay_alu instid0(VALU_DEP_1) | instskip(NEXT) | instid1(VALU_DEP_1)
	v_fma_f32 v25, v28, v26, -v30
	v_fmac_f32_e32 v25, v28, v18
	s_delay_alu instid0(VALU_DEP_1) | instskip(NEXT) | instid1(VALU_DEP_1)
	v_add_f32_e32 v31, v30, v25
	v_sub_f32_e32 v32, v27, v31
	s_delay_alu instid0(VALU_DEP_1) | instskip(NEXT) | instid1(VALU_DEP_1)
	v_dual_sub_f32 v16, v16, v27 :: v_dual_sub_f32 v27, v27, v32
	v_dual_add_f32 v13, v13, v16 :: v_dual_sub_f32 v16, v31, v30
	s_delay_alu instid0(VALU_DEP_1) | instskip(NEXT) | instid1(VALU_DEP_1)
	v_dual_sub_f32 v27, v27, v31 :: v_dual_sub_f32 v16, v16, v25
	v_add_f32_e32 v13, v13, v27
	s_delay_alu instid0(VALU_DEP_1) | instskip(NEXT) | instid1(VALU_DEP_1)
	v_add_f32_e32 v13, v16, v13
	v_add_f32_e32 v16, v32, v13
	s_delay_alu instid0(VALU_DEP_1) | instskip(NEXT) | instid1(VALU_DEP_1)
	v_mul_f32_e32 v25, v15, v16
	v_mul_f32_e32 v27, v26, v25
	s_delay_alu instid0(VALU_DEP_1) | instskip(NEXT) | instid1(VALU_DEP_1)
	v_fma_f32 v26, v25, v26, -v27
	v_dual_fmac_f32 v26, v25, v18 :: v_dual_sub_f32 v31, v32, v16
	s_delay_alu instid0(VALU_DEP_1) | instskip(NEXT) | instid1(VALU_DEP_1)
	v_dual_add_f32 v18, v27, v26 :: v_dual_add_f32 v13, v13, v31
	v_sub_f32_e32 v30, v16, v18
	s_delay_alu instid0(VALU_DEP_1) | instskip(NEXT) | instid1(VALU_DEP_1)
	v_dual_sub_f32 v16, v16, v30 :: v_dual_sub_f32 v27, v18, v27
	v_sub_f32_e32 v16, v16, v18
	s_delay_alu instid0(VALU_DEP_1) | instskip(SKIP_1) | instid1(VALU_DEP_1)
	v_dual_sub_f32 v18, v27, v26 :: v_dual_add_f32 v13, v13, v16
	v_add_f32_e32 v16, v28, v25
	v_dual_add_f32 v13, v18, v13 :: v_dual_sub_f32 v18, v16, v28
	s_delay_alu instid0(VALU_DEP_1) | instskip(NEXT) | instid1(VALU_DEP_1)
	v_dual_add_f32 v13, v30, v13 :: v_dual_sub_f32 v18, v25, v18
	v_mul_f32_e32 v13, v15, v13
	s_delay_alu instid0(VALU_DEP_1) | instskip(NEXT) | instid1(VALU_DEP_1)
	v_add_f32_e32 v13, v18, v13
	v_add_f32_e32 v15, v16, v13
	s_delay_alu instid0(VALU_DEP_1) | instskip(SKIP_1) | instid1(VALU_DEP_1)
	v_mul_f32_e32 v18, v15, v15
	s_wait_alu 0xfffe
	v_fmaak_f32 v25, s0, v18, 0x3ecc95a3
	v_mul_f32_e32 v26, v15, v18
	v_cmp_neq_f32_e64 s0, 0x7f800000, v14
	s_delay_alu instid0(VALU_DEP_3) | instskip(SKIP_2) | instid1(VALU_DEP_1)
	v_fmaak_f32 v18, v18, v25, 0x3f2aaada
	v_ldexp_f32 v25, v15, 1
	v_sub_f32_e32 v15, v15, v16
	v_dual_sub_f32 v13, v13, v15 :: v_dual_mul_f32 v18, v26, v18
	s_delay_alu instid0(VALU_DEP_1) | instskip(NEXT) | instid1(VALU_DEP_2)
	v_ldexp_f32 v13, v13, 1
	v_add_f32_e32 v16, v25, v18
	s_delay_alu instid0(VALU_DEP_1) | instskip(NEXT) | instid1(VALU_DEP_1)
	v_dual_mul_f32 v26, 0x3f317218, v12 :: v_dual_sub_f32 v15, v16, v25
	v_fma_f32 v25, 0x3f317218, v12, -v26
	s_delay_alu instid0(VALU_DEP_1) | instskip(NEXT) | instid1(VALU_DEP_1)
	v_dual_sub_f32 v15, v18, v15 :: v_dual_fmamk_f32 v12, v12, 0xb102e308, v25
	v_add_f32_e32 v13, v13, v15
	s_delay_alu instid0(VALU_DEP_2) | instskip(NEXT) | instid1(VALU_DEP_1)
	v_add_f32_e32 v15, v26, v12
	v_sub_f32_e32 v26, v15, v26
	s_delay_alu instid0(VALU_DEP_3) | instskip(NEXT) | instid1(VALU_DEP_2)
	v_add_f32_e32 v18, v16, v13
	v_sub_f32_e32 v12, v12, v26
	s_delay_alu instid0(VALU_DEP_2) | instskip(NEXT) | instid1(VALU_DEP_1)
	v_dual_add_f32 v25, v15, v18 :: v_dual_sub_f32 v16, v18, v16
	v_sub_f32_e32 v27, v25, v15
	s_delay_alu instid0(VALU_DEP_1) | instskip(SKIP_1) | instid1(VALU_DEP_1)
	v_dual_sub_f32 v13, v13, v16 :: v_dual_sub_f32 v16, v18, v27
	v_sub_f32_e32 v28, v25, v27
	v_dual_add_f32 v18, v12, v13 :: v_dual_sub_f32 v15, v15, v28
	s_delay_alu instid0(VALU_DEP_1) | instskip(NEXT) | instid1(VALU_DEP_1)
	v_dual_add_f32 v15, v16, v15 :: v_dual_sub_f32 v16, v18, v12
	v_add_f32_e32 v15, v18, v15
	s_delay_alu instid0(VALU_DEP_2) | instskip(NEXT) | instid1(VALU_DEP_1)
	v_sub_f32_e32 v18, v18, v16
	v_sub_f32_e32 v12, v12, v18
	s_delay_alu instid0(VALU_DEP_3) | instskip(NEXT) | instid1(VALU_DEP_1)
	v_add_f32_e32 v26, v25, v15
	v_dual_sub_f32 v13, v13, v16 :: v_dual_sub_f32 v16, v26, v25
	s_delay_alu instid0(VALU_DEP_1) | instskip(NEXT) | instid1(VALU_DEP_2)
	v_add_f32_e32 v12, v13, v12
	v_sub_f32_e32 v13, v15, v16
	s_delay_alu instid0(VALU_DEP_1) | instskip(NEXT) | instid1(VALU_DEP_1)
	v_add_f32_e32 v12, v12, v13
	v_add_f32_e32 v12, v26, v12
	s_wait_alu 0xf1ff
	s_delay_alu instid0(VALU_DEP_1) | instskip(SKIP_2) | instid1(VALU_DEP_1)
	v_cndmask_b32_e64 v12, 0x7f800000, v12, s0
	v_cmp_gt_f32_e64 s0, 0x33800000, |v14|
	s_wait_alu 0xf1ff
	v_cndmask_b32_e64 v12, v12, v14, s0
	s_delay_alu instid0(VALU_DEP_1)
	v_add_f32_e32 v12, v11, v12
.LBB479_114:
	s_wait_alu 0xfffe
	s_or_b32 exec_lo, exec_lo, s1
	s_delay_alu instid0(VALU_DEP_1) | instskip(SKIP_1) | instid1(VALU_DEP_2)
	v_bfe_u32 v11, v12, 16, 1
	v_cmp_o_f32_e64 s0, v12, v12
	v_add3_u32 v11, v12, v11, 0x7fff
	s_delay_alu instid0(VALU_DEP_1) | instskip(SKIP_1) | instid1(VALU_DEP_1)
	v_lshrrev_b32_e32 v11, 16, v11
	s_wait_alu 0xf1ff
	v_cndmask_b32_e64 v11, 0x7fc0, v11, s0
	s_delay_alu instid0(VALU_DEP_1) | instskip(NEXT) | instid1(VALU_DEP_1)
	v_lshlrev_b32_e32 v12, 16, v11
	v_max_num_f32_e32 v13, v12, v12
	v_cmp_u_f32_e64 s0, v12, v12
	s_delay_alu instid0(VALU_DEP_2) | instskip(SKIP_2) | instid1(VALU_DEP_2)
	v_min_num_f32_e32 v14, v13, v19
	v_max_num_f32_e32 v13, v13, v19
	s_wait_alu 0xf1ff
	v_cndmask_b32_e64 v14, v14, v12, s0
	s_delay_alu instid0(VALU_DEP_2) | instskip(NEXT) | instid1(VALU_DEP_2)
	v_cndmask_b32_e64 v15, v13, v12, s0
	v_cndmask_b32_e64 v13, v14, v4, s19
	s_delay_alu instid0(VALU_DEP_2) | instskip(NEXT) | instid1(VALU_DEP_2)
	v_cndmask_b32_e64 v4, v15, v4, s19
	v_cmp_class_f32_e64 s1, v13, 0x1f8
	s_delay_alu instid0(VALU_DEP_2)
	v_cmp_neq_f32_e64 s0, v13, v4
	s_or_b32 s0, s0, s1
	s_wait_alu 0xfffe
	s_and_saveexec_b32 s1, s0
	s_cbranch_execz .LBB479_116
; %bb.115:
	v_sub_f32_e32 v12, v13, v4
	s_delay_alu instid0(VALU_DEP_1) | instskip(SKIP_1) | instid1(VALU_DEP_2)
	v_mul_f32_e32 v13, 0x3fb8aa3b, v12
	v_cmp_ngt_f32_e64 s0, 0xc2ce8ed0, v12
	v_fma_f32 v14, 0x3fb8aa3b, v12, -v13
	v_rndne_f32_e32 v15, v13
	s_delay_alu instid0(VALU_DEP_1) | instskip(NEXT) | instid1(VALU_DEP_1)
	v_dual_fmamk_f32 v14, v12, 0x32a5705f, v14 :: v_dual_sub_f32 v13, v13, v15
	v_add_f32_e32 v13, v13, v14
	v_cvt_i32_f32_e32 v14, v15
	s_delay_alu instid0(VALU_DEP_2) | instskip(NEXT) | instid1(TRANS32_DEP_1)
	v_exp_f32_e32 v13, v13
	v_ldexp_f32 v13, v13, v14
	s_wait_alu 0xf1ff
	s_delay_alu instid0(VALU_DEP_1) | instskip(SKIP_2) | instid1(VALU_DEP_1)
	v_cndmask_b32_e64 v13, 0, v13, s0
	v_cmp_nlt_f32_e64 s0, 0x42b17218, v12
	s_wait_alu 0xf1ff
	v_cndmask_b32_e64 v14, 0x7f800000, v13, s0
	s_delay_alu instid0(VALU_DEP_1) | instskip(NEXT) | instid1(VALU_DEP_1)
	v_add_f32_e32 v15, 1.0, v14
	v_cvt_f64_f32_e32 v[12:13], v15
	s_delay_alu instid0(VALU_DEP_1) | instskip(SKIP_1) | instid1(VALU_DEP_1)
	v_frexp_exp_i32_f64_e32 v12, v[12:13]
	v_frexp_mant_f32_e32 v13, v15
	v_cmp_gt_f32_e64 s0, 0x3f2aaaab, v13
	v_add_f32_e32 v13, -1.0, v15
	s_delay_alu instid0(VALU_DEP_1) | instskip(NEXT) | instid1(VALU_DEP_1)
	v_dual_sub_f32 v18, v13, v15 :: v_dual_sub_f32 v13, v14, v13
	v_add_f32_e32 v18, 1.0, v18
	s_wait_alu 0xf1ff
	v_subrev_co_ci_u32_e64 v12, null, 0, v12, s0
	s_mov_b32 s0, 0x3e9b6dac
	v_sub_nc_u32_e32 v16, 0, v12
	v_cvt_f32_i32_e32 v12, v12
	s_delay_alu instid0(VALU_DEP_2) | instskip(SKIP_1) | instid1(VALU_DEP_1)
	v_ldexp_f32 v15, v15, v16
	v_add_f32_e32 v13, v13, v18
	v_ldexp_f32 v13, v13, v16
	s_delay_alu instid0(VALU_DEP_3) | instskip(SKIP_1) | instid1(VALU_DEP_1)
	v_add_f32_e32 v19, 1.0, v15
	v_add_f32_e32 v16, -1.0, v15
	v_dual_add_f32 v18, -1.0, v19 :: v_dual_add_f32 v25, 1.0, v16
	s_delay_alu instid0(VALU_DEP_1) | instskip(NEXT) | instid1(VALU_DEP_1)
	v_sub_f32_e32 v18, v15, v18
	v_dual_sub_f32 v15, v15, v25 :: v_dual_add_f32 v18, v13, v18
	s_delay_alu instid0(VALU_DEP_1) | instskip(NEXT) | instid1(VALU_DEP_1)
	v_add_f32_e32 v13, v13, v15
	v_dual_add_f32 v25, v19, v18 :: v_dual_add_f32 v26, v16, v13
	s_delay_alu instid0(VALU_DEP_1) | instskip(NEXT) | instid1(VALU_DEP_1)
	v_dual_sub_f32 v19, v19, v25 :: v_dual_sub_f32 v16, v16, v26
	v_add_f32_e32 v18, v18, v19
	v_rcp_f32_e32 v15, v25
	s_delay_alu instid0(VALU_DEP_2) | instskip(NEXT) | instid1(TRANS32_DEP_1)
	v_add_f32_e32 v13, v13, v16
	v_mul_f32_e32 v27, v26, v15
	s_delay_alu instid0(VALU_DEP_1) | instskip(NEXT) | instid1(VALU_DEP_1)
	v_mul_f32_e32 v28, v25, v27
	v_fma_f32 v19, v27, v25, -v28
	s_delay_alu instid0(VALU_DEP_1) | instskip(NEXT) | instid1(VALU_DEP_1)
	v_fmac_f32_e32 v19, v27, v18
	v_add_f32_e32 v30, v28, v19
	s_delay_alu instid0(VALU_DEP_1) | instskip(NEXT) | instid1(VALU_DEP_1)
	v_sub_f32_e32 v16, v30, v28
	v_dual_sub_f32 v31, v26, v30 :: v_dual_sub_f32 v16, v16, v19
	s_delay_alu instid0(VALU_DEP_1) | instskip(NEXT) | instid1(VALU_DEP_1)
	v_sub_f32_e32 v26, v26, v31
	v_sub_f32_e32 v26, v26, v30
	s_delay_alu instid0(VALU_DEP_1) | instskip(NEXT) | instid1(VALU_DEP_1)
	v_add_f32_e32 v13, v13, v26
	v_add_f32_e32 v13, v16, v13
	s_delay_alu instid0(VALU_DEP_1) | instskip(NEXT) | instid1(VALU_DEP_1)
	v_add_f32_e32 v16, v31, v13
	v_mul_f32_e32 v19, v15, v16
	v_sub_f32_e32 v30, v31, v16
	s_delay_alu instid0(VALU_DEP_2) | instskip(NEXT) | instid1(VALU_DEP_2)
	v_mul_f32_e32 v26, v25, v19
	v_add_f32_e32 v13, v13, v30
	s_delay_alu instid0(VALU_DEP_2) | instskip(NEXT) | instid1(VALU_DEP_1)
	v_fma_f32 v25, v19, v25, -v26
	v_fmac_f32_e32 v25, v19, v18
	s_delay_alu instid0(VALU_DEP_1) | instskip(NEXT) | instid1(VALU_DEP_1)
	v_add_f32_e32 v18, v26, v25
	v_sub_f32_e32 v28, v16, v18
	s_delay_alu instid0(VALU_DEP_1) | instskip(NEXT) | instid1(VALU_DEP_1)
	v_sub_f32_e32 v16, v16, v28
	v_sub_f32_e32 v16, v16, v18
	s_delay_alu instid0(VALU_DEP_1) | instskip(SKIP_1) | instid1(VALU_DEP_2)
	v_dual_sub_f32 v26, v18, v26 :: v_dual_add_f32 v13, v13, v16
	v_add_f32_e32 v16, v27, v19
	v_sub_f32_e32 v18, v26, v25
	s_delay_alu instid0(VALU_DEP_1) | instskip(NEXT) | instid1(VALU_DEP_1)
	v_add_f32_e32 v13, v18, v13
	v_add_f32_e32 v13, v28, v13
	s_delay_alu instid0(VALU_DEP_1) | instskip(NEXT) | instid1(VALU_DEP_1)
	v_dual_sub_f32 v18, v16, v27 :: v_dual_mul_f32 v13, v15, v13
	v_sub_f32_e32 v18, v19, v18
	s_delay_alu instid0(VALU_DEP_1) | instskip(NEXT) | instid1(VALU_DEP_1)
	v_add_f32_e32 v13, v18, v13
	v_add_f32_e32 v15, v16, v13
	s_delay_alu instid0(VALU_DEP_1) | instskip(SKIP_1) | instid1(VALU_DEP_1)
	v_mul_f32_e32 v18, v15, v15
	s_wait_alu 0xfffe
	v_fmaak_f32 v19, s0, v18, 0x3ecc95a3
	v_mul_f32_e32 v25, v15, v18
	v_cmp_neq_f32_e64 s0, 0x7f800000, v14
	s_delay_alu instid0(VALU_DEP_3) | instskip(SKIP_1) | instid1(VALU_DEP_2)
	v_fmaak_f32 v18, v18, v19, 0x3f2aaada
	v_ldexp_f32 v19, v15, 1
	v_dual_sub_f32 v15, v15, v16 :: v_dual_mul_f32 v18, v25, v18
	v_mul_f32_e32 v25, 0x3f317218, v12
	s_delay_alu instid0(VALU_DEP_2) | instskip(NEXT) | instid1(VALU_DEP_1)
	v_dual_sub_f32 v13, v13, v15 :: v_dual_add_f32 v16, v19, v18
	v_ldexp_f32 v13, v13, 1
	s_delay_alu instid0(VALU_DEP_2) | instskip(NEXT) | instid1(VALU_DEP_4)
	v_sub_f32_e32 v15, v16, v19
	v_fma_f32 v19, 0x3f317218, v12, -v25
	s_delay_alu instid0(VALU_DEP_1) | instskip(NEXT) | instid1(VALU_DEP_1)
	v_dual_sub_f32 v15, v18, v15 :: v_dual_fmamk_f32 v12, v12, 0xb102e308, v19
	v_add_f32_e32 v13, v13, v15
	s_delay_alu instid0(VALU_DEP_1) | instskip(NEXT) | instid1(VALU_DEP_1)
	v_dual_add_f32 v15, v25, v12 :: v_dual_add_f32 v18, v16, v13
	v_dual_sub_f32 v25, v15, v25 :: v_dual_sub_f32 v16, v18, v16
	s_delay_alu instid0(VALU_DEP_1) | instskip(SKIP_1) | instid1(VALU_DEP_1)
	v_dual_sub_f32 v12, v12, v25 :: v_dual_sub_f32 v13, v13, v16
	v_add_f32_e32 v19, v15, v18
	v_sub_f32_e32 v26, v19, v15
	s_delay_alu instid0(VALU_DEP_1) | instskip(NEXT) | instid1(VALU_DEP_4)
	v_sub_f32_e32 v16, v18, v26
	v_dual_add_f32 v18, v12, v13 :: v_dual_sub_f32 v27, v19, v26
	s_delay_alu instid0(VALU_DEP_1) | instskip(NEXT) | instid1(VALU_DEP_1)
	v_sub_f32_e32 v15, v15, v27
	v_dual_add_f32 v15, v16, v15 :: v_dual_sub_f32 v16, v18, v12
	s_delay_alu instid0(VALU_DEP_1) | instskip(NEXT) | instid1(VALU_DEP_1)
	v_add_f32_e32 v15, v18, v15
	v_dual_sub_f32 v18, v18, v16 :: v_dual_add_f32 v25, v19, v15
	s_delay_alu instid0(VALU_DEP_1) | instskip(NEXT) | instid1(VALU_DEP_2)
	v_dual_sub_f32 v12, v12, v18 :: v_dual_sub_f32 v13, v13, v16
	v_sub_f32_e32 v16, v25, v19
	s_delay_alu instid0(VALU_DEP_2) | instskip(NEXT) | instid1(VALU_DEP_2)
	v_add_f32_e32 v12, v13, v12
	v_sub_f32_e32 v13, v15, v16
	s_delay_alu instid0(VALU_DEP_1) | instskip(NEXT) | instid1(VALU_DEP_1)
	v_add_f32_e32 v12, v12, v13
	v_add_f32_e32 v12, v25, v12
	s_wait_alu 0xf1ff
	s_delay_alu instid0(VALU_DEP_1) | instskip(SKIP_2) | instid1(VALU_DEP_1)
	v_cndmask_b32_e64 v12, 0x7f800000, v12, s0
	v_cmp_gt_f32_e64 s0, 0x33800000, |v14|
	s_wait_alu 0xf1ff
	v_cndmask_b32_e64 v12, v12, v14, s0
	s_delay_alu instid0(VALU_DEP_1)
	v_add_f32_e32 v12, v4, v12
.LBB479_116:
	s_wait_alu 0xfffe
	s_or_b32 exec_lo, exec_lo, s1
	s_delay_alu instid0(VALU_DEP_1) | instskip(SKIP_1) | instid1(VALU_DEP_2)
	v_bfe_u32 v4, v12, 16, 1
	v_cmp_o_f32_e64 s0, v12, v12
	v_add3_u32 v4, v12, v4, 0x7fff
	s_delay_alu instid0(VALU_DEP_1) | instskip(SKIP_1) | instid1(VALU_DEP_1)
	v_lshrrev_b32_e32 v4, 16, v4
	s_wait_alu 0xf1ff
	v_cndmask_b32_e64 v4, 0x7fc0, v4, s0
	s_delay_alu instid0(VALU_DEP_1) | instskip(NEXT) | instid1(VALU_DEP_1)
	v_lshlrev_b32_e32 v13, 16, v4
	v_max_num_f32_e32 v12, v13, v13
	s_delay_alu instid0(VALU_DEP_1) | instskip(SKIP_3) | instid1(VALU_DEP_1)
	v_min_num_f32_e32 v14, v12, v21
	v_max_num_f32_e32 v12, v12, v21
	v_cmp_u_f32_e64 s0, v13, v13
	s_wait_alu 0xf1ff
	v_cndmask_b32_e64 v14, v14, v13, s0
	s_delay_alu instid0(VALU_DEP_3) | instskip(NEXT) | instid1(VALU_DEP_2)
	v_cndmask_b32_e64 v12, v12, v13, s0
	v_cndmask_b32_e64 v14, v14, v17, s20
	s_delay_alu instid0(VALU_DEP_2) | instskip(NEXT) | instid1(VALU_DEP_2)
	v_cndmask_b32_e64 v12, v12, v17, s20
	v_cmp_class_f32_e64 s1, v14, 0x1f8
	s_delay_alu instid0(VALU_DEP_2)
	v_cmp_neq_f32_e64 s0, v14, v12
	s_or_b32 s0, s0, s1
	s_wait_alu 0xfffe
	s_and_saveexec_b32 s1, s0
	s_cbranch_execz .LBB479_118
; %bb.117:
	v_sub_f32_e32 v13, v14, v12
	s_delay_alu instid0(VALU_DEP_1) | instskip(SKIP_1) | instid1(VALU_DEP_2)
	v_mul_f32_e32 v14, 0x3fb8aa3b, v13
	v_cmp_ngt_f32_e64 s0, 0xc2ce8ed0, v13
	v_fma_f32 v15, 0x3fb8aa3b, v13, -v14
	v_rndne_f32_e32 v16, v14
	s_delay_alu instid0(VALU_DEP_1) | instskip(NEXT) | instid1(VALU_DEP_1)
	v_dual_fmamk_f32 v15, v13, 0x32a5705f, v15 :: v_dual_sub_f32 v14, v14, v16
	v_add_f32_e32 v14, v14, v15
	v_cvt_i32_f32_e32 v15, v16
	s_delay_alu instid0(VALU_DEP_2) | instskip(NEXT) | instid1(TRANS32_DEP_1)
	v_exp_f32_e32 v14, v14
	v_ldexp_f32 v14, v14, v15
	s_wait_alu 0xf1ff
	s_delay_alu instid0(VALU_DEP_1) | instskip(SKIP_2) | instid1(VALU_DEP_1)
	v_cndmask_b32_e64 v14, 0, v14, s0
	v_cmp_nlt_f32_e64 s0, 0x42b17218, v13
	s_wait_alu 0xf1ff
	v_cndmask_b32_e64 v15, 0x7f800000, v14, s0
	s_delay_alu instid0(VALU_DEP_1) | instskip(NEXT) | instid1(VALU_DEP_1)
	v_add_f32_e32 v16, 1.0, v15
	v_cvt_f64_f32_e32 v[13:14], v16
	s_delay_alu instid0(VALU_DEP_1) | instskip(SKIP_1) | instid1(VALU_DEP_1)
	v_frexp_exp_i32_f64_e32 v13, v[13:14]
	v_frexp_mant_f32_e32 v14, v16
	v_cmp_gt_f32_e64 s0, 0x3f2aaaab, v14
	v_add_f32_e32 v14, -1.0, v16
	s_delay_alu instid0(VALU_DEP_1)
	v_sub_f32_e32 v18, v14, v16
	v_sub_f32_e32 v14, v15, v14
	s_wait_alu 0xf1ff
	v_subrev_co_ci_u32_e64 v13, null, 0, v13, s0
	s_mov_b32 s0, 0x3e9b6dac
	v_sub_nc_u32_e32 v17, 0, v13
	v_cvt_f32_i32_e32 v13, v13
	s_delay_alu instid0(VALU_DEP_2) | instskip(NEXT) | instid1(VALU_DEP_1)
	v_ldexp_f32 v16, v16, v17
	v_dual_add_f32 v19, 1.0, v16 :: v_dual_add_f32 v18, 1.0, v18
	s_delay_alu instid0(VALU_DEP_1) | instskip(NEXT) | instid1(VALU_DEP_2)
	v_add_f32_e32 v14, v14, v18
	v_add_f32_e32 v18, -1.0, v19
	s_delay_alu instid0(VALU_DEP_2) | instskip(NEXT) | instid1(VALU_DEP_2)
	v_ldexp_f32 v14, v14, v17
	v_dual_add_f32 v17, -1.0, v16 :: v_dual_sub_f32 v18, v16, v18
	s_delay_alu instid0(VALU_DEP_1) | instskip(NEXT) | instid1(VALU_DEP_1)
	v_dual_add_f32 v21, 1.0, v17 :: v_dual_add_f32 v18, v14, v18
	v_dual_sub_f32 v16, v16, v21 :: v_dual_add_f32 v21, v19, v18
	s_delay_alu instid0(VALU_DEP_1) | instskip(NEXT) | instid1(VALU_DEP_2)
	v_add_f32_e32 v14, v14, v16
	v_rcp_f32_e32 v16, v21
	v_sub_f32_e32 v19, v19, v21
	s_delay_alu instid0(VALU_DEP_1) | instskip(NEXT) | instid1(VALU_DEP_1)
	v_dual_add_f32 v25, v17, v14 :: v_dual_add_f32 v18, v18, v19
	v_sub_f32_e32 v17, v17, v25
	s_delay_alu instid0(TRANS32_DEP_1) | instskip(NEXT) | instid1(VALU_DEP_1)
	v_mul_f32_e32 v26, v25, v16
	v_mul_f32_e32 v27, v21, v26
	s_delay_alu instid0(VALU_DEP_1) | instskip(NEXT) | instid1(VALU_DEP_1)
	v_fma_f32 v19, v26, v21, -v27
	v_fmac_f32_e32 v19, v26, v18
	s_delay_alu instid0(VALU_DEP_1) | instskip(NEXT) | instid1(VALU_DEP_1)
	v_add_f32_e32 v28, v27, v19
	v_sub_f32_e32 v30, v25, v28
	s_delay_alu instid0(VALU_DEP_1) | instskip(SKIP_1) | instid1(VALU_DEP_2)
	v_dual_sub_f32 v25, v25, v30 :: v_dual_add_f32 v14, v14, v17
	v_sub_f32_e32 v17, v28, v27
	v_sub_f32_e32 v25, v25, v28
	s_delay_alu instid0(VALU_DEP_1) | instskip(NEXT) | instid1(VALU_DEP_1)
	v_dual_sub_f32 v17, v17, v19 :: v_dual_add_f32 v14, v14, v25
	v_add_f32_e32 v14, v17, v14
	s_delay_alu instid0(VALU_DEP_1) | instskip(NEXT) | instid1(VALU_DEP_1)
	v_add_f32_e32 v17, v30, v14
	v_mul_f32_e32 v19, v16, v17
	s_delay_alu instid0(VALU_DEP_1) | instskip(NEXT) | instid1(VALU_DEP_1)
	v_mul_f32_e32 v25, v21, v19
	v_fma_f32 v21, v19, v21, -v25
	s_delay_alu instid0(VALU_DEP_1) | instskip(NEXT) | instid1(VALU_DEP_1)
	v_fmac_f32_e32 v21, v19, v18
	v_add_f32_e32 v18, v25, v21
	s_delay_alu instid0(VALU_DEP_1) | instskip(SKIP_1) | instid1(VALU_DEP_2)
	v_dual_sub_f32 v27, v17, v18 :: v_dual_sub_f32 v28, v30, v17
	v_sub_f32_e32 v25, v18, v25
	v_dual_sub_f32 v17, v17, v27 :: v_dual_add_f32 v14, v14, v28
	s_delay_alu instid0(VALU_DEP_1) | instskip(NEXT) | instid1(VALU_DEP_3)
	v_sub_f32_e32 v17, v17, v18
	v_sub_f32_e32 v18, v25, v21
	s_delay_alu instid0(VALU_DEP_2) | instskip(SKIP_1) | instid1(VALU_DEP_2)
	v_add_f32_e32 v14, v14, v17
	v_add_f32_e32 v17, v26, v19
	;; [unrolled: 1-line block ×3, first 2 shown]
	s_delay_alu instid0(VALU_DEP_2) | instskip(NEXT) | instid1(VALU_DEP_2)
	v_sub_f32_e32 v18, v17, v26
	v_add_f32_e32 v14, v27, v14
	s_delay_alu instid0(VALU_DEP_2) | instskip(NEXT) | instid1(VALU_DEP_2)
	v_sub_f32_e32 v18, v19, v18
	v_mul_f32_e32 v14, v16, v14
	s_delay_alu instid0(VALU_DEP_1) | instskip(NEXT) | instid1(VALU_DEP_1)
	v_add_f32_e32 v14, v18, v14
	v_add_f32_e32 v16, v17, v14
	s_delay_alu instid0(VALU_DEP_1) | instskip(SKIP_1) | instid1(VALU_DEP_1)
	v_mul_f32_e32 v18, v16, v16
	s_wait_alu 0xfffe
	v_fmaak_f32 v19, s0, v18, 0x3ecc95a3
	v_mul_f32_e32 v21, v16, v18
	v_cmp_neq_f32_e64 s0, 0x7f800000, v15
	s_delay_alu instid0(VALU_DEP_3) | instskip(SKIP_1) | instid1(VALU_DEP_2)
	v_fmaak_f32 v18, v18, v19, 0x3f2aaada
	v_ldexp_f32 v19, v16, 1
	v_mul_f32_e32 v18, v21, v18
	v_sub_f32_e32 v16, v16, v17
	v_mul_f32_e32 v21, 0x3f317218, v13
	s_delay_alu instid0(VALU_DEP_2) | instskip(NEXT) | instid1(VALU_DEP_1)
	v_dual_add_f32 v17, v19, v18 :: v_dual_sub_f32 v14, v14, v16
	v_sub_f32_e32 v16, v17, v19
	s_delay_alu instid0(VALU_DEP_3) | instskip(NEXT) | instid1(VALU_DEP_3)
	v_fma_f32 v19, 0x3f317218, v13, -v21
	v_ldexp_f32 v14, v14, 1
	s_delay_alu instid0(VALU_DEP_2) | instskip(NEXT) | instid1(VALU_DEP_1)
	v_dual_sub_f32 v16, v18, v16 :: v_dual_fmamk_f32 v13, v13, 0xb102e308, v19
	v_add_f32_e32 v14, v14, v16
	s_delay_alu instid0(VALU_DEP_2) | instskip(NEXT) | instid1(VALU_DEP_1)
	v_add_f32_e32 v16, v21, v13
	v_dual_add_f32 v18, v17, v14 :: v_dual_sub_f32 v21, v16, v21
	s_delay_alu instid0(VALU_DEP_1) | instskip(SKIP_1) | instid1(VALU_DEP_3)
	v_add_f32_e32 v19, v16, v18
	v_sub_f32_e32 v17, v18, v17
	v_sub_f32_e32 v13, v13, v21
	s_delay_alu instid0(VALU_DEP_2) | instskip(NEXT) | instid1(VALU_DEP_1)
	v_dual_sub_f32 v25, v19, v16 :: v_dual_sub_f32 v14, v14, v17
	v_sub_f32_e32 v26, v19, v25
	s_delay_alu instid0(VALU_DEP_2) | instskip(NEXT) | instid1(VALU_DEP_2)
	v_dual_sub_f32 v17, v18, v25 :: v_dual_add_f32 v18, v13, v14
	v_sub_f32_e32 v16, v16, v26
	s_delay_alu instid0(VALU_DEP_1) | instskip(NEXT) | instid1(VALU_DEP_1)
	v_dual_add_f32 v16, v17, v16 :: v_dual_sub_f32 v17, v18, v13
	v_add_f32_e32 v16, v18, v16
	s_delay_alu instid0(VALU_DEP_2) | instskip(NEXT) | instid1(VALU_DEP_2)
	v_sub_f32_e32 v18, v18, v17
	v_dual_sub_f32 v14, v14, v17 :: v_dual_add_f32 v21, v19, v16
	s_delay_alu instid0(VALU_DEP_2) | instskip(NEXT) | instid1(VALU_DEP_2)
	v_sub_f32_e32 v13, v13, v18
	v_sub_f32_e32 v17, v21, v19
	s_delay_alu instid0(VALU_DEP_2) | instskip(NEXT) | instid1(VALU_DEP_2)
	v_add_f32_e32 v13, v14, v13
	v_sub_f32_e32 v14, v16, v17
	s_delay_alu instid0(VALU_DEP_1) | instskip(NEXT) | instid1(VALU_DEP_1)
	v_add_f32_e32 v13, v13, v14
	v_add_f32_e32 v13, v21, v13
	s_wait_alu 0xf1ff
	s_delay_alu instid0(VALU_DEP_1) | instskip(SKIP_2) | instid1(VALU_DEP_1)
	v_cndmask_b32_e64 v13, 0x7f800000, v13, s0
	v_cmp_gt_f32_e64 s0, 0x33800000, |v15|
	s_wait_alu 0xf1ff
	v_cndmask_b32_e64 v13, v13, v15, s0
	s_delay_alu instid0(VALU_DEP_1)
	v_add_f32_e32 v13, v12, v13
.LBB479_118:
	s_wait_alu 0xfffe
	s_or_b32 exec_lo, exec_lo, s1
	s_delay_alu instid0(VALU_DEP_1) | instskip(SKIP_1) | instid1(VALU_DEP_2)
	v_bfe_u32 v12, v13, 16, 1
	v_cmp_o_f32_e64 s0, v13, v13
	v_add3_u32 v12, v13, v12, 0x7fff
	s_delay_alu instid0(VALU_DEP_1) | instskip(SKIP_1) | instid1(VALU_DEP_1)
	v_lshrrev_b32_e32 v12, 16, v12
	s_wait_alu 0xf1ff
	v_cndmask_b32_e64 v12, 0x7fc0, v12, s0
	s_delay_alu instid0(VALU_DEP_1) | instskip(NEXT) | instid1(VALU_DEP_1)
	v_lshlrev_b32_e32 v13, 16, v12
	v_max_num_f32_e32 v14, v13, v13
	s_delay_alu instid0(VALU_DEP_1) | instskip(SKIP_3) | instid1(VALU_DEP_1)
	v_min_num_f32_e32 v15, v14, v22
	v_max_num_f32_e32 v14, v14, v22
	v_cmp_u_f32_e64 s0, v13, v13
	s_wait_alu 0xf1ff
	v_cndmask_b32_e64 v15, v15, v13, s0
	s_delay_alu instid0(VALU_DEP_3) | instskip(NEXT) | instid1(VALU_DEP_2)
	v_cndmask_b32_e64 v16, v14, v13, s0
	v_cndmask_b32_e64 v14, v15, v5, s21
	s_delay_alu instid0(VALU_DEP_2) | instskip(NEXT) | instid1(VALU_DEP_2)
	v_cndmask_b32_e64 v5, v16, v5, s21
	v_cmp_class_f32_e64 s1, v14, 0x1f8
	s_delay_alu instid0(VALU_DEP_2)
	v_cmp_neq_f32_e64 s0, v14, v5
	s_or_b32 s0, s0, s1
	s_wait_alu 0xfffe
	s_and_saveexec_b32 s1, s0
	s_cbranch_execz .LBB479_120
; %bb.119:
	v_sub_f32_e32 v13, v14, v5
	s_delay_alu instid0(VALU_DEP_1) | instskip(SKIP_1) | instid1(VALU_DEP_2)
	v_mul_f32_e32 v14, 0x3fb8aa3b, v13
	v_cmp_ngt_f32_e64 s0, 0xc2ce8ed0, v13
	v_fma_f32 v15, 0x3fb8aa3b, v13, -v14
	v_rndne_f32_e32 v16, v14
	s_delay_alu instid0(VALU_DEP_1) | instskip(NEXT) | instid1(VALU_DEP_1)
	v_dual_fmamk_f32 v15, v13, 0x32a5705f, v15 :: v_dual_sub_f32 v14, v14, v16
	v_add_f32_e32 v14, v14, v15
	v_cvt_i32_f32_e32 v15, v16
	s_delay_alu instid0(VALU_DEP_2) | instskip(NEXT) | instid1(TRANS32_DEP_1)
	v_exp_f32_e32 v14, v14
	v_ldexp_f32 v14, v14, v15
	s_wait_alu 0xf1ff
	s_delay_alu instid0(VALU_DEP_1) | instskip(SKIP_2) | instid1(VALU_DEP_1)
	v_cndmask_b32_e64 v14, 0, v14, s0
	v_cmp_nlt_f32_e64 s0, 0x42b17218, v13
	s_wait_alu 0xf1ff
	v_cndmask_b32_e64 v15, 0x7f800000, v14, s0
	s_delay_alu instid0(VALU_DEP_1) | instskip(NEXT) | instid1(VALU_DEP_1)
	v_add_f32_e32 v16, 1.0, v15
	v_cvt_f64_f32_e32 v[13:14], v16
	s_delay_alu instid0(VALU_DEP_1) | instskip(SKIP_1) | instid1(VALU_DEP_1)
	v_frexp_exp_i32_f64_e32 v13, v[13:14]
	v_frexp_mant_f32_e32 v14, v16
	v_cmp_gt_f32_e64 s0, 0x3f2aaaab, v14
	v_add_f32_e32 v14, -1.0, v16
	s_delay_alu instid0(VALU_DEP_1) | instskip(SKIP_1) | instid1(VALU_DEP_2)
	v_sub_f32_e32 v18, v14, v16
	v_sub_f32_e32 v14, v15, v14
	v_add_f32_e32 v18, 1.0, v18
	s_delay_alu instid0(VALU_DEP_1)
	v_add_f32_e32 v14, v14, v18
	s_wait_alu 0xf1ff
	v_subrev_co_ci_u32_e64 v13, null, 0, v13, s0
	s_mov_b32 s0, 0x3e9b6dac
	v_sub_nc_u32_e32 v17, 0, v13
	v_cvt_f32_i32_e32 v13, v13
	s_delay_alu instid0(VALU_DEP_2) | instskip(SKIP_1) | instid1(VALU_DEP_2)
	v_ldexp_f32 v16, v16, v17
	v_ldexp_f32 v14, v14, v17
	v_add_f32_e32 v19, 1.0, v16
	s_delay_alu instid0(VALU_DEP_1) | instskip(NEXT) | instid1(VALU_DEP_1)
	v_dual_add_f32 v17, -1.0, v16 :: v_dual_add_f32 v18, -1.0, v19
	v_dual_add_f32 v21, 1.0, v17 :: v_dual_sub_f32 v18, v16, v18
	s_delay_alu instid0(VALU_DEP_1) | instskip(NEXT) | instid1(VALU_DEP_1)
	v_add_f32_e32 v18, v14, v18
	v_dual_sub_f32 v16, v16, v21 :: v_dual_add_f32 v21, v19, v18
	s_delay_alu instid0(VALU_DEP_1) | instskip(NEXT) | instid1(VALU_DEP_1)
	v_sub_f32_e32 v19, v19, v21
	v_add_f32_e32 v18, v18, v19
	s_delay_alu instid0(VALU_DEP_3) | instskip(SKIP_1) | instid1(VALU_DEP_1)
	v_add_f32_e32 v14, v14, v16
	v_rcp_f32_e32 v16, v21
	v_add_f32_e32 v22, v17, v14
	s_delay_alu instid0(VALU_DEP_1) | instskip(NEXT) | instid1(TRANS32_DEP_1)
	v_sub_f32_e32 v17, v17, v22
	v_mul_f32_e32 v25, v22, v16
	s_delay_alu instid0(VALU_DEP_1) | instskip(NEXT) | instid1(VALU_DEP_1)
	v_mul_f32_e32 v26, v21, v25
	v_fma_f32 v19, v25, v21, -v26
	s_delay_alu instid0(VALU_DEP_1) | instskip(NEXT) | instid1(VALU_DEP_1)
	v_dual_fmac_f32 v19, v25, v18 :: v_dual_add_f32 v14, v14, v17
	v_add_f32_e32 v27, v26, v19
	s_delay_alu instid0(VALU_DEP_1) | instskip(NEXT) | instid1(VALU_DEP_1)
	v_dual_sub_f32 v17, v27, v26 :: v_dual_sub_f32 v28, v22, v27
	v_dual_sub_f32 v17, v17, v19 :: v_dual_sub_f32 v22, v22, v28
	s_delay_alu instid0(VALU_DEP_1) | instskip(NEXT) | instid1(VALU_DEP_1)
	v_sub_f32_e32 v22, v22, v27
	v_add_f32_e32 v14, v14, v22
	s_delay_alu instid0(VALU_DEP_1) | instskip(NEXT) | instid1(VALU_DEP_1)
	v_add_f32_e32 v14, v17, v14
	v_add_f32_e32 v17, v28, v14
	s_delay_alu instid0(VALU_DEP_1) | instskip(NEXT) | instid1(VALU_DEP_1)
	v_mul_f32_e32 v19, v16, v17
	v_mul_f32_e32 v22, v21, v19
	s_delay_alu instid0(VALU_DEP_1) | instskip(NEXT) | instid1(VALU_DEP_1)
	v_fma_f32 v21, v19, v21, -v22
	v_fmac_f32_e32 v21, v19, v18
	v_sub_f32_e32 v27, v28, v17
	s_delay_alu instid0(VALU_DEP_2) | instskip(NEXT) | instid1(VALU_DEP_2)
	v_add_f32_e32 v18, v22, v21
	v_add_f32_e32 v14, v14, v27
	s_delay_alu instid0(VALU_DEP_2) | instskip(SKIP_1) | instid1(VALU_DEP_2)
	v_sub_f32_e32 v26, v17, v18
	v_sub_f32_e32 v22, v18, v22
	;; [unrolled: 1-line block ×3, first 2 shown]
	s_delay_alu instid0(VALU_DEP_1) | instskip(NEXT) | instid1(VALU_DEP_1)
	v_dual_sub_f32 v17, v17, v18 :: v_dual_sub_f32 v18, v22, v21
	v_dual_add_f32 v14, v14, v17 :: v_dual_add_f32 v17, v25, v19
	s_delay_alu instid0(VALU_DEP_1) | instskip(NEXT) | instid1(VALU_DEP_2)
	v_add_f32_e32 v14, v18, v14
	v_sub_f32_e32 v18, v17, v25
	s_delay_alu instid0(VALU_DEP_2) | instskip(NEXT) | instid1(VALU_DEP_2)
	v_add_f32_e32 v14, v26, v14
	v_sub_f32_e32 v18, v19, v18
	s_delay_alu instid0(VALU_DEP_2) | instskip(NEXT) | instid1(VALU_DEP_1)
	v_mul_f32_e32 v14, v16, v14
	v_add_f32_e32 v14, v18, v14
	s_delay_alu instid0(VALU_DEP_1) | instskip(NEXT) | instid1(VALU_DEP_1)
	v_add_f32_e32 v16, v17, v14
	v_mul_f32_e32 v18, v16, v16
	s_wait_alu 0xfffe
	s_delay_alu instid0(VALU_DEP_1) | instskip(SKIP_2) | instid1(VALU_DEP_3)
	v_fmaak_f32 v19, s0, v18, 0x3ecc95a3
	v_mul_f32_e32 v21, v16, v18
	v_cmp_neq_f32_e64 s0, 0x7f800000, v15
	v_fmaak_f32 v18, v18, v19, 0x3f2aaada
	v_ldexp_f32 v19, v16, 1
	v_sub_f32_e32 v16, v16, v17
	s_delay_alu instid0(VALU_DEP_3) | instskip(NEXT) | instid1(VALU_DEP_1)
	v_dual_mul_f32 v18, v21, v18 :: v_dual_mul_f32 v21, 0x3f317218, v13
	v_dual_sub_f32 v14, v14, v16 :: v_dual_add_f32 v17, v19, v18
	s_delay_alu instid0(VALU_DEP_1) | instskip(NEXT) | instid1(VALU_DEP_2)
	v_ldexp_f32 v14, v14, 1
	v_sub_f32_e32 v16, v17, v19
	s_delay_alu instid0(VALU_DEP_4) | instskip(NEXT) | instid1(VALU_DEP_1)
	v_fma_f32 v19, 0x3f317218, v13, -v21
	v_dual_sub_f32 v16, v18, v16 :: v_dual_fmamk_f32 v13, v13, 0xb102e308, v19
	s_delay_alu instid0(VALU_DEP_1) | instskip(NEXT) | instid1(VALU_DEP_2)
	v_add_f32_e32 v14, v14, v16
	v_add_f32_e32 v16, v21, v13
	s_delay_alu instid0(VALU_DEP_1) | instskip(NEXT) | instid1(VALU_DEP_1)
	v_dual_add_f32 v18, v17, v14 :: v_dual_sub_f32 v21, v16, v21
	v_add_f32_e32 v19, v16, v18
	v_sub_f32_e32 v17, v18, v17
	s_delay_alu instid0(VALU_DEP_2) | instskip(NEXT) | instid1(VALU_DEP_1)
	v_dual_sub_f32 v13, v13, v21 :: v_dual_sub_f32 v22, v19, v16
	v_dual_sub_f32 v14, v14, v17 :: v_dual_sub_f32 v25, v19, v22
	v_sub_f32_e32 v17, v18, v22
	s_delay_alu instid0(VALU_DEP_2) | instskip(NEXT) | instid1(VALU_DEP_3)
	v_add_f32_e32 v18, v13, v14
	v_sub_f32_e32 v16, v16, v25
	s_delay_alu instid0(VALU_DEP_1) | instskip(NEXT) | instid1(VALU_DEP_1)
	v_dual_add_f32 v16, v17, v16 :: v_dual_sub_f32 v17, v18, v13
	v_add_f32_e32 v16, v18, v16
	s_delay_alu instid0(VALU_DEP_2) | instskip(NEXT) | instid1(VALU_DEP_2)
	v_sub_f32_e32 v18, v18, v17
	v_dual_sub_f32 v14, v14, v17 :: v_dual_add_f32 v21, v19, v16
	s_delay_alu instid0(VALU_DEP_2) | instskip(NEXT) | instid1(VALU_DEP_2)
	v_sub_f32_e32 v13, v13, v18
	v_sub_f32_e32 v17, v21, v19
	s_delay_alu instid0(VALU_DEP_2) | instskip(NEXT) | instid1(VALU_DEP_2)
	v_add_f32_e32 v13, v14, v13
	v_sub_f32_e32 v14, v16, v17
	s_delay_alu instid0(VALU_DEP_1) | instskip(NEXT) | instid1(VALU_DEP_1)
	v_add_f32_e32 v13, v13, v14
	v_add_f32_e32 v13, v21, v13
	s_wait_alu 0xf1ff
	s_delay_alu instid0(VALU_DEP_1) | instskip(SKIP_2) | instid1(VALU_DEP_1)
	v_cndmask_b32_e64 v13, 0x7f800000, v13, s0
	v_cmp_gt_f32_e64 s0, 0x33800000, |v15|
	s_wait_alu 0xf1ff
	v_cndmask_b32_e64 v13, v13, v15, s0
	s_delay_alu instid0(VALU_DEP_1)
	v_add_f32_e32 v13, v5, v13
.LBB479_120:
	s_wait_alu 0xfffe
	s_or_b32 exec_lo, exec_lo, s1
	s_delay_alu instid0(VALU_DEP_1) | instskip(SKIP_1) | instid1(VALU_DEP_2)
	v_bfe_u32 v5, v13, 16, 1
	v_cmp_o_f32_e64 s0, v13, v13
	v_add3_u32 v5, v13, v5, 0x7fff
	s_delay_alu instid0(VALU_DEP_1) | instskip(SKIP_1) | instid1(VALU_DEP_1)
	v_lshrrev_b32_e32 v5, 16, v5
	s_wait_alu 0xf1ff
	v_cndmask_b32_e64 v5, 0x7fc0, v5, s0
	s_delay_alu instid0(VALU_DEP_1) | instskip(NEXT) | instid1(VALU_DEP_1)
	v_lshlrev_b32_e32 v14, 16, v5
	v_max_num_f32_e32 v13, v14, v14
	s_delay_alu instid0(VALU_DEP_1) | instskip(SKIP_3) | instid1(VALU_DEP_1)
	v_min_num_f32_e32 v15, v13, v23
	v_max_num_f32_e32 v13, v13, v23
	v_cmp_u_f32_e64 s0, v14, v14
	s_wait_alu 0xf1ff
	v_cndmask_b32_e64 v15, v15, v14, s0
	s_delay_alu instid0(VALU_DEP_3) | instskip(NEXT) | instid1(VALU_DEP_2)
	v_cndmask_b32_e64 v13, v13, v14, s0
	v_cndmask_b32_e64 v15, v15, v20, s22
	s_delay_alu instid0(VALU_DEP_2) | instskip(NEXT) | instid1(VALU_DEP_2)
	v_cndmask_b32_e64 v13, v13, v20, s22
	v_cmp_class_f32_e64 s1, v15, 0x1f8
	s_delay_alu instid0(VALU_DEP_2)
	v_cmp_neq_f32_e64 s0, v15, v13
	s_or_b32 s0, s0, s1
	s_wait_alu 0xfffe
	s_and_saveexec_b32 s1, s0
	s_cbranch_execz .LBB479_122
; %bb.121:
	v_sub_f32_e32 v14, v15, v13
	s_delay_alu instid0(VALU_DEP_1) | instskip(SKIP_1) | instid1(VALU_DEP_2)
	v_mul_f32_e32 v15, 0x3fb8aa3b, v14
	v_cmp_ngt_f32_e64 s0, 0xc2ce8ed0, v14
	v_fma_f32 v16, 0x3fb8aa3b, v14, -v15
	v_rndne_f32_e32 v17, v15
	s_delay_alu instid0(VALU_DEP_1) | instskip(NEXT) | instid1(VALU_DEP_1)
	v_dual_fmamk_f32 v16, v14, 0x32a5705f, v16 :: v_dual_sub_f32 v15, v15, v17
	v_add_f32_e32 v15, v15, v16
	v_cvt_i32_f32_e32 v16, v17
	s_delay_alu instid0(VALU_DEP_2) | instskip(NEXT) | instid1(TRANS32_DEP_1)
	v_exp_f32_e32 v15, v15
	v_ldexp_f32 v15, v15, v16
	s_wait_alu 0xf1ff
	s_delay_alu instid0(VALU_DEP_1) | instskip(SKIP_2) | instid1(VALU_DEP_1)
	v_cndmask_b32_e64 v15, 0, v15, s0
	v_cmp_nlt_f32_e64 s0, 0x42b17218, v14
	s_wait_alu 0xf1ff
	v_cndmask_b32_e64 v16, 0x7f800000, v15, s0
	s_delay_alu instid0(VALU_DEP_1) | instskip(NEXT) | instid1(VALU_DEP_1)
	v_add_f32_e32 v17, 1.0, v16
	v_cvt_f64_f32_e32 v[14:15], v17
	s_delay_alu instid0(VALU_DEP_1) | instskip(SKIP_1) | instid1(VALU_DEP_1)
	v_frexp_exp_i32_f64_e32 v14, v[14:15]
	v_frexp_mant_f32_e32 v15, v17
	v_cmp_gt_f32_e64 s0, 0x3f2aaaab, v15
	v_add_f32_e32 v15, -1.0, v17
	s_delay_alu instid0(VALU_DEP_1)
	v_sub_f32_e32 v19, v15, v17
	v_sub_f32_e32 v15, v16, v15
	s_wait_alu 0xf1ff
	v_subrev_co_ci_u32_e64 v14, null, 0, v14, s0
	s_mov_b32 s0, 0x3e9b6dac
	v_sub_nc_u32_e32 v18, 0, v14
	v_cvt_f32_i32_e32 v14, v14
	s_delay_alu instid0(VALU_DEP_2) | instskip(NEXT) | instid1(VALU_DEP_1)
	v_ldexp_f32 v17, v17, v18
	v_dual_add_f32 v20, 1.0, v17 :: v_dual_add_f32 v19, 1.0, v19
	s_delay_alu instid0(VALU_DEP_1) | instskip(NEXT) | instid1(VALU_DEP_2)
	v_add_f32_e32 v15, v15, v19
	v_add_f32_e32 v19, -1.0, v20
	s_delay_alu instid0(VALU_DEP_2) | instskip(NEXT) | instid1(VALU_DEP_2)
	v_ldexp_f32 v15, v15, v18
	v_dual_add_f32 v18, -1.0, v17 :: v_dual_sub_f32 v19, v17, v19
	s_delay_alu instid0(VALU_DEP_1) | instskip(NEXT) | instid1(VALU_DEP_2)
	v_add_f32_e32 v21, 1.0, v18
	v_add_f32_e32 v19, v15, v19
	s_delay_alu instid0(VALU_DEP_2) | instskip(NEXT) | instid1(VALU_DEP_2)
	v_sub_f32_e32 v17, v17, v21
	v_add_f32_e32 v21, v20, v19
	s_delay_alu instid0(VALU_DEP_2) | instskip(NEXT) | instid1(VALU_DEP_2)
	v_add_f32_e32 v15, v15, v17
	v_rcp_f32_e32 v17, v21
	v_sub_f32_e32 v20, v20, v21
	s_delay_alu instid0(VALU_DEP_1) | instskip(NEXT) | instid1(VALU_DEP_1)
	v_dual_add_f32 v22, v18, v15 :: v_dual_add_f32 v19, v19, v20
	v_sub_f32_e32 v18, v18, v22
	s_delay_alu instid0(TRANS32_DEP_1) | instskip(NEXT) | instid1(VALU_DEP_2)
	v_mul_f32_e32 v23, v22, v17
	v_add_f32_e32 v15, v15, v18
	s_delay_alu instid0(VALU_DEP_2) | instskip(NEXT) | instid1(VALU_DEP_1)
	v_mul_f32_e32 v25, v21, v23
	v_fma_f32 v20, v23, v21, -v25
	s_delay_alu instid0(VALU_DEP_1) | instskip(NEXT) | instid1(VALU_DEP_1)
	v_fmac_f32_e32 v20, v23, v19
	v_add_f32_e32 v26, v25, v20
	s_delay_alu instid0(VALU_DEP_1) | instskip(SKIP_1) | instid1(VALU_DEP_2)
	v_sub_f32_e32 v27, v22, v26
	v_sub_f32_e32 v18, v26, v25
	;; [unrolled: 1-line block ×3, first 2 shown]
	s_delay_alu instid0(VALU_DEP_2) | instskip(NEXT) | instid1(VALU_DEP_2)
	v_sub_f32_e32 v18, v18, v20
	v_sub_f32_e32 v22, v22, v26
	s_delay_alu instid0(VALU_DEP_1) | instskip(NEXT) | instid1(VALU_DEP_1)
	v_add_f32_e32 v15, v15, v22
	v_add_f32_e32 v15, v18, v15
	s_delay_alu instid0(VALU_DEP_1) | instskip(NEXT) | instid1(VALU_DEP_1)
	v_add_f32_e32 v18, v27, v15
	v_mul_f32_e32 v20, v17, v18
	v_sub_f32_e32 v26, v27, v18
	s_delay_alu instid0(VALU_DEP_1) | instskip(NEXT) | instid1(VALU_DEP_1)
	v_dual_mul_f32 v22, v21, v20 :: v_dual_add_f32 v15, v15, v26
	v_fma_f32 v21, v20, v21, -v22
	s_delay_alu instid0(VALU_DEP_1) | instskip(NEXT) | instid1(VALU_DEP_1)
	v_fmac_f32_e32 v21, v20, v19
	v_add_f32_e32 v19, v22, v21
	s_delay_alu instid0(VALU_DEP_1) | instskip(NEXT) | instid1(VALU_DEP_1)
	v_dual_sub_f32 v25, v18, v19 :: v_dual_sub_f32 v22, v19, v22
	v_sub_f32_e32 v18, v18, v25
	s_delay_alu instid0(VALU_DEP_1) | instskip(NEXT) | instid1(VALU_DEP_3)
	v_sub_f32_e32 v18, v18, v19
	v_sub_f32_e32 v19, v22, v21
	s_delay_alu instid0(VALU_DEP_2) | instskip(SKIP_1) | instid1(VALU_DEP_2)
	v_add_f32_e32 v15, v15, v18
	v_add_f32_e32 v18, v23, v20
	;; [unrolled: 1-line block ×3, first 2 shown]
	s_delay_alu instid0(VALU_DEP_2) | instskip(NEXT) | instid1(VALU_DEP_2)
	v_sub_f32_e32 v19, v18, v23
	v_add_f32_e32 v15, v25, v15
	s_delay_alu instid0(VALU_DEP_2) | instskip(NEXT) | instid1(VALU_DEP_2)
	v_sub_f32_e32 v19, v20, v19
	v_mul_f32_e32 v15, v17, v15
	s_delay_alu instid0(VALU_DEP_1) | instskip(NEXT) | instid1(VALU_DEP_1)
	v_add_f32_e32 v15, v19, v15
	v_add_f32_e32 v17, v18, v15
	s_delay_alu instid0(VALU_DEP_1) | instskip(SKIP_1) | instid1(VALU_DEP_1)
	v_mul_f32_e32 v19, v17, v17
	s_wait_alu 0xfffe
	v_fmaak_f32 v20, s0, v19, 0x3ecc95a3
	v_mul_f32_e32 v21, v17, v19
	v_cmp_neq_f32_e64 s0, 0x7f800000, v16
	s_delay_alu instid0(VALU_DEP_3) | instskip(SKIP_2) | instid1(VALU_DEP_3)
	v_fmaak_f32 v19, v19, v20, 0x3f2aaada
	v_ldexp_f32 v20, v17, 1
	v_sub_f32_e32 v17, v17, v18
	v_mul_f32_e32 v19, v21, v19
	v_mul_f32_e32 v21, 0x3f317218, v14
	s_delay_alu instid0(VALU_DEP_2) | instskip(NEXT) | instid1(VALU_DEP_1)
	v_dual_sub_f32 v15, v15, v17 :: v_dual_add_f32 v18, v20, v19
	v_ldexp_f32 v15, v15, 1
	s_delay_alu instid0(VALU_DEP_2) | instskip(NEXT) | instid1(VALU_DEP_4)
	v_sub_f32_e32 v17, v18, v20
	v_fma_f32 v20, 0x3f317218, v14, -v21
	s_delay_alu instid0(VALU_DEP_1) | instskip(NEXT) | instid1(VALU_DEP_1)
	v_dual_sub_f32 v17, v19, v17 :: v_dual_fmamk_f32 v14, v14, 0xb102e308, v20
	v_add_f32_e32 v15, v15, v17
	s_delay_alu instid0(VALU_DEP_2) | instskip(NEXT) | instid1(VALU_DEP_2)
	v_add_f32_e32 v17, v21, v14
	v_add_f32_e32 v19, v18, v15
	s_delay_alu instid0(VALU_DEP_2) | instskip(NEXT) | instid1(VALU_DEP_2)
	v_sub_f32_e32 v21, v17, v21
	v_add_f32_e32 v20, v17, v19
	v_sub_f32_e32 v18, v19, v18
	s_delay_alu instid0(VALU_DEP_3) | instskip(NEXT) | instid1(VALU_DEP_2)
	v_sub_f32_e32 v14, v14, v21
	v_dual_sub_f32 v22, v20, v17 :: v_dual_sub_f32 v15, v15, v18
	s_delay_alu instid0(VALU_DEP_1) | instskip(NEXT) | instid1(VALU_DEP_2)
	v_sub_f32_e32 v23, v20, v22
	v_dual_sub_f32 v18, v19, v22 :: v_dual_add_f32 v19, v14, v15
	s_delay_alu instid0(VALU_DEP_2) | instskip(NEXT) | instid1(VALU_DEP_1)
	v_sub_f32_e32 v17, v17, v23
	v_dual_add_f32 v17, v18, v17 :: v_dual_sub_f32 v18, v19, v14
	s_delay_alu instid0(VALU_DEP_1) | instskip(NEXT) | instid1(VALU_DEP_2)
	v_add_f32_e32 v17, v19, v17
	v_sub_f32_e32 v19, v19, v18
	v_sub_f32_e32 v15, v15, v18
	s_delay_alu instid0(VALU_DEP_2) | instskip(NEXT) | instid1(VALU_DEP_1)
	v_dual_add_f32 v21, v20, v17 :: v_dual_sub_f32 v14, v14, v19
	v_sub_f32_e32 v18, v21, v20
	s_delay_alu instid0(VALU_DEP_2) | instskip(NEXT) | instid1(VALU_DEP_2)
	v_add_f32_e32 v14, v15, v14
	v_sub_f32_e32 v15, v17, v18
	s_delay_alu instid0(VALU_DEP_1) | instskip(NEXT) | instid1(VALU_DEP_1)
	v_add_f32_e32 v14, v14, v15
	v_add_f32_e32 v14, v21, v14
	s_wait_alu 0xf1ff
	s_delay_alu instid0(VALU_DEP_1) | instskip(SKIP_2) | instid1(VALU_DEP_1)
	v_cndmask_b32_e64 v14, 0x7f800000, v14, s0
	v_cmp_gt_f32_e64 s0, 0x33800000, |v16|
	s_wait_alu 0xf1ff
	v_cndmask_b32_e64 v14, v14, v16, s0
	s_delay_alu instid0(VALU_DEP_1)
	v_add_f32_e32 v14, v13, v14
.LBB479_122:
	s_wait_alu 0xfffe
	s_or_b32 exec_lo, exec_lo, s1
	s_delay_alu instid0(VALU_DEP_1) | instskip(SKIP_1) | instid1(VALU_DEP_2)
	v_bfe_u32 v13, v14, 16, 1
	v_cmp_o_f32_e64 s0, v14, v14
	v_add3_u32 v13, v14, v13, 0x7fff
	s_delay_alu instid0(VALU_DEP_1) | instskip(SKIP_1) | instid1(VALU_DEP_1)
	v_lshrrev_b32_e32 v13, 16, v13
	s_wait_alu 0xf1ff
	v_cndmask_b32_e64 v13, 0x7fc0, v13, s0
	s_delay_alu instid0(VALU_DEP_1) | instskip(NEXT) | instid1(VALU_DEP_1)
	v_lshlrev_b32_e32 v14, 16, v13
	v_max_num_f32_e32 v15, v14, v14
	s_delay_alu instid0(VALU_DEP_1) | instskip(SKIP_3) | instid1(VALU_DEP_1)
	v_min_num_f32_e32 v16, v15, v24
	v_max_num_f32_e32 v15, v15, v24
	v_cmp_u_f32_e64 s0, v14, v14
	s_wait_alu 0xf1ff
	v_cndmask_b32_e64 v16, v16, v14, s0
	s_delay_alu instid0(VALU_DEP_3) | instskip(NEXT) | instid1(VALU_DEP_2)
	v_cndmask_b32_e64 v17, v15, v14, s0
	v_cndmask_b32_e64 v15, v16, v6, s23
	s_delay_alu instid0(VALU_DEP_2) | instskip(NEXT) | instid1(VALU_DEP_2)
	v_cndmask_b32_e64 v6, v17, v6, s23
	v_cmp_class_f32_e64 s1, v15, 0x1f8
	s_delay_alu instid0(VALU_DEP_2)
	v_cmp_neq_f32_e64 s0, v15, v6
	s_or_b32 s0, s0, s1
	s_wait_alu 0xfffe
	s_and_saveexec_b32 s1, s0
	s_cbranch_execz .LBB479_124
; %bb.123:
	v_sub_f32_e32 v14, v15, v6
	s_delay_alu instid0(VALU_DEP_1) | instskip(SKIP_1) | instid1(VALU_DEP_2)
	v_mul_f32_e32 v15, 0x3fb8aa3b, v14
	v_cmp_ngt_f32_e64 s0, 0xc2ce8ed0, v14
	v_fma_f32 v16, 0x3fb8aa3b, v14, -v15
	v_rndne_f32_e32 v17, v15
	s_delay_alu instid0(VALU_DEP_1) | instskip(NEXT) | instid1(VALU_DEP_1)
	v_dual_fmamk_f32 v16, v14, 0x32a5705f, v16 :: v_dual_sub_f32 v15, v15, v17
	v_add_f32_e32 v15, v15, v16
	v_cvt_i32_f32_e32 v16, v17
	s_delay_alu instid0(VALU_DEP_2) | instskip(NEXT) | instid1(TRANS32_DEP_1)
	v_exp_f32_e32 v15, v15
	v_ldexp_f32 v15, v15, v16
	s_wait_alu 0xf1ff
	s_delay_alu instid0(VALU_DEP_1) | instskip(SKIP_2) | instid1(VALU_DEP_1)
	v_cndmask_b32_e64 v15, 0, v15, s0
	v_cmp_nlt_f32_e64 s0, 0x42b17218, v14
	s_wait_alu 0xf1ff
	v_cndmask_b32_e64 v16, 0x7f800000, v15, s0
	s_delay_alu instid0(VALU_DEP_1) | instskip(NEXT) | instid1(VALU_DEP_1)
	v_add_f32_e32 v17, 1.0, v16
	v_cvt_f64_f32_e32 v[14:15], v17
	s_delay_alu instid0(VALU_DEP_1) | instskip(SKIP_1) | instid1(VALU_DEP_1)
	v_frexp_exp_i32_f64_e32 v14, v[14:15]
	v_frexp_mant_f32_e32 v15, v17
	v_cmp_gt_f32_e64 s0, 0x3f2aaaab, v15
	v_add_f32_e32 v15, -1.0, v17
	s_delay_alu instid0(VALU_DEP_1)
	v_sub_f32_e32 v19, v15, v17
	v_sub_f32_e32 v15, v16, v15
	s_wait_alu 0xf1ff
	v_subrev_co_ci_u32_e64 v14, null, 0, v14, s0
	s_mov_b32 s0, 0x3e9b6dac
	v_sub_nc_u32_e32 v18, 0, v14
	v_cvt_f32_i32_e32 v14, v14
	s_delay_alu instid0(VALU_DEP_2) | instskip(NEXT) | instid1(VALU_DEP_1)
	v_ldexp_f32 v17, v17, v18
	v_dual_add_f32 v20, 1.0, v17 :: v_dual_add_f32 v19, 1.0, v19
	s_delay_alu instid0(VALU_DEP_1) | instskip(NEXT) | instid1(VALU_DEP_2)
	v_add_f32_e32 v15, v15, v19
	v_add_f32_e32 v19, -1.0, v20
	s_delay_alu instid0(VALU_DEP_2) | instskip(NEXT) | instid1(VALU_DEP_2)
	v_ldexp_f32 v15, v15, v18
	v_dual_add_f32 v18, -1.0, v17 :: v_dual_sub_f32 v19, v17, v19
	s_delay_alu instid0(VALU_DEP_1) | instskip(NEXT) | instid1(VALU_DEP_2)
	v_add_f32_e32 v21, 1.0, v18
	v_add_f32_e32 v19, v15, v19
	s_delay_alu instid0(VALU_DEP_2) | instskip(NEXT) | instid1(VALU_DEP_2)
	v_sub_f32_e32 v17, v17, v21
	v_add_f32_e32 v21, v20, v19
	s_delay_alu instid0(VALU_DEP_2) | instskip(NEXT) | instid1(VALU_DEP_2)
	v_add_f32_e32 v15, v15, v17
	v_rcp_f32_e32 v17, v21
	v_sub_f32_e32 v20, v20, v21
	s_delay_alu instid0(VALU_DEP_1) | instskip(NEXT) | instid1(VALU_DEP_1)
	v_dual_add_f32 v22, v18, v15 :: v_dual_add_f32 v19, v19, v20
	v_sub_f32_e32 v18, v18, v22
	s_delay_alu instid0(TRANS32_DEP_1) | instskip(NEXT) | instid1(VALU_DEP_1)
	v_mul_f32_e32 v23, v22, v17
	v_dual_add_f32 v15, v15, v18 :: v_dual_mul_f32 v24, v21, v23
	s_delay_alu instid0(VALU_DEP_1) | instskip(NEXT) | instid1(VALU_DEP_1)
	v_fma_f32 v20, v23, v21, -v24
	v_fmac_f32_e32 v20, v23, v19
	s_delay_alu instid0(VALU_DEP_1) | instskip(NEXT) | instid1(VALU_DEP_1)
	v_add_f32_e32 v25, v24, v20
	v_sub_f32_e32 v26, v22, v25
	v_sub_f32_e32 v18, v25, v24
	s_delay_alu instid0(VALU_DEP_2) | instskip(NEXT) | instid1(VALU_DEP_2)
	v_sub_f32_e32 v22, v22, v26
	v_sub_f32_e32 v18, v18, v20
	s_delay_alu instid0(VALU_DEP_2) | instskip(NEXT) | instid1(VALU_DEP_1)
	v_sub_f32_e32 v22, v22, v25
	v_add_f32_e32 v15, v15, v22
	s_delay_alu instid0(VALU_DEP_1) | instskip(NEXT) | instid1(VALU_DEP_1)
	v_add_f32_e32 v15, v18, v15
	v_add_f32_e32 v18, v26, v15
	s_delay_alu instid0(VALU_DEP_1) | instskip(NEXT) | instid1(VALU_DEP_1)
	v_mul_f32_e32 v20, v17, v18
	v_dual_sub_f32 v25, v26, v18 :: v_dual_mul_f32 v22, v21, v20
	s_delay_alu instid0(VALU_DEP_1) | instskip(NEXT) | instid1(VALU_DEP_2)
	v_add_f32_e32 v15, v15, v25
	v_fma_f32 v21, v20, v21, -v22
	s_delay_alu instid0(VALU_DEP_1) | instskip(NEXT) | instid1(VALU_DEP_1)
	v_fmac_f32_e32 v21, v20, v19
	v_add_f32_e32 v19, v22, v21
	s_delay_alu instid0(VALU_DEP_1) | instskip(SKIP_1) | instid1(VALU_DEP_2)
	v_sub_f32_e32 v24, v18, v19
	v_sub_f32_e32 v22, v19, v22
	;; [unrolled: 1-line block ×3, first 2 shown]
	s_delay_alu instid0(VALU_DEP_1) | instskip(NEXT) | instid1(VALU_DEP_3)
	v_sub_f32_e32 v18, v18, v19
	v_sub_f32_e32 v19, v22, v21
	s_delay_alu instid0(VALU_DEP_2) | instskip(SKIP_1) | instid1(VALU_DEP_2)
	v_add_f32_e32 v15, v15, v18
	v_add_f32_e32 v18, v23, v20
	;; [unrolled: 1-line block ×3, first 2 shown]
	s_delay_alu instid0(VALU_DEP_2) | instskip(NEXT) | instid1(VALU_DEP_2)
	v_sub_f32_e32 v19, v18, v23
	v_add_f32_e32 v15, v24, v15
	s_delay_alu instid0(VALU_DEP_2) | instskip(NEXT) | instid1(VALU_DEP_2)
	v_sub_f32_e32 v19, v20, v19
	v_mul_f32_e32 v15, v17, v15
	s_delay_alu instid0(VALU_DEP_1) | instskip(NEXT) | instid1(VALU_DEP_1)
	v_add_f32_e32 v15, v19, v15
	v_add_f32_e32 v17, v18, v15
	s_delay_alu instid0(VALU_DEP_1) | instskip(SKIP_1) | instid1(VALU_DEP_1)
	v_mul_f32_e32 v19, v17, v17
	s_wait_alu 0xfffe
	v_fmaak_f32 v20, s0, v19, 0x3ecc95a3
	v_mul_f32_e32 v21, v17, v19
	v_cmp_neq_f32_e64 s0, 0x7f800000, v16
	s_delay_alu instid0(VALU_DEP_3) | instskip(SKIP_2) | instid1(VALU_DEP_3)
	v_fmaak_f32 v19, v19, v20, 0x3f2aaada
	v_ldexp_f32 v20, v17, 1
	v_sub_f32_e32 v17, v17, v18
	v_mul_f32_e32 v19, v21, v19
	v_mul_f32_e32 v21, 0x3f317218, v14
	s_delay_alu instid0(VALU_DEP_2) | instskip(NEXT) | instid1(VALU_DEP_1)
	v_dual_sub_f32 v15, v15, v17 :: v_dual_add_f32 v18, v20, v19
	v_ldexp_f32 v15, v15, 1
	s_delay_alu instid0(VALU_DEP_2) | instskip(NEXT) | instid1(VALU_DEP_4)
	v_sub_f32_e32 v17, v18, v20
	v_fma_f32 v20, 0x3f317218, v14, -v21
	s_delay_alu instid0(VALU_DEP_1) | instskip(NEXT) | instid1(VALU_DEP_1)
	v_dual_sub_f32 v17, v19, v17 :: v_dual_fmamk_f32 v14, v14, 0xb102e308, v20
	v_add_f32_e32 v15, v15, v17
	s_delay_alu instid0(VALU_DEP_2) | instskip(NEXT) | instid1(VALU_DEP_2)
	v_add_f32_e32 v17, v21, v14
	v_add_f32_e32 v19, v18, v15
	s_delay_alu instid0(VALU_DEP_2) | instskip(NEXT) | instid1(VALU_DEP_2)
	v_sub_f32_e32 v21, v17, v21
	v_add_f32_e32 v20, v17, v19
	v_sub_f32_e32 v18, v19, v18
	s_delay_alu instid0(VALU_DEP_3) | instskip(NEXT) | instid1(VALU_DEP_2)
	v_sub_f32_e32 v14, v14, v21
	v_dual_sub_f32 v22, v20, v17 :: v_dual_sub_f32 v15, v15, v18
	s_delay_alu instid0(VALU_DEP_1) | instskip(NEXT) | instid1(VALU_DEP_2)
	v_sub_f32_e32 v23, v20, v22
	v_dual_sub_f32 v18, v19, v22 :: v_dual_add_f32 v19, v14, v15
	s_delay_alu instid0(VALU_DEP_2) | instskip(NEXT) | instid1(VALU_DEP_1)
	v_sub_f32_e32 v17, v17, v23
	v_dual_add_f32 v17, v18, v17 :: v_dual_sub_f32 v18, v19, v14
	s_delay_alu instid0(VALU_DEP_1) | instskip(NEXT) | instid1(VALU_DEP_2)
	v_add_f32_e32 v17, v19, v17
	v_sub_f32_e32 v19, v19, v18
	v_sub_f32_e32 v15, v15, v18
	s_delay_alu instid0(VALU_DEP_2) | instskip(NEXT) | instid1(VALU_DEP_1)
	v_dual_add_f32 v21, v20, v17 :: v_dual_sub_f32 v14, v14, v19
	v_sub_f32_e32 v18, v21, v20
	s_delay_alu instid0(VALU_DEP_2) | instskip(NEXT) | instid1(VALU_DEP_2)
	v_add_f32_e32 v14, v15, v14
	v_sub_f32_e32 v15, v17, v18
	s_delay_alu instid0(VALU_DEP_1) | instskip(NEXT) | instid1(VALU_DEP_1)
	v_add_f32_e32 v14, v14, v15
	v_add_f32_e32 v14, v21, v14
	s_wait_alu 0xf1ff
	s_delay_alu instid0(VALU_DEP_1) | instskip(SKIP_2) | instid1(VALU_DEP_1)
	v_cndmask_b32_e64 v14, 0x7f800000, v14, s0
	v_cmp_gt_f32_e64 s0, 0x33800000, |v16|
	s_wait_alu 0xf1ff
	v_cndmask_b32_e64 v14, v14, v16, s0
	s_delay_alu instid0(VALU_DEP_1)
	v_add_f32_e32 v14, v6, v14
.LBB479_124:
	s_wait_alu 0xfffe
	s_or_b32 exec_lo, exec_lo, s1
	s_delay_alu instid0(VALU_DEP_1)
	v_bfe_u32 v6, v14, 16, 1
	v_cmp_o_f32_e64 s0, v14, v14
	v_add_nc_u32_e32 v15, v7, v29
	v_perm_b32 v4, v4, v11, 0x5040100
	v_perm_b32 v3, v3, v10, 0x5040100
	v_add3_u32 v6, v14, v6, 0x7fff
	v_perm_b32 v2, v2, v9, 0x5040100
	v_perm_b32 v1, v8, v1, 0x5040100
	;; [unrolled: 1-line block ×3, first 2 shown]
	s_wait_loadcnt 0x0
	v_lshrrev_b32_e32 v6, 16, v6
	s_barrier_signal -1
	s_barrier_wait -1
	global_inv scope:SCOPE_SE
	v_lshlrev_b32_e32 v0, 1, v0
	s_wait_alu 0xf1ff
	v_cndmask_b32_e64 v6, 0x7fc0, v6, s0
	s_wait_kmcnt 0x0
	s_delay_alu instid0(VALU_DEP_2) | instskip(NEXT) | instid1(VALU_DEP_2)
	v_add_co_u32 v0, s0, s26, v0
	v_perm_b32 v6, v6, v13, 0x5040100
	ds_store_2addr_b64 v15, v[1:2], v[3:4] offset1:1
	ds_store_b64 v15, v[5:6] offset:16
	s_wait_loadcnt_dscnt 0x0
	s_barrier_signal -1
	s_barrier_wait -1
	global_inv scope:SCOPE_SE
	ds_load_u16 v13, v7 offset:512
	ds_load_u16 v12, v7 offset:1024
	;; [unrolled: 1-line block ×11, first 2 shown]
	s_wait_alu 0xf1ff
	v_add_co_ci_u32_e64 v1, null, s27, 0, s0
	s_and_saveexec_b32 s0, vcc_lo
	s_cbranch_execnz .LBB479_137
; %bb.125:
	s_wait_alu 0xfffe
	s_or_b32 exec_lo, exec_lo, s0
	s_and_saveexec_b32 s0, s2
	s_cbranch_execnz .LBB479_138
.LBB479_126:
	s_wait_alu 0xfffe
	s_or_b32 exec_lo, exec_lo, s0
	s_and_saveexec_b32 s0, s3
	s_cbranch_execnz .LBB479_139
.LBB479_127:
	s_wait_alu 0xfffe
	s_or_b32 exec_lo, exec_lo, s0
	s_and_saveexec_b32 s0, s4
	s_cbranch_execnz .LBB479_140
.LBB479_128:
	s_wait_alu 0xfffe
	s_or_b32 exec_lo, exec_lo, s0
	s_and_saveexec_b32 s0, s5
	s_cbranch_execnz .LBB479_141
.LBB479_129:
	s_wait_alu 0xfffe
	s_or_b32 exec_lo, exec_lo, s0
	s_and_saveexec_b32 s0, s6
	s_cbranch_execnz .LBB479_142
.LBB479_130:
	s_wait_alu 0xfffe
	s_or_b32 exec_lo, exec_lo, s0
	s_and_saveexec_b32 s0, s7
	s_cbranch_execnz .LBB479_143
.LBB479_131:
	s_wait_alu 0xfffe
	s_or_b32 exec_lo, exec_lo, s0
	s_and_saveexec_b32 s0, s8
	s_cbranch_execnz .LBB479_144
.LBB479_132:
	s_wait_alu 0xfffe
	s_or_b32 exec_lo, exec_lo, s0
	s_and_saveexec_b32 s0, s9
	s_cbranch_execnz .LBB479_145
.LBB479_133:
	s_wait_alu 0xfffe
	s_or_b32 exec_lo, exec_lo, s0
	s_and_saveexec_b32 s0, s10
	s_cbranch_execnz .LBB479_146
.LBB479_134:
	s_wait_alu 0xfffe
	s_or_b32 exec_lo, exec_lo, s0
	s_and_saveexec_b32 s0, s11
	s_cbranch_execnz .LBB479_147
.LBB479_135:
	s_wait_alu 0xfffe
	s_or_b32 exec_lo, exec_lo, s0
	s_and_saveexec_b32 s0, s12
	s_cbranch_execnz .LBB479_148
.LBB479_136:
	s_endpgm
.LBB479_137:
	ds_load_u16 v7, v7
	s_wait_dscnt 0x0
	global_store_b16 v[0:1], v7, off
	s_wait_alu 0xfffe
	s_or_b32 exec_lo, exec_lo, s0
	s_and_saveexec_b32 s0, s2
	s_cbranch_execz .LBB479_126
.LBB479_138:
	s_wait_dscnt 0xa
	global_store_b16 v[0:1], v13, off offset:512
	s_wait_alu 0xfffe
	s_or_b32 exec_lo, exec_lo, s0
	s_and_saveexec_b32 s0, s3
	s_cbranch_execz .LBB479_127
.LBB479_139:
	s_wait_dscnt 0x9
	global_store_b16 v[0:1], v12, off offset:1024
	s_wait_alu 0xfffe
	s_or_b32 exec_lo, exec_lo, s0
	s_and_saveexec_b32 s0, s4
	s_cbranch_execz .LBB479_128
.LBB479_140:
	s_wait_dscnt 0x8
	global_store_b16 v[0:1], v11, off offset:1536
	s_wait_alu 0xfffe
	s_or_b32 exec_lo, exec_lo, s0
	s_and_saveexec_b32 s0, s5
	s_cbranch_execz .LBB479_129
.LBB479_141:
	s_wait_dscnt 0x7
	global_store_b16 v[0:1], v10, off offset:2048
	s_wait_alu 0xfffe
	s_or_b32 exec_lo, exec_lo, s0
	s_and_saveexec_b32 s0, s6
	s_cbranch_execz .LBB479_130
.LBB479_142:
	s_wait_dscnt 0x6
	global_store_b16 v[0:1], v9, off offset:2560
	s_wait_alu 0xfffe
	s_or_b32 exec_lo, exec_lo, s0
	s_and_saveexec_b32 s0, s7
	s_cbranch_execz .LBB479_131
.LBB479_143:
	s_wait_dscnt 0x5
	global_store_b16 v[0:1], v8, off offset:3072
	s_wait_alu 0xfffe
	s_or_b32 exec_lo, exec_lo, s0
	s_and_saveexec_b32 s0, s8
	s_cbranch_execz .LBB479_132
.LBB479_144:
	s_wait_dscnt 0x4
	global_store_b16 v[0:1], v6, off offset:3584
	s_wait_alu 0xfffe
	s_or_b32 exec_lo, exec_lo, s0
	s_and_saveexec_b32 s0, s9
	s_cbranch_execz .LBB479_133
.LBB479_145:
	s_wait_dscnt 0x3
	global_store_b16 v[0:1], v5, off offset:4096
	s_wait_alu 0xfffe
	s_or_b32 exec_lo, exec_lo, s0
	s_and_saveexec_b32 s0, s10
	s_cbranch_execz .LBB479_134
.LBB479_146:
	s_wait_dscnt 0x2
	global_store_b16 v[0:1], v4, off offset:4608
	s_wait_alu 0xfffe
	s_or_b32 exec_lo, exec_lo, s0
	s_and_saveexec_b32 s0, s11
	s_cbranch_execz .LBB479_135
.LBB479_147:
	s_wait_dscnt 0x1
	global_store_b16 v[0:1], v3, off offset:5120
	s_wait_alu 0xfffe
	s_or_b32 exec_lo, exec_lo, s0
	s_and_saveexec_b32 s0, s12
	s_cbranch_execz .LBB479_136
.LBB479_148:
	s_wait_dscnt 0x0
	global_store_b16 v[0:1], v2, off offset:5632
	s_endpgm
	.section	.rodata,"a",@progbits
	.p2align	6, 0x0
	.amdhsa_kernel _ZN7rocprim17ROCPRIM_400000_NS6detail17trampoline_kernelINS0_14default_configENS1_20scan_config_selectorIN3c108BFloat16EEEZZNS1_9scan_implILNS1_25lookback_scan_determinismE0ELb0ELb0ES3_PKS6_PS6_S6_ZZZN2at6native31launch_logcumsumexp_cuda_kernelERKNSD_10TensorBaseESH_lENKUlvE_clEvENKUlvE4_clEvEUlS6_S6_E_S6_EEDaPvRmT3_T4_T5_mT6_P12ihipStream_tbENKUlT_T0_E_clISt17integral_constantIbLb1EESY_EEDaST_SU_EUlST_E0_NS1_11comp_targetILNS1_3genE10ELNS1_11target_archE1201ELNS1_3gpuE5ELNS1_3repE0EEENS1_30default_config_static_selectorELNS0_4arch9wavefront6targetE0EEEvT1_
		.amdhsa_group_segment_fixed_size 6144
		.amdhsa_private_segment_fixed_size 0
		.amdhsa_kernarg_size 32
		.amdhsa_user_sgpr_count 2
		.amdhsa_user_sgpr_dispatch_ptr 0
		.amdhsa_user_sgpr_queue_ptr 0
		.amdhsa_user_sgpr_kernarg_segment_ptr 1
		.amdhsa_user_sgpr_dispatch_id 0
		.amdhsa_user_sgpr_private_segment_size 0
		.amdhsa_wavefront_size32 1
		.amdhsa_uses_dynamic_stack 0
		.amdhsa_enable_private_segment 0
		.amdhsa_system_sgpr_workgroup_id_x 1
		.amdhsa_system_sgpr_workgroup_id_y 0
		.amdhsa_system_sgpr_workgroup_id_z 0
		.amdhsa_system_sgpr_workgroup_info 0
		.amdhsa_system_vgpr_workitem_id 0
		.amdhsa_next_free_vgpr 49
		.amdhsa_next_free_sgpr 30
		.amdhsa_reserve_vcc 1
		.amdhsa_float_round_mode_32 0
		.amdhsa_float_round_mode_16_64 0
		.amdhsa_float_denorm_mode_32 3
		.amdhsa_float_denorm_mode_16_64 3
		.amdhsa_fp16_overflow 0
		.amdhsa_workgroup_processor_mode 1
		.amdhsa_memory_ordered 1
		.amdhsa_forward_progress 1
		.amdhsa_inst_pref_size 255
		.amdhsa_round_robin_scheduling 0
		.amdhsa_exception_fp_ieee_invalid_op 0
		.amdhsa_exception_fp_denorm_src 0
		.amdhsa_exception_fp_ieee_div_zero 0
		.amdhsa_exception_fp_ieee_overflow 0
		.amdhsa_exception_fp_ieee_underflow 0
		.amdhsa_exception_fp_ieee_inexact 0
		.amdhsa_exception_int_div_zero 0
	.end_amdhsa_kernel
	.section	.text._ZN7rocprim17ROCPRIM_400000_NS6detail17trampoline_kernelINS0_14default_configENS1_20scan_config_selectorIN3c108BFloat16EEEZZNS1_9scan_implILNS1_25lookback_scan_determinismE0ELb0ELb0ES3_PKS6_PS6_S6_ZZZN2at6native31launch_logcumsumexp_cuda_kernelERKNSD_10TensorBaseESH_lENKUlvE_clEvENKUlvE4_clEvEUlS6_S6_E_S6_EEDaPvRmT3_T4_T5_mT6_P12ihipStream_tbENKUlT_T0_E_clISt17integral_constantIbLb1EESY_EEDaST_SU_EUlST_E0_NS1_11comp_targetILNS1_3genE10ELNS1_11target_archE1201ELNS1_3gpuE5ELNS1_3repE0EEENS1_30default_config_static_selectorELNS0_4arch9wavefront6targetE0EEEvT1_,"axG",@progbits,_ZN7rocprim17ROCPRIM_400000_NS6detail17trampoline_kernelINS0_14default_configENS1_20scan_config_selectorIN3c108BFloat16EEEZZNS1_9scan_implILNS1_25lookback_scan_determinismE0ELb0ELb0ES3_PKS6_PS6_S6_ZZZN2at6native31launch_logcumsumexp_cuda_kernelERKNSD_10TensorBaseESH_lENKUlvE_clEvENKUlvE4_clEvEUlS6_S6_E_S6_EEDaPvRmT3_T4_T5_mT6_P12ihipStream_tbENKUlT_T0_E_clISt17integral_constantIbLb1EESY_EEDaST_SU_EUlST_E0_NS1_11comp_targetILNS1_3genE10ELNS1_11target_archE1201ELNS1_3gpuE5ELNS1_3repE0EEENS1_30default_config_static_selectorELNS0_4arch9wavefront6targetE0EEEvT1_,comdat
.Lfunc_end479:
	.size	_ZN7rocprim17ROCPRIM_400000_NS6detail17trampoline_kernelINS0_14default_configENS1_20scan_config_selectorIN3c108BFloat16EEEZZNS1_9scan_implILNS1_25lookback_scan_determinismE0ELb0ELb0ES3_PKS6_PS6_S6_ZZZN2at6native31launch_logcumsumexp_cuda_kernelERKNSD_10TensorBaseESH_lENKUlvE_clEvENKUlvE4_clEvEUlS6_S6_E_S6_EEDaPvRmT3_T4_T5_mT6_P12ihipStream_tbENKUlT_T0_E_clISt17integral_constantIbLb1EESY_EEDaST_SU_EUlST_E0_NS1_11comp_targetILNS1_3genE10ELNS1_11target_archE1201ELNS1_3gpuE5ELNS1_3repE0EEENS1_30default_config_static_selectorELNS0_4arch9wavefront6targetE0EEEvT1_, .Lfunc_end479-_ZN7rocprim17ROCPRIM_400000_NS6detail17trampoline_kernelINS0_14default_configENS1_20scan_config_selectorIN3c108BFloat16EEEZZNS1_9scan_implILNS1_25lookback_scan_determinismE0ELb0ELb0ES3_PKS6_PS6_S6_ZZZN2at6native31launch_logcumsumexp_cuda_kernelERKNSD_10TensorBaseESH_lENKUlvE_clEvENKUlvE4_clEvEUlS6_S6_E_S6_EEDaPvRmT3_T4_T5_mT6_P12ihipStream_tbENKUlT_T0_E_clISt17integral_constantIbLb1EESY_EEDaST_SU_EUlST_E0_NS1_11comp_targetILNS1_3genE10ELNS1_11target_archE1201ELNS1_3gpuE5ELNS1_3repE0EEENS1_30default_config_static_selectorELNS0_4arch9wavefront6targetE0EEEvT1_
                                        ; -- End function
	.set _ZN7rocprim17ROCPRIM_400000_NS6detail17trampoline_kernelINS0_14default_configENS1_20scan_config_selectorIN3c108BFloat16EEEZZNS1_9scan_implILNS1_25lookback_scan_determinismE0ELb0ELb0ES3_PKS6_PS6_S6_ZZZN2at6native31launch_logcumsumexp_cuda_kernelERKNSD_10TensorBaseESH_lENKUlvE_clEvENKUlvE4_clEvEUlS6_S6_E_S6_EEDaPvRmT3_T4_T5_mT6_P12ihipStream_tbENKUlT_T0_E_clISt17integral_constantIbLb1EESY_EEDaST_SU_EUlST_E0_NS1_11comp_targetILNS1_3genE10ELNS1_11target_archE1201ELNS1_3gpuE5ELNS1_3repE0EEENS1_30default_config_static_selectorELNS0_4arch9wavefront6targetE0EEEvT1_.num_vgpr, 49
	.set _ZN7rocprim17ROCPRIM_400000_NS6detail17trampoline_kernelINS0_14default_configENS1_20scan_config_selectorIN3c108BFloat16EEEZZNS1_9scan_implILNS1_25lookback_scan_determinismE0ELb0ELb0ES3_PKS6_PS6_S6_ZZZN2at6native31launch_logcumsumexp_cuda_kernelERKNSD_10TensorBaseESH_lENKUlvE_clEvENKUlvE4_clEvEUlS6_S6_E_S6_EEDaPvRmT3_T4_T5_mT6_P12ihipStream_tbENKUlT_T0_E_clISt17integral_constantIbLb1EESY_EEDaST_SU_EUlST_E0_NS1_11comp_targetILNS1_3genE10ELNS1_11target_archE1201ELNS1_3gpuE5ELNS1_3repE0EEENS1_30default_config_static_selectorELNS0_4arch9wavefront6targetE0EEEvT1_.num_agpr, 0
	.set _ZN7rocprim17ROCPRIM_400000_NS6detail17trampoline_kernelINS0_14default_configENS1_20scan_config_selectorIN3c108BFloat16EEEZZNS1_9scan_implILNS1_25lookback_scan_determinismE0ELb0ELb0ES3_PKS6_PS6_S6_ZZZN2at6native31launch_logcumsumexp_cuda_kernelERKNSD_10TensorBaseESH_lENKUlvE_clEvENKUlvE4_clEvEUlS6_S6_E_S6_EEDaPvRmT3_T4_T5_mT6_P12ihipStream_tbENKUlT_T0_E_clISt17integral_constantIbLb1EESY_EEDaST_SU_EUlST_E0_NS1_11comp_targetILNS1_3genE10ELNS1_11target_archE1201ELNS1_3gpuE5ELNS1_3repE0EEENS1_30default_config_static_selectorELNS0_4arch9wavefront6targetE0EEEvT1_.numbered_sgpr, 30
	.set _ZN7rocprim17ROCPRIM_400000_NS6detail17trampoline_kernelINS0_14default_configENS1_20scan_config_selectorIN3c108BFloat16EEEZZNS1_9scan_implILNS1_25lookback_scan_determinismE0ELb0ELb0ES3_PKS6_PS6_S6_ZZZN2at6native31launch_logcumsumexp_cuda_kernelERKNSD_10TensorBaseESH_lENKUlvE_clEvENKUlvE4_clEvEUlS6_S6_E_S6_EEDaPvRmT3_T4_T5_mT6_P12ihipStream_tbENKUlT_T0_E_clISt17integral_constantIbLb1EESY_EEDaST_SU_EUlST_E0_NS1_11comp_targetILNS1_3genE10ELNS1_11target_archE1201ELNS1_3gpuE5ELNS1_3repE0EEENS1_30default_config_static_selectorELNS0_4arch9wavefront6targetE0EEEvT1_.num_named_barrier, 0
	.set _ZN7rocprim17ROCPRIM_400000_NS6detail17trampoline_kernelINS0_14default_configENS1_20scan_config_selectorIN3c108BFloat16EEEZZNS1_9scan_implILNS1_25lookback_scan_determinismE0ELb0ELb0ES3_PKS6_PS6_S6_ZZZN2at6native31launch_logcumsumexp_cuda_kernelERKNSD_10TensorBaseESH_lENKUlvE_clEvENKUlvE4_clEvEUlS6_S6_E_S6_EEDaPvRmT3_T4_T5_mT6_P12ihipStream_tbENKUlT_T0_E_clISt17integral_constantIbLb1EESY_EEDaST_SU_EUlST_E0_NS1_11comp_targetILNS1_3genE10ELNS1_11target_archE1201ELNS1_3gpuE5ELNS1_3repE0EEENS1_30default_config_static_selectorELNS0_4arch9wavefront6targetE0EEEvT1_.private_seg_size, 0
	.set _ZN7rocprim17ROCPRIM_400000_NS6detail17trampoline_kernelINS0_14default_configENS1_20scan_config_selectorIN3c108BFloat16EEEZZNS1_9scan_implILNS1_25lookback_scan_determinismE0ELb0ELb0ES3_PKS6_PS6_S6_ZZZN2at6native31launch_logcumsumexp_cuda_kernelERKNSD_10TensorBaseESH_lENKUlvE_clEvENKUlvE4_clEvEUlS6_S6_E_S6_EEDaPvRmT3_T4_T5_mT6_P12ihipStream_tbENKUlT_T0_E_clISt17integral_constantIbLb1EESY_EEDaST_SU_EUlST_E0_NS1_11comp_targetILNS1_3genE10ELNS1_11target_archE1201ELNS1_3gpuE5ELNS1_3repE0EEENS1_30default_config_static_selectorELNS0_4arch9wavefront6targetE0EEEvT1_.uses_vcc, 1
	.set _ZN7rocprim17ROCPRIM_400000_NS6detail17trampoline_kernelINS0_14default_configENS1_20scan_config_selectorIN3c108BFloat16EEEZZNS1_9scan_implILNS1_25lookback_scan_determinismE0ELb0ELb0ES3_PKS6_PS6_S6_ZZZN2at6native31launch_logcumsumexp_cuda_kernelERKNSD_10TensorBaseESH_lENKUlvE_clEvENKUlvE4_clEvEUlS6_S6_E_S6_EEDaPvRmT3_T4_T5_mT6_P12ihipStream_tbENKUlT_T0_E_clISt17integral_constantIbLb1EESY_EEDaST_SU_EUlST_E0_NS1_11comp_targetILNS1_3genE10ELNS1_11target_archE1201ELNS1_3gpuE5ELNS1_3repE0EEENS1_30default_config_static_selectorELNS0_4arch9wavefront6targetE0EEEvT1_.uses_flat_scratch, 0
	.set _ZN7rocprim17ROCPRIM_400000_NS6detail17trampoline_kernelINS0_14default_configENS1_20scan_config_selectorIN3c108BFloat16EEEZZNS1_9scan_implILNS1_25lookback_scan_determinismE0ELb0ELb0ES3_PKS6_PS6_S6_ZZZN2at6native31launch_logcumsumexp_cuda_kernelERKNSD_10TensorBaseESH_lENKUlvE_clEvENKUlvE4_clEvEUlS6_S6_E_S6_EEDaPvRmT3_T4_T5_mT6_P12ihipStream_tbENKUlT_T0_E_clISt17integral_constantIbLb1EESY_EEDaST_SU_EUlST_E0_NS1_11comp_targetILNS1_3genE10ELNS1_11target_archE1201ELNS1_3gpuE5ELNS1_3repE0EEENS1_30default_config_static_selectorELNS0_4arch9wavefront6targetE0EEEvT1_.has_dyn_sized_stack, 0
	.set _ZN7rocprim17ROCPRIM_400000_NS6detail17trampoline_kernelINS0_14default_configENS1_20scan_config_selectorIN3c108BFloat16EEEZZNS1_9scan_implILNS1_25lookback_scan_determinismE0ELb0ELb0ES3_PKS6_PS6_S6_ZZZN2at6native31launch_logcumsumexp_cuda_kernelERKNSD_10TensorBaseESH_lENKUlvE_clEvENKUlvE4_clEvEUlS6_S6_E_S6_EEDaPvRmT3_T4_T5_mT6_P12ihipStream_tbENKUlT_T0_E_clISt17integral_constantIbLb1EESY_EEDaST_SU_EUlST_E0_NS1_11comp_targetILNS1_3genE10ELNS1_11target_archE1201ELNS1_3gpuE5ELNS1_3repE0EEENS1_30default_config_static_selectorELNS0_4arch9wavefront6targetE0EEEvT1_.has_recursion, 0
	.set _ZN7rocprim17ROCPRIM_400000_NS6detail17trampoline_kernelINS0_14default_configENS1_20scan_config_selectorIN3c108BFloat16EEEZZNS1_9scan_implILNS1_25lookback_scan_determinismE0ELb0ELb0ES3_PKS6_PS6_S6_ZZZN2at6native31launch_logcumsumexp_cuda_kernelERKNSD_10TensorBaseESH_lENKUlvE_clEvENKUlvE4_clEvEUlS6_S6_E_S6_EEDaPvRmT3_T4_T5_mT6_P12ihipStream_tbENKUlT_T0_E_clISt17integral_constantIbLb1EESY_EEDaST_SU_EUlST_E0_NS1_11comp_targetILNS1_3genE10ELNS1_11target_archE1201ELNS1_3gpuE5ELNS1_3repE0EEENS1_30default_config_static_selectorELNS0_4arch9wavefront6targetE0EEEvT1_.has_indirect_call, 0
	.section	.AMDGPU.csdata,"",@progbits
; Kernel info:
; codeLenInByte = 46580
; TotalNumSgprs: 32
; NumVgprs: 49
; ScratchSize: 0
; MemoryBound: 0
; FloatMode: 240
; IeeeMode: 1
; LDSByteSize: 6144 bytes/workgroup (compile time only)
; SGPRBlocks: 0
; VGPRBlocks: 6
; NumSGPRsForWavesPerEU: 32
; NumVGPRsForWavesPerEU: 49
; Occupancy: 16
; WaveLimiterHint : 0
; COMPUTE_PGM_RSRC2:SCRATCH_EN: 0
; COMPUTE_PGM_RSRC2:USER_SGPR: 2
; COMPUTE_PGM_RSRC2:TRAP_HANDLER: 0
; COMPUTE_PGM_RSRC2:TGID_X_EN: 1
; COMPUTE_PGM_RSRC2:TGID_Y_EN: 0
; COMPUTE_PGM_RSRC2:TGID_Z_EN: 0
; COMPUTE_PGM_RSRC2:TIDIG_COMP_CNT: 0
	.section	.text._ZN7rocprim17ROCPRIM_400000_NS6detail17trampoline_kernelINS0_14default_configENS1_20scan_config_selectorIN3c108BFloat16EEEZZNS1_9scan_implILNS1_25lookback_scan_determinismE0ELb0ELb0ES3_PKS6_PS6_S6_ZZZN2at6native31launch_logcumsumexp_cuda_kernelERKNSD_10TensorBaseESH_lENKUlvE_clEvENKUlvE4_clEvEUlS6_S6_E_S6_EEDaPvRmT3_T4_T5_mT6_P12ihipStream_tbENKUlT_T0_E_clISt17integral_constantIbLb1EESY_EEDaST_SU_EUlST_E0_NS1_11comp_targetILNS1_3genE10ELNS1_11target_archE1200ELNS1_3gpuE4ELNS1_3repE0EEENS1_30default_config_static_selectorELNS0_4arch9wavefront6targetE0EEEvT1_,"axG",@progbits,_ZN7rocprim17ROCPRIM_400000_NS6detail17trampoline_kernelINS0_14default_configENS1_20scan_config_selectorIN3c108BFloat16EEEZZNS1_9scan_implILNS1_25lookback_scan_determinismE0ELb0ELb0ES3_PKS6_PS6_S6_ZZZN2at6native31launch_logcumsumexp_cuda_kernelERKNSD_10TensorBaseESH_lENKUlvE_clEvENKUlvE4_clEvEUlS6_S6_E_S6_EEDaPvRmT3_T4_T5_mT6_P12ihipStream_tbENKUlT_T0_E_clISt17integral_constantIbLb1EESY_EEDaST_SU_EUlST_E0_NS1_11comp_targetILNS1_3genE10ELNS1_11target_archE1200ELNS1_3gpuE4ELNS1_3repE0EEENS1_30default_config_static_selectorELNS0_4arch9wavefront6targetE0EEEvT1_,comdat
	.globl	_ZN7rocprim17ROCPRIM_400000_NS6detail17trampoline_kernelINS0_14default_configENS1_20scan_config_selectorIN3c108BFloat16EEEZZNS1_9scan_implILNS1_25lookback_scan_determinismE0ELb0ELb0ES3_PKS6_PS6_S6_ZZZN2at6native31launch_logcumsumexp_cuda_kernelERKNSD_10TensorBaseESH_lENKUlvE_clEvENKUlvE4_clEvEUlS6_S6_E_S6_EEDaPvRmT3_T4_T5_mT6_P12ihipStream_tbENKUlT_T0_E_clISt17integral_constantIbLb1EESY_EEDaST_SU_EUlST_E0_NS1_11comp_targetILNS1_3genE10ELNS1_11target_archE1200ELNS1_3gpuE4ELNS1_3repE0EEENS1_30default_config_static_selectorELNS0_4arch9wavefront6targetE0EEEvT1_ ; -- Begin function _ZN7rocprim17ROCPRIM_400000_NS6detail17trampoline_kernelINS0_14default_configENS1_20scan_config_selectorIN3c108BFloat16EEEZZNS1_9scan_implILNS1_25lookback_scan_determinismE0ELb0ELb0ES3_PKS6_PS6_S6_ZZZN2at6native31launch_logcumsumexp_cuda_kernelERKNSD_10TensorBaseESH_lENKUlvE_clEvENKUlvE4_clEvEUlS6_S6_E_S6_EEDaPvRmT3_T4_T5_mT6_P12ihipStream_tbENKUlT_T0_E_clISt17integral_constantIbLb1EESY_EEDaST_SU_EUlST_E0_NS1_11comp_targetILNS1_3genE10ELNS1_11target_archE1200ELNS1_3gpuE4ELNS1_3repE0EEENS1_30default_config_static_selectorELNS0_4arch9wavefront6targetE0EEEvT1_
	.p2align	8
	.type	_ZN7rocprim17ROCPRIM_400000_NS6detail17trampoline_kernelINS0_14default_configENS1_20scan_config_selectorIN3c108BFloat16EEEZZNS1_9scan_implILNS1_25lookback_scan_determinismE0ELb0ELb0ES3_PKS6_PS6_S6_ZZZN2at6native31launch_logcumsumexp_cuda_kernelERKNSD_10TensorBaseESH_lENKUlvE_clEvENKUlvE4_clEvEUlS6_S6_E_S6_EEDaPvRmT3_T4_T5_mT6_P12ihipStream_tbENKUlT_T0_E_clISt17integral_constantIbLb1EESY_EEDaST_SU_EUlST_E0_NS1_11comp_targetILNS1_3genE10ELNS1_11target_archE1200ELNS1_3gpuE4ELNS1_3repE0EEENS1_30default_config_static_selectorELNS0_4arch9wavefront6targetE0EEEvT1_,@function
_ZN7rocprim17ROCPRIM_400000_NS6detail17trampoline_kernelINS0_14default_configENS1_20scan_config_selectorIN3c108BFloat16EEEZZNS1_9scan_implILNS1_25lookback_scan_determinismE0ELb0ELb0ES3_PKS6_PS6_S6_ZZZN2at6native31launch_logcumsumexp_cuda_kernelERKNSD_10TensorBaseESH_lENKUlvE_clEvENKUlvE4_clEvEUlS6_S6_E_S6_EEDaPvRmT3_T4_T5_mT6_P12ihipStream_tbENKUlT_T0_E_clISt17integral_constantIbLb1EESY_EEDaST_SU_EUlST_E0_NS1_11comp_targetILNS1_3genE10ELNS1_11target_archE1200ELNS1_3gpuE4ELNS1_3repE0EEENS1_30default_config_static_selectorELNS0_4arch9wavefront6targetE0EEEvT1_: ; @_ZN7rocprim17ROCPRIM_400000_NS6detail17trampoline_kernelINS0_14default_configENS1_20scan_config_selectorIN3c108BFloat16EEEZZNS1_9scan_implILNS1_25lookback_scan_determinismE0ELb0ELb0ES3_PKS6_PS6_S6_ZZZN2at6native31launch_logcumsumexp_cuda_kernelERKNSD_10TensorBaseESH_lENKUlvE_clEvENKUlvE4_clEvEUlS6_S6_E_S6_EEDaPvRmT3_T4_T5_mT6_P12ihipStream_tbENKUlT_T0_E_clISt17integral_constantIbLb1EESY_EEDaST_SU_EUlST_E0_NS1_11comp_targetILNS1_3genE10ELNS1_11target_archE1200ELNS1_3gpuE4ELNS1_3repE0EEENS1_30default_config_static_selectorELNS0_4arch9wavefront6targetE0EEEvT1_
; %bb.0:
	.section	.rodata,"a",@progbits
	.p2align	6, 0x0
	.amdhsa_kernel _ZN7rocprim17ROCPRIM_400000_NS6detail17trampoline_kernelINS0_14default_configENS1_20scan_config_selectorIN3c108BFloat16EEEZZNS1_9scan_implILNS1_25lookback_scan_determinismE0ELb0ELb0ES3_PKS6_PS6_S6_ZZZN2at6native31launch_logcumsumexp_cuda_kernelERKNSD_10TensorBaseESH_lENKUlvE_clEvENKUlvE4_clEvEUlS6_S6_E_S6_EEDaPvRmT3_T4_T5_mT6_P12ihipStream_tbENKUlT_T0_E_clISt17integral_constantIbLb1EESY_EEDaST_SU_EUlST_E0_NS1_11comp_targetILNS1_3genE10ELNS1_11target_archE1200ELNS1_3gpuE4ELNS1_3repE0EEENS1_30default_config_static_selectorELNS0_4arch9wavefront6targetE0EEEvT1_
		.amdhsa_group_segment_fixed_size 0
		.amdhsa_private_segment_fixed_size 0
		.amdhsa_kernarg_size 32
		.amdhsa_user_sgpr_count 2
		.amdhsa_user_sgpr_dispatch_ptr 0
		.amdhsa_user_sgpr_queue_ptr 0
		.amdhsa_user_sgpr_kernarg_segment_ptr 1
		.amdhsa_user_sgpr_dispatch_id 0
		.amdhsa_user_sgpr_private_segment_size 0
		.amdhsa_wavefront_size32 1
		.amdhsa_uses_dynamic_stack 0
		.amdhsa_enable_private_segment 0
		.amdhsa_system_sgpr_workgroup_id_x 1
		.amdhsa_system_sgpr_workgroup_id_y 0
		.amdhsa_system_sgpr_workgroup_id_z 0
		.amdhsa_system_sgpr_workgroup_info 0
		.amdhsa_system_vgpr_workitem_id 0
		.amdhsa_next_free_vgpr 1
		.amdhsa_next_free_sgpr 1
		.amdhsa_reserve_vcc 0
		.amdhsa_float_round_mode_32 0
		.amdhsa_float_round_mode_16_64 0
		.amdhsa_float_denorm_mode_32 3
		.amdhsa_float_denorm_mode_16_64 3
		.amdhsa_fp16_overflow 0
		.amdhsa_workgroup_processor_mode 1
		.amdhsa_memory_ordered 1
		.amdhsa_forward_progress 1
		.amdhsa_inst_pref_size 0
		.amdhsa_round_robin_scheduling 0
		.amdhsa_exception_fp_ieee_invalid_op 0
		.amdhsa_exception_fp_denorm_src 0
		.amdhsa_exception_fp_ieee_div_zero 0
		.amdhsa_exception_fp_ieee_overflow 0
		.amdhsa_exception_fp_ieee_underflow 0
		.amdhsa_exception_fp_ieee_inexact 0
		.amdhsa_exception_int_div_zero 0
	.end_amdhsa_kernel
	.section	.text._ZN7rocprim17ROCPRIM_400000_NS6detail17trampoline_kernelINS0_14default_configENS1_20scan_config_selectorIN3c108BFloat16EEEZZNS1_9scan_implILNS1_25lookback_scan_determinismE0ELb0ELb0ES3_PKS6_PS6_S6_ZZZN2at6native31launch_logcumsumexp_cuda_kernelERKNSD_10TensorBaseESH_lENKUlvE_clEvENKUlvE4_clEvEUlS6_S6_E_S6_EEDaPvRmT3_T4_T5_mT6_P12ihipStream_tbENKUlT_T0_E_clISt17integral_constantIbLb1EESY_EEDaST_SU_EUlST_E0_NS1_11comp_targetILNS1_3genE10ELNS1_11target_archE1200ELNS1_3gpuE4ELNS1_3repE0EEENS1_30default_config_static_selectorELNS0_4arch9wavefront6targetE0EEEvT1_,"axG",@progbits,_ZN7rocprim17ROCPRIM_400000_NS6detail17trampoline_kernelINS0_14default_configENS1_20scan_config_selectorIN3c108BFloat16EEEZZNS1_9scan_implILNS1_25lookback_scan_determinismE0ELb0ELb0ES3_PKS6_PS6_S6_ZZZN2at6native31launch_logcumsumexp_cuda_kernelERKNSD_10TensorBaseESH_lENKUlvE_clEvENKUlvE4_clEvEUlS6_S6_E_S6_EEDaPvRmT3_T4_T5_mT6_P12ihipStream_tbENKUlT_T0_E_clISt17integral_constantIbLb1EESY_EEDaST_SU_EUlST_E0_NS1_11comp_targetILNS1_3genE10ELNS1_11target_archE1200ELNS1_3gpuE4ELNS1_3repE0EEENS1_30default_config_static_selectorELNS0_4arch9wavefront6targetE0EEEvT1_,comdat
.Lfunc_end480:
	.size	_ZN7rocprim17ROCPRIM_400000_NS6detail17trampoline_kernelINS0_14default_configENS1_20scan_config_selectorIN3c108BFloat16EEEZZNS1_9scan_implILNS1_25lookback_scan_determinismE0ELb0ELb0ES3_PKS6_PS6_S6_ZZZN2at6native31launch_logcumsumexp_cuda_kernelERKNSD_10TensorBaseESH_lENKUlvE_clEvENKUlvE4_clEvEUlS6_S6_E_S6_EEDaPvRmT3_T4_T5_mT6_P12ihipStream_tbENKUlT_T0_E_clISt17integral_constantIbLb1EESY_EEDaST_SU_EUlST_E0_NS1_11comp_targetILNS1_3genE10ELNS1_11target_archE1200ELNS1_3gpuE4ELNS1_3repE0EEENS1_30default_config_static_selectorELNS0_4arch9wavefront6targetE0EEEvT1_, .Lfunc_end480-_ZN7rocprim17ROCPRIM_400000_NS6detail17trampoline_kernelINS0_14default_configENS1_20scan_config_selectorIN3c108BFloat16EEEZZNS1_9scan_implILNS1_25lookback_scan_determinismE0ELb0ELb0ES3_PKS6_PS6_S6_ZZZN2at6native31launch_logcumsumexp_cuda_kernelERKNSD_10TensorBaseESH_lENKUlvE_clEvENKUlvE4_clEvEUlS6_S6_E_S6_EEDaPvRmT3_T4_T5_mT6_P12ihipStream_tbENKUlT_T0_E_clISt17integral_constantIbLb1EESY_EEDaST_SU_EUlST_E0_NS1_11comp_targetILNS1_3genE10ELNS1_11target_archE1200ELNS1_3gpuE4ELNS1_3repE0EEENS1_30default_config_static_selectorELNS0_4arch9wavefront6targetE0EEEvT1_
                                        ; -- End function
	.set _ZN7rocprim17ROCPRIM_400000_NS6detail17trampoline_kernelINS0_14default_configENS1_20scan_config_selectorIN3c108BFloat16EEEZZNS1_9scan_implILNS1_25lookback_scan_determinismE0ELb0ELb0ES3_PKS6_PS6_S6_ZZZN2at6native31launch_logcumsumexp_cuda_kernelERKNSD_10TensorBaseESH_lENKUlvE_clEvENKUlvE4_clEvEUlS6_S6_E_S6_EEDaPvRmT3_T4_T5_mT6_P12ihipStream_tbENKUlT_T0_E_clISt17integral_constantIbLb1EESY_EEDaST_SU_EUlST_E0_NS1_11comp_targetILNS1_3genE10ELNS1_11target_archE1200ELNS1_3gpuE4ELNS1_3repE0EEENS1_30default_config_static_selectorELNS0_4arch9wavefront6targetE0EEEvT1_.num_vgpr, 0
	.set _ZN7rocprim17ROCPRIM_400000_NS6detail17trampoline_kernelINS0_14default_configENS1_20scan_config_selectorIN3c108BFloat16EEEZZNS1_9scan_implILNS1_25lookback_scan_determinismE0ELb0ELb0ES3_PKS6_PS6_S6_ZZZN2at6native31launch_logcumsumexp_cuda_kernelERKNSD_10TensorBaseESH_lENKUlvE_clEvENKUlvE4_clEvEUlS6_S6_E_S6_EEDaPvRmT3_T4_T5_mT6_P12ihipStream_tbENKUlT_T0_E_clISt17integral_constantIbLb1EESY_EEDaST_SU_EUlST_E0_NS1_11comp_targetILNS1_3genE10ELNS1_11target_archE1200ELNS1_3gpuE4ELNS1_3repE0EEENS1_30default_config_static_selectorELNS0_4arch9wavefront6targetE0EEEvT1_.num_agpr, 0
	.set _ZN7rocprim17ROCPRIM_400000_NS6detail17trampoline_kernelINS0_14default_configENS1_20scan_config_selectorIN3c108BFloat16EEEZZNS1_9scan_implILNS1_25lookback_scan_determinismE0ELb0ELb0ES3_PKS6_PS6_S6_ZZZN2at6native31launch_logcumsumexp_cuda_kernelERKNSD_10TensorBaseESH_lENKUlvE_clEvENKUlvE4_clEvEUlS6_S6_E_S6_EEDaPvRmT3_T4_T5_mT6_P12ihipStream_tbENKUlT_T0_E_clISt17integral_constantIbLb1EESY_EEDaST_SU_EUlST_E0_NS1_11comp_targetILNS1_3genE10ELNS1_11target_archE1200ELNS1_3gpuE4ELNS1_3repE0EEENS1_30default_config_static_selectorELNS0_4arch9wavefront6targetE0EEEvT1_.numbered_sgpr, 0
	.set _ZN7rocprim17ROCPRIM_400000_NS6detail17trampoline_kernelINS0_14default_configENS1_20scan_config_selectorIN3c108BFloat16EEEZZNS1_9scan_implILNS1_25lookback_scan_determinismE0ELb0ELb0ES3_PKS6_PS6_S6_ZZZN2at6native31launch_logcumsumexp_cuda_kernelERKNSD_10TensorBaseESH_lENKUlvE_clEvENKUlvE4_clEvEUlS6_S6_E_S6_EEDaPvRmT3_T4_T5_mT6_P12ihipStream_tbENKUlT_T0_E_clISt17integral_constantIbLb1EESY_EEDaST_SU_EUlST_E0_NS1_11comp_targetILNS1_3genE10ELNS1_11target_archE1200ELNS1_3gpuE4ELNS1_3repE0EEENS1_30default_config_static_selectorELNS0_4arch9wavefront6targetE0EEEvT1_.num_named_barrier, 0
	.set _ZN7rocprim17ROCPRIM_400000_NS6detail17trampoline_kernelINS0_14default_configENS1_20scan_config_selectorIN3c108BFloat16EEEZZNS1_9scan_implILNS1_25lookback_scan_determinismE0ELb0ELb0ES3_PKS6_PS6_S6_ZZZN2at6native31launch_logcumsumexp_cuda_kernelERKNSD_10TensorBaseESH_lENKUlvE_clEvENKUlvE4_clEvEUlS6_S6_E_S6_EEDaPvRmT3_T4_T5_mT6_P12ihipStream_tbENKUlT_T0_E_clISt17integral_constantIbLb1EESY_EEDaST_SU_EUlST_E0_NS1_11comp_targetILNS1_3genE10ELNS1_11target_archE1200ELNS1_3gpuE4ELNS1_3repE0EEENS1_30default_config_static_selectorELNS0_4arch9wavefront6targetE0EEEvT1_.private_seg_size, 0
	.set _ZN7rocprim17ROCPRIM_400000_NS6detail17trampoline_kernelINS0_14default_configENS1_20scan_config_selectorIN3c108BFloat16EEEZZNS1_9scan_implILNS1_25lookback_scan_determinismE0ELb0ELb0ES3_PKS6_PS6_S6_ZZZN2at6native31launch_logcumsumexp_cuda_kernelERKNSD_10TensorBaseESH_lENKUlvE_clEvENKUlvE4_clEvEUlS6_S6_E_S6_EEDaPvRmT3_T4_T5_mT6_P12ihipStream_tbENKUlT_T0_E_clISt17integral_constantIbLb1EESY_EEDaST_SU_EUlST_E0_NS1_11comp_targetILNS1_3genE10ELNS1_11target_archE1200ELNS1_3gpuE4ELNS1_3repE0EEENS1_30default_config_static_selectorELNS0_4arch9wavefront6targetE0EEEvT1_.uses_vcc, 0
	.set _ZN7rocprim17ROCPRIM_400000_NS6detail17trampoline_kernelINS0_14default_configENS1_20scan_config_selectorIN3c108BFloat16EEEZZNS1_9scan_implILNS1_25lookback_scan_determinismE0ELb0ELb0ES3_PKS6_PS6_S6_ZZZN2at6native31launch_logcumsumexp_cuda_kernelERKNSD_10TensorBaseESH_lENKUlvE_clEvENKUlvE4_clEvEUlS6_S6_E_S6_EEDaPvRmT3_T4_T5_mT6_P12ihipStream_tbENKUlT_T0_E_clISt17integral_constantIbLb1EESY_EEDaST_SU_EUlST_E0_NS1_11comp_targetILNS1_3genE10ELNS1_11target_archE1200ELNS1_3gpuE4ELNS1_3repE0EEENS1_30default_config_static_selectorELNS0_4arch9wavefront6targetE0EEEvT1_.uses_flat_scratch, 0
	.set _ZN7rocprim17ROCPRIM_400000_NS6detail17trampoline_kernelINS0_14default_configENS1_20scan_config_selectorIN3c108BFloat16EEEZZNS1_9scan_implILNS1_25lookback_scan_determinismE0ELb0ELb0ES3_PKS6_PS6_S6_ZZZN2at6native31launch_logcumsumexp_cuda_kernelERKNSD_10TensorBaseESH_lENKUlvE_clEvENKUlvE4_clEvEUlS6_S6_E_S6_EEDaPvRmT3_T4_T5_mT6_P12ihipStream_tbENKUlT_T0_E_clISt17integral_constantIbLb1EESY_EEDaST_SU_EUlST_E0_NS1_11comp_targetILNS1_3genE10ELNS1_11target_archE1200ELNS1_3gpuE4ELNS1_3repE0EEENS1_30default_config_static_selectorELNS0_4arch9wavefront6targetE0EEEvT1_.has_dyn_sized_stack, 0
	.set _ZN7rocprim17ROCPRIM_400000_NS6detail17trampoline_kernelINS0_14default_configENS1_20scan_config_selectorIN3c108BFloat16EEEZZNS1_9scan_implILNS1_25lookback_scan_determinismE0ELb0ELb0ES3_PKS6_PS6_S6_ZZZN2at6native31launch_logcumsumexp_cuda_kernelERKNSD_10TensorBaseESH_lENKUlvE_clEvENKUlvE4_clEvEUlS6_S6_E_S6_EEDaPvRmT3_T4_T5_mT6_P12ihipStream_tbENKUlT_T0_E_clISt17integral_constantIbLb1EESY_EEDaST_SU_EUlST_E0_NS1_11comp_targetILNS1_3genE10ELNS1_11target_archE1200ELNS1_3gpuE4ELNS1_3repE0EEENS1_30default_config_static_selectorELNS0_4arch9wavefront6targetE0EEEvT1_.has_recursion, 0
	.set _ZN7rocprim17ROCPRIM_400000_NS6detail17trampoline_kernelINS0_14default_configENS1_20scan_config_selectorIN3c108BFloat16EEEZZNS1_9scan_implILNS1_25lookback_scan_determinismE0ELb0ELb0ES3_PKS6_PS6_S6_ZZZN2at6native31launch_logcumsumexp_cuda_kernelERKNSD_10TensorBaseESH_lENKUlvE_clEvENKUlvE4_clEvEUlS6_S6_E_S6_EEDaPvRmT3_T4_T5_mT6_P12ihipStream_tbENKUlT_T0_E_clISt17integral_constantIbLb1EESY_EEDaST_SU_EUlST_E0_NS1_11comp_targetILNS1_3genE10ELNS1_11target_archE1200ELNS1_3gpuE4ELNS1_3repE0EEENS1_30default_config_static_selectorELNS0_4arch9wavefront6targetE0EEEvT1_.has_indirect_call, 0
	.section	.AMDGPU.csdata,"",@progbits
; Kernel info:
; codeLenInByte = 0
; TotalNumSgprs: 0
; NumVgprs: 0
; ScratchSize: 0
; MemoryBound: 0
; FloatMode: 240
; IeeeMode: 1
; LDSByteSize: 0 bytes/workgroup (compile time only)
; SGPRBlocks: 0
; VGPRBlocks: 0
; NumSGPRsForWavesPerEU: 1
; NumVGPRsForWavesPerEU: 1
; Occupancy: 16
; WaveLimiterHint : 0
; COMPUTE_PGM_RSRC2:SCRATCH_EN: 0
; COMPUTE_PGM_RSRC2:USER_SGPR: 2
; COMPUTE_PGM_RSRC2:TRAP_HANDLER: 0
; COMPUTE_PGM_RSRC2:TGID_X_EN: 1
; COMPUTE_PGM_RSRC2:TGID_Y_EN: 0
; COMPUTE_PGM_RSRC2:TGID_Z_EN: 0
; COMPUTE_PGM_RSRC2:TIDIG_COMP_CNT: 0
	.section	.text._ZN7rocprim17ROCPRIM_400000_NS6detail17trampoline_kernelINS0_14default_configENS1_20scan_config_selectorIN3c108BFloat16EEEZZNS1_9scan_implILNS1_25lookback_scan_determinismE0ELb0ELb0ES3_PKS6_PS6_S6_ZZZN2at6native31launch_logcumsumexp_cuda_kernelERKNSD_10TensorBaseESH_lENKUlvE_clEvENKUlvE4_clEvEUlS6_S6_E_S6_EEDaPvRmT3_T4_T5_mT6_P12ihipStream_tbENKUlT_T0_E_clISt17integral_constantIbLb1EESY_EEDaST_SU_EUlST_E0_NS1_11comp_targetILNS1_3genE9ELNS1_11target_archE1100ELNS1_3gpuE3ELNS1_3repE0EEENS1_30default_config_static_selectorELNS0_4arch9wavefront6targetE0EEEvT1_,"axG",@progbits,_ZN7rocprim17ROCPRIM_400000_NS6detail17trampoline_kernelINS0_14default_configENS1_20scan_config_selectorIN3c108BFloat16EEEZZNS1_9scan_implILNS1_25lookback_scan_determinismE0ELb0ELb0ES3_PKS6_PS6_S6_ZZZN2at6native31launch_logcumsumexp_cuda_kernelERKNSD_10TensorBaseESH_lENKUlvE_clEvENKUlvE4_clEvEUlS6_S6_E_S6_EEDaPvRmT3_T4_T5_mT6_P12ihipStream_tbENKUlT_T0_E_clISt17integral_constantIbLb1EESY_EEDaST_SU_EUlST_E0_NS1_11comp_targetILNS1_3genE9ELNS1_11target_archE1100ELNS1_3gpuE3ELNS1_3repE0EEENS1_30default_config_static_selectorELNS0_4arch9wavefront6targetE0EEEvT1_,comdat
	.globl	_ZN7rocprim17ROCPRIM_400000_NS6detail17trampoline_kernelINS0_14default_configENS1_20scan_config_selectorIN3c108BFloat16EEEZZNS1_9scan_implILNS1_25lookback_scan_determinismE0ELb0ELb0ES3_PKS6_PS6_S6_ZZZN2at6native31launch_logcumsumexp_cuda_kernelERKNSD_10TensorBaseESH_lENKUlvE_clEvENKUlvE4_clEvEUlS6_S6_E_S6_EEDaPvRmT3_T4_T5_mT6_P12ihipStream_tbENKUlT_T0_E_clISt17integral_constantIbLb1EESY_EEDaST_SU_EUlST_E0_NS1_11comp_targetILNS1_3genE9ELNS1_11target_archE1100ELNS1_3gpuE3ELNS1_3repE0EEENS1_30default_config_static_selectorELNS0_4arch9wavefront6targetE0EEEvT1_ ; -- Begin function _ZN7rocprim17ROCPRIM_400000_NS6detail17trampoline_kernelINS0_14default_configENS1_20scan_config_selectorIN3c108BFloat16EEEZZNS1_9scan_implILNS1_25lookback_scan_determinismE0ELb0ELb0ES3_PKS6_PS6_S6_ZZZN2at6native31launch_logcumsumexp_cuda_kernelERKNSD_10TensorBaseESH_lENKUlvE_clEvENKUlvE4_clEvEUlS6_S6_E_S6_EEDaPvRmT3_T4_T5_mT6_P12ihipStream_tbENKUlT_T0_E_clISt17integral_constantIbLb1EESY_EEDaST_SU_EUlST_E0_NS1_11comp_targetILNS1_3genE9ELNS1_11target_archE1100ELNS1_3gpuE3ELNS1_3repE0EEENS1_30default_config_static_selectorELNS0_4arch9wavefront6targetE0EEEvT1_
	.p2align	8
	.type	_ZN7rocprim17ROCPRIM_400000_NS6detail17trampoline_kernelINS0_14default_configENS1_20scan_config_selectorIN3c108BFloat16EEEZZNS1_9scan_implILNS1_25lookback_scan_determinismE0ELb0ELb0ES3_PKS6_PS6_S6_ZZZN2at6native31launch_logcumsumexp_cuda_kernelERKNSD_10TensorBaseESH_lENKUlvE_clEvENKUlvE4_clEvEUlS6_S6_E_S6_EEDaPvRmT3_T4_T5_mT6_P12ihipStream_tbENKUlT_T0_E_clISt17integral_constantIbLb1EESY_EEDaST_SU_EUlST_E0_NS1_11comp_targetILNS1_3genE9ELNS1_11target_archE1100ELNS1_3gpuE3ELNS1_3repE0EEENS1_30default_config_static_selectorELNS0_4arch9wavefront6targetE0EEEvT1_,@function
_ZN7rocprim17ROCPRIM_400000_NS6detail17trampoline_kernelINS0_14default_configENS1_20scan_config_selectorIN3c108BFloat16EEEZZNS1_9scan_implILNS1_25lookback_scan_determinismE0ELb0ELb0ES3_PKS6_PS6_S6_ZZZN2at6native31launch_logcumsumexp_cuda_kernelERKNSD_10TensorBaseESH_lENKUlvE_clEvENKUlvE4_clEvEUlS6_S6_E_S6_EEDaPvRmT3_T4_T5_mT6_P12ihipStream_tbENKUlT_T0_E_clISt17integral_constantIbLb1EESY_EEDaST_SU_EUlST_E0_NS1_11comp_targetILNS1_3genE9ELNS1_11target_archE1100ELNS1_3gpuE3ELNS1_3repE0EEENS1_30default_config_static_selectorELNS0_4arch9wavefront6targetE0EEEvT1_: ; @_ZN7rocprim17ROCPRIM_400000_NS6detail17trampoline_kernelINS0_14default_configENS1_20scan_config_selectorIN3c108BFloat16EEEZZNS1_9scan_implILNS1_25lookback_scan_determinismE0ELb0ELb0ES3_PKS6_PS6_S6_ZZZN2at6native31launch_logcumsumexp_cuda_kernelERKNSD_10TensorBaseESH_lENKUlvE_clEvENKUlvE4_clEvEUlS6_S6_E_S6_EEDaPvRmT3_T4_T5_mT6_P12ihipStream_tbENKUlT_T0_E_clISt17integral_constantIbLb1EESY_EEDaST_SU_EUlST_E0_NS1_11comp_targetILNS1_3genE9ELNS1_11target_archE1100ELNS1_3gpuE3ELNS1_3repE0EEENS1_30default_config_static_selectorELNS0_4arch9wavefront6targetE0EEEvT1_
; %bb.0:
	.section	.rodata,"a",@progbits
	.p2align	6, 0x0
	.amdhsa_kernel _ZN7rocprim17ROCPRIM_400000_NS6detail17trampoline_kernelINS0_14default_configENS1_20scan_config_selectorIN3c108BFloat16EEEZZNS1_9scan_implILNS1_25lookback_scan_determinismE0ELb0ELb0ES3_PKS6_PS6_S6_ZZZN2at6native31launch_logcumsumexp_cuda_kernelERKNSD_10TensorBaseESH_lENKUlvE_clEvENKUlvE4_clEvEUlS6_S6_E_S6_EEDaPvRmT3_T4_T5_mT6_P12ihipStream_tbENKUlT_T0_E_clISt17integral_constantIbLb1EESY_EEDaST_SU_EUlST_E0_NS1_11comp_targetILNS1_3genE9ELNS1_11target_archE1100ELNS1_3gpuE3ELNS1_3repE0EEENS1_30default_config_static_selectorELNS0_4arch9wavefront6targetE0EEEvT1_
		.amdhsa_group_segment_fixed_size 0
		.amdhsa_private_segment_fixed_size 0
		.amdhsa_kernarg_size 32
		.amdhsa_user_sgpr_count 2
		.amdhsa_user_sgpr_dispatch_ptr 0
		.amdhsa_user_sgpr_queue_ptr 0
		.amdhsa_user_sgpr_kernarg_segment_ptr 1
		.amdhsa_user_sgpr_dispatch_id 0
		.amdhsa_user_sgpr_private_segment_size 0
		.amdhsa_wavefront_size32 1
		.amdhsa_uses_dynamic_stack 0
		.amdhsa_enable_private_segment 0
		.amdhsa_system_sgpr_workgroup_id_x 1
		.amdhsa_system_sgpr_workgroup_id_y 0
		.amdhsa_system_sgpr_workgroup_id_z 0
		.amdhsa_system_sgpr_workgroup_info 0
		.amdhsa_system_vgpr_workitem_id 0
		.amdhsa_next_free_vgpr 1
		.amdhsa_next_free_sgpr 1
		.amdhsa_reserve_vcc 0
		.amdhsa_float_round_mode_32 0
		.amdhsa_float_round_mode_16_64 0
		.amdhsa_float_denorm_mode_32 3
		.amdhsa_float_denorm_mode_16_64 3
		.amdhsa_fp16_overflow 0
		.amdhsa_workgroup_processor_mode 1
		.amdhsa_memory_ordered 1
		.amdhsa_forward_progress 1
		.amdhsa_inst_pref_size 0
		.amdhsa_round_robin_scheduling 0
		.amdhsa_exception_fp_ieee_invalid_op 0
		.amdhsa_exception_fp_denorm_src 0
		.amdhsa_exception_fp_ieee_div_zero 0
		.amdhsa_exception_fp_ieee_overflow 0
		.amdhsa_exception_fp_ieee_underflow 0
		.amdhsa_exception_fp_ieee_inexact 0
		.amdhsa_exception_int_div_zero 0
	.end_amdhsa_kernel
	.section	.text._ZN7rocprim17ROCPRIM_400000_NS6detail17trampoline_kernelINS0_14default_configENS1_20scan_config_selectorIN3c108BFloat16EEEZZNS1_9scan_implILNS1_25lookback_scan_determinismE0ELb0ELb0ES3_PKS6_PS6_S6_ZZZN2at6native31launch_logcumsumexp_cuda_kernelERKNSD_10TensorBaseESH_lENKUlvE_clEvENKUlvE4_clEvEUlS6_S6_E_S6_EEDaPvRmT3_T4_T5_mT6_P12ihipStream_tbENKUlT_T0_E_clISt17integral_constantIbLb1EESY_EEDaST_SU_EUlST_E0_NS1_11comp_targetILNS1_3genE9ELNS1_11target_archE1100ELNS1_3gpuE3ELNS1_3repE0EEENS1_30default_config_static_selectorELNS0_4arch9wavefront6targetE0EEEvT1_,"axG",@progbits,_ZN7rocprim17ROCPRIM_400000_NS6detail17trampoline_kernelINS0_14default_configENS1_20scan_config_selectorIN3c108BFloat16EEEZZNS1_9scan_implILNS1_25lookback_scan_determinismE0ELb0ELb0ES3_PKS6_PS6_S6_ZZZN2at6native31launch_logcumsumexp_cuda_kernelERKNSD_10TensorBaseESH_lENKUlvE_clEvENKUlvE4_clEvEUlS6_S6_E_S6_EEDaPvRmT3_T4_T5_mT6_P12ihipStream_tbENKUlT_T0_E_clISt17integral_constantIbLb1EESY_EEDaST_SU_EUlST_E0_NS1_11comp_targetILNS1_3genE9ELNS1_11target_archE1100ELNS1_3gpuE3ELNS1_3repE0EEENS1_30default_config_static_selectorELNS0_4arch9wavefront6targetE0EEEvT1_,comdat
.Lfunc_end481:
	.size	_ZN7rocprim17ROCPRIM_400000_NS6detail17trampoline_kernelINS0_14default_configENS1_20scan_config_selectorIN3c108BFloat16EEEZZNS1_9scan_implILNS1_25lookback_scan_determinismE0ELb0ELb0ES3_PKS6_PS6_S6_ZZZN2at6native31launch_logcumsumexp_cuda_kernelERKNSD_10TensorBaseESH_lENKUlvE_clEvENKUlvE4_clEvEUlS6_S6_E_S6_EEDaPvRmT3_T4_T5_mT6_P12ihipStream_tbENKUlT_T0_E_clISt17integral_constantIbLb1EESY_EEDaST_SU_EUlST_E0_NS1_11comp_targetILNS1_3genE9ELNS1_11target_archE1100ELNS1_3gpuE3ELNS1_3repE0EEENS1_30default_config_static_selectorELNS0_4arch9wavefront6targetE0EEEvT1_, .Lfunc_end481-_ZN7rocprim17ROCPRIM_400000_NS6detail17trampoline_kernelINS0_14default_configENS1_20scan_config_selectorIN3c108BFloat16EEEZZNS1_9scan_implILNS1_25lookback_scan_determinismE0ELb0ELb0ES3_PKS6_PS6_S6_ZZZN2at6native31launch_logcumsumexp_cuda_kernelERKNSD_10TensorBaseESH_lENKUlvE_clEvENKUlvE4_clEvEUlS6_S6_E_S6_EEDaPvRmT3_T4_T5_mT6_P12ihipStream_tbENKUlT_T0_E_clISt17integral_constantIbLb1EESY_EEDaST_SU_EUlST_E0_NS1_11comp_targetILNS1_3genE9ELNS1_11target_archE1100ELNS1_3gpuE3ELNS1_3repE0EEENS1_30default_config_static_selectorELNS0_4arch9wavefront6targetE0EEEvT1_
                                        ; -- End function
	.set _ZN7rocprim17ROCPRIM_400000_NS6detail17trampoline_kernelINS0_14default_configENS1_20scan_config_selectorIN3c108BFloat16EEEZZNS1_9scan_implILNS1_25lookback_scan_determinismE0ELb0ELb0ES3_PKS6_PS6_S6_ZZZN2at6native31launch_logcumsumexp_cuda_kernelERKNSD_10TensorBaseESH_lENKUlvE_clEvENKUlvE4_clEvEUlS6_S6_E_S6_EEDaPvRmT3_T4_T5_mT6_P12ihipStream_tbENKUlT_T0_E_clISt17integral_constantIbLb1EESY_EEDaST_SU_EUlST_E0_NS1_11comp_targetILNS1_3genE9ELNS1_11target_archE1100ELNS1_3gpuE3ELNS1_3repE0EEENS1_30default_config_static_selectorELNS0_4arch9wavefront6targetE0EEEvT1_.num_vgpr, 0
	.set _ZN7rocprim17ROCPRIM_400000_NS6detail17trampoline_kernelINS0_14default_configENS1_20scan_config_selectorIN3c108BFloat16EEEZZNS1_9scan_implILNS1_25lookback_scan_determinismE0ELb0ELb0ES3_PKS6_PS6_S6_ZZZN2at6native31launch_logcumsumexp_cuda_kernelERKNSD_10TensorBaseESH_lENKUlvE_clEvENKUlvE4_clEvEUlS6_S6_E_S6_EEDaPvRmT3_T4_T5_mT6_P12ihipStream_tbENKUlT_T0_E_clISt17integral_constantIbLb1EESY_EEDaST_SU_EUlST_E0_NS1_11comp_targetILNS1_3genE9ELNS1_11target_archE1100ELNS1_3gpuE3ELNS1_3repE0EEENS1_30default_config_static_selectorELNS0_4arch9wavefront6targetE0EEEvT1_.num_agpr, 0
	.set _ZN7rocprim17ROCPRIM_400000_NS6detail17trampoline_kernelINS0_14default_configENS1_20scan_config_selectorIN3c108BFloat16EEEZZNS1_9scan_implILNS1_25lookback_scan_determinismE0ELb0ELb0ES3_PKS6_PS6_S6_ZZZN2at6native31launch_logcumsumexp_cuda_kernelERKNSD_10TensorBaseESH_lENKUlvE_clEvENKUlvE4_clEvEUlS6_S6_E_S6_EEDaPvRmT3_T4_T5_mT6_P12ihipStream_tbENKUlT_T0_E_clISt17integral_constantIbLb1EESY_EEDaST_SU_EUlST_E0_NS1_11comp_targetILNS1_3genE9ELNS1_11target_archE1100ELNS1_3gpuE3ELNS1_3repE0EEENS1_30default_config_static_selectorELNS0_4arch9wavefront6targetE0EEEvT1_.numbered_sgpr, 0
	.set _ZN7rocprim17ROCPRIM_400000_NS6detail17trampoline_kernelINS0_14default_configENS1_20scan_config_selectorIN3c108BFloat16EEEZZNS1_9scan_implILNS1_25lookback_scan_determinismE0ELb0ELb0ES3_PKS6_PS6_S6_ZZZN2at6native31launch_logcumsumexp_cuda_kernelERKNSD_10TensorBaseESH_lENKUlvE_clEvENKUlvE4_clEvEUlS6_S6_E_S6_EEDaPvRmT3_T4_T5_mT6_P12ihipStream_tbENKUlT_T0_E_clISt17integral_constantIbLb1EESY_EEDaST_SU_EUlST_E0_NS1_11comp_targetILNS1_3genE9ELNS1_11target_archE1100ELNS1_3gpuE3ELNS1_3repE0EEENS1_30default_config_static_selectorELNS0_4arch9wavefront6targetE0EEEvT1_.num_named_barrier, 0
	.set _ZN7rocprim17ROCPRIM_400000_NS6detail17trampoline_kernelINS0_14default_configENS1_20scan_config_selectorIN3c108BFloat16EEEZZNS1_9scan_implILNS1_25lookback_scan_determinismE0ELb0ELb0ES3_PKS6_PS6_S6_ZZZN2at6native31launch_logcumsumexp_cuda_kernelERKNSD_10TensorBaseESH_lENKUlvE_clEvENKUlvE4_clEvEUlS6_S6_E_S6_EEDaPvRmT3_T4_T5_mT6_P12ihipStream_tbENKUlT_T0_E_clISt17integral_constantIbLb1EESY_EEDaST_SU_EUlST_E0_NS1_11comp_targetILNS1_3genE9ELNS1_11target_archE1100ELNS1_3gpuE3ELNS1_3repE0EEENS1_30default_config_static_selectorELNS0_4arch9wavefront6targetE0EEEvT1_.private_seg_size, 0
	.set _ZN7rocprim17ROCPRIM_400000_NS6detail17trampoline_kernelINS0_14default_configENS1_20scan_config_selectorIN3c108BFloat16EEEZZNS1_9scan_implILNS1_25lookback_scan_determinismE0ELb0ELb0ES3_PKS6_PS6_S6_ZZZN2at6native31launch_logcumsumexp_cuda_kernelERKNSD_10TensorBaseESH_lENKUlvE_clEvENKUlvE4_clEvEUlS6_S6_E_S6_EEDaPvRmT3_T4_T5_mT6_P12ihipStream_tbENKUlT_T0_E_clISt17integral_constantIbLb1EESY_EEDaST_SU_EUlST_E0_NS1_11comp_targetILNS1_3genE9ELNS1_11target_archE1100ELNS1_3gpuE3ELNS1_3repE0EEENS1_30default_config_static_selectorELNS0_4arch9wavefront6targetE0EEEvT1_.uses_vcc, 0
	.set _ZN7rocprim17ROCPRIM_400000_NS6detail17trampoline_kernelINS0_14default_configENS1_20scan_config_selectorIN3c108BFloat16EEEZZNS1_9scan_implILNS1_25lookback_scan_determinismE0ELb0ELb0ES3_PKS6_PS6_S6_ZZZN2at6native31launch_logcumsumexp_cuda_kernelERKNSD_10TensorBaseESH_lENKUlvE_clEvENKUlvE4_clEvEUlS6_S6_E_S6_EEDaPvRmT3_T4_T5_mT6_P12ihipStream_tbENKUlT_T0_E_clISt17integral_constantIbLb1EESY_EEDaST_SU_EUlST_E0_NS1_11comp_targetILNS1_3genE9ELNS1_11target_archE1100ELNS1_3gpuE3ELNS1_3repE0EEENS1_30default_config_static_selectorELNS0_4arch9wavefront6targetE0EEEvT1_.uses_flat_scratch, 0
	.set _ZN7rocprim17ROCPRIM_400000_NS6detail17trampoline_kernelINS0_14default_configENS1_20scan_config_selectorIN3c108BFloat16EEEZZNS1_9scan_implILNS1_25lookback_scan_determinismE0ELb0ELb0ES3_PKS6_PS6_S6_ZZZN2at6native31launch_logcumsumexp_cuda_kernelERKNSD_10TensorBaseESH_lENKUlvE_clEvENKUlvE4_clEvEUlS6_S6_E_S6_EEDaPvRmT3_T4_T5_mT6_P12ihipStream_tbENKUlT_T0_E_clISt17integral_constantIbLb1EESY_EEDaST_SU_EUlST_E0_NS1_11comp_targetILNS1_3genE9ELNS1_11target_archE1100ELNS1_3gpuE3ELNS1_3repE0EEENS1_30default_config_static_selectorELNS0_4arch9wavefront6targetE0EEEvT1_.has_dyn_sized_stack, 0
	.set _ZN7rocprim17ROCPRIM_400000_NS6detail17trampoline_kernelINS0_14default_configENS1_20scan_config_selectorIN3c108BFloat16EEEZZNS1_9scan_implILNS1_25lookback_scan_determinismE0ELb0ELb0ES3_PKS6_PS6_S6_ZZZN2at6native31launch_logcumsumexp_cuda_kernelERKNSD_10TensorBaseESH_lENKUlvE_clEvENKUlvE4_clEvEUlS6_S6_E_S6_EEDaPvRmT3_T4_T5_mT6_P12ihipStream_tbENKUlT_T0_E_clISt17integral_constantIbLb1EESY_EEDaST_SU_EUlST_E0_NS1_11comp_targetILNS1_3genE9ELNS1_11target_archE1100ELNS1_3gpuE3ELNS1_3repE0EEENS1_30default_config_static_selectorELNS0_4arch9wavefront6targetE0EEEvT1_.has_recursion, 0
	.set _ZN7rocprim17ROCPRIM_400000_NS6detail17trampoline_kernelINS0_14default_configENS1_20scan_config_selectorIN3c108BFloat16EEEZZNS1_9scan_implILNS1_25lookback_scan_determinismE0ELb0ELb0ES3_PKS6_PS6_S6_ZZZN2at6native31launch_logcumsumexp_cuda_kernelERKNSD_10TensorBaseESH_lENKUlvE_clEvENKUlvE4_clEvEUlS6_S6_E_S6_EEDaPvRmT3_T4_T5_mT6_P12ihipStream_tbENKUlT_T0_E_clISt17integral_constantIbLb1EESY_EEDaST_SU_EUlST_E0_NS1_11comp_targetILNS1_3genE9ELNS1_11target_archE1100ELNS1_3gpuE3ELNS1_3repE0EEENS1_30default_config_static_selectorELNS0_4arch9wavefront6targetE0EEEvT1_.has_indirect_call, 0
	.section	.AMDGPU.csdata,"",@progbits
; Kernel info:
; codeLenInByte = 0
; TotalNumSgprs: 0
; NumVgprs: 0
; ScratchSize: 0
; MemoryBound: 0
; FloatMode: 240
; IeeeMode: 1
; LDSByteSize: 0 bytes/workgroup (compile time only)
; SGPRBlocks: 0
; VGPRBlocks: 0
; NumSGPRsForWavesPerEU: 1
; NumVGPRsForWavesPerEU: 1
; Occupancy: 16
; WaveLimiterHint : 0
; COMPUTE_PGM_RSRC2:SCRATCH_EN: 0
; COMPUTE_PGM_RSRC2:USER_SGPR: 2
; COMPUTE_PGM_RSRC2:TRAP_HANDLER: 0
; COMPUTE_PGM_RSRC2:TGID_X_EN: 1
; COMPUTE_PGM_RSRC2:TGID_Y_EN: 0
; COMPUTE_PGM_RSRC2:TGID_Z_EN: 0
; COMPUTE_PGM_RSRC2:TIDIG_COMP_CNT: 0
	.section	.text._ZN7rocprim17ROCPRIM_400000_NS6detail17trampoline_kernelINS0_14default_configENS1_20scan_config_selectorIN3c108BFloat16EEEZZNS1_9scan_implILNS1_25lookback_scan_determinismE0ELb0ELb0ES3_PKS6_PS6_S6_ZZZN2at6native31launch_logcumsumexp_cuda_kernelERKNSD_10TensorBaseESH_lENKUlvE_clEvENKUlvE4_clEvEUlS6_S6_E_S6_EEDaPvRmT3_T4_T5_mT6_P12ihipStream_tbENKUlT_T0_E_clISt17integral_constantIbLb1EESY_EEDaST_SU_EUlST_E0_NS1_11comp_targetILNS1_3genE8ELNS1_11target_archE1030ELNS1_3gpuE2ELNS1_3repE0EEENS1_30default_config_static_selectorELNS0_4arch9wavefront6targetE0EEEvT1_,"axG",@progbits,_ZN7rocprim17ROCPRIM_400000_NS6detail17trampoline_kernelINS0_14default_configENS1_20scan_config_selectorIN3c108BFloat16EEEZZNS1_9scan_implILNS1_25lookback_scan_determinismE0ELb0ELb0ES3_PKS6_PS6_S6_ZZZN2at6native31launch_logcumsumexp_cuda_kernelERKNSD_10TensorBaseESH_lENKUlvE_clEvENKUlvE4_clEvEUlS6_S6_E_S6_EEDaPvRmT3_T4_T5_mT6_P12ihipStream_tbENKUlT_T0_E_clISt17integral_constantIbLb1EESY_EEDaST_SU_EUlST_E0_NS1_11comp_targetILNS1_3genE8ELNS1_11target_archE1030ELNS1_3gpuE2ELNS1_3repE0EEENS1_30default_config_static_selectorELNS0_4arch9wavefront6targetE0EEEvT1_,comdat
	.globl	_ZN7rocprim17ROCPRIM_400000_NS6detail17trampoline_kernelINS0_14default_configENS1_20scan_config_selectorIN3c108BFloat16EEEZZNS1_9scan_implILNS1_25lookback_scan_determinismE0ELb0ELb0ES3_PKS6_PS6_S6_ZZZN2at6native31launch_logcumsumexp_cuda_kernelERKNSD_10TensorBaseESH_lENKUlvE_clEvENKUlvE4_clEvEUlS6_S6_E_S6_EEDaPvRmT3_T4_T5_mT6_P12ihipStream_tbENKUlT_T0_E_clISt17integral_constantIbLb1EESY_EEDaST_SU_EUlST_E0_NS1_11comp_targetILNS1_3genE8ELNS1_11target_archE1030ELNS1_3gpuE2ELNS1_3repE0EEENS1_30default_config_static_selectorELNS0_4arch9wavefront6targetE0EEEvT1_ ; -- Begin function _ZN7rocprim17ROCPRIM_400000_NS6detail17trampoline_kernelINS0_14default_configENS1_20scan_config_selectorIN3c108BFloat16EEEZZNS1_9scan_implILNS1_25lookback_scan_determinismE0ELb0ELb0ES3_PKS6_PS6_S6_ZZZN2at6native31launch_logcumsumexp_cuda_kernelERKNSD_10TensorBaseESH_lENKUlvE_clEvENKUlvE4_clEvEUlS6_S6_E_S6_EEDaPvRmT3_T4_T5_mT6_P12ihipStream_tbENKUlT_T0_E_clISt17integral_constantIbLb1EESY_EEDaST_SU_EUlST_E0_NS1_11comp_targetILNS1_3genE8ELNS1_11target_archE1030ELNS1_3gpuE2ELNS1_3repE0EEENS1_30default_config_static_selectorELNS0_4arch9wavefront6targetE0EEEvT1_
	.p2align	8
	.type	_ZN7rocprim17ROCPRIM_400000_NS6detail17trampoline_kernelINS0_14default_configENS1_20scan_config_selectorIN3c108BFloat16EEEZZNS1_9scan_implILNS1_25lookback_scan_determinismE0ELb0ELb0ES3_PKS6_PS6_S6_ZZZN2at6native31launch_logcumsumexp_cuda_kernelERKNSD_10TensorBaseESH_lENKUlvE_clEvENKUlvE4_clEvEUlS6_S6_E_S6_EEDaPvRmT3_T4_T5_mT6_P12ihipStream_tbENKUlT_T0_E_clISt17integral_constantIbLb1EESY_EEDaST_SU_EUlST_E0_NS1_11comp_targetILNS1_3genE8ELNS1_11target_archE1030ELNS1_3gpuE2ELNS1_3repE0EEENS1_30default_config_static_selectorELNS0_4arch9wavefront6targetE0EEEvT1_,@function
_ZN7rocprim17ROCPRIM_400000_NS6detail17trampoline_kernelINS0_14default_configENS1_20scan_config_selectorIN3c108BFloat16EEEZZNS1_9scan_implILNS1_25lookback_scan_determinismE0ELb0ELb0ES3_PKS6_PS6_S6_ZZZN2at6native31launch_logcumsumexp_cuda_kernelERKNSD_10TensorBaseESH_lENKUlvE_clEvENKUlvE4_clEvEUlS6_S6_E_S6_EEDaPvRmT3_T4_T5_mT6_P12ihipStream_tbENKUlT_T0_E_clISt17integral_constantIbLb1EESY_EEDaST_SU_EUlST_E0_NS1_11comp_targetILNS1_3genE8ELNS1_11target_archE1030ELNS1_3gpuE2ELNS1_3repE0EEENS1_30default_config_static_selectorELNS0_4arch9wavefront6targetE0EEEvT1_: ; @_ZN7rocprim17ROCPRIM_400000_NS6detail17trampoline_kernelINS0_14default_configENS1_20scan_config_selectorIN3c108BFloat16EEEZZNS1_9scan_implILNS1_25lookback_scan_determinismE0ELb0ELb0ES3_PKS6_PS6_S6_ZZZN2at6native31launch_logcumsumexp_cuda_kernelERKNSD_10TensorBaseESH_lENKUlvE_clEvENKUlvE4_clEvEUlS6_S6_E_S6_EEDaPvRmT3_T4_T5_mT6_P12ihipStream_tbENKUlT_T0_E_clISt17integral_constantIbLb1EESY_EEDaST_SU_EUlST_E0_NS1_11comp_targetILNS1_3genE8ELNS1_11target_archE1030ELNS1_3gpuE2ELNS1_3repE0EEENS1_30default_config_static_selectorELNS0_4arch9wavefront6targetE0EEEvT1_
; %bb.0:
	.section	.rodata,"a",@progbits
	.p2align	6, 0x0
	.amdhsa_kernel _ZN7rocprim17ROCPRIM_400000_NS6detail17trampoline_kernelINS0_14default_configENS1_20scan_config_selectorIN3c108BFloat16EEEZZNS1_9scan_implILNS1_25lookback_scan_determinismE0ELb0ELb0ES3_PKS6_PS6_S6_ZZZN2at6native31launch_logcumsumexp_cuda_kernelERKNSD_10TensorBaseESH_lENKUlvE_clEvENKUlvE4_clEvEUlS6_S6_E_S6_EEDaPvRmT3_T4_T5_mT6_P12ihipStream_tbENKUlT_T0_E_clISt17integral_constantIbLb1EESY_EEDaST_SU_EUlST_E0_NS1_11comp_targetILNS1_3genE8ELNS1_11target_archE1030ELNS1_3gpuE2ELNS1_3repE0EEENS1_30default_config_static_selectorELNS0_4arch9wavefront6targetE0EEEvT1_
		.amdhsa_group_segment_fixed_size 0
		.amdhsa_private_segment_fixed_size 0
		.amdhsa_kernarg_size 32
		.amdhsa_user_sgpr_count 2
		.amdhsa_user_sgpr_dispatch_ptr 0
		.amdhsa_user_sgpr_queue_ptr 0
		.amdhsa_user_sgpr_kernarg_segment_ptr 1
		.amdhsa_user_sgpr_dispatch_id 0
		.amdhsa_user_sgpr_private_segment_size 0
		.amdhsa_wavefront_size32 1
		.amdhsa_uses_dynamic_stack 0
		.amdhsa_enable_private_segment 0
		.amdhsa_system_sgpr_workgroup_id_x 1
		.amdhsa_system_sgpr_workgroup_id_y 0
		.amdhsa_system_sgpr_workgroup_id_z 0
		.amdhsa_system_sgpr_workgroup_info 0
		.amdhsa_system_vgpr_workitem_id 0
		.amdhsa_next_free_vgpr 1
		.amdhsa_next_free_sgpr 1
		.amdhsa_reserve_vcc 0
		.amdhsa_float_round_mode_32 0
		.amdhsa_float_round_mode_16_64 0
		.amdhsa_float_denorm_mode_32 3
		.amdhsa_float_denorm_mode_16_64 3
		.amdhsa_fp16_overflow 0
		.amdhsa_workgroup_processor_mode 1
		.amdhsa_memory_ordered 1
		.amdhsa_forward_progress 1
		.amdhsa_inst_pref_size 0
		.amdhsa_round_robin_scheduling 0
		.amdhsa_exception_fp_ieee_invalid_op 0
		.amdhsa_exception_fp_denorm_src 0
		.amdhsa_exception_fp_ieee_div_zero 0
		.amdhsa_exception_fp_ieee_overflow 0
		.amdhsa_exception_fp_ieee_underflow 0
		.amdhsa_exception_fp_ieee_inexact 0
		.amdhsa_exception_int_div_zero 0
	.end_amdhsa_kernel
	.section	.text._ZN7rocprim17ROCPRIM_400000_NS6detail17trampoline_kernelINS0_14default_configENS1_20scan_config_selectorIN3c108BFloat16EEEZZNS1_9scan_implILNS1_25lookback_scan_determinismE0ELb0ELb0ES3_PKS6_PS6_S6_ZZZN2at6native31launch_logcumsumexp_cuda_kernelERKNSD_10TensorBaseESH_lENKUlvE_clEvENKUlvE4_clEvEUlS6_S6_E_S6_EEDaPvRmT3_T4_T5_mT6_P12ihipStream_tbENKUlT_T0_E_clISt17integral_constantIbLb1EESY_EEDaST_SU_EUlST_E0_NS1_11comp_targetILNS1_3genE8ELNS1_11target_archE1030ELNS1_3gpuE2ELNS1_3repE0EEENS1_30default_config_static_selectorELNS0_4arch9wavefront6targetE0EEEvT1_,"axG",@progbits,_ZN7rocprim17ROCPRIM_400000_NS6detail17trampoline_kernelINS0_14default_configENS1_20scan_config_selectorIN3c108BFloat16EEEZZNS1_9scan_implILNS1_25lookback_scan_determinismE0ELb0ELb0ES3_PKS6_PS6_S6_ZZZN2at6native31launch_logcumsumexp_cuda_kernelERKNSD_10TensorBaseESH_lENKUlvE_clEvENKUlvE4_clEvEUlS6_S6_E_S6_EEDaPvRmT3_T4_T5_mT6_P12ihipStream_tbENKUlT_T0_E_clISt17integral_constantIbLb1EESY_EEDaST_SU_EUlST_E0_NS1_11comp_targetILNS1_3genE8ELNS1_11target_archE1030ELNS1_3gpuE2ELNS1_3repE0EEENS1_30default_config_static_selectorELNS0_4arch9wavefront6targetE0EEEvT1_,comdat
.Lfunc_end482:
	.size	_ZN7rocprim17ROCPRIM_400000_NS6detail17trampoline_kernelINS0_14default_configENS1_20scan_config_selectorIN3c108BFloat16EEEZZNS1_9scan_implILNS1_25lookback_scan_determinismE0ELb0ELb0ES3_PKS6_PS6_S6_ZZZN2at6native31launch_logcumsumexp_cuda_kernelERKNSD_10TensorBaseESH_lENKUlvE_clEvENKUlvE4_clEvEUlS6_S6_E_S6_EEDaPvRmT3_T4_T5_mT6_P12ihipStream_tbENKUlT_T0_E_clISt17integral_constantIbLb1EESY_EEDaST_SU_EUlST_E0_NS1_11comp_targetILNS1_3genE8ELNS1_11target_archE1030ELNS1_3gpuE2ELNS1_3repE0EEENS1_30default_config_static_selectorELNS0_4arch9wavefront6targetE0EEEvT1_, .Lfunc_end482-_ZN7rocprim17ROCPRIM_400000_NS6detail17trampoline_kernelINS0_14default_configENS1_20scan_config_selectorIN3c108BFloat16EEEZZNS1_9scan_implILNS1_25lookback_scan_determinismE0ELb0ELb0ES3_PKS6_PS6_S6_ZZZN2at6native31launch_logcumsumexp_cuda_kernelERKNSD_10TensorBaseESH_lENKUlvE_clEvENKUlvE4_clEvEUlS6_S6_E_S6_EEDaPvRmT3_T4_T5_mT6_P12ihipStream_tbENKUlT_T0_E_clISt17integral_constantIbLb1EESY_EEDaST_SU_EUlST_E0_NS1_11comp_targetILNS1_3genE8ELNS1_11target_archE1030ELNS1_3gpuE2ELNS1_3repE0EEENS1_30default_config_static_selectorELNS0_4arch9wavefront6targetE0EEEvT1_
                                        ; -- End function
	.set _ZN7rocprim17ROCPRIM_400000_NS6detail17trampoline_kernelINS0_14default_configENS1_20scan_config_selectorIN3c108BFloat16EEEZZNS1_9scan_implILNS1_25lookback_scan_determinismE0ELb0ELb0ES3_PKS6_PS6_S6_ZZZN2at6native31launch_logcumsumexp_cuda_kernelERKNSD_10TensorBaseESH_lENKUlvE_clEvENKUlvE4_clEvEUlS6_S6_E_S6_EEDaPvRmT3_T4_T5_mT6_P12ihipStream_tbENKUlT_T0_E_clISt17integral_constantIbLb1EESY_EEDaST_SU_EUlST_E0_NS1_11comp_targetILNS1_3genE8ELNS1_11target_archE1030ELNS1_3gpuE2ELNS1_3repE0EEENS1_30default_config_static_selectorELNS0_4arch9wavefront6targetE0EEEvT1_.num_vgpr, 0
	.set _ZN7rocprim17ROCPRIM_400000_NS6detail17trampoline_kernelINS0_14default_configENS1_20scan_config_selectorIN3c108BFloat16EEEZZNS1_9scan_implILNS1_25lookback_scan_determinismE0ELb0ELb0ES3_PKS6_PS6_S6_ZZZN2at6native31launch_logcumsumexp_cuda_kernelERKNSD_10TensorBaseESH_lENKUlvE_clEvENKUlvE4_clEvEUlS6_S6_E_S6_EEDaPvRmT3_T4_T5_mT6_P12ihipStream_tbENKUlT_T0_E_clISt17integral_constantIbLb1EESY_EEDaST_SU_EUlST_E0_NS1_11comp_targetILNS1_3genE8ELNS1_11target_archE1030ELNS1_3gpuE2ELNS1_3repE0EEENS1_30default_config_static_selectorELNS0_4arch9wavefront6targetE0EEEvT1_.num_agpr, 0
	.set _ZN7rocprim17ROCPRIM_400000_NS6detail17trampoline_kernelINS0_14default_configENS1_20scan_config_selectorIN3c108BFloat16EEEZZNS1_9scan_implILNS1_25lookback_scan_determinismE0ELb0ELb0ES3_PKS6_PS6_S6_ZZZN2at6native31launch_logcumsumexp_cuda_kernelERKNSD_10TensorBaseESH_lENKUlvE_clEvENKUlvE4_clEvEUlS6_S6_E_S6_EEDaPvRmT3_T4_T5_mT6_P12ihipStream_tbENKUlT_T0_E_clISt17integral_constantIbLb1EESY_EEDaST_SU_EUlST_E0_NS1_11comp_targetILNS1_3genE8ELNS1_11target_archE1030ELNS1_3gpuE2ELNS1_3repE0EEENS1_30default_config_static_selectorELNS0_4arch9wavefront6targetE0EEEvT1_.numbered_sgpr, 0
	.set _ZN7rocprim17ROCPRIM_400000_NS6detail17trampoline_kernelINS0_14default_configENS1_20scan_config_selectorIN3c108BFloat16EEEZZNS1_9scan_implILNS1_25lookback_scan_determinismE0ELb0ELb0ES3_PKS6_PS6_S6_ZZZN2at6native31launch_logcumsumexp_cuda_kernelERKNSD_10TensorBaseESH_lENKUlvE_clEvENKUlvE4_clEvEUlS6_S6_E_S6_EEDaPvRmT3_T4_T5_mT6_P12ihipStream_tbENKUlT_T0_E_clISt17integral_constantIbLb1EESY_EEDaST_SU_EUlST_E0_NS1_11comp_targetILNS1_3genE8ELNS1_11target_archE1030ELNS1_3gpuE2ELNS1_3repE0EEENS1_30default_config_static_selectorELNS0_4arch9wavefront6targetE0EEEvT1_.num_named_barrier, 0
	.set _ZN7rocprim17ROCPRIM_400000_NS6detail17trampoline_kernelINS0_14default_configENS1_20scan_config_selectorIN3c108BFloat16EEEZZNS1_9scan_implILNS1_25lookback_scan_determinismE0ELb0ELb0ES3_PKS6_PS6_S6_ZZZN2at6native31launch_logcumsumexp_cuda_kernelERKNSD_10TensorBaseESH_lENKUlvE_clEvENKUlvE4_clEvEUlS6_S6_E_S6_EEDaPvRmT3_T4_T5_mT6_P12ihipStream_tbENKUlT_T0_E_clISt17integral_constantIbLb1EESY_EEDaST_SU_EUlST_E0_NS1_11comp_targetILNS1_3genE8ELNS1_11target_archE1030ELNS1_3gpuE2ELNS1_3repE0EEENS1_30default_config_static_selectorELNS0_4arch9wavefront6targetE0EEEvT1_.private_seg_size, 0
	.set _ZN7rocprim17ROCPRIM_400000_NS6detail17trampoline_kernelINS0_14default_configENS1_20scan_config_selectorIN3c108BFloat16EEEZZNS1_9scan_implILNS1_25lookback_scan_determinismE0ELb0ELb0ES3_PKS6_PS6_S6_ZZZN2at6native31launch_logcumsumexp_cuda_kernelERKNSD_10TensorBaseESH_lENKUlvE_clEvENKUlvE4_clEvEUlS6_S6_E_S6_EEDaPvRmT3_T4_T5_mT6_P12ihipStream_tbENKUlT_T0_E_clISt17integral_constantIbLb1EESY_EEDaST_SU_EUlST_E0_NS1_11comp_targetILNS1_3genE8ELNS1_11target_archE1030ELNS1_3gpuE2ELNS1_3repE0EEENS1_30default_config_static_selectorELNS0_4arch9wavefront6targetE0EEEvT1_.uses_vcc, 0
	.set _ZN7rocprim17ROCPRIM_400000_NS6detail17trampoline_kernelINS0_14default_configENS1_20scan_config_selectorIN3c108BFloat16EEEZZNS1_9scan_implILNS1_25lookback_scan_determinismE0ELb0ELb0ES3_PKS6_PS6_S6_ZZZN2at6native31launch_logcumsumexp_cuda_kernelERKNSD_10TensorBaseESH_lENKUlvE_clEvENKUlvE4_clEvEUlS6_S6_E_S6_EEDaPvRmT3_T4_T5_mT6_P12ihipStream_tbENKUlT_T0_E_clISt17integral_constantIbLb1EESY_EEDaST_SU_EUlST_E0_NS1_11comp_targetILNS1_3genE8ELNS1_11target_archE1030ELNS1_3gpuE2ELNS1_3repE0EEENS1_30default_config_static_selectorELNS0_4arch9wavefront6targetE0EEEvT1_.uses_flat_scratch, 0
	.set _ZN7rocprim17ROCPRIM_400000_NS6detail17trampoline_kernelINS0_14default_configENS1_20scan_config_selectorIN3c108BFloat16EEEZZNS1_9scan_implILNS1_25lookback_scan_determinismE0ELb0ELb0ES3_PKS6_PS6_S6_ZZZN2at6native31launch_logcumsumexp_cuda_kernelERKNSD_10TensorBaseESH_lENKUlvE_clEvENKUlvE4_clEvEUlS6_S6_E_S6_EEDaPvRmT3_T4_T5_mT6_P12ihipStream_tbENKUlT_T0_E_clISt17integral_constantIbLb1EESY_EEDaST_SU_EUlST_E0_NS1_11comp_targetILNS1_3genE8ELNS1_11target_archE1030ELNS1_3gpuE2ELNS1_3repE0EEENS1_30default_config_static_selectorELNS0_4arch9wavefront6targetE0EEEvT1_.has_dyn_sized_stack, 0
	.set _ZN7rocprim17ROCPRIM_400000_NS6detail17trampoline_kernelINS0_14default_configENS1_20scan_config_selectorIN3c108BFloat16EEEZZNS1_9scan_implILNS1_25lookback_scan_determinismE0ELb0ELb0ES3_PKS6_PS6_S6_ZZZN2at6native31launch_logcumsumexp_cuda_kernelERKNSD_10TensorBaseESH_lENKUlvE_clEvENKUlvE4_clEvEUlS6_S6_E_S6_EEDaPvRmT3_T4_T5_mT6_P12ihipStream_tbENKUlT_T0_E_clISt17integral_constantIbLb1EESY_EEDaST_SU_EUlST_E0_NS1_11comp_targetILNS1_3genE8ELNS1_11target_archE1030ELNS1_3gpuE2ELNS1_3repE0EEENS1_30default_config_static_selectorELNS0_4arch9wavefront6targetE0EEEvT1_.has_recursion, 0
	.set _ZN7rocprim17ROCPRIM_400000_NS6detail17trampoline_kernelINS0_14default_configENS1_20scan_config_selectorIN3c108BFloat16EEEZZNS1_9scan_implILNS1_25lookback_scan_determinismE0ELb0ELb0ES3_PKS6_PS6_S6_ZZZN2at6native31launch_logcumsumexp_cuda_kernelERKNSD_10TensorBaseESH_lENKUlvE_clEvENKUlvE4_clEvEUlS6_S6_E_S6_EEDaPvRmT3_T4_T5_mT6_P12ihipStream_tbENKUlT_T0_E_clISt17integral_constantIbLb1EESY_EEDaST_SU_EUlST_E0_NS1_11comp_targetILNS1_3genE8ELNS1_11target_archE1030ELNS1_3gpuE2ELNS1_3repE0EEENS1_30default_config_static_selectorELNS0_4arch9wavefront6targetE0EEEvT1_.has_indirect_call, 0
	.section	.AMDGPU.csdata,"",@progbits
; Kernel info:
; codeLenInByte = 0
; TotalNumSgprs: 0
; NumVgprs: 0
; ScratchSize: 0
; MemoryBound: 0
; FloatMode: 240
; IeeeMode: 1
; LDSByteSize: 0 bytes/workgroup (compile time only)
; SGPRBlocks: 0
; VGPRBlocks: 0
; NumSGPRsForWavesPerEU: 1
; NumVGPRsForWavesPerEU: 1
; Occupancy: 16
; WaveLimiterHint : 0
; COMPUTE_PGM_RSRC2:SCRATCH_EN: 0
; COMPUTE_PGM_RSRC2:USER_SGPR: 2
; COMPUTE_PGM_RSRC2:TRAP_HANDLER: 0
; COMPUTE_PGM_RSRC2:TGID_X_EN: 1
; COMPUTE_PGM_RSRC2:TGID_Y_EN: 0
; COMPUTE_PGM_RSRC2:TGID_Z_EN: 0
; COMPUTE_PGM_RSRC2:TIDIG_COMP_CNT: 0
	.section	.text._ZN7rocprim17ROCPRIM_400000_NS6detail31init_lookback_scan_state_kernelINS1_19lookback_scan_stateIN3c108BFloat16ELb1ELb1EEENS1_16block_id_wrapperIjLb0EEEEEvT_jT0_jPNS9_10value_typeE,"axG",@progbits,_ZN7rocprim17ROCPRIM_400000_NS6detail31init_lookback_scan_state_kernelINS1_19lookback_scan_stateIN3c108BFloat16ELb1ELb1EEENS1_16block_id_wrapperIjLb0EEEEEvT_jT0_jPNS9_10value_typeE,comdat
	.protected	_ZN7rocprim17ROCPRIM_400000_NS6detail31init_lookback_scan_state_kernelINS1_19lookback_scan_stateIN3c108BFloat16ELb1ELb1EEENS1_16block_id_wrapperIjLb0EEEEEvT_jT0_jPNS9_10value_typeE ; -- Begin function _ZN7rocprim17ROCPRIM_400000_NS6detail31init_lookback_scan_state_kernelINS1_19lookback_scan_stateIN3c108BFloat16ELb1ELb1EEENS1_16block_id_wrapperIjLb0EEEEEvT_jT0_jPNS9_10value_typeE
	.globl	_ZN7rocprim17ROCPRIM_400000_NS6detail31init_lookback_scan_state_kernelINS1_19lookback_scan_stateIN3c108BFloat16ELb1ELb1EEENS1_16block_id_wrapperIjLb0EEEEEvT_jT0_jPNS9_10value_typeE
	.p2align	8
	.type	_ZN7rocprim17ROCPRIM_400000_NS6detail31init_lookback_scan_state_kernelINS1_19lookback_scan_stateIN3c108BFloat16ELb1ELb1EEENS1_16block_id_wrapperIjLb0EEEEEvT_jT0_jPNS9_10value_typeE,@function
_ZN7rocprim17ROCPRIM_400000_NS6detail31init_lookback_scan_state_kernelINS1_19lookback_scan_stateIN3c108BFloat16ELb1ELb1EEENS1_16block_id_wrapperIjLb0EEEEEvT_jT0_jPNS9_10value_typeE: ; @_ZN7rocprim17ROCPRIM_400000_NS6detail31init_lookback_scan_state_kernelINS1_19lookback_scan_stateIN3c108BFloat16ELb1ELb1EEENS1_16block_id_wrapperIjLb0EEEEEvT_jT0_jPNS9_10value_typeE
; %bb.0:
	s_clause 0x2
	s_load_b32 s7, s[0:1], 0x2c
	s_load_b64 s[2:3], s[0:1], 0x18
	s_load_b96 s[4:6], s[0:1], 0x0
	s_wait_kmcnt 0x0
	s_and_b32 s7, s7, 0xffff
	s_cmp_eq_u64 s[2:3], 0
	v_mad_co_u64_u32 v[0:1], null, ttmp9, s7, v[0:1]
	s_cbranch_scc1 .LBB483_9
; %bb.1:
	s_load_b32 s0, s[0:1], 0x10
	s_wait_kmcnt 0x0
	s_cmp_lt_u32 s0, s6
	s_cselect_b32 s1, s0, 0
	s_wait_alu 0xfffe
	v_cmp_eq_u32_e32 vcc_lo, s1, v0
	s_mov_b32 s1, 0
	s_and_saveexec_b32 s7, vcc_lo
	s_cbranch_execz .LBB483_8
; %bb.2:
	s_add_co_i32 s0, s0, 32
	v_mov_b32_e32 v1, 0
	s_wait_alu 0xfffe
	s_lshl_b64 s[0:1], s[0:1], 2
	s_wait_alu 0xfffe
	s_add_nc_u64 s[0:1], s[4:5], s[0:1]
	global_load_b32 v2, v1, s[0:1] scope:SCOPE_DEV
	s_wait_loadcnt 0x0
	v_and_b32_e32 v3, 0xff0000, v2
	s_delay_alu instid0(VALU_DEP_1)
	v_cmp_ne_u32_e32 vcc_lo, 0, v3
	s_cbranch_vccnz .LBB483_7
; %bb.3:
	s_mov_b32 s8, 1
.LBB483_4:                              ; =>This Loop Header: Depth=1
                                        ;     Child Loop BB483_5 Depth 2
	s_delay_alu instid0(SALU_CYCLE_1)
	s_mov_b32 s9, s8
.LBB483_5:                              ;   Parent Loop BB483_4 Depth=1
                                        ; =>  This Inner Loop Header: Depth=2
	s_delay_alu instid0(SALU_CYCLE_1)
	s_add_co_i32 s9, s9, -1
	s_sleep 1
	s_cmp_eq_u32 s9, 0
	s_cbranch_scc0 .LBB483_5
; %bb.6:                                ;   in Loop: Header=BB483_4 Depth=1
	global_load_b32 v2, v1, s[0:1] scope:SCOPE_DEV
	s_cmp_lt_u32 s8, 32
	s_cselect_b32 s9, -1, 0
	s_delay_alu instid0(SALU_CYCLE_1) | instskip(SKIP_3) | instid1(VALU_DEP_1)
	s_cmp_lg_u32 s9, 0
	s_add_co_ci_u32 s8, s8, 0
	s_wait_loadcnt 0x0
	v_and_b32_e32 v3, 0xff0000, v2
	v_cmp_ne_u32_e32 vcc_lo, 0, v3
	s_cbranch_vccz .LBB483_4
.LBB483_7:
	v_mov_b32_e32 v1, 0
	global_store_b16 v1, v2, s[2:3]
.LBB483_8:
	s_wait_alu 0xfffe
	s_or_b32 exec_lo, exec_lo, s7
.LBB483_9:
	s_delay_alu instid0(SALU_CYCLE_1)
	s_mov_b32 s0, exec_lo
	v_cmpx_gt_u32_e64 s6, v0
	s_cbranch_execz .LBB483_11
; %bb.10:
	v_dual_mov_b32 v2, 0 :: v_dual_add_nc_u32 v1, 32, v0
	s_delay_alu instid0(VALU_DEP_1) | instskip(NEXT) | instid1(VALU_DEP_1)
	v_lshlrev_b64_e32 v[3:4], 2, v[1:2]
	v_add_co_u32 v3, vcc_lo, s4, v3
	s_delay_alu instid0(VALU_DEP_1)
	v_add_co_ci_u32_e64 v4, null, s5, v4, vcc_lo
	global_store_b32 v[3:4], v2, off
.LBB483_11:
	s_wait_alu 0xfffe
	s_or_b32 exec_lo, exec_lo, s0
	s_delay_alu instid0(SALU_CYCLE_1)
	s_mov_b32 s0, exec_lo
	v_cmpx_gt_u32_e32 32, v0
	s_cbranch_execz .LBB483_13
; %bb.12:
	v_dual_mov_b32 v1, 0 :: v_dual_mov_b32 v2, 0xff0000
	s_delay_alu instid0(VALU_DEP_1) | instskip(NEXT) | instid1(VALU_DEP_1)
	v_lshlrev_b64_e32 v[0:1], 2, v[0:1]
	v_add_co_u32 v0, vcc_lo, s4, v0
	s_wait_alu 0xfffd
	s_delay_alu instid0(VALU_DEP_2)
	v_add_co_ci_u32_e64 v1, null, s5, v1, vcc_lo
	global_store_b32 v[0:1], v2, off
.LBB483_13:
	s_endpgm
	.section	.rodata,"a",@progbits
	.p2align	6, 0x0
	.amdhsa_kernel _ZN7rocprim17ROCPRIM_400000_NS6detail31init_lookback_scan_state_kernelINS1_19lookback_scan_stateIN3c108BFloat16ELb1ELb1EEENS1_16block_id_wrapperIjLb0EEEEEvT_jT0_jPNS9_10value_typeE
		.amdhsa_group_segment_fixed_size 0
		.amdhsa_private_segment_fixed_size 0
		.amdhsa_kernarg_size 288
		.amdhsa_user_sgpr_count 2
		.amdhsa_user_sgpr_dispatch_ptr 0
		.amdhsa_user_sgpr_queue_ptr 0
		.amdhsa_user_sgpr_kernarg_segment_ptr 1
		.amdhsa_user_sgpr_dispatch_id 0
		.amdhsa_user_sgpr_private_segment_size 0
		.amdhsa_wavefront_size32 1
		.amdhsa_uses_dynamic_stack 0
		.amdhsa_enable_private_segment 0
		.amdhsa_system_sgpr_workgroup_id_x 1
		.amdhsa_system_sgpr_workgroup_id_y 0
		.amdhsa_system_sgpr_workgroup_id_z 0
		.amdhsa_system_sgpr_workgroup_info 0
		.amdhsa_system_vgpr_workitem_id 0
		.amdhsa_next_free_vgpr 5
		.amdhsa_next_free_sgpr 10
		.amdhsa_reserve_vcc 1
		.amdhsa_float_round_mode_32 0
		.amdhsa_float_round_mode_16_64 0
		.amdhsa_float_denorm_mode_32 3
		.amdhsa_float_denorm_mode_16_64 3
		.amdhsa_fp16_overflow 0
		.amdhsa_workgroup_processor_mode 1
		.amdhsa_memory_ordered 1
		.amdhsa_forward_progress 1
		.amdhsa_inst_pref_size 4
		.amdhsa_round_robin_scheduling 0
		.amdhsa_exception_fp_ieee_invalid_op 0
		.amdhsa_exception_fp_denorm_src 0
		.amdhsa_exception_fp_ieee_div_zero 0
		.amdhsa_exception_fp_ieee_overflow 0
		.amdhsa_exception_fp_ieee_underflow 0
		.amdhsa_exception_fp_ieee_inexact 0
		.amdhsa_exception_int_div_zero 0
	.end_amdhsa_kernel
	.section	.text._ZN7rocprim17ROCPRIM_400000_NS6detail31init_lookback_scan_state_kernelINS1_19lookback_scan_stateIN3c108BFloat16ELb1ELb1EEENS1_16block_id_wrapperIjLb0EEEEEvT_jT0_jPNS9_10value_typeE,"axG",@progbits,_ZN7rocprim17ROCPRIM_400000_NS6detail31init_lookback_scan_state_kernelINS1_19lookback_scan_stateIN3c108BFloat16ELb1ELb1EEENS1_16block_id_wrapperIjLb0EEEEEvT_jT0_jPNS9_10value_typeE,comdat
.Lfunc_end483:
	.size	_ZN7rocprim17ROCPRIM_400000_NS6detail31init_lookback_scan_state_kernelINS1_19lookback_scan_stateIN3c108BFloat16ELb1ELb1EEENS1_16block_id_wrapperIjLb0EEEEEvT_jT0_jPNS9_10value_typeE, .Lfunc_end483-_ZN7rocprim17ROCPRIM_400000_NS6detail31init_lookback_scan_state_kernelINS1_19lookback_scan_stateIN3c108BFloat16ELb1ELb1EEENS1_16block_id_wrapperIjLb0EEEEEvT_jT0_jPNS9_10value_typeE
                                        ; -- End function
	.set _ZN7rocprim17ROCPRIM_400000_NS6detail31init_lookback_scan_state_kernelINS1_19lookback_scan_stateIN3c108BFloat16ELb1ELb1EEENS1_16block_id_wrapperIjLb0EEEEEvT_jT0_jPNS9_10value_typeE.num_vgpr, 5
	.set _ZN7rocprim17ROCPRIM_400000_NS6detail31init_lookback_scan_state_kernelINS1_19lookback_scan_stateIN3c108BFloat16ELb1ELb1EEENS1_16block_id_wrapperIjLb0EEEEEvT_jT0_jPNS9_10value_typeE.num_agpr, 0
	.set _ZN7rocprim17ROCPRIM_400000_NS6detail31init_lookback_scan_state_kernelINS1_19lookback_scan_stateIN3c108BFloat16ELb1ELb1EEENS1_16block_id_wrapperIjLb0EEEEEvT_jT0_jPNS9_10value_typeE.numbered_sgpr, 10
	.set _ZN7rocprim17ROCPRIM_400000_NS6detail31init_lookback_scan_state_kernelINS1_19lookback_scan_stateIN3c108BFloat16ELb1ELb1EEENS1_16block_id_wrapperIjLb0EEEEEvT_jT0_jPNS9_10value_typeE.num_named_barrier, 0
	.set _ZN7rocprim17ROCPRIM_400000_NS6detail31init_lookback_scan_state_kernelINS1_19lookback_scan_stateIN3c108BFloat16ELb1ELb1EEENS1_16block_id_wrapperIjLb0EEEEEvT_jT0_jPNS9_10value_typeE.private_seg_size, 0
	.set _ZN7rocprim17ROCPRIM_400000_NS6detail31init_lookback_scan_state_kernelINS1_19lookback_scan_stateIN3c108BFloat16ELb1ELb1EEENS1_16block_id_wrapperIjLb0EEEEEvT_jT0_jPNS9_10value_typeE.uses_vcc, 1
	.set _ZN7rocprim17ROCPRIM_400000_NS6detail31init_lookback_scan_state_kernelINS1_19lookback_scan_stateIN3c108BFloat16ELb1ELb1EEENS1_16block_id_wrapperIjLb0EEEEEvT_jT0_jPNS9_10value_typeE.uses_flat_scratch, 0
	.set _ZN7rocprim17ROCPRIM_400000_NS6detail31init_lookback_scan_state_kernelINS1_19lookback_scan_stateIN3c108BFloat16ELb1ELb1EEENS1_16block_id_wrapperIjLb0EEEEEvT_jT0_jPNS9_10value_typeE.has_dyn_sized_stack, 0
	.set _ZN7rocprim17ROCPRIM_400000_NS6detail31init_lookback_scan_state_kernelINS1_19lookback_scan_stateIN3c108BFloat16ELb1ELb1EEENS1_16block_id_wrapperIjLb0EEEEEvT_jT0_jPNS9_10value_typeE.has_recursion, 0
	.set _ZN7rocprim17ROCPRIM_400000_NS6detail31init_lookback_scan_state_kernelINS1_19lookback_scan_stateIN3c108BFloat16ELb1ELb1EEENS1_16block_id_wrapperIjLb0EEEEEvT_jT0_jPNS9_10value_typeE.has_indirect_call, 0
	.section	.AMDGPU.csdata,"",@progbits
; Kernel info:
; codeLenInByte = 416
; TotalNumSgprs: 12
; NumVgprs: 5
; ScratchSize: 0
; MemoryBound: 0
; FloatMode: 240
; IeeeMode: 1
; LDSByteSize: 0 bytes/workgroup (compile time only)
; SGPRBlocks: 0
; VGPRBlocks: 0
; NumSGPRsForWavesPerEU: 12
; NumVGPRsForWavesPerEU: 5
; Occupancy: 16
; WaveLimiterHint : 0
; COMPUTE_PGM_RSRC2:SCRATCH_EN: 0
; COMPUTE_PGM_RSRC2:USER_SGPR: 2
; COMPUTE_PGM_RSRC2:TRAP_HANDLER: 0
; COMPUTE_PGM_RSRC2:TGID_X_EN: 1
; COMPUTE_PGM_RSRC2:TGID_Y_EN: 0
; COMPUTE_PGM_RSRC2:TGID_Z_EN: 0
; COMPUTE_PGM_RSRC2:TIDIG_COMP_CNT: 0
	.section	.text._ZN7rocprim17ROCPRIM_400000_NS6detail17trampoline_kernelINS0_14default_configENS1_20scan_config_selectorIN3c108BFloat16EEEZZNS1_9scan_implILNS1_25lookback_scan_determinismE0ELb0ELb0ES3_PKS6_PS6_S6_ZZZN2at6native31launch_logcumsumexp_cuda_kernelERKNSD_10TensorBaseESH_lENKUlvE_clEvENKUlvE4_clEvEUlS6_S6_E_S6_EEDaPvRmT3_T4_T5_mT6_P12ihipStream_tbENKUlT_T0_E_clISt17integral_constantIbLb1EESX_IbLb0EEEEDaST_SU_EUlST_E_NS1_11comp_targetILNS1_3genE0ELNS1_11target_archE4294967295ELNS1_3gpuE0ELNS1_3repE0EEENS1_30default_config_static_selectorELNS0_4arch9wavefront6targetE0EEEvT1_,"axG",@progbits,_ZN7rocprim17ROCPRIM_400000_NS6detail17trampoline_kernelINS0_14default_configENS1_20scan_config_selectorIN3c108BFloat16EEEZZNS1_9scan_implILNS1_25lookback_scan_determinismE0ELb0ELb0ES3_PKS6_PS6_S6_ZZZN2at6native31launch_logcumsumexp_cuda_kernelERKNSD_10TensorBaseESH_lENKUlvE_clEvENKUlvE4_clEvEUlS6_S6_E_S6_EEDaPvRmT3_T4_T5_mT6_P12ihipStream_tbENKUlT_T0_E_clISt17integral_constantIbLb1EESX_IbLb0EEEEDaST_SU_EUlST_E_NS1_11comp_targetILNS1_3genE0ELNS1_11target_archE4294967295ELNS1_3gpuE0ELNS1_3repE0EEENS1_30default_config_static_selectorELNS0_4arch9wavefront6targetE0EEEvT1_,comdat
	.globl	_ZN7rocprim17ROCPRIM_400000_NS6detail17trampoline_kernelINS0_14default_configENS1_20scan_config_selectorIN3c108BFloat16EEEZZNS1_9scan_implILNS1_25lookback_scan_determinismE0ELb0ELb0ES3_PKS6_PS6_S6_ZZZN2at6native31launch_logcumsumexp_cuda_kernelERKNSD_10TensorBaseESH_lENKUlvE_clEvENKUlvE4_clEvEUlS6_S6_E_S6_EEDaPvRmT3_T4_T5_mT6_P12ihipStream_tbENKUlT_T0_E_clISt17integral_constantIbLb1EESX_IbLb0EEEEDaST_SU_EUlST_E_NS1_11comp_targetILNS1_3genE0ELNS1_11target_archE4294967295ELNS1_3gpuE0ELNS1_3repE0EEENS1_30default_config_static_selectorELNS0_4arch9wavefront6targetE0EEEvT1_ ; -- Begin function _ZN7rocprim17ROCPRIM_400000_NS6detail17trampoline_kernelINS0_14default_configENS1_20scan_config_selectorIN3c108BFloat16EEEZZNS1_9scan_implILNS1_25lookback_scan_determinismE0ELb0ELb0ES3_PKS6_PS6_S6_ZZZN2at6native31launch_logcumsumexp_cuda_kernelERKNSD_10TensorBaseESH_lENKUlvE_clEvENKUlvE4_clEvEUlS6_S6_E_S6_EEDaPvRmT3_T4_T5_mT6_P12ihipStream_tbENKUlT_T0_E_clISt17integral_constantIbLb1EESX_IbLb0EEEEDaST_SU_EUlST_E_NS1_11comp_targetILNS1_3genE0ELNS1_11target_archE4294967295ELNS1_3gpuE0ELNS1_3repE0EEENS1_30default_config_static_selectorELNS0_4arch9wavefront6targetE0EEEvT1_
	.p2align	8
	.type	_ZN7rocprim17ROCPRIM_400000_NS6detail17trampoline_kernelINS0_14default_configENS1_20scan_config_selectorIN3c108BFloat16EEEZZNS1_9scan_implILNS1_25lookback_scan_determinismE0ELb0ELb0ES3_PKS6_PS6_S6_ZZZN2at6native31launch_logcumsumexp_cuda_kernelERKNSD_10TensorBaseESH_lENKUlvE_clEvENKUlvE4_clEvEUlS6_S6_E_S6_EEDaPvRmT3_T4_T5_mT6_P12ihipStream_tbENKUlT_T0_E_clISt17integral_constantIbLb1EESX_IbLb0EEEEDaST_SU_EUlST_E_NS1_11comp_targetILNS1_3genE0ELNS1_11target_archE4294967295ELNS1_3gpuE0ELNS1_3repE0EEENS1_30default_config_static_selectorELNS0_4arch9wavefront6targetE0EEEvT1_,@function
_ZN7rocprim17ROCPRIM_400000_NS6detail17trampoline_kernelINS0_14default_configENS1_20scan_config_selectorIN3c108BFloat16EEEZZNS1_9scan_implILNS1_25lookback_scan_determinismE0ELb0ELb0ES3_PKS6_PS6_S6_ZZZN2at6native31launch_logcumsumexp_cuda_kernelERKNSD_10TensorBaseESH_lENKUlvE_clEvENKUlvE4_clEvEUlS6_S6_E_S6_EEDaPvRmT3_T4_T5_mT6_P12ihipStream_tbENKUlT_T0_E_clISt17integral_constantIbLb1EESX_IbLb0EEEEDaST_SU_EUlST_E_NS1_11comp_targetILNS1_3genE0ELNS1_11target_archE4294967295ELNS1_3gpuE0ELNS1_3repE0EEENS1_30default_config_static_selectorELNS0_4arch9wavefront6targetE0EEEvT1_: ; @_ZN7rocprim17ROCPRIM_400000_NS6detail17trampoline_kernelINS0_14default_configENS1_20scan_config_selectorIN3c108BFloat16EEEZZNS1_9scan_implILNS1_25lookback_scan_determinismE0ELb0ELb0ES3_PKS6_PS6_S6_ZZZN2at6native31launch_logcumsumexp_cuda_kernelERKNSD_10TensorBaseESH_lENKUlvE_clEvENKUlvE4_clEvEUlS6_S6_E_S6_EEDaPvRmT3_T4_T5_mT6_P12ihipStream_tbENKUlT_T0_E_clISt17integral_constantIbLb1EESX_IbLb0EEEEDaST_SU_EUlST_E_NS1_11comp_targetILNS1_3genE0ELNS1_11target_archE4294967295ELNS1_3gpuE0ELNS1_3repE0EEENS1_30default_config_static_selectorELNS0_4arch9wavefront6targetE0EEEvT1_
; %bb.0:
	.section	.rodata,"a",@progbits
	.p2align	6, 0x0
	.amdhsa_kernel _ZN7rocprim17ROCPRIM_400000_NS6detail17trampoline_kernelINS0_14default_configENS1_20scan_config_selectorIN3c108BFloat16EEEZZNS1_9scan_implILNS1_25lookback_scan_determinismE0ELb0ELb0ES3_PKS6_PS6_S6_ZZZN2at6native31launch_logcumsumexp_cuda_kernelERKNSD_10TensorBaseESH_lENKUlvE_clEvENKUlvE4_clEvEUlS6_S6_E_S6_EEDaPvRmT3_T4_T5_mT6_P12ihipStream_tbENKUlT_T0_E_clISt17integral_constantIbLb1EESX_IbLb0EEEEDaST_SU_EUlST_E_NS1_11comp_targetILNS1_3genE0ELNS1_11target_archE4294967295ELNS1_3gpuE0ELNS1_3repE0EEENS1_30default_config_static_selectorELNS0_4arch9wavefront6targetE0EEEvT1_
		.amdhsa_group_segment_fixed_size 0
		.amdhsa_private_segment_fixed_size 0
		.amdhsa_kernarg_size 96
		.amdhsa_user_sgpr_count 2
		.amdhsa_user_sgpr_dispatch_ptr 0
		.amdhsa_user_sgpr_queue_ptr 0
		.amdhsa_user_sgpr_kernarg_segment_ptr 1
		.amdhsa_user_sgpr_dispatch_id 0
		.amdhsa_user_sgpr_private_segment_size 0
		.amdhsa_wavefront_size32 1
		.amdhsa_uses_dynamic_stack 0
		.amdhsa_enable_private_segment 0
		.amdhsa_system_sgpr_workgroup_id_x 1
		.amdhsa_system_sgpr_workgroup_id_y 0
		.amdhsa_system_sgpr_workgroup_id_z 0
		.amdhsa_system_sgpr_workgroup_info 0
		.amdhsa_system_vgpr_workitem_id 0
		.amdhsa_next_free_vgpr 1
		.amdhsa_next_free_sgpr 1
		.amdhsa_reserve_vcc 0
		.amdhsa_float_round_mode_32 0
		.amdhsa_float_round_mode_16_64 0
		.amdhsa_float_denorm_mode_32 3
		.amdhsa_float_denorm_mode_16_64 3
		.amdhsa_fp16_overflow 0
		.amdhsa_workgroup_processor_mode 1
		.amdhsa_memory_ordered 1
		.amdhsa_forward_progress 1
		.amdhsa_inst_pref_size 0
		.amdhsa_round_robin_scheduling 0
		.amdhsa_exception_fp_ieee_invalid_op 0
		.amdhsa_exception_fp_denorm_src 0
		.amdhsa_exception_fp_ieee_div_zero 0
		.amdhsa_exception_fp_ieee_overflow 0
		.amdhsa_exception_fp_ieee_underflow 0
		.amdhsa_exception_fp_ieee_inexact 0
		.amdhsa_exception_int_div_zero 0
	.end_amdhsa_kernel
	.section	.text._ZN7rocprim17ROCPRIM_400000_NS6detail17trampoline_kernelINS0_14default_configENS1_20scan_config_selectorIN3c108BFloat16EEEZZNS1_9scan_implILNS1_25lookback_scan_determinismE0ELb0ELb0ES3_PKS6_PS6_S6_ZZZN2at6native31launch_logcumsumexp_cuda_kernelERKNSD_10TensorBaseESH_lENKUlvE_clEvENKUlvE4_clEvEUlS6_S6_E_S6_EEDaPvRmT3_T4_T5_mT6_P12ihipStream_tbENKUlT_T0_E_clISt17integral_constantIbLb1EESX_IbLb0EEEEDaST_SU_EUlST_E_NS1_11comp_targetILNS1_3genE0ELNS1_11target_archE4294967295ELNS1_3gpuE0ELNS1_3repE0EEENS1_30default_config_static_selectorELNS0_4arch9wavefront6targetE0EEEvT1_,"axG",@progbits,_ZN7rocprim17ROCPRIM_400000_NS6detail17trampoline_kernelINS0_14default_configENS1_20scan_config_selectorIN3c108BFloat16EEEZZNS1_9scan_implILNS1_25lookback_scan_determinismE0ELb0ELb0ES3_PKS6_PS6_S6_ZZZN2at6native31launch_logcumsumexp_cuda_kernelERKNSD_10TensorBaseESH_lENKUlvE_clEvENKUlvE4_clEvEUlS6_S6_E_S6_EEDaPvRmT3_T4_T5_mT6_P12ihipStream_tbENKUlT_T0_E_clISt17integral_constantIbLb1EESX_IbLb0EEEEDaST_SU_EUlST_E_NS1_11comp_targetILNS1_3genE0ELNS1_11target_archE4294967295ELNS1_3gpuE0ELNS1_3repE0EEENS1_30default_config_static_selectorELNS0_4arch9wavefront6targetE0EEEvT1_,comdat
.Lfunc_end484:
	.size	_ZN7rocprim17ROCPRIM_400000_NS6detail17trampoline_kernelINS0_14default_configENS1_20scan_config_selectorIN3c108BFloat16EEEZZNS1_9scan_implILNS1_25lookback_scan_determinismE0ELb0ELb0ES3_PKS6_PS6_S6_ZZZN2at6native31launch_logcumsumexp_cuda_kernelERKNSD_10TensorBaseESH_lENKUlvE_clEvENKUlvE4_clEvEUlS6_S6_E_S6_EEDaPvRmT3_T4_T5_mT6_P12ihipStream_tbENKUlT_T0_E_clISt17integral_constantIbLb1EESX_IbLb0EEEEDaST_SU_EUlST_E_NS1_11comp_targetILNS1_3genE0ELNS1_11target_archE4294967295ELNS1_3gpuE0ELNS1_3repE0EEENS1_30default_config_static_selectorELNS0_4arch9wavefront6targetE0EEEvT1_, .Lfunc_end484-_ZN7rocprim17ROCPRIM_400000_NS6detail17trampoline_kernelINS0_14default_configENS1_20scan_config_selectorIN3c108BFloat16EEEZZNS1_9scan_implILNS1_25lookback_scan_determinismE0ELb0ELb0ES3_PKS6_PS6_S6_ZZZN2at6native31launch_logcumsumexp_cuda_kernelERKNSD_10TensorBaseESH_lENKUlvE_clEvENKUlvE4_clEvEUlS6_S6_E_S6_EEDaPvRmT3_T4_T5_mT6_P12ihipStream_tbENKUlT_T0_E_clISt17integral_constantIbLb1EESX_IbLb0EEEEDaST_SU_EUlST_E_NS1_11comp_targetILNS1_3genE0ELNS1_11target_archE4294967295ELNS1_3gpuE0ELNS1_3repE0EEENS1_30default_config_static_selectorELNS0_4arch9wavefront6targetE0EEEvT1_
                                        ; -- End function
	.set _ZN7rocprim17ROCPRIM_400000_NS6detail17trampoline_kernelINS0_14default_configENS1_20scan_config_selectorIN3c108BFloat16EEEZZNS1_9scan_implILNS1_25lookback_scan_determinismE0ELb0ELb0ES3_PKS6_PS6_S6_ZZZN2at6native31launch_logcumsumexp_cuda_kernelERKNSD_10TensorBaseESH_lENKUlvE_clEvENKUlvE4_clEvEUlS6_S6_E_S6_EEDaPvRmT3_T4_T5_mT6_P12ihipStream_tbENKUlT_T0_E_clISt17integral_constantIbLb1EESX_IbLb0EEEEDaST_SU_EUlST_E_NS1_11comp_targetILNS1_3genE0ELNS1_11target_archE4294967295ELNS1_3gpuE0ELNS1_3repE0EEENS1_30default_config_static_selectorELNS0_4arch9wavefront6targetE0EEEvT1_.num_vgpr, 0
	.set _ZN7rocprim17ROCPRIM_400000_NS6detail17trampoline_kernelINS0_14default_configENS1_20scan_config_selectorIN3c108BFloat16EEEZZNS1_9scan_implILNS1_25lookback_scan_determinismE0ELb0ELb0ES3_PKS6_PS6_S6_ZZZN2at6native31launch_logcumsumexp_cuda_kernelERKNSD_10TensorBaseESH_lENKUlvE_clEvENKUlvE4_clEvEUlS6_S6_E_S6_EEDaPvRmT3_T4_T5_mT6_P12ihipStream_tbENKUlT_T0_E_clISt17integral_constantIbLb1EESX_IbLb0EEEEDaST_SU_EUlST_E_NS1_11comp_targetILNS1_3genE0ELNS1_11target_archE4294967295ELNS1_3gpuE0ELNS1_3repE0EEENS1_30default_config_static_selectorELNS0_4arch9wavefront6targetE0EEEvT1_.num_agpr, 0
	.set _ZN7rocprim17ROCPRIM_400000_NS6detail17trampoline_kernelINS0_14default_configENS1_20scan_config_selectorIN3c108BFloat16EEEZZNS1_9scan_implILNS1_25lookback_scan_determinismE0ELb0ELb0ES3_PKS6_PS6_S6_ZZZN2at6native31launch_logcumsumexp_cuda_kernelERKNSD_10TensorBaseESH_lENKUlvE_clEvENKUlvE4_clEvEUlS6_S6_E_S6_EEDaPvRmT3_T4_T5_mT6_P12ihipStream_tbENKUlT_T0_E_clISt17integral_constantIbLb1EESX_IbLb0EEEEDaST_SU_EUlST_E_NS1_11comp_targetILNS1_3genE0ELNS1_11target_archE4294967295ELNS1_3gpuE0ELNS1_3repE0EEENS1_30default_config_static_selectorELNS0_4arch9wavefront6targetE0EEEvT1_.numbered_sgpr, 0
	.set _ZN7rocprim17ROCPRIM_400000_NS6detail17trampoline_kernelINS0_14default_configENS1_20scan_config_selectorIN3c108BFloat16EEEZZNS1_9scan_implILNS1_25lookback_scan_determinismE0ELb0ELb0ES3_PKS6_PS6_S6_ZZZN2at6native31launch_logcumsumexp_cuda_kernelERKNSD_10TensorBaseESH_lENKUlvE_clEvENKUlvE4_clEvEUlS6_S6_E_S6_EEDaPvRmT3_T4_T5_mT6_P12ihipStream_tbENKUlT_T0_E_clISt17integral_constantIbLb1EESX_IbLb0EEEEDaST_SU_EUlST_E_NS1_11comp_targetILNS1_3genE0ELNS1_11target_archE4294967295ELNS1_3gpuE0ELNS1_3repE0EEENS1_30default_config_static_selectorELNS0_4arch9wavefront6targetE0EEEvT1_.num_named_barrier, 0
	.set _ZN7rocprim17ROCPRIM_400000_NS6detail17trampoline_kernelINS0_14default_configENS1_20scan_config_selectorIN3c108BFloat16EEEZZNS1_9scan_implILNS1_25lookback_scan_determinismE0ELb0ELb0ES3_PKS6_PS6_S6_ZZZN2at6native31launch_logcumsumexp_cuda_kernelERKNSD_10TensorBaseESH_lENKUlvE_clEvENKUlvE4_clEvEUlS6_S6_E_S6_EEDaPvRmT3_T4_T5_mT6_P12ihipStream_tbENKUlT_T0_E_clISt17integral_constantIbLb1EESX_IbLb0EEEEDaST_SU_EUlST_E_NS1_11comp_targetILNS1_3genE0ELNS1_11target_archE4294967295ELNS1_3gpuE0ELNS1_3repE0EEENS1_30default_config_static_selectorELNS0_4arch9wavefront6targetE0EEEvT1_.private_seg_size, 0
	.set _ZN7rocprim17ROCPRIM_400000_NS6detail17trampoline_kernelINS0_14default_configENS1_20scan_config_selectorIN3c108BFloat16EEEZZNS1_9scan_implILNS1_25lookback_scan_determinismE0ELb0ELb0ES3_PKS6_PS6_S6_ZZZN2at6native31launch_logcumsumexp_cuda_kernelERKNSD_10TensorBaseESH_lENKUlvE_clEvENKUlvE4_clEvEUlS6_S6_E_S6_EEDaPvRmT3_T4_T5_mT6_P12ihipStream_tbENKUlT_T0_E_clISt17integral_constantIbLb1EESX_IbLb0EEEEDaST_SU_EUlST_E_NS1_11comp_targetILNS1_3genE0ELNS1_11target_archE4294967295ELNS1_3gpuE0ELNS1_3repE0EEENS1_30default_config_static_selectorELNS0_4arch9wavefront6targetE0EEEvT1_.uses_vcc, 0
	.set _ZN7rocprim17ROCPRIM_400000_NS6detail17trampoline_kernelINS0_14default_configENS1_20scan_config_selectorIN3c108BFloat16EEEZZNS1_9scan_implILNS1_25lookback_scan_determinismE0ELb0ELb0ES3_PKS6_PS6_S6_ZZZN2at6native31launch_logcumsumexp_cuda_kernelERKNSD_10TensorBaseESH_lENKUlvE_clEvENKUlvE4_clEvEUlS6_S6_E_S6_EEDaPvRmT3_T4_T5_mT6_P12ihipStream_tbENKUlT_T0_E_clISt17integral_constantIbLb1EESX_IbLb0EEEEDaST_SU_EUlST_E_NS1_11comp_targetILNS1_3genE0ELNS1_11target_archE4294967295ELNS1_3gpuE0ELNS1_3repE0EEENS1_30default_config_static_selectorELNS0_4arch9wavefront6targetE0EEEvT1_.uses_flat_scratch, 0
	.set _ZN7rocprim17ROCPRIM_400000_NS6detail17trampoline_kernelINS0_14default_configENS1_20scan_config_selectorIN3c108BFloat16EEEZZNS1_9scan_implILNS1_25lookback_scan_determinismE0ELb0ELb0ES3_PKS6_PS6_S6_ZZZN2at6native31launch_logcumsumexp_cuda_kernelERKNSD_10TensorBaseESH_lENKUlvE_clEvENKUlvE4_clEvEUlS6_S6_E_S6_EEDaPvRmT3_T4_T5_mT6_P12ihipStream_tbENKUlT_T0_E_clISt17integral_constantIbLb1EESX_IbLb0EEEEDaST_SU_EUlST_E_NS1_11comp_targetILNS1_3genE0ELNS1_11target_archE4294967295ELNS1_3gpuE0ELNS1_3repE0EEENS1_30default_config_static_selectorELNS0_4arch9wavefront6targetE0EEEvT1_.has_dyn_sized_stack, 0
	.set _ZN7rocprim17ROCPRIM_400000_NS6detail17trampoline_kernelINS0_14default_configENS1_20scan_config_selectorIN3c108BFloat16EEEZZNS1_9scan_implILNS1_25lookback_scan_determinismE0ELb0ELb0ES3_PKS6_PS6_S6_ZZZN2at6native31launch_logcumsumexp_cuda_kernelERKNSD_10TensorBaseESH_lENKUlvE_clEvENKUlvE4_clEvEUlS6_S6_E_S6_EEDaPvRmT3_T4_T5_mT6_P12ihipStream_tbENKUlT_T0_E_clISt17integral_constantIbLb1EESX_IbLb0EEEEDaST_SU_EUlST_E_NS1_11comp_targetILNS1_3genE0ELNS1_11target_archE4294967295ELNS1_3gpuE0ELNS1_3repE0EEENS1_30default_config_static_selectorELNS0_4arch9wavefront6targetE0EEEvT1_.has_recursion, 0
	.set _ZN7rocprim17ROCPRIM_400000_NS6detail17trampoline_kernelINS0_14default_configENS1_20scan_config_selectorIN3c108BFloat16EEEZZNS1_9scan_implILNS1_25lookback_scan_determinismE0ELb0ELb0ES3_PKS6_PS6_S6_ZZZN2at6native31launch_logcumsumexp_cuda_kernelERKNSD_10TensorBaseESH_lENKUlvE_clEvENKUlvE4_clEvEUlS6_S6_E_S6_EEDaPvRmT3_T4_T5_mT6_P12ihipStream_tbENKUlT_T0_E_clISt17integral_constantIbLb1EESX_IbLb0EEEEDaST_SU_EUlST_E_NS1_11comp_targetILNS1_3genE0ELNS1_11target_archE4294967295ELNS1_3gpuE0ELNS1_3repE0EEENS1_30default_config_static_selectorELNS0_4arch9wavefront6targetE0EEEvT1_.has_indirect_call, 0
	.section	.AMDGPU.csdata,"",@progbits
; Kernel info:
; codeLenInByte = 0
; TotalNumSgprs: 0
; NumVgprs: 0
; ScratchSize: 0
; MemoryBound: 0
; FloatMode: 240
; IeeeMode: 1
; LDSByteSize: 0 bytes/workgroup (compile time only)
; SGPRBlocks: 0
; VGPRBlocks: 0
; NumSGPRsForWavesPerEU: 1
; NumVGPRsForWavesPerEU: 1
; Occupancy: 16
; WaveLimiterHint : 0
; COMPUTE_PGM_RSRC2:SCRATCH_EN: 0
; COMPUTE_PGM_RSRC2:USER_SGPR: 2
; COMPUTE_PGM_RSRC2:TRAP_HANDLER: 0
; COMPUTE_PGM_RSRC2:TGID_X_EN: 1
; COMPUTE_PGM_RSRC2:TGID_Y_EN: 0
; COMPUTE_PGM_RSRC2:TGID_Z_EN: 0
; COMPUTE_PGM_RSRC2:TIDIG_COMP_CNT: 0
	.section	.text._ZN7rocprim17ROCPRIM_400000_NS6detail17trampoline_kernelINS0_14default_configENS1_20scan_config_selectorIN3c108BFloat16EEEZZNS1_9scan_implILNS1_25lookback_scan_determinismE0ELb0ELb0ES3_PKS6_PS6_S6_ZZZN2at6native31launch_logcumsumexp_cuda_kernelERKNSD_10TensorBaseESH_lENKUlvE_clEvENKUlvE4_clEvEUlS6_S6_E_S6_EEDaPvRmT3_T4_T5_mT6_P12ihipStream_tbENKUlT_T0_E_clISt17integral_constantIbLb1EESX_IbLb0EEEEDaST_SU_EUlST_E_NS1_11comp_targetILNS1_3genE5ELNS1_11target_archE942ELNS1_3gpuE9ELNS1_3repE0EEENS1_30default_config_static_selectorELNS0_4arch9wavefront6targetE0EEEvT1_,"axG",@progbits,_ZN7rocprim17ROCPRIM_400000_NS6detail17trampoline_kernelINS0_14default_configENS1_20scan_config_selectorIN3c108BFloat16EEEZZNS1_9scan_implILNS1_25lookback_scan_determinismE0ELb0ELb0ES3_PKS6_PS6_S6_ZZZN2at6native31launch_logcumsumexp_cuda_kernelERKNSD_10TensorBaseESH_lENKUlvE_clEvENKUlvE4_clEvEUlS6_S6_E_S6_EEDaPvRmT3_T4_T5_mT6_P12ihipStream_tbENKUlT_T0_E_clISt17integral_constantIbLb1EESX_IbLb0EEEEDaST_SU_EUlST_E_NS1_11comp_targetILNS1_3genE5ELNS1_11target_archE942ELNS1_3gpuE9ELNS1_3repE0EEENS1_30default_config_static_selectorELNS0_4arch9wavefront6targetE0EEEvT1_,comdat
	.globl	_ZN7rocprim17ROCPRIM_400000_NS6detail17trampoline_kernelINS0_14default_configENS1_20scan_config_selectorIN3c108BFloat16EEEZZNS1_9scan_implILNS1_25lookback_scan_determinismE0ELb0ELb0ES3_PKS6_PS6_S6_ZZZN2at6native31launch_logcumsumexp_cuda_kernelERKNSD_10TensorBaseESH_lENKUlvE_clEvENKUlvE4_clEvEUlS6_S6_E_S6_EEDaPvRmT3_T4_T5_mT6_P12ihipStream_tbENKUlT_T0_E_clISt17integral_constantIbLb1EESX_IbLb0EEEEDaST_SU_EUlST_E_NS1_11comp_targetILNS1_3genE5ELNS1_11target_archE942ELNS1_3gpuE9ELNS1_3repE0EEENS1_30default_config_static_selectorELNS0_4arch9wavefront6targetE0EEEvT1_ ; -- Begin function _ZN7rocprim17ROCPRIM_400000_NS6detail17trampoline_kernelINS0_14default_configENS1_20scan_config_selectorIN3c108BFloat16EEEZZNS1_9scan_implILNS1_25lookback_scan_determinismE0ELb0ELb0ES3_PKS6_PS6_S6_ZZZN2at6native31launch_logcumsumexp_cuda_kernelERKNSD_10TensorBaseESH_lENKUlvE_clEvENKUlvE4_clEvEUlS6_S6_E_S6_EEDaPvRmT3_T4_T5_mT6_P12ihipStream_tbENKUlT_T0_E_clISt17integral_constantIbLb1EESX_IbLb0EEEEDaST_SU_EUlST_E_NS1_11comp_targetILNS1_3genE5ELNS1_11target_archE942ELNS1_3gpuE9ELNS1_3repE0EEENS1_30default_config_static_selectorELNS0_4arch9wavefront6targetE0EEEvT1_
	.p2align	8
	.type	_ZN7rocprim17ROCPRIM_400000_NS6detail17trampoline_kernelINS0_14default_configENS1_20scan_config_selectorIN3c108BFloat16EEEZZNS1_9scan_implILNS1_25lookback_scan_determinismE0ELb0ELb0ES3_PKS6_PS6_S6_ZZZN2at6native31launch_logcumsumexp_cuda_kernelERKNSD_10TensorBaseESH_lENKUlvE_clEvENKUlvE4_clEvEUlS6_S6_E_S6_EEDaPvRmT3_T4_T5_mT6_P12ihipStream_tbENKUlT_T0_E_clISt17integral_constantIbLb1EESX_IbLb0EEEEDaST_SU_EUlST_E_NS1_11comp_targetILNS1_3genE5ELNS1_11target_archE942ELNS1_3gpuE9ELNS1_3repE0EEENS1_30default_config_static_selectorELNS0_4arch9wavefront6targetE0EEEvT1_,@function
_ZN7rocprim17ROCPRIM_400000_NS6detail17trampoline_kernelINS0_14default_configENS1_20scan_config_selectorIN3c108BFloat16EEEZZNS1_9scan_implILNS1_25lookback_scan_determinismE0ELb0ELb0ES3_PKS6_PS6_S6_ZZZN2at6native31launch_logcumsumexp_cuda_kernelERKNSD_10TensorBaseESH_lENKUlvE_clEvENKUlvE4_clEvEUlS6_S6_E_S6_EEDaPvRmT3_T4_T5_mT6_P12ihipStream_tbENKUlT_T0_E_clISt17integral_constantIbLb1EESX_IbLb0EEEEDaST_SU_EUlST_E_NS1_11comp_targetILNS1_3genE5ELNS1_11target_archE942ELNS1_3gpuE9ELNS1_3repE0EEENS1_30default_config_static_selectorELNS0_4arch9wavefront6targetE0EEEvT1_: ; @_ZN7rocprim17ROCPRIM_400000_NS6detail17trampoline_kernelINS0_14default_configENS1_20scan_config_selectorIN3c108BFloat16EEEZZNS1_9scan_implILNS1_25lookback_scan_determinismE0ELb0ELb0ES3_PKS6_PS6_S6_ZZZN2at6native31launch_logcumsumexp_cuda_kernelERKNSD_10TensorBaseESH_lENKUlvE_clEvENKUlvE4_clEvEUlS6_S6_E_S6_EEDaPvRmT3_T4_T5_mT6_P12ihipStream_tbENKUlT_T0_E_clISt17integral_constantIbLb1EESX_IbLb0EEEEDaST_SU_EUlST_E_NS1_11comp_targetILNS1_3genE5ELNS1_11target_archE942ELNS1_3gpuE9ELNS1_3repE0EEENS1_30default_config_static_selectorELNS0_4arch9wavefront6targetE0EEEvT1_
; %bb.0:
	.section	.rodata,"a",@progbits
	.p2align	6, 0x0
	.amdhsa_kernel _ZN7rocprim17ROCPRIM_400000_NS6detail17trampoline_kernelINS0_14default_configENS1_20scan_config_selectorIN3c108BFloat16EEEZZNS1_9scan_implILNS1_25lookback_scan_determinismE0ELb0ELb0ES3_PKS6_PS6_S6_ZZZN2at6native31launch_logcumsumexp_cuda_kernelERKNSD_10TensorBaseESH_lENKUlvE_clEvENKUlvE4_clEvEUlS6_S6_E_S6_EEDaPvRmT3_T4_T5_mT6_P12ihipStream_tbENKUlT_T0_E_clISt17integral_constantIbLb1EESX_IbLb0EEEEDaST_SU_EUlST_E_NS1_11comp_targetILNS1_3genE5ELNS1_11target_archE942ELNS1_3gpuE9ELNS1_3repE0EEENS1_30default_config_static_selectorELNS0_4arch9wavefront6targetE0EEEvT1_
		.amdhsa_group_segment_fixed_size 0
		.amdhsa_private_segment_fixed_size 0
		.amdhsa_kernarg_size 96
		.amdhsa_user_sgpr_count 2
		.amdhsa_user_sgpr_dispatch_ptr 0
		.amdhsa_user_sgpr_queue_ptr 0
		.amdhsa_user_sgpr_kernarg_segment_ptr 1
		.amdhsa_user_sgpr_dispatch_id 0
		.amdhsa_user_sgpr_private_segment_size 0
		.amdhsa_wavefront_size32 1
		.amdhsa_uses_dynamic_stack 0
		.amdhsa_enable_private_segment 0
		.amdhsa_system_sgpr_workgroup_id_x 1
		.amdhsa_system_sgpr_workgroup_id_y 0
		.amdhsa_system_sgpr_workgroup_id_z 0
		.amdhsa_system_sgpr_workgroup_info 0
		.amdhsa_system_vgpr_workitem_id 0
		.amdhsa_next_free_vgpr 1
		.amdhsa_next_free_sgpr 1
		.amdhsa_reserve_vcc 0
		.amdhsa_float_round_mode_32 0
		.amdhsa_float_round_mode_16_64 0
		.amdhsa_float_denorm_mode_32 3
		.amdhsa_float_denorm_mode_16_64 3
		.amdhsa_fp16_overflow 0
		.amdhsa_workgroup_processor_mode 1
		.amdhsa_memory_ordered 1
		.amdhsa_forward_progress 1
		.amdhsa_inst_pref_size 0
		.amdhsa_round_robin_scheduling 0
		.amdhsa_exception_fp_ieee_invalid_op 0
		.amdhsa_exception_fp_denorm_src 0
		.amdhsa_exception_fp_ieee_div_zero 0
		.amdhsa_exception_fp_ieee_overflow 0
		.amdhsa_exception_fp_ieee_underflow 0
		.amdhsa_exception_fp_ieee_inexact 0
		.amdhsa_exception_int_div_zero 0
	.end_amdhsa_kernel
	.section	.text._ZN7rocprim17ROCPRIM_400000_NS6detail17trampoline_kernelINS0_14default_configENS1_20scan_config_selectorIN3c108BFloat16EEEZZNS1_9scan_implILNS1_25lookback_scan_determinismE0ELb0ELb0ES3_PKS6_PS6_S6_ZZZN2at6native31launch_logcumsumexp_cuda_kernelERKNSD_10TensorBaseESH_lENKUlvE_clEvENKUlvE4_clEvEUlS6_S6_E_S6_EEDaPvRmT3_T4_T5_mT6_P12ihipStream_tbENKUlT_T0_E_clISt17integral_constantIbLb1EESX_IbLb0EEEEDaST_SU_EUlST_E_NS1_11comp_targetILNS1_3genE5ELNS1_11target_archE942ELNS1_3gpuE9ELNS1_3repE0EEENS1_30default_config_static_selectorELNS0_4arch9wavefront6targetE0EEEvT1_,"axG",@progbits,_ZN7rocprim17ROCPRIM_400000_NS6detail17trampoline_kernelINS0_14default_configENS1_20scan_config_selectorIN3c108BFloat16EEEZZNS1_9scan_implILNS1_25lookback_scan_determinismE0ELb0ELb0ES3_PKS6_PS6_S6_ZZZN2at6native31launch_logcumsumexp_cuda_kernelERKNSD_10TensorBaseESH_lENKUlvE_clEvENKUlvE4_clEvEUlS6_S6_E_S6_EEDaPvRmT3_T4_T5_mT6_P12ihipStream_tbENKUlT_T0_E_clISt17integral_constantIbLb1EESX_IbLb0EEEEDaST_SU_EUlST_E_NS1_11comp_targetILNS1_3genE5ELNS1_11target_archE942ELNS1_3gpuE9ELNS1_3repE0EEENS1_30default_config_static_selectorELNS0_4arch9wavefront6targetE0EEEvT1_,comdat
.Lfunc_end485:
	.size	_ZN7rocprim17ROCPRIM_400000_NS6detail17trampoline_kernelINS0_14default_configENS1_20scan_config_selectorIN3c108BFloat16EEEZZNS1_9scan_implILNS1_25lookback_scan_determinismE0ELb0ELb0ES3_PKS6_PS6_S6_ZZZN2at6native31launch_logcumsumexp_cuda_kernelERKNSD_10TensorBaseESH_lENKUlvE_clEvENKUlvE4_clEvEUlS6_S6_E_S6_EEDaPvRmT3_T4_T5_mT6_P12ihipStream_tbENKUlT_T0_E_clISt17integral_constantIbLb1EESX_IbLb0EEEEDaST_SU_EUlST_E_NS1_11comp_targetILNS1_3genE5ELNS1_11target_archE942ELNS1_3gpuE9ELNS1_3repE0EEENS1_30default_config_static_selectorELNS0_4arch9wavefront6targetE0EEEvT1_, .Lfunc_end485-_ZN7rocprim17ROCPRIM_400000_NS6detail17trampoline_kernelINS0_14default_configENS1_20scan_config_selectorIN3c108BFloat16EEEZZNS1_9scan_implILNS1_25lookback_scan_determinismE0ELb0ELb0ES3_PKS6_PS6_S6_ZZZN2at6native31launch_logcumsumexp_cuda_kernelERKNSD_10TensorBaseESH_lENKUlvE_clEvENKUlvE4_clEvEUlS6_S6_E_S6_EEDaPvRmT3_T4_T5_mT6_P12ihipStream_tbENKUlT_T0_E_clISt17integral_constantIbLb1EESX_IbLb0EEEEDaST_SU_EUlST_E_NS1_11comp_targetILNS1_3genE5ELNS1_11target_archE942ELNS1_3gpuE9ELNS1_3repE0EEENS1_30default_config_static_selectorELNS0_4arch9wavefront6targetE0EEEvT1_
                                        ; -- End function
	.set _ZN7rocprim17ROCPRIM_400000_NS6detail17trampoline_kernelINS0_14default_configENS1_20scan_config_selectorIN3c108BFloat16EEEZZNS1_9scan_implILNS1_25lookback_scan_determinismE0ELb0ELb0ES3_PKS6_PS6_S6_ZZZN2at6native31launch_logcumsumexp_cuda_kernelERKNSD_10TensorBaseESH_lENKUlvE_clEvENKUlvE4_clEvEUlS6_S6_E_S6_EEDaPvRmT3_T4_T5_mT6_P12ihipStream_tbENKUlT_T0_E_clISt17integral_constantIbLb1EESX_IbLb0EEEEDaST_SU_EUlST_E_NS1_11comp_targetILNS1_3genE5ELNS1_11target_archE942ELNS1_3gpuE9ELNS1_3repE0EEENS1_30default_config_static_selectorELNS0_4arch9wavefront6targetE0EEEvT1_.num_vgpr, 0
	.set _ZN7rocprim17ROCPRIM_400000_NS6detail17trampoline_kernelINS0_14default_configENS1_20scan_config_selectorIN3c108BFloat16EEEZZNS1_9scan_implILNS1_25lookback_scan_determinismE0ELb0ELb0ES3_PKS6_PS6_S6_ZZZN2at6native31launch_logcumsumexp_cuda_kernelERKNSD_10TensorBaseESH_lENKUlvE_clEvENKUlvE4_clEvEUlS6_S6_E_S6_EEDaPvRmT3_T4_T5_mT6_P12ihipStream_tbENKUlT_T0_E_clISt17integral_constantIbLb1EESX_IbLb0EEEEDaST_SU_EUlST_E_NS1_11comp_targetILNS1_3genE5ELNS1_11target_archE942ELNS1_3gpuE9ELNS1_3repE0EEENS1_30default_config_static_selectorELNS0_4arch9wavefront6targetE0EEEvT1_.num_agpr, 0
	.set _ZN7rocprim17ROCPRIM_400000_NS6detail17trampoline_kernelINS0_14default_configENS1_20scan_config_selectorIN3c108BFloat16EEEZZNS1_9scan_implILNS1_25lookback_scan_determinismE0ELb0ELb0ES3_PKS6_PS6_S6_ZZZN2at6native31launch_logcumsumexp_cuda_kernelERKNSD_10TensorBaseESH_lENKUlvE_clEvENKUlvE4_clEvEUlS6_S6_E_S6_EEDaPvRmT3_T4_T5_mT6_P12ihipStream_tbENKUlT_T0_E_clISt17integral_constantIbLb1EESX_IbLb0EEEEDaST_SU_EUlST_E_NS1_11comp_targetILNS1_3genE5ELNS1_11target_archE942ELNS1_3gpuE9ELNS1_3repE0EEENS1_30default_config_static_selectorELNS0_4arch9wavefront6targetE0EEEvT1_.numbered_sgpr, 0
	.set _ZN7rocprim17ROCPRIM_400000_NS6detail17trampoline_kernelINS0_14default_configENS1_20scan_config_selectorIN3c108BFloat16EEEZZNS1_9scan_implILNS1_25lookback_scan_determinismE0ELb0ELb0ES3_PKS6_PS6_S6_ZZZN2at6native31launch_logcumsumexp_cuda_kernelERKNSD_10TensorBaseESH_lENKUlvE_clEvENKUlvE4_clEvEUlS6_S6_E_S6_EEDaPvRmT3_T4_T5_mT6_P12ihipStream_tbENKUlT_T0_E_clISt17integral_constantIbLb1EESX_IbLb0EEEEDaST_SU_EUlST_E_NS1_11comp_targetILNS1_3genE5ELNS1_11target_archE942ELNS1_3gpuE9ELNS1_3repE0EEENS1_30default_config_static_selectorELNS0_4arch9wavefront6targetE0EEEvT1_.num_named_barrier, 0
	.set _ZN7rocprim17ROCPRIM_400000_NS6detail17trampoline_kernelINS0_14default_configENS1_20scan_config_selectorIN3c108BFloat16EEEZZNS1_9scan_implILNS1_25lookback_scan_determinismE0ELb0ELb0ES3_PKS6_PS6_S6_ZZZN2at6native31launch_logcumsumexp_cuda_kernelERKNSD_10TensorBaseESH_lENKUlvE_clEvENKUlvE4_clEvEUlS6_S6_E_S6_EEDaPvRmT3_T4_T5_mT6_P12ihipStream_tbENKUlT_T0_E_clISt17integral_constantIbLb1EESX_IbLb0EEEEDaST_SU_EUlST_E_NS1_11comp_targetILNS1_3genE5ELNS1_11target_archE942ELNS1_3gpuE9ELNS1_3repE0EEENS1_30default_config_static_selectorELNS0_4arch9wavefront6targetE0EEEvT1_.private_seg_size, 0
	.set _ZN7rocprim17ROCPRIM_400000_NS6detail17trampoline_kernelINS0_14default_configENS1_20scan_config_selectorIN3c108BFloat16EEEZZNS1_9scan_implILNS1_25lookback_scan_determinismE0ELb0ELb0ES3_PKS6_PS6_S6_ZZZN2at6native31launch_logcumsumexp_cuda_kernelERKNSD_10TensorBaseESH_lENKUlvE_clEvENKUlvE4_clEvEUlS6_S6_E_S6_EEDaPvRmT3_T4_T5_mT6_P12ihipStream_tbENKUlT_T0_E_clISt17integral_constantIbLb1EESX_IbLb0EEEEDaST_SU_EUlST_E_NS1_11comp_targetILNS1_3genE5ELNS1_11target_archE942ELNS1_3gpuE9ELNS1_3repE0EEENS1_30default_config_static_selectorELNS0_4arch9wavefront6targetE0EEEvT1_.uses_vcc, 0
	.set _ZN7rocprim17ROCPRIM_400000_NS6detail17trampoline_kernelINS0_14default_configENS1_20scan_config_selectorIN3c108BFloat16EEEZZNS1_9scan_implILNS1_25lookback_scan_determinismE0ELb0ELb0ES3_PKS6_PS6_S6_ZZZN2at6native31launch_logcumsumexp_cuda_kernelERKNSD_10TensorBaseESH_lENKUlvE_clEvENKUlvE4_clEvEUlS6_S6_E_S6_EEDaPvRmT3_T4_T5_mT6_P12ihipStream_tbENKUlT_T0_E_clISt17integral_constantIbLb1EESX_IbLb0EEEEDaST_SU_EUlST_E_NS1_11comp_targetILNS1_3genE5ELNS1_11target_archE942ELNS1_3gpuE9ELNS1_3repE0EEENS1_30default_config_static_selectorELNS0_4arch9wavefront6targetE0EEEvT1_.uses_flat_scratch, 0
	.set _ZN7rocprim17ROCPRIM_400000_NS6detail17trampoline_kernelINS0_14default_configENS1_20scan_config_selectorIN3c108BFloat16EEEZZNS1_9scan_implILNS1_25lookback_scan_determinismE0ELb0ELb0ES3_PKS6_PS6_S6_ZZZN2at6native31launch_logcumsumexp_cuda_kernelERKNSD_10TensorBaseESH_lENKUlvE_clEvENKUlvE4_clEvEUlS6_S6_E_S6_EEDaPvRmT3_T4_T5_mT6_P12ihipStream_tbENKUlT_T0_E_clISt17integral_constantIbLb1EESX_IbLb0EEEEDaST_SU_EUlST_E_NS1_11comp_targetILNS1_3genE5ELNS1_11target_archE942ELNS1_3gpuE9ELNS1_3repE0EEENS1_30default_config_static_selectorELNS0_4arch9wavefront6targetE0EEEvT1_.has_dyn_sized_stack, 0
	.set _ZN7rocprim17ROCPRIM_400000_NS6detail17trampoline_kernelINS0_14default_configENS1_20scan_config_selectorIN3c108BFloat16EEEZZNS1_9scan_implILNS1_25lookback_scan_determinismE0ELb0ELb0ES3_PKS6_PS6_S6_ZZZN2at6native31launch_logcumsumexp_cuda_kernelERKNSD_10TensorBaseESH_lENKUlvE_clEvENKUlvE4_clEvEUlS6_S6_E_S6_EEDaPvRmT3_T4_T5_mT6_P12ihipStream_tbENKUlT_T0_E_clISt17integral_constantIbLb1EESX_IbLb0EEEEDaST_SU_EUlST_E_NS1_11comp_targetILNS1_3genE5ELNS1_11target_archE942ELNS1_3gpuE9ELNS1_3repE0EEENS1_30default_config_static_selectorELNS0_4arch9wavefront6targetE0EEEvT1_.has_recursion, 0
	.set _ZN7rocprim17ROCPRIM_400000_NS6detail17trampoline_kernelINS0_14default_configENS1_20scan_config_selectorIN3c108BFloat16EEEZZNS1_9scan_implILNS1_25lookback_scan_determinismE0ELb0ELb0ES3_PKS6_PS6_S6_ZZZN2at6native31launch_logcumsumexp_cuda_kernelERKNSD_10TensorBaseESH_lENKUlvE_clEvENKUlvE4_clEvEUlS6_S6_E_S6_EEDaPvRmT3_T4_T5_mT6_P12ihipStream_tbENKUlT_T0_E_clISt17integral_constantIbLb1EESX_IbLb0EEEEDaST_SU_EUlST_E_NS1_11comp_targetILNS1_3genE5ELNS1_11target_archE942ELNS1_3gpuE9ELNS1_3repE0EEENS1_30default_config_static_selectorELNS0_4arch9wavefront6targetE0EEEvT1_.has_indirect_call, 0
	.section	.AMDGPU.csdata,"",@progbits
; Kernel info:
; codeLenInByte = 0
; TotalNumSgprs: 0
; NumVgprs: 0
; ScratchSize: 0
; MemoryBound: 0
; FloatMode: 240
; IeeeMode: 1
; LDSByteSize: 0 bytes/workgroup (compile time only)
; SGPRBlocks: 0
; VGPRBlocks: 0
; NumSGPRsForWavesPerEU: 1
; NumVGPRsForWavesPerEU: 1
; Occupancy: 16
; WaveLimiterHint : 0
; COMPUTE_PGM_RSRC2:SCRATCH_EN: 0
; COMPUTE_PGM_RSRC2:USER_SGPR: 2
; COMPUTE_PGM_RSRC2:TRAP_HANDLER: 0
; COMPUTE_PGM_RSRC2:TGID_X_EN: 1
; COMPUTE_PGM_RSRC2:TGID_Y_EN: 0
; COMPUTE_PGM_RSRC2:TGID_Z_EN: 0
; COMPUTE_PGM_RSRC2:TIDIG_COMP_CNT: 0
	.section	.text._ZN7rocprim17ROCPRIM_400000_NS6detail17trampoline_kernelINS0_14default_configENS1_20scan_config_selectorIN3c108BFloat16EEEZZNS1_9scan_implILNS1_25lookback_scan_determinismE0ELb0ELb0ES3_PKS6_PS6_S6_ZZZN2at6native31launch_logcumsumexp_cuda_kernelERKNSD_10TensorBaseESH_lENKUlvE_clEvENKUlvE4_clEvEUlS6_S6_E_S6_EEDaPvRmT3_T4_T5_mT6_P12ihipStream_tbENKUlT_T0_E_clISt17integral_constantIbLb1EESX_IbLb0EEEEDaST_SU_EUlST_E_NS1_11comp_targetILNS1_3genE4ELNS1_11target_archE910ELNS1_3gpuE8ELNS1_3repE0EEENS1_30default_config_static_selectorELNS0_4arch9wavefront6targetE0EEEvT1_,"axG",@progbits,_ZN7rocprim17ROCPRIM_400000_NS6detail17trampoline_kernelINS0_14default_configENS1_20scan_config_selectorIN3c108BFloat16EEEZZNS1_9scan_implILNS1_25lookback_scan_determinismE0ELb0ELb0ES3_PKS6_PS6_S6_ZZZN2at6native31launch_logcumsumexp_cuda_kernelERKNSD_10TensorBaseESH_lENKUlvE_clEvENKUlvE4_clEvEUlS6_S6_E_S6_EEDaPvRmT3_T4_T5_mT6_P12ihipStream_tbENKUlT_T0_E_clISt17integral_constantIbLb1EESX_IbLb0EEEEDaST_SU_EUlST_E_NS1_11comp_targetILNS1_3genE4ELNS1_11target_archE910ELNS1_3gpuE8ELNS1_3repE0EEENS1_30default_config_static_selectorELNS0_4arch9wavefront6targetE0EEEvT1_,comdat
	.globl	_ZN7rocprim17ROCPRIM_400000_NS6detail17trampoline_kernelINS0_14default_configENS1_20scan_config_selectorIN3c108BFloat16EEEZZNS1_9scan_implILNS1_25lookback_scan_determinismE0ELb0ELb0ES3_PKS6_PS6_S6_ZZZN2at6native31launch_logcumsumexp_cuda_kernelERKNSD_10TensorBaseESH_lENKUlvE_clEvENKUlvE4_clEvEUlS6_S6_E_S6_EEDaPvRmT3_T4_T5_mT6_P12ihipStream_tbENKUlT_T0_E_clISt17integral_constantIbLb1EESX_IbLb0EEEEDaST_SU_EUlST_E_NS1_11comp_targetILNS1_3genE4ELNS1_11target_archE910ELNS1_3gpuE8ELNS1_3repE0EEENS1_30default_config_static_selectorELNS0_4arch9wavefront6targetE0EEEvT1_ ; -- Begin function _ZN7rocprim17ROCPRIM_400000_NS6detail17trampoline_kernelINS0_14default_configENS1_20scan_config_selectorIN3c108BFloat16EEEZZNS1_9scan_implILNS1_25lookback_scan_determinismE0ELb0ELb0ES3_PKS6_PS6_S6_ZZZN2at6native31launch_logcumsumexp_cuda_kernelERKNSD_10TensorBaseESH_lENKUlvE_clEvENKUlvE4_clEvEUlS6_S6_E_S6_EEDaPvRmT3_T4_T5_mT6_P12ihipStream_tbENKUlT_T0_E_clISt17integral_constantIbLb1EESX_IbLb0EEEEDaST_SU_EUlST_E_NS1_11comp_targetILNS1_3genE4ELNS1_11target_archE910ELNS1_3gpuE8ELNS1_3repE0EEENS1_30default_config_static_selectorELNS0_4arch9wavefront6targetE0EEEvT1_
	.p2align	8
	.type	_ZN7rocprim17ROCPRIM_400000_NS6detail17trampoline_kernelINS0_14default_configENS1_20scan_config_selectorIN3c108BFloat16EEEZZNS1_9scan_implILNS1_25lookback_scan_determinismE0ELb0ELb0ES3_PKS6_PS6_S6_ZZZN2at6native31launch_logcumsumexp_cuda_kernelERKNSD_10TensorBaseESH_lENKUlvE_clEvENKUlvE4_clEvEUlS6_S6_E_S6_EEDaPvRmT3_T4_T5_mT6_P12ihipStream_tbENKUlT_T0_E_clISt17integral_constantIbLb1EESX_IbLb0EEEEDaST_SU_EUlST_E_NS1_11comp_targetILNS1_3genE4ELNS1_11target_archE910ELNS1_3gpuE8ELNS1_3repE0EEENS1_30default_config_static_selectorELNS0_4arch9wavefront6targetE0EEEvT1_,@function
_ZN7rocprim17ROCPRIM_400000_NS6detail17trampoline_kernelINS0_14default_configENS1_20scan_config_selectorIN3c108BFloat16EEEZZNS1_9scan_implILNS1_25lookback_scan_determinismE0ELb0ELb0ES3_PKS6_PS6_S6_ZZZN2at6native31launch_logcumsumexp_cuda_kernelERKNSD_10TensorBaseESH_lENKUlvE_clEvENKUlvE4_clEvEUlS6_S6_E_S6_EEDaPvRmT3_T4_T5_mT6_P12ihipStream_tbENKUlT_T0_E_clISt17integral_constantIbLb1EESX_IbLb0EEEEDaST_SU_EUlST_E_NS1_11comp_targetILNS1_3genE4ELNS1_11target_archE910ELNS1_3gpuE8ELNS1_3repE0EEENS1_30default_config_static_selectorELNS0_4arch9wavefront6targetE0EEEvT1_: ; @_ZN7rocprim17ROCPRIM_400000_NS6detail17trampoline_kernelINS0_14default_configENS1_20scan_config_selectorIN3c108BFloat16EEEZZNS1_9scan_implILNS1_25lookback_scan_determinismE0ELb0ELb0ES3_PKS6_PS6_S6_ZZZN2at6native31launch_logcumsumexp_cuda_kernelERKNSD_10TensorBaseESH_lENKUlvE_clEvENKUlvE4_clEvEUlS6_S6_E_S6_EEDaPvRmT3_T4_T5_mT6_P12ihipStream_tbENKUlT_T0_E_clISt17integral_constantIbLb1EESX_IbLb0EEEEDaST_SU_EUlST_E_NS1_11comp_targetILNS1_3genE4ELNS1_11target_archE910ELNS1_3gpuE8ELNS1_3repE0EEENS1_30default_config_static_selectorELNS0_4arch9wavefront6targetE0EEEvT1_
; %bb.0:
	.section	.rodata,"a",@progbits
	.p2align	6, 0x0
	.amdhsa_kernel _ZN7rocprim17ROCPRIM_400000_NS6detail17trampoline_kernelINS0_14default_configENS1_20scan_config_selectorIN3c108BFloat16EEEZZNS1_9scan_implILNS1_25lookback_scan_determinismE0ELb0ELb0ES3_PKS6_PS6_S6_ZZZN2at6native31launch_logcumsumexp_cuda_kernelERKNSD_10TensorBaseESH_lENKUlvE_clEvENKUlvE4_clEvEUlS6_S6_E_S6_EEDaPvRmT3_T4_T5_mT6_P12ihipStream_tbENKUlT_T0_E_clISt17integral_constantIbLb1EESX_IbLb0EEEEDaST_SU_EUlST_E_NS1_11comp_targetILNS1_3genE4ELNS1_11target_archE910ELNS1_3gpuE8ELNS1_3repE0EEENS1_30default_config_static_selectorELNS0_4arch9wavefront6targetE0EEEvT1_
		.amdhsa_group_segment_fixed_size 0
		.amdhsa_private_segment_fixed_size 0
		.amdhsa_kernarg_size 96
		.amdhsa_user_sgpr_count 2
		.amdhsa_user_sgpr_dispatch_ptr 0
		.amdhsa_user_sgpr_queue_ptr 0
		.amdhsa_user_sgpr_kernarg_segment_ptr 1
		.amdhsa_user_sgpr_dispatch_id 0
		.amdhsa_user_sgpr_private_segment_size 0
		.amdhsa_wavefront_size32 1
		.amdhsa_uses_dynamic_stack 0
		.amdhsa_enable_private_segment 0
		.amdhsa_system_sgpr_workgroup_id_x 1
		.amdhsa_system_sgpr_workgroup_id_y 0
		.amdhsa_system_sgpr_workgroup_id_z 0
		.amdhsa_system_sgpr_workgroup_info 0
		.amdhsa_system_vgpr_workitem_id 0
		.amdhsa_next_free_vgpr 1
		.amdhsa_next_free_sgpr 1
		.amdhsa_reserve_vcc 0
		.amdhsa_float_round_mode_32 0
		.amdhsa_float_round_mode_16_64 0
		.amdhsa_float_denorm_mode_32 3
		.amdhsa_float_denorm_mode_16_64 3
		.amdhsa_fp16_overflow 0
		.amdhsa_workgroup_processor_mode 1
		.amdhsa_memory_ordered 1
		.amdhsa_forward_progress 1
		.amdhsa_inst_pref_size 0
		.amdhsa_round_robin_scheduling 0
		.amdhsa_exception_fp_ieee_invalid_op 0
		.amdhsa_exception_fp_denorm_src 0
		.amdhsa_exception_fp_ieee_div_zero 0
		.amdhsa_exception_fp_ieee_overflow 0
		.amdhsa_exception_fp_ieee_underflow 0
		.amdhsa_exception_fp_ieee_inexact 0
		.amdhsa_exception_int_div_zero 0
	.end_amdhsa_kernel
	.section	.text._ZN7rocprim17ROCPRIM_400000_NS6detail17trampoline_kernelINS0_14default_configENS1_20scan_config_selectorIN3c108BFloat16EEEZZNS1_9scan_implILNS1_25lookback_scan_determinismE0ELb0ELb0ES3_PKS6_PS6_S6_ZZZN2at6native31launch_logcumsumexp_cuda_kernelERKNSD_10TensorBaseESH_lENKUlvE_clEvENKUlvE4_clEvEUlS6_S6_E_S6_EEDaPvRmT3_T4_T5_mT6_P12ihipStream_tbENKUlT_T0_E_clISt17integral_constantIbLb1EESX_IbLb0EEEEDaST_SU_EUlST_E_NS1_11comp_targetILNS1_3genE4ELNS1_11target_archE910ELNS1_3gpuE8ELNS1_3repE0EEENS1_30default_config_static_selectorELNS0_4arch9wavefront6targetE0EEEvT1_,"axG",@progbits,_ZN7rocprim17ROCPRIM_400000_NS6detail17trampoline_kernelINS0_14default_configENS1_20scan_config_selectorIN3c108BFloat16EEEZZNS1_9scan_implILNS1_25lookback_scan_determinismE0ELb0ELb0ES3_PKS6_PS6_S6_ZZZN2at6native31launch_logcumsumexp_cuda_kernelERKNSD_10TensorBaseESH_lENKUlvE_clEvENKUlvE4_clEvEUlS6_S6_E_S6_EEDaPvRmT3_T4_T5_mT6_P12ihipStream_tbENKUlT_T0_E_clISt17integral_constantIbLb1EESX_IbLb0EEEEDaST_SU_EUlST_E_NS1_11comp_targetILNS1_3genE4ELNS1_11target_archE910ELNS1_3gpuE8ELNS1_3repE0EEENS1_30default_config_static_selectorELNS0_4arch9wavefront6targetE0EEEvT1_,comdat
.Lfunc_end486:
	.size	_ZN7rocprim17ROCPRIM_400000_NS6detail17trampoline_kernelINS0_14default_configENS1_20scan_config_selectorIN3c108BFloat16EEEZZNS1_9scan_implILNS1_25lookback_scan_determinismE0ELb0ELb0ES3_PKS6_PS6_S6_ZZZN2at6native31launch_logcumsumexp_cuda_kernelERKNSD_10TensorBaseESH_lENKUlvE_clEvENKUlvE4_clEvEUlS6_S6_E_S6_EEDaPvRmT3_T4_T5_mT6_P12ihipStream_tbENKUlT_T0_E_clISt17integral_constantIbLb1EESX_IbLb0EEEEDaST_SU_EUlST_E_NS1_11comp_targetILNS1_3genE4ELNS1_11target_archE910ELNS1_3gpuE8ELNS1_3repE0EEENS1_30default_config_static_selectorELNS0_4arch9wavefront6targetE0EEEvT1_, .Lfunc_end486-_ZN7rocprim17ROCPRIM_400000_NS6detail17trampoline_kernelINS0_14default_configENS1_20scan_config_selectorIN3c108BFloat16EEEZZNS1_9scan_implILNS1_25lookback_scan_determinismE0ELb0ELb0ES3_PKS6_PS6_S6_ZZZN2at6native31launch_logcumsumexp_cuda_kernelERKNSD_10TensorBaseESH_lENKUlvE_clEvENKUlvE4_clEvEUlS6_S6_E_S6_EEDaPvRmT3_T4_T5_mT6_P12ihipStream_tbENKUlT_T0_E_clISt17integral_constantIbLb1EESX_IbLb0EEEEDaST_SU_EUlST_E_NS1_11comp_targetILNS1_3genE4ELNS1_11target_archE910ELNS1_3gpuE8ELNS1_3repE0EEENS1_30default_config_static_selectorELNS0_4arch9wavefront6targetE0EEEvT1_
                                        ; -- End function
	.set _ZN7rocprim17ROCPRIM_400000_NS6detail17trampoline_kernelINS0_14default_configENS1_20scan_config_selectorIN3c108BFloat16EEEZZNS1_9scan_implILNS1_25lookback_scan_determinismE0ELb0ELb0ES3_PKS6_PS6_S6_ZZZN2at6native31launch_logcumsumexp_cuda_kernelERKNSD_10TensorBaseESH_lENKUlvE_clEvENKUlvE4_clEvEUlS6_S6_E_S6_EEDaPvRmT3_T4_T5_mT6_P12ihipStream_tbENKUlT_T0_E_clISt17integral_constantIbLb1EESX_IbLb0EEEEDaST_SU_EUlST_E_NS1_11comp_targetILNS1_3genE4ELNS1_11target_archE910ELNS1_3gpuE8ELNS1_3repE0EEENS1_30default_config_static_selectorELNS0_4arch9wavefront6targetE0EEEvT1_.num_vgpr, 0
	.set _ZN7rocprim17ROCPRIM_400000_NS6detail17trampoline_kernelINS0_14default_configENS1_20scan_config_selectorIN3c108BFloat16EEEZZNS1_9scan_implILNS1_25lookback_scan_determinismE0ELb0ELb0ES3_PKS6_PS6_S6_ZZZN2at6native31launch_logcumsumexp_cuda_kernelERKNSD_10TensorBaseESH_lENKUlvE_clEvENKUlvE4_clEvEUlS6_S6_E_S6_EEDaPvRmT3_T4_T5_mT6_P12ihipStream_tbENKUlT_T0_E_clISt17integral_constantIbLb1EESX_IbLb0EEEEDaST_SU_EUlST_E_NS1_11comp_targetILNS1_3genE4ELNS1_11target_archE910ELNS1_3gpuE8ELNS1_3repE0EEENS1_30default_config_static_selectorELNS0_4arch9wavefront6targetE0EEEvT1_.num_agpr, 0
	.set _ZN7rocprim17ROCPRIM_400000_NS6detail17trampoline_kernelINS0_14default_configENS1_20scan_config_selectorIN3c108BFloat16EEEZZNS1_9scan_implILNS1_25lookback_scan_determinismE0ELb0ELb0ES3_PKS6_PS6_S6_ZZZN2at6native31launch_logcumsumexp_cuda_kernelERKNSD_10TensorBaseESH_lENKUlvE_clEvENKUlvE4_clEvEUlS6_S6_E_S6_EEDaPvRmT3_T4_T5_mT6_P12ihipStream_tbENKUlT_T0_E_clISt17integral_constantIbLb1EESX_IbLb0EEEEDaST_SU_EUlST_E_NS1_11comp_targetILNS1_3genE4ELNS1_11target_archE910ELNS1_3gpuE8ELNS1_3repE0EEENS1_30default_config_static_selectorELNS0_4arch9wavefront6targetE0EEEvT1_.numbered_sgpr, 0
	.set _ZN7rocprim17ROCPRIM_400000_NS6detail17trampoline_kernelINS0_14default_configENS1_20scan_config_selectorIN3c108BFloat16EEEZZNS1_9scan_implILNS1_25lookback_scan_determinismE0ELb0ELb0ES3_PKS6_PS6_S6_ZZZN2at6native31launch_logcumsumexp_cuda_kernelERKNSD_10TensorBaseESH_lENKUlvE_clEvENKUlvE4_clEvEUlS6_S6_E_S6_EEDaPvRmT3_T4_T5_mT6_P12ihipStream_tbENKUlT_T0_E_clISt17integral_constantIbLb1EESX_IbLb0EEEEDaST_SU_EUlST_E_NS1_11comp_targetILNS1_3genE4ELNS1_11target_archE910ELNS1_3gpuE8ELNS1_3repE0EEENS1_30default_config_static_selectorELNS0_4arch9wavefront6targetE0EEEvT1_.num_named_barrier, 0
	.set _ZN7rocprim17ROCPRIM_400000_NS6detail17trampoline_kernelINS0_14default_configENS1_20scan_config_selectorIN3c108BFloat16EEEZZNS1_9scan_implILNS1_25lookback_scan_determinismE0ELb0ELb0ES3_PKS6_PS6_S6_ZZZN2at6native31launch_logcumsumexp_cuda_kernelERKNSD_10TensorBaseESH_lENKUlvE_clEvENKUlvE4_clEvEUlS6_S6_E_S6_EEDaPvRmT3_T4_T5_mT6_P12ihipStream_tbENKUlT_T0_E_clISt17integral_constantIbLb1EESX_IbLb0EEEEDaST_SU_EUlST_E_NS1_11comp_targetILNS1_3genE4ELNS1_11target_archE910ELNS1_3gpuE8ELNS1_3repE0EEENS1_30default_config_static_selectorELNS0_4arch9wavefront6targetE0EEEvT1_.private_seg_size, 0
	.set _ZN7rocprim17ROCPRIM_400000_NS6detail17trampoline_kernelINS0_14default_configENS1_20scan_config_selectorIN3c108BFloat16EEEZZNS1_9scan_implILNS1_25lookback_scan_determinismE0ELb0ELb0ES3_PKS6_PS6_S6_ZZZN2at6native31launch_logcumsumexp_cuda_kernelERKNSD_10TensorBaseESH_lENKUlvE_clEvENKUlvE4_clEvEUlS6_S6_E_S6_EEDaPvRmT3_T4_T5_mT6_P12ihipStream_tbENKUlT_T0_E_clISt17integral_constantIbLb1EESX_IbLb0EEEEDaST_SU_EUlST_E_NS1_11comp_targetILNS1_3genE4ELNS1_11target_archE910ELNS1_3gpuE8ELNS1_3repE0EEENS1_30default_config_static_selectorELNS0_4arch9wavefront6targetE0EEEvT1_.uses_vcc, 0
	.set _ZN7rocprim17ROCPRIM_400000_NS6detail17trampoline_kernelINS0_14default_configENS1_20scan_config_selectorIN3c108BFloat16EEEZZNS1_9scan_implILNS1_25lookback_scan_determinismE0ELb0ELb0ES3_PKS6_PS6_S6_ZZZN2at6native31launch_logcumsumexp_cuda_kernelERKNSD_10TensorBaseESH_lENKUlvE_clEvENKUlvE4_clEvEUlS6_S6_E_S6_EEDaPvRmT3_T4_T5_mT6_P12ihipStream_tbENKUlT_T0_E_clISt17integral_constantIbLb1EESX_IbLb0EEEEDaST_SU_EUlST_E_NS1_11comp_targetILNS1_3genE4ELNS1_11target_archE910ELNS1_3gpuE8ELNS1_3repE0EEENS1_30default_config_static_selectorELNS0_4arch9wavefront6targetE0EEEvT1_.uses_flat_scratch, 0
	.set _ZN7rocprim17ROCPRIM_400000_NS6detail17trampoline_kernelINS0_14default_configENS1_20scan_config_selectorIN3c108BFloat16EEEZZNS1_9scan_implILNS1_25lookback_scan_determinismE0ELb0ELb0ES3_PKS6_PS6_S6_ZZZN2at6native31launch_logcumsumexp_cuda_kernelERKNSD_10TensorBaseESH_lENKUlvE_clEvENKUlvE4_clEvEUlS6_S6_E_S6_EEDaPvRmT3_T4_T5_mT6_P12ihipStream_tbENKUlT_T0_E_clISt17integral_constantIbLb1EESX_IbLb0EEEEDaST_SU_EUlST_E_NS1_11comp_targetILNS1_3genE4ELNS1_11target_archE910ELNS1_3gpuE8ELNS1_3repE0EEENS1_30default_config_static_selectorELNS0_4arch9wavefront6targetE0EEEvT1_.has_dyn_sized_stack, 0
	.set _ZN7rocprim17ROCPRIM_400000_NS6detail17trampoline_kernelINS0_14default_configENS1_20scan_config_selectorIN3c108BFloat16EEEZZNS1_9scan_implILNS1_25lookback_scan_determinismE0ELb0ELb0ES3_PKS6_PS6_S6_ZZZN2at6native31launch_logcumsumexp_cuda_kernelERKNSD_10TensorBaseESH_lENKUlvE_clEvENKUlvE4_clEvEUlS6_S6_E_S6_EEDaPvRmT3_T4_T5_mT6_P12ihipStream_tbENKUlT_T0_E_clISt17integral_constantIbLb1EESX_IbLb0EEEEDaST_SU_EUlST_E_NS1_11comp_targetILNS1_3genE4ELNS1_11target_archE910ELNS1_3gpuE8ELNS1_3repE0EEENS1_30default_config_static_selectorELNS0_4arch9wavefront6targetE0EEEvT1_.has_recursion, 0
	.set _ZN7rocprim17ROCPRIM_400000_NS6detail17trampoline_kernelINS0_14default_configENS1_20scan_config_selectorIN3c108BFloat16EEEZZNS1_9scan_implILNS1_25lookback_scan_determinismE0ELb0ELb0ES3_PKS6_PS6_S6_ZZZN2at6native31launch_logcumsumexp_cuda_kernelERKNSD_10TensorBaseESH_lENKUlvE_clEvENKUlvE4_clEvEUlS6_S6_E_S6_EEDaPvRmT3_T4_T5_mT6_P12ihipStream_tbENKUlT_T0_E_clISt17integral_constantIbLb1EESX_IbLb0EEEEDaST_SU_EUlST_E_NS1_11comp_targetILNS1_3genE4ELNS1_11target_archE910ELNS1_3gpuE8ELNS1_3repE0EEENS1_30default_config_static_selectorELNS0_4arch9wavefront6targetE0EEEvT1_.has_indirect_call, 0
	.section	.AMDGPU.csdata,"",@progbits
; Kernel info:
; codeLenInByte = 0
; TotalNumSgprs: 0
; NumVgprs: 0
; ScratchSize: 0
; MemoryBound: 0
; FloatMode: 240
; IeeeMode: 1
; LDSByteSize: 0 bytes/workgroup (compile time only)
; SGPRBlocks: 0
; VGPRBlocks: 0
; NumSGPRsForWavesPerEU: 1
; NumVGPRsForWavesPerEU: 1
; Occupancy: 16
; WaveLimiterHint : 0
; COMPUTE_PGM_RSRC2:SCRATCH_EN: 0
; COMPUTE_PGM_RSRC2:USER_SGPR: 2
; COMPUTE_PGM_RSRC2:TRAP_HANDLER: 0
; COMPUTE_PGM_RSRC2:TGID_X_EN: 1
; COMPUTE_PGM_RSRC2:TGID_Y_EN: 0
; COMPUTE_PGM_RSRC2:TGID_Z_EN: 0
; COMPUTE_PGM_RSRC2:TIDIG_COMP_CNT: 0
	.section	.text._ZN7rocprim17ROCPRIM_400000_NS6detail17trampoline_kernelINS0_14default_configENS1_20scan_config_selectorIN3c108BFloat16EEEZZNS1_9scan_implILNS1_25lookback_scan_determinismE0ELb0ELb0ES3_PKS6_PS6_S6_ZZZN2at6native31launch_logcumsumexp_cuda_kernelERKNSD_10TensorBaseESH_lENKUlvE_clEvENKUlvE4_clEvEUlS6_S6_E_S6_EEDaPvRmT3_T4_T5_mT6_P12ihipStream_tbENKUlT_T0_E_clISt17integral_constantIbLb1EESX_IbLb0EEEEDaST_SU_EUlST_E_NS1_11comp_targetILNS1_3genE3ELNS1_11target_archE908ELNS1_3gpuE7ELNS1_3repE0EEENS1_30default_config_static_selectorELNS0_4arch9wavefront6targetE0EEEvT1_,"axG",@progbits,_ZN7rocprim17ROCPRIM_400000_NS6detail17trampoline_kernelINS0_14default_configENS1_20scan_config_selectorIN3c108BFloat16EEEZZNS1_9scan_implILNS1_25lookback_scan_determinismE0ELb0ELb0ES3_PKS6_PS6_S6_ZZZN2at6native31launch_logcumsumexp_cuda_kernelERKNSD_10TensorBaseESH_lENKUlvE_clEvENKUlvE4_clEvEUlS6_S6_E_S6_EEDaPvRmT3_T4_T5_mT6_P12ihipStream_tbENKUlT_T0_E_clISt17integral_constantIbLb1EESX_IbLb0EEEEDaST_SU_EUlST_E_NS1_11comp_targetILNS1_3genE3ELNS1_11target_archE908ELNS1_3gpuE7ELNS1_3repE0EEENS1_30default_config_static_selectorELNS0_4arch9wavefront6targetE0EEEvT1_,comdat
	.globl	_ZN7rocprim17ROCPRIM_400000_NS6detail17trampoline_kernelINS0_14default_configENS1_20scan_config_selectorIN3c108BFloat16EEEZZNS1_9scan_implILNS1_25lookback_scan_determinismE0ELb0ELb0ES3_PKS6_PS6_S6_ZZZN2at6native31launch_logcumsumexp_cuda_kernelERKNSD_10TensorBaseESH_lENKUlvE_clEvENKUlvE4_clEvEUlS6_S6_E_S6_EEDaPvRmT3_T4_T5_mT6_P12ihipStream_tbENKUlT_T0_E_clISt17integral_constantIbLb1EESX_IbLb0EEEEDaST_SU_EUlST_E_NS1_11comp_targetILNS1_3genE3ELNS1_11target_archE908ELNS1_3gpuE7ELNS1_3repE0EEENS1_30default_config_static_selectorELNS0_4arch9wavefront6targetE0EEEvT1_ ; -- Begin function _ZN7rocprim17ROCPRIM_400000_NS6detail17trampoline_kernelINS0_14default_configENS1_20scan_config_selectorIN3c108BFloat16EEEZZNS1_9scan_implILNS1_25lookback_scan_determinismE0ELb0ELb0ES3_PKS6_PS6_S6_ZZZN2at6native31launch_logcumsumexp_cuda_kernelERKNSD_10TensorBaseESH_lENKUlvE_clEvENKUlvE4_clEvEUlS6_S6_E_S6_EEDaPvRmT3_T4_T5_mT6_P12ihipStream_tbENKUlT_T0_E_clISt17integral_constantIbLb1EESX_IbLb0EEEEDaST_SU_EUlST_E_NS1_11comp_targetILNS1_3genE3ELNS1_11target_archE908ELNS1_3gpuE7ELNS1_3repE0EEENS1_30default_config_static_selectorELNS0_4arch9wavefront6targetE0EEEvT1_
	.p2align	8
	.type	_ZN7rocprim17ROCPRIM_400000_NS6detail17trampoline_kernelINS0_14default_configENS1_20scan_config_selectorIN3c108BFloat16EEEZZNS1_9scan_implILNS1_25lookback_scan_determinismE0ELb0ELb0ES3_PKS6_PS6_S6_ZZZN2at6native31launch_logcumsumexp_cuda_kernelERKNSD_10TensorBaseESH_lENKUlvE_clEvENKUlvE4_clEvEUlS6_S6_E_S6_EEDaPvRmT3_T4_T5_mT6_P12ihipStream_tbENKUlT_T0_E_clISt17integral_constantIbLb1EESX_IbLb0EEEEDaST_SU_EUlST_E_NS1_11comp_targetILNS1_3genE3ELNS1_11target_archE908ELNS1_3gpuE7ELNS1_3repE0EEENS1_30default_config_static_selectorELNS0_4arch9wavefront6targetE0EEEvT1_,@function
_ZN7rocprim17ROCPRIM_400000_NS6detail17trampoline_kernelINS0_14default_configENS1_20scan_config_selectorIN3c108BFloat16EEEZZNS1_9scan_implILNS1_25lookback_scan_determinismE0ELb0ELb0ES3_PKS6_PS6_S6_ZZZN2at6native31launch_logcumsumexp_cuda_kernelERKNSD_10TensorBaseESH_lENKUlvE_clEvENKUlvE4_clEvEUlS6_S6_E_S6_EEDaPvRmT3_T4_T5_mT6_P12ihipStream_tbENKUlT_T0_E_clISt17integral_constantIbLb1EESX_IbLb0EEEEDaST_SU_EUlST_E_NS1_11comp_targetILNS1_3genE3ELNS1_11target_archE908ELNS1_3gpuE7ELNS1_3repE0EEENS1_30default_config_static_selectorELNS0_4arch9wavefront6targetE0EEEvT1_: ; @_ZN7rocprim17ROCPRIM_400000_NS6detail17trampoline_kernelINS0_14default_configENS1_20scan_config_selectorIN3c108BFloat16EEEZZNS1_9scan_implILNS1_25lookback_scan_determinismE0ELb0ELb0ES3_PKS6_PS6_S6_ZZZN2at6native31launch_logcumsumexp_cuda_kernelERKNSD_10TensorBaseESH_lENKUlvE_clEvENKUlvE4_clEvEUlS6_S6_E_S6_EEDaPvRmT3_T4_T5_mT6_P12ihipStream_tbENKUlT_T0_E_clISt17integral_constantIbLb1EESX_IbLb0EEEEDaST_SU_EUlST_E_NS1_11comp_targetILNS1_3genE3ELNS1_11target_archE908ELNS1_3gpuE7ELNS1_3repE0EEENS1_30default_config_static_selectorELNS0_4arch9wavefront6targetE0EEEvT1_
; %bb.0:
	.section	.rodata,"a",@progbits
	.p2align	6, 0x0
	.amdhsa_kernel _ZN7rocprim17ROCPRIM_400000_NS6detail17trampoline_kernelINS0_14default_configENS1_20scan_config_selectorIN3c108BFloat16EEEZZNS1_9scan_implILNS1_25lookback_scan_determinismE0ELb0ELb0ES3_PKS6_PS6_S6_ZZZN2at6native31launch_logcumsumexp_cuda_kernelERKNSD_10TensorBaseESH_lENKUlvE_clEvENKUlvE4_clEvEUlS6_S6_E_S6_EEDaPvRmT3_T4_T5_mT6_P12ihipStream_tbENKUlT_T0_E_clISt17integral_constantIbLb1EESX_IbLb0EEEEDaST_SU_EUlST_E_NS1_11comp_targetILNS1_3genE3ELNS1_11target_archE908ELNS1_3gpuE7ELNS1_3repE0EEENS1_30default_config_static_selectorELNS0_4arch9wavefront6targetE0EEEvT1_
		.amdhsa_group_segment_fixed_size 0
		.amdhsa_private_segment_fixed_size 0
		.amdhsa_kernarg_size 96
		.amdhsa_user_sgpr_count 2
		.amdhsa_user_sgpr_dispatch_ptr 0
		.amdhsa_user_sgpr_queue_ptr 0
		.amdhsa_user_sgpr_kernarg_segment_ptr 1
		.amdhsa_user_sgpr_dispatch_id 0
		.amdhsa_user_sgpr_private_segment_size 0
		.amdhsa_wavefront_size32 1
		.amdhsa_uses_dynamic_stack 0
		.amdhsa_enable_private_segment 0
		.amdhsa_system_sgpr_workgroup_id_x 1
		.amdhsa_system_sgpr_workgroup_id_y 0
		.amdhsa_system_sgpr_workgroup_id_z 0
		.amdhsa_system_sgpr_workgroup_info 0
		.amdhsa_system_vgpr_workitem_id 0
		.amdhsa_next_free_vgpr 1
		.amdhsa_next_free_sgpr 1
		.amdhsa_reserve_vcc 0
		.amdhsa_float_round_mode_32 0
		.amdhsa_float_round_mode_16_64 0
		.amdhsa_float_denorm_mode_32 3
		.amdhsa_float_denorm_mode_16_64 3
		.amdhsa_fp16_overflow 0
		.amdhsa_workgroup_processor_mode 1
		.amdhsa_memory_ordered 1
		.amdhsa_forward_progress 1
		.amdhsa_inst_pref_size 0
		.amdhsa_round_robin_scheduling 0
		.amdhsa_exception_fp_ieee_invalid_op 0
		.amdhsa_exception_fp_denorm_src 0
		.amdhsa_exception_fp_ieee_div_zero 0
		.amdhsa_exception_fp_ieee_overflow 0
		.amdhsa_exception_fp_ieee_underflow 0
		.amdhsa_exception_fp_ieee_inexact 0
		.amdhsa_exception_int_div_zero 0
	.end_amdhsa_kernel
	.section	.text._ZN7rocprim17ROCPRIM_400000_NS6detail17trampoline_kernelINS0_14default_configENS1_20scan_config_selectorIN3c108BFloat16EEEZZNS1_9scan_implILNS1_25lookback_scan_determinismE0ELb0ELb0ES3_PKS6_PS6_S6_ZZZN2at6native31launch_logcumsumexp_cuda_kernelERKNSD_10TensorBaseESH_lENKUlvE_clEvENKUlvE4_clEvEUlS6_S6_E_S6_EEDaPvRmT3_T4_T5_mT6_P12ihipStream_tbENKUlT_T0_E_clISt17integral_constantIbLb1EESX_IbLb0EEEEDaST_SU_EUlST_E_NS1_11comp_targetILNS1_3genE3ELNS1_11target_archE908ELNS1_3gpuE7ELNS1_3repE0EEENS1_30default_config_static_selectorELNS0_4arch9wavefront6targetE0EEEvT1_,"axG",@progbits,_ZN7rocprim17ROCPRIM_400000_NS6detail17trampoline_kernelINS0_14default_configENS1_20scan_config_selectorIN3c108BFloat16EEEZZNS1_9scan_implILNS1_25lookback_scan_determinismE0ELb0ELb0ES3_PKS6_PS6_S6_ZZZN2at6native31launch_logcumsumexp_cuda_kernelERKNSD_10TensorBaseESH_lENKUlvE_clEvENKUlvE4_clEvEUlS6_S6_E_S6_EEDaPvRmT3_T4_T5_mT6_P12ihipStream_tbENKUlT_T0_E_clISt17integral_constantIbLb1EESX_IbLb0EEEEDaST_SU_EUlST_E_NS1_11comp_targetILNS1_3genE3ELNS1_11target_archE908ELNS1_3gpuE7ELNS1_3repE0EEENS1_30default_config_static_selectorELNS0_4arch9wavefront6targetE0EEEvT1_,comdat
.Lfunc_end487:
	.size	_ZN7rocprim17ROCPRIM_400000_NS6detail17trampoline_kernelINS0_14default_configENS1_20scan_config_selectorIN3c108BFloat16EEEZZNS1_9scan_implILNS1_25lookback_scan_determinismE0ELb0ELb0ES3_PKS6_PS6_S6_ZZZN2at6native31launch_logcumsumexp_cuda_kernelERKNSD_10TensorBaseESH_lENKUlvE_clEvENKUlvE4_clEvEUlS6_S6_E_S6_EEDaPvRmT3_T4_T5_mT6_P12ihipStream_tbENKUlT_T0_E_clISt17integral_constantIbLb1EESX_IbLb0EEEEDaST_SU_EUlST_E_NS1_11comp_targetILNS1_3genE3ELNS1_11target_archE908ELNS1_3gpuE7ELNS1_3repE0EEENS1_30default_config_static_selectorELNS0_4arch9wavefront6targetE0EEEvT1_, .Lfunc_end487-_ZN7rocprim17ROCPRIM_400000_NS6detail17trampoline_kernelINS0_14default_configENS1_20scan_config_selectorIN3c108BFloat16EEEZZNS1_9scan_implILNS1_25lookback_scan_determinismE0ELb0ELb0ES3_PKS6_PS6_S6_ZZZN2at6native31launch_logcumsumexp_cuda_kernelERKNSD_10TensorBaseESH_lENKUlvE_clEvENKUlvE4_clEvEUlS6_S6_E_S6_EEDaPvRmT3_T4_T5_mT6_P12ihipStream_tbENKUlT_T0_E_clISt17integral_constantIbLb1EESX_IbLb0EEEEDaST_SU_EUlST_E_NS1_11comp_targetILNS1_3genE3ELNS1_11target_archE908ELNS1_3gpuE7ELNS1_3repE0EEENS1_30default_config_static_selectorELNS0_4arch9wavefront6targetE0EEEvT1_
                                        ; -- End function
	.set _ZN7rocprim17ROCPRIM_400000_NS6detail17trampoline_kernelINS0_14default_configENS1_20scan_config_selectorIN3c108BFloat16EEEZZNS1_9scan_implILNS1_25lookback_scan_determinismE0ELb0ELb0ES3_PKS6_PS6_S6_ZZZN2at6native31launch_logcumsumexp_cuda_kernelERKNSD_10TensorBaseESH_lENKUlvE_clEvENKUlvE4_clEvEUlS6_S6_E_S6_EEDaPvRmT3_T4_T5_mT6_P12ihipStream_tbENKUlT_T0_E_clISt17integral_constantIbLb1EESX_IbLb0EEEEDaST_SU_EUlST_E_NS1_11comp_targetILNS1_3genE3ELNS1_11target_archE908ELNS1_3gpuE7ELNS1_3repE0EEENS1_30default_config_static_selectorELNS0_4arch9wavefront6targetE0EEEvT1_.num_vgpr, 0
	.set _ZN7rocprim17ROCPRIM_400000_NS6detail17trampoline_kernelINS0_14default_configENS1_20scan_config_selectorIN3c108BFloat16EEEZZNS1_9scan_implILNS1_25lookback_scan_determinismE0ELb0ELb0ES3_PKS6_PS6_S6_ZZZN2at6native31launch_logcumsumexp_cuda_kernelERKNSD_10TensorBaseESH_lENKUlvE_clEvENKUlvE4_clEvEUlS6_S6_E_S6_EEDaPvRmT3_T4_T5_mT6_P12ihipStream_tbENKUlT_T0_E_clISt17integral_constantIbLb1EESX_IbLb0EEEEDaST_SU_EUlST_E_NS1_11comp_targetILNS1_3genE3ELNS1_11target_archE908ELNS1_3gpuE7ELNS1_3repE0EEENS1_30default_config_static_selectorELNS0_4arch9wavefront6targetE0EEEvT1_.num_agpr, 0
	.set _ZN7rocprim17ROCPRIM_400000_NS6detail17trampoline_kernelINS0_14default_configENS1_20scan_config_selectorIN3c108BFloat16EEEZZNS1_9scan_implILNS1_25lookback_scan_determinismE0ELb0ELb0ES3_PKS6_PS6_S6_ZZZN2at6native31launch_logcumsumexp_cuda_kernelERKNSD_10TensorBaseESH_lENKUlvE_clEvENKUlvE4_clEvEUlS6_S6_E_S6_EEDaPvRmT3_T4_T5_mT6_P12ihipStream_tbENKUlT_T0_E_clISt17integral_constantIbLb1EESX_IbLb0EEEEDaST_SU_EUlST_E_NS1_11comp_targetILNS1_3genE3ELNS1_11target_archE908ELNS1_3gpuE7ELNS1_3repE0EEENS1_30default_config_static_selectorELNS0_4arch9wavefront6targetE0EEEvT1_.numbered_sgpr, 0
	.set _ZN7rocprim17ROCPRIM_400000_NS6detail17trampoline_kernelINS0_14default_configENS1_20scan_config_selectorIN3c108BFloat16EEEZZNS1_9scan_implILNS1_25lookback_scan_determinismE0ELb0ELb0ES3_PKS6_PS6_S6_ZZZN2at6native31launch_logcumsumexp_cuda_kernelERKNSD_10TensorBaseESH_lENKUlvE_clEvENKUlvE4_clEvEUlS6_S6_E_S6_EEDaPvRmT3_T4_T5_mT6_P12ihipStream_tbENKUlT_T0_E_clISt17integral_constantIbLb1EESX_IbLb0EEEEDaST_SU_EUlST_E_NS1_11comp_targetILNS1_3genE3ELNS1_11target_archE908ELNS1_3gpuE7ELNS1_3repE0EEENS1_30default_config_static_selectorELNS0_4arch9wavefront6targetE0EEEvT1_.num_named_barrier, 0
	.set _ZN7rocprim17ROCPRIM_400000_NS6detail17trampoline_kernelINS0_14default_configENS1_20scan_config_selectorIN3c108BFloat16EEEZZNS1_9scan_implILNS1_25lookback_scan_determinismE0ELb0ELb0ES3_PKS6_PS6_S6_ZZZN2at6native31launch_logcumsumexp_cuda_kernelERKNSD_10TensorBaseESH_lENKUlvE_clEvENKUlvE4_clEvEUlS6_S6_E_S6_EEDaPvRmT3_T4_T5_mT6_P12ihipStream_tbENKUlT_T0_E_clISt17integral_constantIbLb1EESX_IbLb0EEEEDaST_SU_EUlST_E_NS1_11comp_targetILNS1_3genE3ELNS1_11target_archE908ELNS1_3gpuE7ELNS1_3repE0EEENS1_30default_config_static_selectorELNS0_4arch9wavefront6targetE0EEEvT1_.private_seg_size, 0
	.set _ZN7rocprim17ROCPRIM_400000_NS6detail17trampoline_kernelINS0_14default_configENS1_20scan_config_selectorIN3c108BFloat16EEEZZNS1_9scan_implILNS1_25lookback_scan_determinismE0ELb0ELb0ES3_PKS6_PS6_S6_ZZZN2at6native31launch_logcumsumexp_cuda_kernelERKNSD_10TensorBaseESH_lENKUlvE_clEvENKUlvE4_clEvEUlS6_S6_E_S6_EEDaPvRmT3_T4_T5_mT6_P12ihipStream_tbENKUlT_T0_E_clISt17integral_constantIbLb1EESX_IbLb0EEEEDaST_SU_EUlST_E_NS1_11comp_targetILNS1_3genE3ELNS1_11target_archE908ELNS1_3gpuE7ELNS1_3repE0EEENS1_30default_config_static_selectorELNS0_4arch9wavefront6targetE0EEEvT1_.uses_vcc, 0
	.set _ZN7rocprim17ROCPRIM_400000_NS6detail17trampoline_kernelINS0_14default_configENS1_20scan_config_selectorIN3c108BFloat16EEEZZNS1_9scan_implILNS1_25lookback_scan_determinismE0ELb0ELb0ES3_PKS6_PS6_S6_ZZZN2at6native31launch_logcumsumexp_cuda_kernelERKNSD_10TensorBaseESH_lENKUlvE_clEvENKUlvE4_clEvEUlS6_S6_E_S6_EEDaPvRmT3_T4_T5_mT6_P12ihipStream_tbENKUlT_T0_E_clISt17integral_constantIbLb1EESX_IbLb0EEEEDaST_SU_EUlST_E_NS1_11comp_targetILNS1_3genE3ELNS1_11target_archE908ELNS1_3gpuE7ELNS1_3repE0EEENS1_30default_config_static_selectorELNS0_4arch9wavefront6targetE0EEEvT1_.uses_flat_scratch, 0
	.set _ZN7rocprim17ROCPRIM_400000_NS6detail17trampoline_kernelINS0_14default_configENS1_20scan_config_selectorIN3c108BFloat16EEEZZNS1_9scan_implILNS1_25lookback_scan_determinismE0ELb0ELb0ES3_PKS6_PS6_S6_ZZZN2at6native31launch_logcumsumexp_cuda_kernelERKNSD_10TensorBaseESH_lENKUlvE_clEvENKUlvE4_clEvEUlS6_S6_E_S6_EEDaPvRmT3_T4_T5_mT6_P12ihipStream_tbENKUlT_T0_E_clISt17integral_constantIbLb1EESX_IbLb0EEEEDaST_SU_EUlST_E_NS1_11comp_targetILNS1_3genE3ELNS1_11target_archE908ELNS1_3gpuE7ELNS1_3repE0EEENS1_30default_config_static_selectorELNS0_4arch9wavefront6targetE0EEEvT1_.has_dyn_sized_stack, 0
	.set _ZN7rocprim17ROCPRIM_400000_NS6detail17trampoline_kernelINS0_14default_configENS1_20scan_config_selectorIN3c108BFloat16EEEZZNS1_9scan_implILNS1_25lookback_scan_determinismE0ELb0ELb0ES3_PKS6_PS6_S6_ZZZN2at6native31launch_logcumsumexp_cuda_kernelERKNSD_10TensorBaseESH_lENKUlvE_clEvENKUlvE4_clEvEUlS6_S6_E_S6_EEDaPvRmT3_T4_T5_mT6_P12ihipStream_tbENKUlT_T0_E_clISt17integral_constantIbLb1EESX_IbLb0EEEEDaST_SU_EUlST_E_NS1_11comp_targetILNS1_3genE3ELNS1_11target_archE908ELNS1_3gpuE7ELNS1_3repE0EEENS1_30default_config_static_selectorELNS0_4arch9wavefront6targetE0EEEvT1_.has_recursion, 0
	.set _ZN7rocprim17ROCPRIM_400000_NS6detail17trampoline_kernelINS0_14default_configENS1_20scan_config_selectorIN3c108BFloat16EEEZZNS1_9scan_implILNS1_25lookback_scan_determinismE0ELb0ELb0ES3_PKS6_PS6_S6_ZZZN2at6native31launch_logcumsumexp_cuda_kernelERKNSD_10TensorBaseESH_lENKUlvE_clEvENKUlvE4_clEvEUlS6_S6_E_S6_EEDaPvRmT3_T4_T5_mT6_P12ihipStream_tbENKUlT_T0_E_clISt17integral_constantIbLb1EESX_IbLb0EEEEDaST_SU_EUlST_E_NS1_11comp_targetILNS1_3genE3ELNS1_11target_archE908ELNS1_3gpuE7ELNS1_3repE0EEENS1_30default_config_static_selectorELNS0_4arch9wavefront6targetE0EEEvT1_.has_indirect_call, 0
	.section	.AMDGPU.csdata,"",@progbits
; Kernel info:
; codeLenInByte = 0
; TotalNumSgprs: 0
; NumVgprs: 0
; ScratchSize: 0
; MemoryBound: 0
; FloatMode: 240
; IeeeMode: 1
; LDSByteSize: 0 bytes/workgroup (compile time only)
; SGPRBlocks: 0
; VGPRBlocks: 0
; NumSGPRsForWavesPerEU: 1
; NumVGPRsForWavesPerEU: 1
; Occupancy: 16
; WaveLimiterHint : 0
; COMPUTE_PGM_RSRC2:SCRATCH_EN: 0
; COMPUTE_PGM_RSRC2:USER_SGPR: 2
; COMPUTE_PGM_RSRC2:TRAP_HANDLER: 0
; COMPUTE_PGM_RSRC2:TGID_X_EN: 1
; COMPUTE_PGM_RSRC2:TGID_Y_EN: 0
; COMPUTE_PGM_RSRC2:TGID_Z_EN: 0
; COMPUTE_PGM_RSRC2:TIDIG_COMP_CNT: 0
	.section	.text._ZN7rocprim17ROCPRIM_400000_NS6detail17trampoline_kernelINS0_14default_configENS1_20scan_config_selectorIN3c108BFloat16EEEZZNS1_9scan_implILNS1_25lookback_scan_determinismE0ELb0ELb0ES3_PKS6_PS6_S6_ZZZN2at6native31launch_logcumsumexp_cuda_kernelERKNSD_10TensorBaseESH_lENKUlvE_clEvENKUlvE4_clEvEUlS6_S6_E_S6_EEDaPvRmT3_T4_T5_mT6_P12ihipStream_tbENKUlT_T0_E_clISt17integral_constantIbLb1EESX_IbLb0EEEEDaST_SU_EUlST_E_NS1_11comp_targetILNS1_3genE2ELNS1_11target_archE906ELNS1_3gpuE6ELNS1_3repE0EEENS1_30default_config_static_selectorELNS0_4arch9wavefront6targetE0EEEvT1_,"axG",@progbits,_ZN7rocprim17ROCPRIM_400000_NS6detail17trampoline_kernelINS0_14default_configENS1_20scan_config_selectorIN3c108BFloat16EEEZZNS1_9scan_implILNS1_25lookback_scan_determinismE0ELb0ELb0ES3_PKS6_PS6_S6_ZZZN2at6native31launch_logcumsumexp_cuda_kernelERKNSD_10TensorBaseESH_lENKUlvE_clEvENKUlvE4_clEvEUlS6_S6_E_S6_EEDaPvRmT3_T4_T5_mT6_P12ihipStream_tbENKUlT_T0_E_clISt17integral_constantIbLb1EESX_IbLb0EEEEDaST_SU_EUlST_E_NS1_11comp_targetILNS1_3genE2ELNS1_11target_archE906ELNS1_3gpuE6ELNS1_3repE0EEENS1_30default_config_static_selectorELNS0_4arch9wavefront6targetE0EEEvT1_,comdat
	.globl	_ZN7rocprim17ROCPRIM_400000_NS6detail17trampoline_kernelINS0_14default_configENS1_20scan_config_selectorIN3c108BFloat16EEEZZNS1_9scan_implILNS1_25lookback_scan_determinismE0ELb0ELb0ES3_PKS6_PS6_S6_ZZZN2at6native31launch_logcumsumexp_cuda_kernelERKNSD_10TensorBaseESH_lENKUlvE_clEvENKUlvE4_clEvEUlS6_S6_E_S6_EEDaPvRmT3_T4_T5_mT6_P12ihipStream_tbENKUlT_T0_E_clISt17integral_constantIbLb1EESX_IbLb0EEEEDaST_SU_EUlST_E_NS1_11comp_targetILNS1_3genE2ELNS1_11target_archE906ELNS1_3gpuE6ELNS1_3repE0EEENS1_30default_config_static_selectorELNS0_4arch9wavefront6targetE0EEEvT1_ ; -- Begin function _ZN7rocprim17ROCPRIM_400000_NS6detail17trampoline_kernelINS0_14default_configENS1_20scan_config_selectorIN3c108BFloat16EEEZZNS1_9scan_implILNS1_25lookback_scan_determinismE0ELb0ELb0ES3_PKS6_PS6_S6_ZZZN2at6native31launch_logcumsumexp_cuda_kernelERKNSD_10TensorBaseESH_lENKUlvE_clEvENKUlvE4_clEvEUlS6_S6_E_S6_EEDaPvRmT3_T4_T5_mT6_P12ihipStream_tbENKUlT_T0_E_clISt17integral_constantIbLb1EESX_IbLb0EEEEDaST_SU_EUlST_E_NS1_11comp_targetILNS1_3genE2ELNS1_11target_archE906ELNS1_3gpuE6ELNS1_3repE0EEENS1_30default_config_static_selectorELNS0_4arch9wavefront6targetE0EEEvT1_
	.p2align	8
	.type	_ZN7rocprim17ROCPRIM_400000_NS6detail17trampoline_kernelINS0_14default_configENS1_20scan_config_selectorIN3c108BFloat16EEEZZNS1_9scan_implILNS1_25lookback_scan_determinismE0ELb0ELb0ES3_PKS6_PS6_S6_ZZZN2at6native31launch_logcumsumexp_cuda_kernelERKNSD_10TensorBaseESH_lENKUlvE_clEvENKUlvE4_clEvEUlS6_S6_E_S6_EEDaPvRmT3_T4_T5_mT6_P12ihipStream_tbENKUlT_T0_E_clISt17integral_constantIbLb1EESX_IbLb0EEEEDaST_SU_EUlST_E_NS1_11comp_targetILNS1_3genE2ELNS1_11target_archE906ELNS1_3gpuE6ELNS1_3repE0EEENS1_30default_config_static_selectorELNS0_4arch9wavefront6targetE0EEEvT1_,@function
_ZN7rocprim17ROCPRIM_400000_NS6detail17trampoline_kernelINS0_14default_configENS1_20scan_config_selectorIN3c108BFloat16EEEZZNS1_9scan_implILNS1_25lookback_scan_determinismE0ELb0ELb0ES3_PKS6_PS6_S6_ZZZN2at6native31launch_logcumsumexp_cuda_kernelERKNSD_10TensorBaseESH_lENKUlvE_clEvENKUlvE4_clEvEUlS6_S6_E_S6_EEDaPvRmT3_T4_T5_mT6_P12ihipStream_tbENKUlT_T0_E_clISt17integral_constantIbLb1EESX_IbLb0EEEEDaST_SU_EUlST_E_NS1_11comp_targetILNS1_3genE2ELNS1_11target_archE906ELNS1_3gpuE6ELNS1_3repE0EEENS1_30default_config_static_selectorELNS0_4arch9wavefront6targetE0EEEvT1_: ; @_ZN7rocprim17ROCPRIM_400000_NS6detail17trampoline_kernelINS0_14default_configENS1_20scan_config_selectorIN3c108BFloat16EEEZZNS1_9scan_implILNS1_25lookback_scan_determinismE0ELb0ELb0ES3_PKS6_PS6_S6_ZZZN2at6native31launch_logcumsumexp_cuda_kernelERKNSD_10TensorBaseESH_lENKUlvE_clEvENKUlvE4_clEvEUlS6_S6_E_S6_EEDaPvRmT3_T4_T5_mT6_P12ihipStream_tbENKUlT_T0_E_clISt17integral_constantIbLb1EESX_IbLb0EEEEDaST_SU_EUlST_E_NS1_11comp_targetILNS1_3genE2ELNS1_11target_archE906ELNS1_3gpuE6ELNS1_3repE0EEENS1_30default_config_static_selectorELNS0_4arch9wavefront6targetE0EEEvT1_
; %bb.0:
	.section	.rodata,"a",@progbits
	.p2align	6, 0x0
	.amdhsa_kernel _ZN7rocprim17ROCPRIM_400000_NS6detail17trampoline_kernelINS0_14default_configENS1_20scan_config_selectorIN3c108BFloat16EEEZZNS1_9scan_implILNS1_25lookback_scan_determinismE0ELb0ELb0ES3_PKS6_PS6_S6_ZZZN2at6native31launch_logcumsumexp_cuda_kernelERKNSD_10TensorBaseESH_lENKUlvE_clEvENKUlvE4_clEvEUlS6_S6_E_S6_EEDaPvRmT3_T4_T5_mT6_P12ihipStream_tbENKUlT_T0_E_clISt17integral_constantIbLb1EESX_IbLb0EEEEDaST_SU_EUlST_E_NS1_11comp_targetILNS1_3genE2ELNS1_11target_archE906ELNS1_3gpuE6ELNS1_3repE0EEENS1_30default_config_static_selectorELNS0_4arch9wavefront6targetE0EEEvT1_
		.amdhsa_group_segment_fixed_size 0
		.amdhsa_private_segment_fixed_size 0
		.amdhsa_kernarg_size 96
		.amdhsa_user_sgpr_count 2
		.amdhsa_user_sgpr_dispatch_ptr 0
		.amdhsa_user_sgpr_queue_ptr 0
		.amdhsa_user_sgpr_kernarg_segment_ptr 1
		.amdhsa_user_sgpr_dispatch_id 0
		.amdhsa_user_sgpr_private_segment_size 0
		.amdhsa_wavefront_size32 1
		.amdhsa_uses_dynamic_stack 0
		.amdhsa_enable_private_segment 0
		.amdhsa_system_sgpr_workgroup_id_x 1
		.amdhsa_system_sgpr_workgroup_id_y 0
		.amdhsa_system_sgpr_workgroup_id_z 0
		.amdhsa_system_sgpr_workgroup_info 0
		.amdhsa_system_vgpr_workitem_id 0
		.amdhsa_next_free_vgpr 1
		.amdhsa_next_free_sgpr 1
		.amdhsa_reserve_vcc 0
		.amdhsa_float_round_mode_32 0
		.amdhsa_float_round_mode_16_64 0
		.amdhsa_float_denorm_mode_32 3
		.amdhsa_float_denorm_mode_16_64 3
		.amdhsa_fp16_overflow 0
		.amdhsa_workgroup_processor_mode 1
		.amdhsa_memory_ordered 1
		.amdhsa_forward_progress 1
		.amdhsa_inst_pref_size 0
		.amdhsa_round_robin_scheduling 0
		.amdhsa_exception_fp_ieee_invalid_op 0
		.amdhsa_exception_fp_denorm_src 0
		.amdhsa_exception_fp_ieee_div_zero 0
		.amdhsa_exception_fp_ieee_overflow 0
		.amdhsa_exception_fp_ieee_underflow 0
		.amdhsa_exception_fp_ieee_inexact 0
		.amdhsa_exception_int_div_zero 0
	.end_amdhsa_kernel
	.section	.text._ZN7rocprim17ROCPRIM_400000_NS6detail17trampoline_kernelINS0_14default_configENS1_20scan_config_selectorIN3c108BFloat16EEEZZNS1_9scan_implILNS1_25lookback_scan_determinismE0ELb0ELb0ES3_PKS6_PS6_S6_ZZZN2at6native31launch_logcumsumexp_cuda_kernelERKNSD_10TensorBaseESH_lENKUlvE_clEvENKUlvE4_clEvEUlS6_S6_E_S6_EEDaPvRmT3_T4_T5_mT6_P12ihipStream_tbENKUlT_T0_E_clISt17integral_constantIbLb1EESX_IbLb0EEEEDaST_SU_EUlST_E_NS1_11comp_targetILNS1_3genE2ELNS1_11target_archE906ELNS1_3gpuE6ELNS1_3repE0EEENS1_30default_config_static_selectorELNS0_4arch9wavefront6targetE0EEEvT1_,"axG",@progbits,_ZN7rocprim17ROCPRIM_400000_NS6detail17trampoline_kernelINS0_14default_configENS1_20scan_config_selectorIN3c108BFloat16EEEZZNS1_9scan_implILNS1_25lookback_scan_determinismE0ELb0ELb0ES3_PKS6_PS6_S6_ZZZN2at6native31launch_logcumsumexp_cuda_kernelERKNSD_10TensorBaseESH_lENKUlvE_clEvENKUlvE4_clEvEUlS6_S6_E_S6_EEDaPvRmT3_T4_T5_mT6_P12ihipStream_tbENKUlT_T0_E_clISt17integral_constantIbLb1EESX_IbLb0EEEEDaST_SU_EUlST_E_NS1_11comp_targetILNS1_3genE2ELNS1_11target_archE906ELNS1_3gpuE6ELNS1_3repE0EEENS1_30default_config_static_selectorELNS0_4arch9wavefront6targetE0EEEvT1_,comdat
.Lfunc_end488:
	.size	_ZN7rocprim17ROCPRIM_400000_NS6detail17trampoline_kernelINS0_14default_configENS1_20scan_config_selectorIN3c108BFloat16EEEZZNS1_9scan_implILNS1_25lookback_scan_determinismE0ELb0ELb0ES3_PKS6_PS6_S6_ZZZN2at6native31launch_logcumsumexp_cuda_kernelERKNSD_10TensorBaseESH_lENKUlvE_clEvENKUlvE4_clEvEUlS6_S6_E_S6_EEDaPvRmT3_T4_T5_mT6_P12ihipStream_tbENKUlT_T0_E_clISt17integral_constantIbLb1EESX_IbLb0EEEEDaST_SU_EUlST_E_NS1_11comp_targetILNS1_3genE2ELNS1_11target_archE906ELNS1_3gpuE6ELNS1_3repE0EEENS1_30default_config_static_selectorELNS0_4arch9wavefront6targetE0EEEvT1_, .Lfunc_end488-_ZN7rocprim17ROCPRIM_400000_NS6detail17trampoline_kernelINS0_14default_configENS1_20scan_config_selectorIN3c108BFloat16EEEZZNS1_9scan_implILNS1_25lookback_scan_determinismE0ELb0ELb0ES3_PKS6_PS6_S6_ZZZN2at6native31launch_logcumsumexp_cuda_kernelERKNSD_10TensorBaseESH_lENKUlvE_clEvENKUlvE4_clEvEUlS6_S6_E_S6_EEDaPvRmT3_T4_T5_mT6_P12ihipStream_tbENKUlT_T0_E_clISt17integral_constantIbLb1EESX_IbLb0EEEEDaST_SU_EUlST_E_NS1_11comp_targetILNS1_3genE2ELNS1_11target_archE906ELNS1_3gpuE6ELNS1_3repE0EEENS1_30default_config_static_selectorELNS0_4arch9wavefront6targetE0EEEvT1_
                                        ; -- End function
	.set _ZN7rocprim17ROCPRIM_400000_NS6detail17trampoline_kernelINS0_14default_configENS1_20scan_config_selectorIN3c108BFloat16EEEZZNS1_9scan_implILNS1_25lookback_scan_determinismE0ELb0ELb0ES3_PKS6_PS6_S6_ZZZN2at6native31launch_logcumsumexp_cuda_kernelERKNSD_10TensorBaseESH_lENKUlvE_clEvENKUlvE4_clEvEUlS6_S6_E_S6_EEDaPvRmT3_T4_T5_mT6_P12ihipStream_tbENKUlT_T0_E_clISt17integral_constantIbLb1EESX_IbLb0EEEEDaST_SU_EUlST_E_NS1_11comp_targetILNS1_3genE2ELNS1_11target_archE906ELNS1_3gpuE6ELNS1_3repE0EEENS1_30default_config_static_selectorELNS0_4arch9wavefront6targetE0EEEvT1_.num_vgpr, 0
	.set _ZN7rocprim17ROCPRIM_400000_NS6detail17trampoline_kernelINS0_14default_configENS1_20scan_config_selectorIN3c108BFloat16EEEZZNS1_9scan_implILNS1_25lookback_scan_determinismE0ELb0ELb0ES3_PKS6_PS6_S6_ZZZN2at6native31launch_logcumsumexp_cuda_kernelERKNSD_10TensorBaseESH_lENKUlvE_clEvENKUlvE4_clEvEUlS6_S6_E_S6_EEDaPvRmT3_T4_T5_mT6_P12ihipStream_tbENKUlT_T0_E_clISt17integral_constantIbLb1EESX_IbLb0EEEEDaST_SU_EUlST_E_NS1_11comp_targetILNS1_3genE2ELNS1_11target_archE906ELNS1_3gpuE6ELNS1_3repE0EEENS1_30default_config_static_selectorELNS0_4arch9wavefront6targetE0EEEvT1_.num_agpr, 0
	.set _ZN7rocprim17ROCPRIM_400000_NS6detail17trampoline_kernelINS0_14default_configENS1_20scan_config_selectorIN3c108BFloat16EEEZZNS1_9scan_implILNS1_25lookback_scan_determinismE0ELb0ELb0ES3_PKS6_PS6_S6_ZZZN2at6native31launch_logcumsumexp_cuda_kernelERKNSD_10TensorBaseESH_lENKUlvE_clEvENKUlvE4_clEvEUlS6_S6_E_S6_EEDaPvRmT3_T4_T5_mT6_P12ihipStream_tbENKUlT_T0_E_clISt17integral_constantIbLb1EESX_IbLb0EEEEDaST_SU_EUlST_E_NS1_11comp_targetILNS1_3genE2ELNS1_11target_archE906ELNS1_3gpuE6ELNS1_3repE0EEENS1_30default_config_static_selectorELNS0_4arch9wavefront6targetE0EEEvT1_.numbered_sgpr, 0
	.set _ZN7rocprim17ROCPRIM_400000_NS6detail17trampoline_kernelINS0_14default_configENS1_20scan_config_selectorIN3c108BFloat16EEEZZNS1_9scan_implILNS1_25lookback_scan_determinismE0ELb0ELb0ES3_PKS6_PS6_S6_ZZZN2at6native31launch_logcumsumexp_cuda_kernelERKNSD_10TensorBaseESH_lENKUlvE_clEvENKUlvE4_clEvEUlS6_S6_E_S6_EEDaPvRmT3_T4_T5_mT6_P12ihipStream_tbENKUlT_T0_E_clISt17integral_constantIbLb1EESX_IbLb0EEEEDaST_SU_EUlST_E_NS1_11comp_targetILNS1_3genE2ELNS1_11target_archE906ELNS1_3gpuE6ELNS1_3repE0EEENS1_30default_config_static_selectorELNS0_4arch9wavefront6targetE0EEEvT1_.num_named_barrier, 0
	.set _ZN7rocprim17ROCPRIM_400000_NS6detail17trampoline_kernelINS0_14default_configENS1_20scan_config_selectorIN3c108BFloat16EEEZZNS1_9scan_implILNS1_25lookback_scan_determinismE0ELb0ELb0ES3_PKS6_PS6_S6_ZZZN2at6native31launch_logcumsumexp_cuda_kernelERKNSD_10TensorBaseESH_lENKUlvE_clEvENKUlvE4_clEvEUlS6_S6_E_S6_EEDaPvRmT3_T4_T5_mT6_P12ihipStream_tbENKUlT_T0_E_clISt17integral_constantIbLb1EESX_IbLb0EEEEDaST_SU_EUlST_E_NS1_11comp_targetILNS1_3genE2ELNS1_11target_archE906ELNS1_3gpuE6ELNS1_3repE0EEENS1_30default_config_static_selectorELNS0_4arch9wavefront6targetE0EEEvT1_.private_seg_size, 0
	.set _ZN7rocprim17ROCPRIM_400000_NS6detail17trampoline_kernelINS0_14default_configENS1_20scan_config_selectorIN3c108BFloat16EEEZZNS1_9scan_implILNS1_25lookback_scan_determinismE0ELb0ELb0ES3_PKS6_PS6_S6_ZZZN2at6native31launch_logcumsumexp_cuda_kernelERKNSD_10TensorBaseESH_lENKUlvE_clEvENKUlvE4_clEvEUlS6_S6_E_S6_EEDaPvRmT3_T4_T5_mT6_P12ihipStream_tbENKUlT_T0_E_clISt17integral_constantIbLb1EESX_IbLb0EEEEDaST_SU_EUlST_E_NS1_11comp_targetILNS1_3genE2ELNS1_11target_archE906ELNS1_3gpuE6ELNS1_3repE0EEENS1_30default_config_static_selectorELNS0_4arch9wavefront6targetE0EEEvT1_.uses_vcc, 0
	.set _ZN7rocprim17ROCPRIM_400000_NS6detail17trampoline_kernelINS0_14default_configENS1_20scan_config_selectorIN3c108BFloat16EEEZZNS1_9scan_implILNS1_25lookback_scan_determinismE0ELb0ELb0ES3_PKS6_PS6_S6_ZZZN2at6native31launch_logcumsumexp_cuda_kernelERKNSD_10TensorBaseESH_lENKUlvE_clEvENKUlvE4_clEvEUlS6_S6_E_S6_EEDaPvRmT3_T4_T5_mT6_P12ihipStream_tbENKUlT_T0_E_clISt17integral_constantIbLb1EESX_IbLb0EEEEDaST_SU_EUlST_E_NS1_11comp_targetILNS1_3genE2ELNS1_11target_archE906ELNS1_3gpuE6ELNS1_3repE0EEENS1_30default_config_static_selectorELNS0_4arch9wavefront6targetE0EEEvT1_.uses_flat_scratch, 0
	.set _ZN7rocprim17ROCPRIM_400000_NS6detail17trampoline_kernelINS0_14default_configENS1_20scan_config_selectorIN3c108BFloat16EEEZZNS1_9scan_implILNS1_25lookback_scan_determinismE0ELb0ELb0ES3_PKS6_PS6_S6_ZZZN2at6native31launch_logcumsumexp_cuda_kernelERKNSD_10TensorBaseESH_lENKUlvE_clEvENKUlvE4_clEvEUlS6_S6_E_S6_EEDaPvRmT3_T4_T5_mT6_P12ihipStream_tbENKUlT_T0_E_clISt17integral_constantIbLb1EESX_IbLb0EEEEDaST_SU_EUlST_E_NS1_11comp_targetILNS1_3genE2ELNS1_11target_archE906ELNS1_3gpuE6ELNS1_3repE0EEENS1_30default_config_static_selectorELNS0_4arch9wavefront6targetE0EEEvT1_.has_dyn_sized_stack, 0
	.set _ZN7rocprim17ROCPRIM_400000_NS6detail17trampoline_kernelINS0_14default_configENS1_20scan_config_selectorIN3c108BFloat16EEEZZNS1_9scan_implILNS1_25lookback_scan_determinismE0ELb0ELb0ES3_PKS6_PS6_S6_ZZZN2at6native31launch_logcumsumexp_cuda_kernelERKNSD_10TensorBaseESH_lENKUlvE_clEvENKUlvE4_clEvEUlS6_S6_E_S6_EEDaPvRmT3_T4_T5_mT6_P12ihipStream_tbENKUlT_T0_E_clISt17integral_constantIbLb1EESX_IbLb0EEEEDaST_SU_EUlST_E_NS1_11comp_targetILNS1_3genE2ELNS1_11target_archE906ELNS1_3gpuE6ELNS1_3repE0EEENS1_30default_config_static_selectorELNS0_4arch9wavefront6targetE0EEEvT1_.has_recursion, 0
	.set _ZN7rocprim17ROCPRIM_400000_NS6detail17trampoline_kernelINS0_14default_configENS1_20scan_config_selectorIN3c108BFloat16EEEZZNS1_9scan_implILNS1_25lookback_scan_determinismE0ELb0ELb0ES3_PKS6_PS6_S6_ZZZN2at6native31launch_logcumsumexp_cuda_kernelERKNSD_10TensorBaseESH_lENKUlvE_clEvENKUlvE4_clEvEUlS6_S6_E_S6_EEDaPvRmT3_T4_T5_mT6_P12ihipStream_tbENKUlT_T0_E_clISt17integral_constantIbLb1EESX_IbLb0EEEEDaST_SU_EUlST_E_NS1_11comp_targetILNS1_3genE2ELNS1_11target_archE906ELNS1_3gpuE6ELNS1_3repE0EEENS1_30default_config_static_selectorELNS0_4arch9wavefront6targetE0EEEvT1_.has_indirect_call, 0
	.section	.AMDGPU.csdata,"",@progbits
; Kernel info:
; codeLenInByte = 0
; TotalNumSgprs: 0
; NumVgprs: 0
; ScratchSize: 0
; MemoryBound: 0
; FloatMode: 240
; IeeeMode: 1
; LDSByteSize: 0 bytes/workgroup (compile time only)
; SGPRBlocks: 0
; VGPRBlocks: 0
; NumSGPRsForWavesPerEU: 1
; NumVGPRsForWavesPerEU: 1
; Occupancy: 16
; WaveLimiterHint : 0
; COMPUTE_PGM_RSRC2:SCRATCH_EN: 0
; COMPUTE_PGM_RSRC2:USER_SGPR: 2
; COMPUTE_PGM_RSRC2:TRAP_HANDLER: 0
; COMPUTE_PGM_RSRC2:TGID_X_EN: 1
; COMPUTE_PGM_RSRC2:TGID_Y_EN: 0
; COMPUTE_PGM_RSRC2:TGID_Z_EN: 0
; COMPUTE_PGM_RSRC2:TIDIG_COMP_CNT: 0
	.section	.text._ZN7rocprim17ROCPRIM_400000_NS6detail17trampoline_kernelINS0_14default_configENS1_20scan_config_selectorIN3c108BFloat16EEEZZNS1_9scan_implILNS1_25lookback_scan_determinismE0ELb0ELb0ES3_PKS6_PS6_S6_ZZZN2at6native31launch_logcumsumexp_cuda_kernelERKNSD_10TensorBaseESH_lENKUlvE_clEvENKUlvE4_clEvEUlS6_S6_E_S6_EEDaPvRmT3_T4_T5_mT6_P12ihipStream_tbENKUlT_T0_E_clISt17integral_constantIbLb1EESX_IbLb0EEEEDaST_SU_EUlST_E_NS1_11comp_targetILNS1_3genE10ELNS1_11target_archE1201ELNS1_3gpuE5ELNS1_3repE0EEENS1_30default_config_static_selectorELNS0_4arch9wavefront6targetE0EEEvT1_,"axG",@progbits,_ZN7rocprim17ROCPRIM_400000_NS6detail17trampoline_kernelINS0_14default_configENS1_20scan_config_selectorIN3c108BFloat16EEEZZNS1_9scan_implILNS1_25lookback_scan_determinismE0ELb0ELb0ES3_PKS6_PS6_S6_ZZZN2at6native31launch_logcumsumexp_cuda_kernelERKNSD_10TensorBaseESH_lENKUlvE_clEvENKUlvE4_clEvEUlS6_S6_E_S6_EEDaPvRmT3_T4_T5_mT6_P12ihipStream_tbENKUlT_T0_E_clISt17integral_constantIbLb1EESX_IbLb0EEEEDaST_SU_EUlST_E_NS1_11comp_targetILNS1_3genE10ELNS1_11target_archE1201ELNS1_3gpuE5ELNS1_3repE0EEENS1_30default_config_static_selectorELNS0_4arch9wavefront6targetE0EEEvT1_,comdat
	.globl	_ZN7rocprim17ROCPRIM_400000_NS6detail17trampoline_kernelINS0_14default_configENS1_20scan_config_selectorIN3c108BFloat16EEEZZNS1_9scan_implILNS1_25lookback_scan_determinismE0ELb0ELb0ES3_PKS6_PS6_S6_ZZZN2at6native31launch_logcumsumexp_cuda_kernelERKNSD_10TensorBaseESH_lENKUlvE_clEvENKUlvE4_clEvEUlS6_S6_E_S6_EEDaPvRmT3_T4_T5_mT6_P12ihipStream_tbENKUlT_T0_E_clISt17integral_constantIbLb1EESX_IbLb0EEEEDaST_SU_EUlST_E_NS1_11comp_targetILNS1_3genE10ELNS1_11target_archE1201ELNS1_3gpuE5ELNS1_3repE0EEENS1_30default_config_static_selectorELNS0_4arch9wavefront6targetE0EEEvT1_ ; -- Begin function _ZN7rocprim17ROCPRIM_400000_NS6detail17trampoline_kernelINS0_14default_configENS1_20scan_config_selectorIN3c108BFloat16EEEZZNS1_9scan_implILNS1_25lookback_scan_determinismE0ELb0ELb0ES3_PKS6_PS6_S6_ZZZN2at6native31launch_logcumsumexp_cuda_kernelERKNSD_10TensorBaseESH_lENKUlvE_clEvENKUlvE4_clEvEUlS6_S6_E_S6_EEDaPvRmT3_T4_T5_mT6_P12ihipStream_tbENKUlT_T0_E_clISt17integral_constantIbLb1EESX_IbLb0EEEEDaST_SU_EUlST_E_NS1_11comp_targetILNS1_3genE10ELNS1_11target_archE1201ELNS1_3gpuE5ELNS1_3repE0EEENS1_30default_config_static_selectorELNS0_4arch9wavefront6targetE0EEEvT1_
	.p2align	8
	.type	_ZN7rocprim17ROCPRIM_400000_NS6detail17trampoline_kernelINS0_14default_configENS1_20scan_config_selectorIN3c108BFloat16EEEZZNS1_9scan_implILNS1_25lookback_scan_determinismE0ELb0ELb0ES3_PKS6_PS6_S6_ZZZN2at6native31launch_logcumsumexp_cuda_kernelERKNSD_10TensorBaseESH_lENKUlvE_clEvENKUlvE4_clEvEUlS6_S6_E_S6_EEDaPvRmT3_T4_T5_mT6_P12ihipStream_tbENKUlT_T0_E_clISt17integral_constantIbLb1EESX_IbLb0EEEEDaST_SU_EUlST_E_NS1_11comp_targetILNS1_3genE10ELNS1_11target_archE1201ELNS1_3gpuE5ELNS1_3repE0EEENS1_30default_config_static_selectorELNS0_4arch9wavefront6targetE0EEEvT1_,@function
_ZN7rocprim17ROCPRIM_400000_NS6detail17trampoline_kernelINS0_14default_configENS1_20scan_config_selectorIN3c108BFloat16EEEZZNS1_9scan_implILNS1_25lookback_scan_determinismE0ELb0ELb0ES3_PKS6_PS6_S6_ZZZN2at6native31launch_logcumsumexp_cuda_kernelERKNSD_10TensorBaseESH_lENKUlvE_clEvENKUlvE4_clEvEUlS6_S6_E_S6_EEDaPvRmT3_T4_T5_mT6_P12ihipStream_tbENKUlT_T0_E_clISt17integral_constantIbLb1EESX_IbLb0EEEEDaST_SU_EUlST_E_NS1_11comp_targetILNS1_3genE10ELNS1_11target_archE1201ELNS1_3gpuE5ELNS1_3repE0EEENS1_30default_config_static_selectorELNS0_4arch9wavefront6targetE0EEEvT1_: ; @_ZN7rocprim17ROCPRIM_400000_NS6detail17trampoline_kernelINS0_14default_configENS1_20scan_config_selectorIN3c108BFloat16EEEZZNS1_9scan_implILNS1_25lookback_scan_determinismE0ELb0ELb0ES3_PKS6_PS6_S6_ZZZN2at6native31launch_logcumsumexp_cuda_kernelERKNSD_10TensorBaseESH_lENKUlvE_clEvENKUlvE4_clEvEUlS6_S6_E_S6_EEDaPvRmT3_T4_T5_mT6_P12ihipStream_tbENKUlT_T0_E_clISt17integral_constantIbLb1EESX_IbLb0EEEEDaST_SU_EUlST_E_NS1_11comp_targetILNS1_3genE10ELNS1_11target_archE1201ELNS1_3gpuE5ELNS1_3repE0EEENS1_30default_config_static_selectorELNS0_4arch9wavefront6targetE0EEEvT1_
; %bb.0:
	s_endpgm
	.section	.rodata,"a",@progbits
	.p2align	6, 0x0
	.amdhsa_kernel _ZN7rocprim17ROCPRIM_400000_NS6detail17trampoline_kernelINS0_14default_configENS1_20scan_config_selectorIN3c108BFloat16EEEZZNS1_9scan_implILNS1_25lookback_scan_determinismE0ELb0ELb0ES3_PKS6_PS6_S6_ZZZN2at6native31launch_logcumsumexp_cuda_kernelERKNSD_10TensorBaseESH_lENKUlvE_clEvENKUlvE4_clEvEUlS6_S6_E_S6_EEDaPvRmT3_T4_T5_mT6_P12ihipStream_tbENKUlT_T0_E_clISt17integral_constantIbLb1EESX_IbLb0EEEEDaST_SU_EUlST_E_NS1_11comp_targetILNS1_3genE10ELNS1_11target_archE1201ELNS1_3gpuE5ELNS1_3repE0EEENS1_30default_config_static_selectorELNS0_4arch9wavefront6targetE0EEEvT1_
		.amdhsa_group_segment_fixed_size 0
		.amdhsa_private_segment_fixed_size 0
		.amdhsa_kernarg_size 96
		.amdhsa_user_sgpr_count 2
		.amdhsa_user_sgpr_dispatch_ptr 0
		.amdhsa_user_sgpr_queue_ptr 0
		.amdhsa_user_sgpr_kernarg_segment_ptr 1
		.amdhsa_user_sgpr_dispatch_id 0
		.amdhsa_user_sgpr_private_segment_size 0
		.amdhsa_wavefront_size32 1
		.amdhsa_uses_dynamic_stack 0
		.amdhsa_enable_private_segment 0
		.amdhsa_system_sgpr_workgroup_id_x 1
		.amdhsa_system_sgpr_workgroup_id_y 0
		.amdhsa_system_sgpr_workgroup_id_z 0
		.amdhsa_system_sgpr_workgroup_info 0
		.amdhsa_system_vgpr_workitem_id 0
		.amdhsa_next_free_vgpr 1
		.amdhsa_next_free_sgpr 1
		.amdhsa_reserve_vcc 0
		.amdhsa_float_round_mode_32 0
		.amdhsa_float_round_mode_16_64 0
		.amdhsa_float_denorm_mode_32 3
		.amdhsa_float_denorm_mode_16_64 3
		.amdhsa_fp16_overflow 0
		.amdhsa_workgroup_processor_mode 1
		.amdhsa_memory_ordered 1
		.amdhsa_forward_progress 1
		.amdhsa_inst_pref_size 1
		.amdhsa_round_robin_scheduling 0
		.amdhsa_exception_fp_ieee_invalid_op 0
		.amdhsa_exception_fp_denorm_src 0
		.amdhsa_exception_fp_ieee_div_zero 0
		.amdhsa_exception_fp_ieee_overflow 0
		.amdhsa_exception_fp_ieee_underflow 0
		.amdhsa_exception_fp_ieee_inexact 0
		.amdhsa_exception_int_div_zero 0
	.end_amdhsa_kernel
	.section	.text._ZN7rocprim17ROCPRIM_400000_NS6detail17trampoline_kernelINS0_14default_configENS1_20scan_config_selectorIN3c108BFloat16EEEZZNS1_9scan_implILNS1_25lookback_scan_determinismE0ELb0ELb0ES3_PKS6_PS6_S6_ZZZN2at6native31launch_logcumsumexp_cuda_kernelERKNSD_10TensorBaseESH_lENKUlvE_clEvENKUlvE4_clEvEUlS6_S6_E_S6_EEDaPvRmT3_T4_T5_mT6_P12ihipStream_tbENKUlT_T0_E_clISt17integral_constantIbLb1EESX_IbLb0EEEEDaST_SU_EUlST_E_NS1_11comp_targetILNS1_3genE10ELNS1_11target_archE1201ELNS1_3gpuE5ELNS1_3repE0EEENS1_30default_config_static_selectorELNS0_4arch9wavefront6targetE0EEEvT1_,"axG",@progbits,_ZN7rocprim17ROCPRIM_400000_NS6detail17trampoline_kernelINS0_14default_configENS1_20scan_config_selectorIN3c108BFloat16EEEZZNS1_9scan_implILNS1_25lookback_scan_determinismE0ELb0ELb0ES3_PKS6_PS6_S6_ZZZN2at6native31launch_logcumsumexp_cuda_kernelERKNSD_10TensorBaseESH_lENKUlvE_clEvENKUlvE4_clEvEUlS6_S6_E_S6_EEDaPvRmT3_T4_T5_mT6_P12ihipStream_tbENKUlT_T0_E_clISt17integral_constantIbLb1EESX_IbLb0EEEEDaST_SU_EUlST_E_NS1_11comp_targetILNS1_3genE10ELNS1_11target_archE1201ELNS1_3gpuE5ELNS1_3repE0EEENS1_30default_config_static_selectorELNS0_4arch9wavefront6targetE0EEEvT1_,comdat
.Lfunc_end489:
	.size	_ZN7rocprim17ROCPRIM_400000_NS6detail17trampoline_kernelINS0_14default_configENS1_20scan_config_selectorIN3c108BFloat16EEEZZNS1_9scan_implILNS1_25lookback_scan_determinismE0ELb0ELb0ES3_PKS6_PS6_S6_ZZZN2at6native31launch_logcumsumexp_cuda_kernelERKNSD_10TensorBaseESH_lENKUlvE_clEvENKUlvE4_clEvEUlS6_S6_E_S6_EEDaPvRmT3_T4_T5_mT6_P12ihipStream_tbENKUlT_T0_E_clISt17integral_constantIbLb1EESX_IbLb0EEEEDaST_SU_EUlST_E_NS1_11comp_targetILNS1_3genE10ELNS1_11target_archE1201ELNS1_3gpuE5ELNS1_3repE0EEENS1_30default_config_static_selectorELNS0_4arch9wavefront6targetE0EEEvT1_, .Lfunc_end489-_ZN7rocprim17ROCPRIM_400000_NS6detail17trampoline_kernelINS0_14default_configENS1_20scan_config_selectorIN3c108BFloat16EEEZZNS1_9scan_implILNS1_25lookback_scan_determinismE0ELb0ELb0ES3_PKS6_PS6_S6_ZZZN2at6native31launch_logcumsumexp_cuda_kernelERKNSD_10TensorBaseESH_lENKUlvE_clEvENKUlvE4_clEvEUlS6_S6_E_S6_EEDaPvRmT3_T4_T5_mT6_P12ihipStream_tbENKUlT_T0_E_clISt17integral_constantIbLb1EESX_IbLb0EEEEDaST_SU_EUlST_E_NS1_11comp_targetILNS1_3genE10ELNS1_11target_archE1201ELNS1_3gpuE5ELNS1_3repE0EEENS1_30default_config_static_selectorELNS0_4arch9wavefront6targetE0EEEvT1_
                                        ; -- End function
	.set _ZN7rocprim17ROCPRIM_400000_NS6detail17trampoline_kernelINS0_14default_configENS1_20scan_config_selectorIN3c108BFloat16EEEZZNS1_9scan_implILNS1_25lookback_scan_determinismE0ELb0ELb0ES3_PKS6_PS6_S6_ZZZN2at6native31launch_logcumsumexp_cuda_kernelERKNSD_10TensorBaseESH_lENKUlvE_clEvENKUlvE4_clEvEUlS6_S6_E_S6_EEDaPvRmT3_T4_T5_mT6_P12ihipStream_tbENKUlT_T0_E_clISt17integral_constantIbLb1EESX_IbLb0EEEEDaST_SU_EUlST_E_NS1_11comp_targetILNS1_3genE10ELNS1_11target_archE1201ELNS1_3gpuE5ELNS1_3repE0EEENS1_30default_config_static_selectorELNS0_4arch9wavefront6targetE0EEEvT1_.num_vgpr, 0
	.set _ZN7rocprim17ROCPRIM_400000_NS6detail17trampoline_kernelINS0_14default_configENS1_20scan_config_selectorIN3c108BFloat16EEEZZNS1_9scan_implILNS1_25lookback_scan_determinismE0ELb0ELb0ES3_PKS6_PS6_S6_ZZZN2at6native31launch_logcumsumexp_cuda_kernelERKNSD_10TensorBaseESH_lENKUlvE_clEvENKUlvE4_clEvEUlS6_S6_E_S6_EEDaPvRmT3_T4_T5_mT6_P12ihipStream_tbENKUlT_T0_E_clISt17integral_constantIbLb1EESX_IbLb0EEEEDaST_SU_EUlST_E_NS1_11comp_targetILNS1_3genE10ELNS1_11target_archE1201ELNS1_3gpuE5ELNS1_3repE0EEENS1_30default_config_static_selectorELNS0_4arch9wavefront6targetE0EEEvT1_.num_agpr, 0
	.set _ZN7rocprim17ROCPRIM_400000_NS6detail17trampoline_kernelINS0_14default_configENS1_20scan_config_selectorIN3c108BFloat16EEEZZNS1_9scan_implILNS1_25lookback_scan_determinismE0ELb0ELb0ES3_PKS6_PS6_S6_ZZZN2at6native31launch_logcumsumexp_cuda_kernelERKNSD_10TensorBaseESH_lENKUlvE_clEvENKUlvE4_clEvEUlS6_S6_E_S6_EEDaPvRmT3_T4_T5_mT6_P12ihipStream_tbENKUlT_T0_E_clISt17integral_constantIbLb1EESX_IbLb0EEEEDaST_SU_EUlST_E_NS1_11comp_targetILNS1_3genE10ELNS1_11target_archE1201ELNS1_3gpuE5ELNS1_3repE0EEENS1_30default_config_static_selectorELNS0_4arch9wavefront6targetE0EEEvT1_.numbered_sgpr, 0
	.set _ZN7rocprim17ROCPRIM_400000_NS6detail17trampoline_kernelINS0_14default_configENS1_20scan_config_selectorIN3c108BFloat16EEEZZNS1_9scan_implILNS1_25lookback_scan_determinismE0ELb0ELb0ES3_PKS6_PS6_S6_ZZZN2at6native31launch_logcumsumexp_cuda_kernelERKNSD_10TensorBaseESH_lENKUlvE_clEvENKUlvE4_clEvEUlS6_S6_E_S6_EEDaPvRmT3_T4_T5_mT6_P12ihipStream_tbENKUlT_T0_E_clISt17integral_constantIbLb1EESX_IbLb0EEEEDaST_SU_EUlST_E_NS1_11comp_targetILNS1_3genE10ELNS1_11target_archE1201ELNS1_3gpuE5ELNS1_3repE0EEENS1_30default_config_static_selectorELNS0_4arch9wavefront6targetE0EEEvT1_.num_named_barrier, 0
	.set _ZN7rocprim17ROCPRIM_400000_NS6detail17trampoline_kernelINS0_14default_configENS1_20scan_config_selectorIN3c108BFloat16EEEZZNS1_9scan_implILNS1_25lookback_scan_determinismE0ELb0ELb0ES3_PKS6_PS6_S6_ZZZN2at6native31launch_logcumsumexp_cuda_kernelERKNSD_10TensorBaseESH_lENKUlvE_clEvENKUlvE4_clEvEUlS6_S6_E_S6_EEDaPvRmT3_T4_T5_mT6_P12ihipStream_tbENKUlT_T0_E_clISt17integral_constantIbLb1EESX_IbLb0EEEEDaST_SU_EUlST_E_NS1_11comp_targetILNS1_3genE10ELNS1_11target_archE1201ELNS1_3gpuE5ELNS1_3repE0EEENS1_30default_config_static_selectorELNS0_4arch9wavefront6targetE0EEEvT1_.private_seg_size, 0
	.set _ZN7rocprim17ROCPRIM_400000_NS6detail17trampoline_kernelINS0_14default_configENS1_20scan_config_selectorIN3c108BFloat16EEEZZNS1_9scan_implILNS1_25lookback_scan_determinismE0ELb0ELb0ES3_PKS6_PS6_S6_ZZZN2at6native31launch_logcumsumexp_cuda_kernelERKNSD_10TensorBaseESH_lENKUlvE_clEvENKUlvE4_clEvEUlS6_S6_E_S6_EEDaPvRmT3_T4_T5_mT6_P12ihipStream_tbENKUlT_T0_E_clISt17integral_constantIbLb1EESX_IbLb0EEEEDaST_SU_EUlST_E_NS1_11comp_targetILNS1_3genE10ELNS1_11target_archE1201ELNS1_3gpuE5ELNS1_3repE0EEENS1_30default_config_static_selectorELNS0_4arch9wavefront6targetE0EEEvT1_.uses_vcc, 0
	.set _ZN7rocprim17ROCPRIM_400000_NS6detail17trampoline_kernelINS0_14default_configENS1_20scan_config_selectorIN3c108BFloat16EEEZZNS1_9scan_implILNS1_25lookback_scan_determinismE0ELb0ELb0ES3_PKS6_PS6_S6_ZZZN2at6native31launch_logcumsumexp_cuda_kernelERKNSD_10TensorBaseESH_lENKUlvE_clEvENKUlvE4_clEvEUlS6_S6_E_S6_EEDaPvRmT3_T4_T5_mT6_P12ihipStream_tbENKUlT_T0_E_clISt17integral_constantIbLb1EESX_IbLb0EEEEDaST_SU_EUlST_E_NS1_11comp_targetILNS1_3genE10ELNS1_11target_archE1201ELNS1_3gpuE5ELNS1_3repE0EEENS1_30default_config_static_selectorELNS0_4arch9wavefront6targetE0EEEvT1_.uses_flat_scratch, 0
	.set _ZN7rocprim17ROCPRIM_400000_NS6detail17trampoline_kernelINS0_14default_configENS1_20scan_config_selectorIN3c108BFloat16EEEZZNS1_9scan_implILNS1_25lookback_scan_determinismE0ELb0ELb0ES3_PKS6_PS6_S6_ZZZN2at6native31launch_logcumsumexp_cuda_kernelERKNSD_10TensorBaseESH_lENKUlvE_clEvENKUlvE4_clEvEUlS6_S6_E_S6_EEDaPvRmT3_T4_T5_mT6_P12ihipStream_tbENKUlT_T0_E_clISt17integral_constantIbLb1EESX_IbLb0EEEEDaST_SU_EUlST_E_NS1_11comp_targetILNS1_3genE10ELNS1_11target_archE1201ELNS1_3gpuE5ELNS1_3repE0EEENS1_30default_config_static_selectorELNS0_4arch9wavefront6targetE0EEEvT1_.has_dyn_sized_stack, 0
	.set _ZN7rocprim17ROCPRIM_400000_NS6detail17trampoline_kernelINS0_14default_configENS1_20scan_config_selectorIN3c108BFloat16EEEZZNS1_9scan_implILNS1_25lookback_scan_determinismE0ELb0ELb0ES3_PKS6_PS6_S6_ZZZN2at6native31launch_logcumsumexp_cuda_kernelERKNSD_10TensorBaseESH_lENKUlvE_clEvENKUlvE4_clEvEUlS6_S6_E_S6_EEDaPvRmT3_T4_T5_mT6_P12ihipStream_tbENKUlT_T0_E_clISt17integral_constantIbLb1EESX_IbLb0EEEEDaST_SU_EUlST_E_NS1_11comp_targetILNS1_3genE10ELNS1_11target_archE1201ELNS1_3gpuE5ELNS1_3repE0EEENS1_30default_config_static_selectorELNS0_4arch9wavefront6targetE0EEEvT1_.has_recursion, 0
	.set _ZN7rocprim17ROCPRIM_400000_NS6detail17trampoline_kernelINS0_14default_configENS1_20scan_config_selectorIN3c108BFloat16EEEZZNS1_9scan_implILNS1_25lookback_scan_determinismE0ELb0ELb0ES3_PKS6_PS6_S6_ZZZN2at6native31launch_logcumsumexp_cuda_kernelERKNSD_10TensorBaseESH_lENKUlvE_clEvENKUlvE4_clEvEUlS6_S6_E_S6_EEDaPvRmT3_T4_T5_mT6_P12ihipStream_tbENKUlT_T0_E_clISt17integral_constantIbLb1EESX_IbLb0EEEEDaST_SU_EUlST_E_NS1_11comp_targetILNS1_3genE10ELNS1_11target_archE1201ELNS1_3gpuE5ELNS1_3repE0EEENS1_30default_config_static_selectorELNS0_4arch9wavefront6targetE0EEEvT1_.has_indirect_call, 0
	.section	.AMDGPU.csdata,"",@progbits
; Kernel info:
; codeLenInByte = 4
; TotalNumSgprs: 0
; NumVgprs: 0
; ScratchSize: 0
; MemoryBound: 0
; FloatMode: 240
; IeeeMode: 1
; LDSByteSize: 0 bytes/workgroup (compile time only)
; SGPRBlocks: 0
; VGPRBlocks: 0
; NumSGPRsForWavesPerEU: 1
; NumVGPRsForWavesPerEU: 1
; Occupancy: 16
; WaveLimiterHint : 0
; COMPUTE_PGM_RSRC2:SCRATCH_EN: 0
; COMPUTE_PGM_RSRC2:USER_SGPR: 2
; COMPUTE_PGM_RSRC2:TRAP_HANDLER: 0
; COMPUTE_PGM_RSRC2:TGID_X_EN: 1
; COMPUTE_PGM_RSRC2:TGID_Y_EN: 0
; COMPUTE_PGM_RSRC2:TGID_Z_EN: 0
; COMPUTE_PGM_RSRC2:TIDIG_COMP_CNT: 0
	.section	.text._ZN7rocprim17ROCPRIM_400000_NS6detail17trampoline_kernelINS0_14default_configENS1_20scan_config_selectorIN3c108BFloat16EEEZZNS1_9scan_implILNS1_25lookback_scan_determinismE0ELb0ELb0ES3_PKS6_PS6_S6_ZZZN2at6native31launch_logcumsumexp_cuda_kernelERKNSD_10TensorBaseESH_lENKUlvE_clEvENKUlvE4_clEvEUlS6_S6_E_S6_EEDaPvRmT3_T4_T5_mT6_P12ihipStream_tbENKUlT_T0_E_clISt17integral_constantIbLb1EESX_IbLb0EEEEDaST_SU_EUlST_E_NS1_11comp_targetILNS1_3genE10ELNS1_11target_archE1200ELNS1_3gpuE4ELNS1_3repE0EEENS1_30default_config_static_selectorELNS0_4arch9wavefront6targetE0EEEvT1_,"axG",@progbits,_ZN7rocprim17ROCPRIM_400000_NS6detail17trampoline_kernelINS0_14default_configENS1_20scan_config_selectorIN3c108BFloat16EEEZZNS1_9scan_implILNS1_25lookback_scan_determinismE0ELb0ELb0ES3_PKS6_PS6_S6_ZZZN2at6native31launch_logcumsumexp_cuda_kernelERKNSD_10TensorBaseESH_lENKUlvE_clEvENKUlvE4_clEvEUlS6_S6_E_S6_EEDaPvRmT3_T4_T5_mT6_P12ihipStream_tbENKUlT_T0_E_clISt17integral_constantIbLb1EESX_IbLb0EEEEDaST_SU_EUlST_E_NS1_11comp_targetILNS1_3genE10ELNS1_11target_archE1200ELNS1_3gpuE4ELNS1_3repE0EEENS1_30default_config_static_selectorELNS0_4arch9wavefront6targetE0EEEvT1_,comdat
	.globl	_ZN7rocprim17ROCPRIM_400000_NS6detail17trampoline_kernelINS0_14default_configENS1_20scan_config_selectorIN3c108BFloat16EEEZZNS1_9scan_implILNS1_25lookback_scan_determinismE0ELb0ELb0ES3_PKS6_PS6_S6_ZZZN2at6native31launch_logcumsumexp_cuda_kernelERKNSD_10TensorBaseESH_lENKUlvE_clEvENKUlvE4_clEvEUlS6_S6_E_S6_EEDaPvRmT3_T4_T5_mT6_P12ihipStream_tbENKUlT_T0_E_clISt17integral_constantIbLb1EESX_IbLb0EEEEDaST_SU_EUlST_E_NS1_11comp_targetILNS1_3genE10ELNS1_11target_archE1200ELNS1_3gpuE4ELNS1_3repE0EEENS1_30default_config_static_selectorELNS0_4arch9wavefront6targetE0EEEvT1_ ; -- Begin function _ZN7rocprim17ROCPRIM_400000_NS6detail17trampoline_kernelINS0_14default_configENS1_20scan_config_selectorIN3c108BFloat16EEEZZNS1_9scan_implILNS1_25lookback_scan_determinismE0ELb0ELb0ES3_PKS6_PS6_S6_ZZZN2at6native31launch_logcumsumexp_cuda_kernelERKNSD_10TensorBaseESH_lENKUlvE_clEvENKUlvE4_clEvEUlS6_S6_E_S6_EEDaPvRmT3_T4_T5_mT6_P12ihipStream_tbENKUlT_T0_E_clISt17integral_constantIbLb1EESX_IbLb0EEEEDaST_SU_EUlST_E_NS1_11comp_targetILNS1_3genE10ELNS1_11target_archE1200ELNS1_3gpuE4ELNS1_3repE0EEENS1_30default_config_static_selectorELNS0_4arch9wavefront6targetE0EEEvT1_
	.p2align	8
	.type	_ZN7rocprim17ROCPRIM_400000_NS6detail17trampoline_kernelINS0_14default_configENS1_20scan_config_selectorIN3c108BFloat16EEEZZNS1_9scan_implILNS1_25lookback_scan_determinismE0ELb0ELb0ES3_PKS6_PS6_S6_ZZZN2at6native31launch_logcumsumexp_cuda_kernelERKNSD_10TensorBaseESH_lENKUlvE_clEvENKUlvE4_clEvEUlS6_S6_E_S6_EEDaPvRmT3_T4_T5_mT6_P12ihipStream_tbENKUlT_T0_E_clISt17integral_constantIbLb1EESX_IbLb0EEEEDaST_SU_EUlST_E_NS1_11comp_targetILNS1_3genE10ELNS1_11target_archE1200ELNS1_3gpuE4ELNS1_3repE0EEENS1_30default_config_static_selectorELNS0_4arch9wavefront6targetE0EEEvT1_,@function
_ZN7rocprim17ROCPRIM_400000_NS6detail17trampoline_kernelINS0_14default_configENS1_20scan_config_selectorIN3c108BFloat16EEEZZNS1_9scan_implILNS1_25lookback_scan_determinismE0ELb0ELb0ES3_PKS6_PS6_S6_ZZZN2at6native31launch_logcumsumexp_cuda_kernelERKNSD_10TensorBaseESH_lENKUlvE_clEvENKUlvE4_clEvEUlS6_S6_E_S6_EEDaPvRmT3_T4_T5_mT6_P12ihipStream_tbENKUlT_T0_E_clISt17integral_constantIbLb1EESX_IbLb0EEEEDaST_SU_EUlST_E_NS1_11comp_targetILNS1_3genE10ELNS1_11target_archE1200ELNS1_3gpuE4ELNS1_3repE0EEENS1_30default_config_static_selectorELNS0_4arch9wavefront6targetE0EEEvT1_: ; @_ZN7rocprim17ROCPRIM_400000_NS6detail17trampoline_kernelINS0_14default_configENS1_20scan_config_selectorIN3c108BFloat16EEEZZNS1_9scan_implILNS1_25lookback_scan_determinismE0ELb0ELb0ES3_PKS6_PS6_S6_ZZZN2at6native31launch_logcumsumexp_cuda_kernelERKNSD_10TensorBaseESH_lENKUlvE_clEvENKUlvE4_clEvEUlS6_S6_E_S6_EEDaPvRmT3_T4_T5_mT6_P12ihipStream_tbENKUlT_T0_E_clISt17integral_constantIbLb1EESX_IbLb0EEEEDaST_SU_EUlST_E_NS1_11comp_targetILNS1_3genE10ELNS1_11target_archE1200ELNS1_3gpuE4ELNS1_3repE0EEENS1_30default_config_static_selectorELNS0_4arch9wavefront6targetE0EEEvT1_
; %bb.0:
	.section	.rodata,"a",@progbits
	.p2align	6, 0x0
	.amdhsa_kernel _ZN7rocprim17ROCPRIM_400000_NS6detail17trampoline_kernelINS0_14default_configENS1_20scan_config_selectorIN3c108BFloat16EEEZZNS1_9scan_implILNS1_25lookback_scan_determinismE0ELb0ELb0ES3_PKS6_PS6_S6_ZZZN2at6native31launch_logcumsumexp_cuda_kernelERKNSD_10TensorBaseESH_lENKUlvE_clEvENKUlvE4_clEvEUlS6_S6_E_S6_EEDaPvRmT3_T4_T5_mT6_P12ihipStream_tbENKUlT_T0_E_clISt17integral_constantIbLb1EESX_IbLb0EEEEDaST_SU_EUlST_E_NS1_11comp_targetILNS1_3genE10ELNS1_11target_archE1200ELNS1_3gpuE4ELNS1_3repE0EEENS1_30default_config_static_selectorELNS0_4arch9wavefront6targetE0EEEvT1_
		.amdhsa_group_segment_fixed_size 0
		.amdhsa_private_segment_fixed_size 0
		.amdhsa_kernarg_size 96
		.amdhsa_user_sgpr_count 2
		.amdhsa_user_sgpr_dispatch_ptr 0
		.amdhsa_user_sgpr_queue_ptr 0
		.amdhsa_user_sgpr_kernarg_segment_ptr 1
		.amdhsa_user_sgpr_dispatch_id 0
		.amdhsa_user_sgpr_private_segment_size 0
		.amdhsa_wavefront_size32 1
		.amdhsa_uses_dynamic_stack 0
		.amdhsa_enable_private_segment 0
		.amdhsa_system_sgpr_workgroup_id_x 1
		.amdhsa_system_sgpr_workgroup_id_y 0
		.amdhsa_system_sgpr_workgroup_id_z 0
		.amdhsa_system_sgpr_workgroup_info 0
		.amdhsa_system_vgpr_workitem_id 0
		.amdhsa_next_free_vgpr 1
		.amdhsa_next_free_sgpr 1
		.amdhsa_reserve_vcc 0
		.amdhsa_float_round_mode_32 0
		.amdhsa_float_round_mode_16_64 0
		.amdhsa_float_denorm_mode_32 3
		.amdhsa_float_denorm_mode_16_64 3
		.amdhsa_fp16_overflow 0
		.amdhsa_workgroup_processor_mode 1
		.amdhsa_memory_ordered 1
		.amdhsa_forward_progress 1
		.amdhsa_inst_pref_size 0
		.amdhsa_round_robin_scheduling 0
		.amdhsa_exception_fp_ieee_invalid_op 0
		.amdhsa_exception_fp_denorm_src 0
		.amdhsa_exception_fp_ieee_div_zero 0
		.amdhsa_exception_fp_ieee_overflow 0
		.amdhsa_exception_fp_ieee_underflow 0
		.amdhsa_exception_fp_ieee_inexact 0
		.amdhsa_exception_int_div_zero 0
	.end_amdhsa_kernel
	.section	.text._ZN7rocprim17ROCPRIM_400000_NS6detail17trampoline_kernelINS0_14default_configENS1_20scan_config_selectorIN3c108BFloat16EEEZZNS1_9scan_implILNS1_25lookback_scan_determinismE0ELb0ELb0ES3_PKS6_PS6_S6_ZZZN2at6native31launch_logcumsumexp_cuda_kernelERKNSD_10TensorBaseESH_lENKUlvE_clEvENKUlvE4_clEvEUlS6_S6_E_S6_EEDaPvRmT3_T4_T5_mT6_P12ihipStream_tbENKUlT_T0_E_clISt17integral_constantIbLb1EESX_IbLb0EEEEDaST_SU_EUlST_E_NS1_11comp_targetILNS1_3genE10ELNS1_11target_archE1200ELNS1_3gpuE4ELNS1_3repE0EEENS1_30default_config_static_selectorELNS0_4arch9wavefront6targetE0EEEvT1_,"axG",@progbits,_ZN7rocprim17ROCPRIM_400000_NS6detail17trampoline_kernelINS0_14default_configENS1_20scan_config_selectorIN3c108BFloat16EEEZZNS1_9scan_implILNS1_25lookback_scan_determinismE0ELb0ELb0ES3_PKS6_PS6_S6_ZZZN2at6native31launch_logcumsumexp_cuda_kernelERKNSD_10TensorBaseESH_lENKUlvE_clEvENKUlvE4_clEvEUlS6_S6_E_S6_EEDaPvRmT3_T4_T5_mT6_P12ihipStream_tbENKUlT_T0_E_clISt17integral_constantIbLb1EESX_IbLb0EEEEDaST_SU_EUlST_E_NS1_11comp_targetILNS1_3genE10ELNS1_11target_archE1200ELNS1_3gpuE4ELNS1_3repE0EEENS1_30default_config_static_selectorELNS0_4arch9wavefront6targetE0EEEvT1_,comdat
.Lfunc_end490:
	.size	_ZN7rocprim17ROCPRIM_400000_NS6detail17trampoline_kernelINS0_14default_configENS1_20scan_config_selectorIN3c108BFloat16EEEZZNS1_9scan_implILNS1_25lookback_scan_determinismE0ELb0ELb0ES3_PKS6_PS6_S6_ZZZN2at6native31launch_logcumsumexp_cuda_kernelERKNSD_10TensorBaseESH_lENKUlvE_clEvENKUlvE4_clEvEUlS6_S6_E_S6_EEDaPvRmT3_T4_T5_mT6_P12ihipStream_tbENKUlT_T0_E_clISt17integral_constantIbLb1EESX_IbLb0EEEEDaST_SU_EUlST_E_NS1_11comp_targetILNS1_3genE10ELNS1_11target_archE1200ELNS1_3gpuE4ELNS1_3repE0EEENS1_30default_config_static_selectorELNS0_4arch9wavefront6targetE0EEEvT1_, .Lfunc_end490-_ZN7rocprim17ROCPRIM_400000_NS6detail17trampoline_kernelINS0_14default_configENS1_20scan_config_selectorIN3c108BFloat16EEEZZNS1_9scan_implILNS1_25lookback_scan_determinismE0ELb0ELb0ES3_PKS6_PS6_S6_ZZZN2at6native31launch_logcumsumexp_cuda_kernelERKNSD_10TensorBaseESH_lENKUlvE_clEvENKUlvE4_clEvEUlS6_S6_E_S6_EEDaPvRmT3_T4_T5_mT6_P12ihipStream_tbENKUlT_T0_E_clISt17integral_constantIbLb1EESX_IbLb0EEEEDaST_SU_EUlST_E_NS1_11comp_targetILNS1_3genE10ELNS1_11target_archE1200ELNS1_3gpuE4ELNS1_3repE0EEENS1_30default_config_static_selectorELNS0_4arch9wavefront6targetE0EEEvT1_
                                        ; -- End function
	.set _ZN7rocprim17ROCPRIM_400000_NS6detail17trampoline_kernelINS0_14default_configENS1_20scan_config_selectorIN3c108BFloat16EEEZZNS1_9scan_implILNS1_25lookback_scan_determinismE0ELb0ELb0ES3_PKS6_PS6_S6_ZZZN2at6native31launch_logcumsumexp_cuda_kernelERKNSD_10TensorBaseESH_lENKUlvE_clEvENKUlvE4_clEvEUlS6_S6_E_S6_EEDaPvRmT3_T4_T5_mT6_P12ihipStream_tbENKUlT_T0_E_clISt17integral_constantIbLb1EESX_IbLb0EEEEDaST_SU_EUlST_E_NS1_11comp_targetILNS1_3genE10ELNS1_11target_archE1200ELNS1_3gpuE4ELNS1_3repE0EEENS1_30default_config_static_selectorELNS0_4arch9wavefront6targetE0EEEvT1_.num_vgpr, 0
	.set _ZN7rocprim17ROCPRIM_400000_NS6detail17trampoline_kernelINS0_14default_configENS1_20scan_config_selectorIN3c108BFloat16EEEZZNS1_9scan_implILNS1_25lookback_scan_determinismE0ELb0ELb0ES3_PKS6_PS6_S6_ZZZN2at6native31launch_logcumsumexp_cuda_kernelERKNSD_10TensorBaseESH_lENKUlvE_clEvENKUlvE4_clEvEUlS6_S6_E_S6_EEDaPvRmT3_T4_T5_mT6_P12ihipStream_tbENKUlT_T0_E_clISt17integral_constantIbLb1EESX_IbLb0EEEEDaST_SU_EUlST_E_NS1_11comp_targetILNS1_3genE10ELNS1_11target_archE1200ELNS1_3gpuE4ELNS1_3repE0EEENS1_30default_config_static_selectorELNS0_4arch9wavefront6targetE0EEEvT1_.num_agpr, 0
	.set _ZN7rocprim17ROCPRIM_400000_NS6detail17trampoline_kernelINS0_14default_configENS1_20scan_config_selectorIN3c108BFloat16EEEZZNS1_9scan_implILNS1_25lookback_scan_determinismE0ELb0ELb0ES3_PKS6_PS6_S6_ZZZN2at6native31launch_logcumsumexp_cuda_kernelERKNSD_10TensorBaseESH_lENKUlvE_clEvENKUlvE4_clEvEUlS6_S6_E_S6_EEDaPvRmT3_T4_T5_mT6_P12ihipStream_tbENKUlT_T0_E_clISt17integral_constantIbLb1EESX_IbLb0EEEEDaST_SU_EUlST_E_NS1_11comp_targetILNS1_3genE10ELNS1_11target_archE1200ELNS1_3gpuE4ELNS1_3repE0EEENS1_30default_config_static_selectorELNS0_4arch9wavefront6targetE0EEEvT1_.numbered_sgpr, 0
	.set _ZN7rocprim17ROCPRIM_400000_NS6detail17trampoline_kernelINS0_14default_configENS1_20scan_config_selectorIN3c108BFloat16EEEZZNS1_9scan_implILNS1_25lookback_scan_determinismE0ELb0ELb0ES3_PKS6_PS6_S6_ZZZN2at6native31launch_logcumsumexp_cuda_kernelERKNSD_10TensorBaseESH_lENKUlvE_clEvENKUlvE4_clEvEUlS6_S6_E_S6_EEDaPvRmT3_T4_T5_mT6_P12ihipStream_tbENKUlT_T0_E_clISt17integral_constantIbLb1EESX_IbLb0EEEEDaST_SU_EUlST_E_NS1_11comp_targetILNS1_3genE10ELNS1_11target_archE1200ELNS1_3gpuE4ELNS1_3repE0EEENS1_30default_config_static_selectorELNS0_4arch9wavefront6targetE0EEEvT1_.num_named_barrier, 0
	.set _ZN7rocprim17ROCPRIM_400000_NS6detail17trampoline_kernelINS0_14default_configENS1_20scan_config_selectorIN3c108BFloat16EEEZZNS1_9scan_implILNS1_25lookback_scan_determinismE0ELb0ELb0ES3_PKS6_PS6_S6_ZZZN2at6native31launch_logcumsumexp_cuda_kernelERKNSD_10TensorBaseESH_lENKUlvE_clEvENKUlvE4_clEvEUlS6_S6_E_S6_EEDaPvRmT3_T4_T5_mT6_P12ihipStream_tbENKUlT_T0_E_clISt17integral_constantIbLb1EESX_IbLb0EEEEDaST_SU_EUlST_E_NS1_11comp_targetILNS1_3genE10ELNS1_11target_archE1200ELNS1_3gpuE4ELNS1_3repE0EEENS1_30default_config_static_selectorELNS0_4arch9wavefront6targetE0EEEvT1_.private_seg_size, 0
	.set _ZN7rocprim17ROCPRIM_400000_NS6detail17trampoline_kernelINS0_14default_configENS1_20scan_config_selectorIN3c108BFloat16EEEZZNS1_9scan_implILNS1_25lookback_scan_determinismE0ELb0ELb0ES3_PKS6_PS6_S6_ZZZN2at6native31launch_logcumsumexp_cuda_kernelERKNSD_10TensorBaseESH_lENKUlvE_clEvENKUlvE4_clEvEUlS6_S6_E_S6_EEDaPvRmT3_T4_T5_mT6_P12ihipStream_tbENKUlT_T0_E_clISt17integral_constantIbLb1EESX_IbLb0EEEEDaST_SU_EUlST_E_NS1_11comp_targetILNS1_3genE10ELNS1_11target_archE1200ELNS1_3gpuE4ELNS1_3repE0EEENS1_30default_config_static_selectorELNS0_4arch9wavefront6targetE0EEEvT1_.uses_vcc, 0
	.set _ZN7rocprim17ROCPRIM_400000_NS6detail17trampoline_kernelINS0_14default_configENS1_20scan_config_selectorIN3c108BFloat16EEEZZNS1_9scan_implILNS1_25lookback_scan_determinismE0ELb0ELb0ES3_PKS6_PS6_S6_ZZZN2at6native31launch_logcumsumexp_cuda_kernelERKNSD_10TensorBaseESH_lENKUlvE_clEvENKUlvE4_clEvEUlS6_S6_E_S6_EEDaPvRmT3_T4_T5_mT6_P12ihipStream_tbENKUlT_T0_E_clISt17integral_constantIbLb1EESX_IbLb0EEEEDaST_SU_EUlST_E_NS1_11comp_targetILNS1_3genE10ELNS1_11target_archE1200ELNS1_3gpuE4ELNS1_3repE0EEENS1_30default_config_static_selectorELNS0_4arch9wavefront6targetE0EEEvT1_.uses_flat_scratch, 0
	.set _ZN7rocprim17ROCPRIM_400000_NS6detail17trampoline_kernelINS0_14default_configENS1_20scan_config_selectorIN3c108BFloat16EEEZZNS1_9scan_implILNS1_25lookback_scan_determinismE0ELb0ELb0ES3_PKS6_PS6_S6_ZZZN2at6native31launch_logcumsumexp_cuda_kernelERKNSD_10TensorBaseESH_lENKUlvE_clEvENKUlvE4_clEvEUlS6_S6_E_S6_EEDaPvRmT3_T4_T5_mT6_P12ihipStream_tbENKUlT_T0_E_clISt17integral_constantIbLb1EESX_IbLb0EEEEDaST_SU_EUlST_E_NS1_11comp_targetILNS1_3genE10ELNS1_11target_archE1200ELNS1_3gpuE4ELNS1_3repE0EEENS1_30default_config_static_selectorELNS0_4arch9wavefront6targetE0EEEvT1_.has_dyn_sized_stack, 0
	.set _ZN7rocprim17ROCPRIM_400000_NS6detail17trampoline_kernelINS0_14default_configENS1_20scan_config_selectorIN3c108BFloat16EEEZZNS1_9scan_implILNS1_25lookback_scan_determinismE0ELb0ELb0ES3_PKS6_PS6_S6_ZZZN2at6native31launch_logcumsumexp_cuda_kernelERKNSD_10TensorBaseESH_lENKUlvE_clEvENKUlvE4_clEvEUlS6_S6_E_S6_EEDaPvRmT3_T4_T5_mT6_P12ihipStream_tbENKUlT_T0_E_clISt17integral_constantIbLb1EESX_IbLb0EEEEDaST_SU_EUlST_E_NS1_11comp_targetILNS1_3genE10ELNS1_11target_archE1200ELNS1_3gpuE4ELNS1_3repE0EEENS1_30default_config_static_selectorELNS0_4arch9wavefront6targetE0EEEvT1_.has_recursion, 0
	.set _ZN7rocprim17ROCPRIM_400000_NS6detail17trampoline_kernelINS0_14default_configENS1_20scan_config_selectorIN3c108BFloat16EEEZZNS1_9scan_implILNS1_25lookback_scan_determinismE0ELb0ELb0ES3_PKS6_PS6_S6_ZZZN2at6native31launch_logcumsumexp_cuda_kernelERKNSD_10TensorBaseESH_lENKUlvE_clEvENKUlvE4_clEvEUlS6_S6_E_S6_EEDaPvRmT3_T4_T5_mT6_P12ihipStream_tbENKUlT_T0_E_clISt17integral_constantIbLb1EESX_IbLb0EEEEDaST_SU_EUlST_E_NS1_11comp_targetILNS1_3genE10ELNS1_11target_archE1200ELNS1_3gpuE4ELNS1_3repE0EEENS1_30default_config_static_selectorELNS0_4arch9wavefront6targetE0EEEvT1_.has_indirect_call, 0
	.section	.AMDGPU.csdata,"",@progbits
; Kernel info:
; codeLenInByte = 0
; TotalNumSgprs: 0
; NumVgprs: 0
; ScratchSize: 0
; MemoryBound: 0
; FloatMode: 240
; IeeeMode: 1
; LDSByteSize: 0 bytes/workgroup (compile time only)
; SGPRBlocks: 0
; VGPRBlocks: 0
; NumSGPRsForWavesPerEU: 1
; NumVGPRsForWavesPerEU: 1
; Occupancy: 16
; WaveLimiterHint : 0
; COMPUTE_PGM_RSRC2:SCRATCH_EN: 0
; COMPUTE_PGM_RSRC2:USER_SGPR: 2
; COMPUTE_PGM_RSRC2:TRAP_HANDLER: 0
; COMPUTE_PGM_RSRC2:TGID_X_EN: 1
; COMPUTE_PGM_RSRC2:TGID_Y_EN: 0
; COMPUTE_PGM_RSRC2:TGID_Z_EN: 0
; COMPUTE_PGM_RSRC2:TIDIG_COMP_CNT: 0
	.section	.text._ZN7rocprim17ROCPRIM_400000_NS6detail17trampoline_kernelINS0_14default_configENS1_20scan_config_selectorIN3c108BFloat16EEEZZNS1_9scan_implILNS1_25lookback_scan_determinismE0ELb0ELb0ES3_PKS6_PS6_S6_ZZZN2at6native31launch_logcumsumexp_cuda_kernelERKNSD_10TensorBaseESH_lENKUlvE_clEvENKUlvE4_clEvEUlS6_S6_E_S6_EEDaPvRmT3_T4_T5_mT6_P12ihipStream_tbENKUlT_T0_E_clISt17integral_constantIbLb1EESX_IbLb0EEEEDaST_SU_EUlST_E_NS1_11comp_targetILNS1_3genE9ELNS1_11target_archE1100ELNS1_3gpuE3ELNS1_3repE0EEENS1_30default_config_static_selectorELNS0_4arch9wavefront6targetE0EEEvT1_,"axG",@progbits,_ZN7rocprim17ROCPRIM_400000_NS6detail17trampoline_kernelINS0_14default_configENS1_20scan_config_selectorIN3c108BFloat16EEEZZNS1_9scan_implILNS1_25lookback_scan_determinismE0ELb0ELb0ES3_PKS6_PS6_S6_ZZZN2at6native31launch_logcumsumexp_cuda_kernelERKNSD_10TensorBaseESH_lENKUlvE_clEvENKUlvE4_clEvEUlS6_S6_E_S6_EEDaPvRmT3_T4_T5_mT6_P12ihipStream_tbENKUlT_T0_E_clISt17integral_constantIbLb1EESX_IbLb0EEEEDaST_SU_EUlST_E_NS1_11comp_targetILNS1_3genE9ELNS1_11target_archE1100ELNS1_3gpuE3ELNS1_3repE0EEENS1_30default_config_static_selectorELNS0_4arch9wavefront6targetE0EEEvT1_,comdat
	.globl	_ZN7rocprim17ROCPRIM_400000_NS6detail17trampoline_kernelINS0_14default_configENS1_20scan_config_selectorIN3c108BFloat16EEEZZNS1_9scan_implILNS1_25lookback_scan_determinismE0ELb0ELb0ES3_PKS6_PS6_S6_ZZZN2at6native31launch_logcumsumexp_cuda_kernelERKNSD_10TensorBaseESH_lENKUlvE_clEvENKUlvE4_clEvEUlS6_S6_E_S6_EEDaPvRmT3_T4_T5_mT6_P12ihipStream_tbENKUlT_T0_E_clISt17integral_constantIbLb1EESX_IbLb0EEEEDaST_SU_EUlST_E_NS1_11comp_targetILNS1_3genE9ELNS1_11target_archE1100ELNS1_3gpuE3ELNS1_3repE0EEENS1_30default_config_static_selectorELNS0_4arch9wavefront6targetE0EEEvT1_ ; -- Begin function _ZN7rocprim17ROCPRIM_400000_NS6detail17trampoline_kernelINS0_14default_configENS1_20scan_config_selectorIN3c108BFloat16EEEZZNS1_9scan_implILNS1_25lookback_scan_determinismE0ELb0ELb0ES3_PKS6_PS6_S6_ZZZN2at6native31launch_logcumsumexp_cuda_kernelERKNSD_10TensorBaseESH_lENKUlvE_clEvENKUlvE4_clEvEUlS6_S6_E_S6_EEDaPvRmT3_T4_T5_mT6_P12ihipStream_tbENKUlT_T0_E_clISt17integral_constantIbLb1EESX_IbLb0EEEEDaST_SU_EUlST_E_NS1_11comp_targetILNS1_3genE9ELNS1_11target_archE1100ELNS1_3gpuE3ELNS1_3repE0EEENS1_30default_config_static_selectorELNS0_4arch9wavefront6targetE0EEEvT1_
	.p2align	8
	.type	_ZN7rocprim17ROCPRIM_400000_NS6detail17trampoline_kernelINS0_14default_configENS1_20scan_config_selectorIN3c108BFloat16EEEZZNS1_9scan_implILNS1_25lookback_scan_determinismE0ELb0ELb0ES3_PKS6_PS6_S6_ZZZN2at6native31launch_logcumsumexp_cuda_kernelERKNSD_10TensorBaseESH_lENKUlvE_clEvENKUlvE4_clEvEUlS6_S6_E_S6_EEDaPvRmT3_T4_T5_mT6_P12ihipStream_tbENKUlT_T0_E_clISt17integral_constantIbLb1EESX_IbLb0EEEEDaST_SU_EUlST_E_NS1_11comp_targetILNS1_3genE9ELNS1_11target_archE1100ELNS1_3gpuE3ELNS1_3repE0EEENS1_30default_config_static_selectorELNS0_4arch9wavefront6targetE0EEEvT1_,@function
_ZN7rocprim17ROCPRIM_400000_NS6detail17trampoline_kernelINS0_14default_configENS1_20scan_config_selectorIN3c108BFloat16EEEZZNS1_9scan_implILNS1_25lookback_scan_determinismE0ELb0ELb0ES3_PKS6_PS6_S6_ZZZN2at6native31launch_logcumsumexp_cuda_kernelERKNSD_10TensorBaseESH_lENKUlvE_clEvENKUlvE4_clEvEUlS6_S6_E_S6_EEDaPvRmT3_T4_T5_mT6_P12ihipStream_tbENKUlT_T0_E_clISt17integral_constantIbLb1EESX_IbLb0EEEEDaST_SU_EUlST_E_NS1_11comp_targetILNS1_3genE9ELNS1_11target_archE1100ELNS1_3gpuE3ELNS1_3repE0EEENS1_30default_config_static_selectorELNS0_4arch9wavefront6targetE0EEEvT1_: ; @_ZN7rocprim17ROCPRIM_400000_NS6detail17trampoline_kernelINS0_14default_configENS1_20scan_config_selectorIN3c108BFloat16EEEZZNS1_9scan_implILNS1_25lookback_scan_determinismE0ELb0ELb0ES3_PKS6_PS6_S6_ZZZN2at6native31launch_logcumsumexp_cuda_kernelERKNSD_10TensorBaseESH_lENKUlvE_clEvENKUlvE4_clEvEUlS6_S6_E_S6_EEDaPvRmT3_T4_T5_mT6_P12ihipStream_tbENKUlT_T0_E_clISt17integral_constantIbLb1EESX_IbLb0EEEEDaST_SU_EUlST_E_NS1_11comp_targetILNS1_3genE9ELNS1_11target_archE1100ELNS1_3gpuE3ELNS1_3repE0EEENS1_30default_config_static_selectorELNS0_4arch9wavefront6targetE0EEEvT1_
; %bb.0:
	.section	.rodata,"a",@progbits
	.p2align	6, 0x0
	.amdhsa_kernel _ZN7rocprim17ROCPRIM_400000_NS6detail17trampoline_kernelINS0_14default_configENS1_20scan_config_selectorIN3c108BFloat16EEEZZNS1_9scan_implILNS1_25lookback_scan_determinismE0ELb0ELb0ES3_PKS6_PS6_S6_ZZZN2at6native31launch_logcumsumexp_cuda_kernelERKNSD_10TensorBaseESH_lENKUlvE_clEvENKUlvE4_clEvEUlS6_S6_E_S6_EEDaPvRmT3_T4_T5_mT6_P12ihipStream_tbENKUlT_T0_E_clISt17integral_constantIbLb1EESX_IbLb0EEEEDaST_SU_EUlST_E_NS1_11comp_targetILNS1_3genE9ELNS1_11target_archE1100ELNS1_3gpuE3ELNS1_3repE0EEENS1_30default_config_static_selectorELNS0_4arch9wavefront6targetE0EEEvT1_
		.amdhsa_group_segment_fixed_size 0
		.amdhsa_private_segment_fixed_size 0
		.amdhsa_kernarg_size 96
		.amdhsa_user_sgpr_count 2
		.amdhsa_user_sgpr_dispatch_ptr 0
		.amdhsa_user_sgpr_queue_ptr 0
		.amdhsa_user_sgpr_kernarg_segment_ptr 1
		.amdhsa_user_sgpr_dispatch_id 0
		.amdhsa_user_sgpr_private_segment_size 0
		.amdhsa_wavefront_size32 1
		.amdhsa_uses_dynamic_stack 0
		.amdhsa_enable_private_segment 0
		.amdhsa_system_sgpr_workgroup_id_x 1
		.amdhsa_system_sgpr_workgroup_id_y 0
		.amdhsa_system_sgpr_workgroup_id_z 0
		.amdhsa_system_sgpr_workgroup_info 0
		.amdhsa_system_vgpr_workitem_id 0
		.amdhsa_next_free_vgpr 1
		.amdhsa_next_free_sgpr 1
		.amdhsa_reserve_vcc 0
		.amdhsa_float_round_mode_32 0
		.amdhsa_float_round_mode_16_64 0
		.amdhsa_float_denorm_mode_32 3
		.amdhsa_float_denorm_mode_16_64 3
		.amdhsa_fp16_overflow 0
		.amdhsa_workgroup_processor_mode 1
		.amdhsa_memory_ordered 1
		.amdhsa_forward_progress 1
		.amdhsa_inst_pref_size 0
		.amdhsa_round_robin_scheduling 0
		.amdhsa_exception_fp_ieee_invalid_op 0
		.amdhsa_exception_fp_denorm_src 0
		.amdhsa_exception_fp_ieee_div_zero 0
		.amdhsa_exception_fp_ieee_overflow 0
		.amdhsa_exception_fp_ieee_underflow 0
		.amdhsa_exception_fp_ieee_inexact 0
		.amdhsa_exception_int_div_zero 0
	.end_amdhsa_kernel
	.section	.text._ZN7rocprim17ROCPRIM_400000_NS6detail17trampoline_kernelINS0_14default_configENS1_20scan_config_selectorIN3c108BFloat16EEEZZNS1_9scan_implILNS1_25lookback_scan_determinismE0ELb0ELb0ES3_PKS6_PS6_S6_ZZZN2at6native31launch_logcumsumexp_cuda_kernelERKNSD_10TensorBaseESH_lENKUlvE_clEvENKUlvE4_clEvEUlS6_S6_E_S6_EEDaPvRmT3_T4_T5_mT6_P12ihipStream_tbENKUlT_T0_E_clISt17integral_constantIbLb1EESX_IbLb0EEEEDaST_SU_EUlST_E_NS1_11comp_targetILNS1_3genE9ELNS1_11target_archE1100ELNS1_3gpuE3ELNS1_3repE0EEENS1_30default_config_static_selectorELNS0_4arch9wavefront6targetE0EEEvT1_,"axG",@progbits,_ZN7rocprim17ROCPRIM_400000_NS6detail17trampoline_kernelINS0_14default_configENS1_20scan_config_selectorIN3c108BFloat16EEEZZNS1_9scan_implILNS1_25lookback_scan_determinismE0ELb0ELb0ES3_PKS6_PS6_S6_ZZZN2at6native31launch_logcumsumexp_cuda_kernelERKNSD_10TensorBaseESH_lENKUlvE_clEvENKUlvE4_clEvEUlS6_S6_E_S6_EEDaPvRmT3_T4_T5_mT6_P12ihipStream_tbENKUlT_T0_E_clISt17integral_constantIbLb1EESX_IbLb0EEEEDaST_SU_EUlST_E_NS1_11comp_targetILNS1_3genE9ELNS1_11target_archE1100ELNS1_3gpuE3ELNS1_3repE0EEENS1_30default_config_static_selectorELNS0_4arch9wavefront6targetE0EEEvT1_,comdat
.Lfunc_end491:
	.size	_ZN7rocprim17ROCPRIM_400000_NS6detail17trampoline_kernelINS0_14default_configENS1_20scan_config_selectorIN3c108BFloat16EEEZZNS1_9scan_implILNS1_25lookback_scan_determinismE0ELb0ELb0ES3_PKS6_PS6_S6_ZZZN2at6native31launch_logcumsumexp_cuda_kernelERKNSD_10TensorBaseESH_lENKUlvE_clEvENKUlvE4_clEvEUlS6_S6_E_S6_EEDaPvRmT3_T4_T5_mT6_P12ihipStream_tbENKUlT_T0_E_clISt17integral_constantIbLb1EESX_IbLb0EEEEDaST_SU_EUlST_E_NS1_11comp_targetILNS1_3genE9ELNS1_11target_archE1100ELNS1_3gpuE3ELNS1_3repE0EEENS1_30default_config_static_selectorELNS0_4arch9wavefront6targetE0EEEvT1_, .Lfunc_end491-_ZN7rocprim17ROCPRIM_400000_NS6detail17trampoline_kernelINS0_14default_configENS1_20scan_config_selectorIN3c108BFloat16EEEZZNS1_9scan_implILNS1_25lookback_scan_determinismE0ELb0ELb0ES3_PKS6_PS6_S6_ZZZN2at6native31launch_logcumsumexp_cuda_kernelERKNSD_10TensorBaseESH_lENKUlvE_clEvENKUlvE4_clEvEUlS6_S6_E_S6_EEDaPvRmT3_T4_T5_mT6_P12ihipStream_tbENKUlT_T0_E_clISt17integral_constantIbLb1EESX_IbLb0EEEEDaST_SU_EUlST_E_NS1_11comp_targetILNS1_3genE9ELNS1_11target_archE1100ELNS1_3gpuE3ELNS1_3repE0EEENS1_30default_config_static_selectorELNS0_4arch9wavefront6targetE0EEEvT1_
                                        ; -- End function
	.set _ZN7rocprim17ROCPRIM_400000_NS6detail17trampoline_kernelINS0_14default_configENS1_20scan_config_selectorIN3c108BFloat16EEEZZNS1_9scan_implILNS1_25lookback_scan_determinismE0ELb0ELb0ES3_PKS6_PS6_S6_ZZZN2at6native31launch_logcumsumexp_cuda_kernelERKNSD_10TensorBaseESH_lENKUlvE_clEvENKUlvE4_clEvEUlS6_S6_E_S6_EEDaPvRmT3_T4_T5_mT6_P12ihipStream_tbENKUlT_T0_E_clISt17integral_constantIbLb1EESX_IbLb0EEEEDaST_SU_EUlST_E_NS1_11comp_targetILNS1_3genE9ELNS1_11target_archE1100ELNS1_3gpuE3ELNS1_3repE0EEENS1_30default_config_static_selectorELNS0_4arch9wavefront6targetE0EEEvT1_.num_vgpr, 0
	.set _ZN7rocprim17ROCPRIM_400000_NS6detail17trampoline_kernelINS0_14default_configENS1_20scan_config_selectorIN3c108BFloat16EEEZZNS1_9scan_implILNS1_25lookback_scan_determinismE0ELb0ELb0ES3_PKS6_PS6_S6_ZZZN2at6native31launch_logcumsumexp_cuda_kernelERKNSD_10TensorBaseESH_lENKUlvE_clEvENKUlvE4_clEvEUlS6_S6_E_S6_EEDaPvRmT3_T4_T5_mT6_P12ihipStream_tbENKUlT_T0_E_clISt17integral_constantIbLb1EESX_IbLb0EEEEDaST_SU_EUlST_E_NS1_11comp_targetILNS1_3genE9ELNS1_11target_archE1100ELNS1_3gpuE3ELNS1_3repE0EEENS1_30default_config_static_selectorELNS0_4arch9wavefront6targetE0EEEvT1_.num_agpr, 0
	.set _ZN7rocprim17ROCPRIM_400000_NS6detail17trampoline_kernelINS0_14default_configENS1_20scan_config_selectorIN3c108BFloat16EEEZZNS1_9scan_implILNS1_25lookback_scan_determinismE0ELb0ELb0ES3_PKS6_PS6_S6_ZZZN2at6native31launch_logcumsumexp_cuda_kernelERKNSD_10TensorBaseESH_lENKUlvE_clEvENKUlvE4_clEvEUlS6_S6_E_S6_EEDaPvRmT3_T4_T5_mT6_P12ihipStream_tbENKUlT_T0_E_clISt17integral_constantIbLb1EESX_IbLb0EEEEDaST_SU_EUlST_E_NS1_11comp_targetILNS1_3genE9ELNS1_11target_archE1100ELNS1_3gpuE3ELNS1_3repE0EEENS1_30default_config_static_selectorELNS0_4arch9wavefront6targetE0EEEvT1_.numbered_sgpr, 0
	.set _ZN7rocprim17ROCPRIM_400000_NS6detail17trampoline_kernelINS0_14default_configENS1_20scan_config_selectorIN3c108BFloat16EEEZZNS1_9scan_implILNS1_25lookback_scan_determinismE0ELb0ELb0ES3_PKS6_PS6_S6_ZZZN2at6native31launch_logcumsumexp_cuda_kernelERKNSD_10TensorBaseESH_lENKUlvE_clEvENKUlvE4_clEvEUlS6_S6_E_S6_EEDaPvRmT3_T4_T5_mT6_P12ihipStream_tbENKUlT_T0_E_clISt17integral_constantIbLb1EESX_IbLb0EEEEDaST_SU_EUlST_E_NS1_11comp_targetILNS1_3genE9ELNS1_11target_archE1100ELNS1_3gpuE3ELNS1_3repE0EEENS1_30default_config_static_selectorELNS0_4arch9wavefront6targetE0EEEvT1_.num_named_barrier, 0
	.set _ZN7rocprim17ROCPRIM_400000_NS6detail17trampoline_kernelINS0_14default_configENS1_20scan_config_selectorIN3c108BFloat16EEEZZNS1_9scan_implILNS1_25lookback_scan_determinismE0ELb0ELb0ES3_PKS6_PS6_S6_ZZZN2at6native31launch_logcumsumexp_cuda_kernelERKNSD_10TensorBaseESH_lENKUlvE_clEvENKUlvE4_clEvEUlS6_S6_E_S6_EEDaPvRmT3_T4_T5_mT6_P12ihipStream_tbENKUlT_T0_E_clISt17integral_constantIbLb1EESX_IbLb0EEEEDaST_SU_EUlST_E_NS1_11comp_targetILNS1_3genE9ELNS1_11target_archE1100ELNS1_3gpuE3ELNS1_3repE0EEENS1_30default_config_static_selectorELNS0_4arch9wavefront6targetE0EEEvT1_.private_seg_size, 0
	.set _ZN7rocprim17ROCPRIM_400000_NS6detail17trampoline_kernelINS0_14default_configENS1_20scan_config_selectorIN3c108BFloat16EEEZZNS1_9scan_implILNS1_25lookback_scan_determinismE0ELb0ELb0ES3_PKS6_PS6_S6_ZZZN2at6native31launch_logcumsumexp_cuda_kernelERKNSD_10TensorBaseESH_lENKUlvE_clEvENKUlvE4_clEvEUlS6_S6_E_S6_EEDaPvRmT3_T4_T5_mT6_P12ihipStream_tbENKUlT_T0_E_clISt17integral_constantIbLb1EESX_IbLb0EEEEDaST_SU_EUlST_E_NS1_11comp_targetILNS1_3genE9ELNS1_11target_archE1100ELNS1_3gpuE3ELNS1_3repE0EEENS1_30default_config_static_selectorELNS0_4arch9wavefront6targetE0EEEvT1_.uses_vcc, 0
	.set _ZN7rocprim17ROCPRIM_400000_NS6detail17trampoline_kernelINS0_14default_configENS1_20scan_config_selectorIN3c108BFloat16EEEZZNS1_9scan_implILNS1_25lookback_scan_determinismE0ELb0ELb0ES3_PKS6_PS6_S6_ZZZN2at6native31launch_logcumsumexp_cuda_kernelERKNSD_10TensorBaseESH_lENKUlvE_clEvENKUlvE4_clEvEUlS6_S6_E_S6_EEDaPvRmT3_T4_T5_mT6_P12ihipStream_tbENKUlT_T0_E_clISt17integral_constantIbLb1EESX_IbLb0EEEEDaST_SU_EUlST_E_NS1_11comp_targetILNS1_3genE9ELNS1_11target_archE1100ELNS1_3gpuE3ELNS1_3repE0EEENS1_30default_config_static_selectorELNS0_4arch9wavefront6targetE0EEEvT1_.uses_flat_scratch, 0
	.set _ZN7rocprim17ROCPRIM_400000_NS6detail17trampoline_kernelINS0_14default_configENS1_20scan_config_selectorIN3c108BFloat16EEEZZNS1_9scan_implILNS1_25lookback_scan_determinismE0ELb0ELb0ES3_PKS6_PS6_S6_ZZZN2at6native31launch_logcumsumexp_cuda_kernelERKNSD_10TensorBaseESH_lENKUlvE_clEvENKUlvE4_clEvEUlS6_S6_E_S6_EEDaPvRmT3_T4_T5_mT6_P12ihipStream_tbENKUlT_T0_E_clISt17integral_constantIbLb1EESX_IbLb0EEEEDaST_SU_EUlST_E_NS1_11comp_targetILNS1_3genE9ELNS1_11target_archE1100ELNS1_3gpuE3ELNS1_3repE0EEENS1_30default_config_static_selectorELNS0_4arch9wavefront6targetE0EEEvT1_.has_dyn_sized_stack, 0
	.set _ZN7rocprim17ROCPRIM_400000_NS6detail17trampoline_kernelINS0_14default_configENS1_20scan_config_selectorIN3c108BFloat16EEEZZNS1_9scan_implILNS1_25lookback_scan_determinismE0ELb0ELb0ES3_PKS6_PS6_S6_ZZZN2at6native31launch_logcumsumexp_cuda_kernelERKNSD_10TensorBaseESH_lENKUlvE_clEvENKUlvE4_clEvEUlS6_S6_E_S6_EEDaPvRmT3_T4_T5_mT6_P12ihipStream_tbENKUlT_T0_E_clISt17integral_constantIbLb1EESX_IbLb0EEEEDaST_SU_EUlST_E_NS1_11comp_targetILNS1_3genE9ELNS1_11target_archE1100ELNS1_3gpuE3ELNS1_3repE0EEENS1_30default_config_static_selectorELNS0_4arch9wavefront6targetE0EEEvT1_.has_recursion, 0
	.set _ZN7rocprim17ROCPRIM_400000_NS6detail17trampoline_kernelINS0_14default_configENS1_20scan_config_selectorIN3c108BFloat16EEEZZNS1_9scan_implILNS1_25lookback_scan_determinismE0ELb0ELb0ES3_PKS6_PS6_S6_ZZZN2at6native31launch_logcumsumexp_cuda_kernelERKNSD_10TensorBaseESH_lENKUlvE_clEvENKUlvE4_clEvEUlS6_S6_E_S6_EEDaPvRmT3_T4_T5_mT6_P12ihipStream_tbENKUlT_T0_E_clISt17integral_constantIbLb1EESX_IbLb0EEEEDaST_SU_EUlST_E_NS1_11comp_targetILNS1_3genE9ELNS1_11target_archE1100ELNS1_3gpuE3ELNS1_3repE0EEENS1_30default_config_static_selectorELNS0_4arch9wavefront6targetE0EEEvT1_.has_indirect_call, 0
	.section	.AMDGPU.csdata,"",@progbits
; Kernel info:
; codeLenInByte = 0
; TotalNumSgprs: 0
; NumVgprs: 0
; ScratchSize: 0
; MemoryBound: 0
; FloatMode: 240
; IeeeMode: 1
; LDSByteSize: 0 bytes/workgroup (compile time only)
; SGPRBlocks: 0
; VGPRBlocks: 0
; NumSGPRsForWavesPerEU: 1
; NumVGPRsForWavesPerEU: 1
; Occupancy: 16
; WaveLimiterHint : 0
; COMPUTE_PGM_RSRC2:SCRATCH_EN: 0
; COMPUTE_PGM_RSRC2:USER_SGPR: 2
; COMPUTE_PGM_RSRC2:TRAP_HANDLER: 0
; COMPUTE_PGM_RSRC2:TGID_X_EN: 1
; COMPUTE_PGM_RSRC2:TGID_Y_EN: 0
; COMPUTE_PGM_RSRC2:TGID_Z_EN: 0
; COMPUTE_PGM_RSRC2:TIDIG_COMP_CNT: 0
	.section	.text._ZN7rocprim17ROCPRIM_400000_NS6detail17trampoline_kernelINS0_14default_configENS1_20scan_config_selectorIN3c108BFloat16EEEZZNS1_9scan_implILNS1_25lookback_scan_determinismE0ELb0ELb0ES3_PKS6_PS6_S6_ZZZN2at6native31launch_logcumsumexp_cuda_kernelERKNSD_10TensorBaseESH_lENKUlvE_clEvENKUlvE4_clEvEUlS6_S6_E_S6_EEDaPvRmT3_T4_T5_mT6_P12ihipStream_tbENKUlT_T0_E_clISt17integral_constantIbLb1EESX_IbLb0EEEEDaST_SU_EUlST_E_NS1_11comp_targetILNS1_3genE8ELNS1_11target_archE1030ELNS1_3gpuE2ELNS1_3repE0EEENS1_30default_config_static_selectorELNS0_4arch9wavefront6targetE0EEEvT1_,"axG",@progbits,_ZN7rocprim17ROCPRIM_400000_NS6detail17trampoline_kernelINS0_14default_configENS1_20scan_config_selectorIN3c108BFloat16EEEZZNS1_9scan_implILNS1_25lookback_scan_determinismE0ELb0ELb0ES3_PKS6_PS6_S6_ZZZN2at6native31launch_logcumsumexp_cuda_kernelERKNSD_10TensorBaseESH_lENKUlvE_clEvENKUlvE4_clEvEUlS6_S6_E_S6_EEDaPvRmT3_T4_T5_mT6_P12ihipStream_tbENKUlT_T0_E_clISt17integral_constantIbLb1EESX_IbLb0EEEEDaST_SU_EUlST_E_NS1_11comp_targetILNS1_3genE8ELNS1_11target_archE1030ELNS1_3gpuE2ELNS1_3repE0EEENS1_30default_config_static_selectorELNS0_4arch9wavefront6targetE0EEEvT1_,comdat
	.globl	_ZN7rocprim17ROCPRIM_400000_NS6detail17trampoline_kernelINS0_14default_configENS1_20scan_config_selectorIN3c108BFloat16EEEZZNS1_9scan_implILNS1_25lookback_scan_determinismE0ELb0ELb0ES3_PKS6_PS6_S6_ZZZN2at6native31launch_logcumsumexp_cuda_kernelERKNSD_10TensorBaseESH_lENKUlvE_clEvENKUlvE4_clEvEUlS6_S6_E_S6_EEDaPvRmT3_T4_T5_mT6_P12ihipStream_tbENKUlT_T0_E_clISt17integral_constantIbLb1EESX_IbLb0EEEEDaST_SU_EUlST_E_NS1_11comp_targetILNS1_3genE8ELNS1_11target_archE1030ELNS1_3gpuE2ELNS1_3repE0EEENS1_30default_config_static_selectorELNS0_4arch9wavefront6targetE0EEEvT1_ ; -- Begin function _ZN7rocprim17ROCPRIM_400000_NS6detail17trampoline_kernelINS0_14default_configENS1_20scan_config_selectorIN3c108BFloat16EEEZZNS1_9scan_implILNS1_25lookback_scan_determinismE0ELb0ELb0ES3_PKS6_PS6_S6_ZZZN2at6native31launch_logcumsumexp_cuda_kernelERKNSD_10TensorBaseESH_lENKUlvE_clEvENKUlvE4_clEvEUlS6_S6_E_S6_EEDaPvRmT3_T4_T5_mT6_P12ihipStream_tbENKUlT_T0_E_clISt17integral_constantIbLb1EESX_IbLb0EEEEDaST_SU_EUlST_E_NS1_11comp_targetILNS1_3genE8ELNS1_11target_archE1030ELNS1_3gpuE2ELNS1_3repE0EEENS1_30default_config_static_selectorELNS0_4arch9wavefront6targetE0EEEvT1_
	.p2align	8
	.type	_ZN7rocprim17ROCPRIM_400000_NS6detail17trampoline_kernelINS0_14default_configENS1_20scan_config_selectorIN3c108BFloat16EEEZZNS1_9scan_implILNS1_25lookback_scan_determinismE0ELb0ELb0ES3_PKS6_PS6_S6_ZZZN2at6native31launch_logcumsumexp_cuda_kernelERKNSD_10TensorBaseESH_lENKUlvE_clEvENKUlvE4_clEvEUlS6_S6_E_S6_EEDaPvRmT3_T4_T5_mT6_P12ihipStream_tbENKUlT_T0_E_clISt17integral_constantIbLb1EESX_IbLb0EEEEDaST_SU_EUlST_E_NS1_11comp_targetILNS1_3genE8ELNS1_11target_archE1030ELNS1_3gpuE2ELNS1_3repE0EEENS1_30default_config_static_selectorELNS0_4arch9wavefront6targetE0EEEvT1_,@function
_ZN7rocprim17ROCPRIM_400000_NS6detail17trampoline_kernelINS0_14default_configENS1_20scan_config_selectorIN3c108BFloat16EEEZZNS1_9scan_implILNS1_25lookback_scan_determinismE0ELb0ELb0ES3_PKS6_PS6_S6_ZZZN2at6native31launch_logcumsumexp_cuda_kernelERKNSD_10TensorBaseESH_lENKUlvE_clEvENKUlvE4_clEvEUlS6_S6_E_S6_EEDaPvRmT3_T4_T5_mT6_P12ihipStream_tbENKUlT_T0_E_clISt17integral_constantIbLb1EESX_IbLb0EEEEDaST_SU_EUlST_E_NS1_11comp_targetILNS1_3genE8ELNS1_11target_archE1030ELNS1_3gpuE2ELNS1_3repE0EEENS1_30default_config_static_selectorELNS0_4arch9wavefront6targetE0EEEvT1_: ; @_ZN7rocprim17ROCPRIM_400000_NS6detail17trampoline_kernelINS0_14default_configENS1_20scan_config_selectorIN3c108BFloat16EEEZZNS1_9scan_implILNS1_25lookback_scan_determinismE0ELb0ELb0ES3_PKS6_PS6_S6_ZZZN2at6native31launch_logcumsumexp_cuda_kernelERKNSD_10TensorBaseESH_lENKUlvE_clEvENKUlvE4_clEvEUlS6_S6_E_S6_EEDaPvRmT3_T4_T5_mT6_P12ihipStream_tbENKUlT_T0_E_clISt17integral_constantIbLb1EESX_IbLb0EEEEDaST_SU_EUlST_E_NS1_11comp_targetILNS1_3genE8ELNS1_11target_archE1030ELNS1_3gpuE2ELNS1_3repE0EEENS1_30default_config_static_selectorELNS0_4arch9wavefront6targetE0EEEvT1_
; %bb.0:
	.section	.rodata,"a",@progbits
	.p2align	6, 0x0
	.amdhsa_kernel _ZN7rocprim17ROCPRIM_400000_NS6detail17trampoline_kernelINS0_14default_configENS1_20scan_config_selectorIN3c108BFloat16EEEZZNS1_9scan_implILNS1_25lookback_scan_determinismE0ELb0ELb0ES3_PKS6_PS6_S6_ZZZN2at6native31launch_logcumsumexp_cuda_kernelERKNSD_10TensorBaseESH_lENKUlvE_clEvENKUlvE4_clEvEUlS6_S6_E_S6_EEDaPvRmT3_T4_T5_mT6_P12ihipStream_tbENKUlT_T0_E_clISt17integral_constantIbLb1EESX_IbLb0EEEEDaST_SU_EUlST_E_NS1_11comp_targetILNS1_3genE8ELNS1_11target_archE1030ELNS1_3gpuE2ELNS1_3repE0EEENS1_30default_config_static_selectorELNS0_4arch9wavefront6targetE0EEEvT1_
		.amdhsa_group_segment_fixed_size 0
		.amdhsa_private_segment_fixed_size 0
		.amdhsa_kernarg_size 96
		.amdhsa_user_sgpr_count 2
		.amdhsa_user_sgpr_dispatch_ptr 0
		.amdhsa_user_sgpr_queue_ptr 0
		.amdhsa_user_sgpr_kernarg_segment_ptr 1
		.amdhsa_user_sgpr_dispatch_id 0
		.amdhsa_user_sgpr_private_segment_size 0
		.amdhsa_wavefront_size32 1
		.amdhsa_uses_dynamic_stack 0
		.amdhsa_enable_private_segment 0
		.amdhsa_system_sgpr_workgroup_id_x 1
		.amdhsa_system_sgpr_workgroup_id_y 0
		.amdhsa_system_sgpr_workgroup_id_z 0
		.amdhsa_system_sgpr_workgroup_info 0
		.amdhsa_system_vgpr_workitem_id 0
		.amdhsa_next_free_vgpr 1
		.amdhsa_next_free_sgpr 1
		.amdhsa_reserve_vcc 0
		.amdhsa_float_round_mode_32 0
		.amdhsa_float_round_mode_16_64 0
		.amdhsa_float_denorm_mode_32 3
		.amdhsa_float_denorm_mode_16_64 3
		.amdhsa_fp16_overflow 0
		.amdhsa_workgroup_processor_mode 1
		.amdhsa_memory_ordered 1
		.amdhsa_forward_progress 1
		.amdhsa_inst_pref_size 0
		.amdhsa_round_robin_scheduling 0
		.amdhsa_exception_fp_ieee_invalid_op 0
		.amdhsa_exception_fp_denorm_src 0
		.amdhsa_exception_fp_ieee_div_zero 0
		.amdhsa_exception_fp_ieee_overflow 0
		.amdhsa_exception_fp_ieee_underflow 0
		.amdhsa_exception_fp_ieee_inexact 0
		.amdhsa_exception_int_div_zero 0
	.end_amdhsa_kernel
	.section	.text._ZN7rocprim17ROCPRIM_400000_NS6detail17trampoline_kernelINS0_14default_configENS1_20scan_config_selectorIN3c108BFloat16EEEZZNS1_9scan_implILNS1_25lookback_scan_determinismE0ELb0ELb0ES3_PKS6_PS6_S6_ZZZN2at6native31launch_logcumsumexp_cuda_kernelERKNSD_10TensorBaseESH_lENKUlvE_clEvENKUlvE4_clEvEUlS6_S6_E_S6_EEDaPvRmT3_T4_T5_mT6_P12ihipStream_tbENKUlT_T0_E_clISt17integral_constantIbLb1EESX_IbLb0EEEEDaST_SU_EUlST_E_NS1_11comp_targetILNS1_3genE8ELNS1_11target_archE1030ELNS1_3gpuE2ELNS1_3repE0EEENS1_30default_config_static_selectorELNS0_4arch9wavefront6targetE0EEEvT1_,"axG",@progbits,_ZN7rocprim17ROCPRIM_400000_NS6detail17trampoline_kernelINS0_14default_configENS1_20scan_config_selectorIN3c108BFloat16EEEZZNS1_9scan_implILNS1_25lookback_scan_determinismE0ELb0ELb0ES3_PKS6_PS6_S6_ZZZN2at6native31launch_logcumsumexp_cuda_kernelERKNSD_10TensorBaseESH_lENKUlvE_clEvENKUlvE4_clEvEUlS6_S6_E_S6_EEDaPvRmT3_T4_T5_mT6_P12ihipStream_tbENKUlT_T0_E_clISt17integral_constantIbLb1EESX_IbLb0EEEEDaST_SU_EUlST_E_NS1_11comp_targetILNS1_3genE8ELNS1_11target_archE1030ELNS1_3gpuE2ELNS1_3repE0EEENS1_30default_config_static_selectorELNS0_4arch9wavefront6targetE0EEEvT1_,comdat
.Lfunc_end492:
	.size	_ZN7rocprim17ROCPRIM_400000_NS6detail17trampoline_kernelINS0_14default_configENS1_20scan_config_selectorIN3c108BFloat16EEEZZNS1_9scan_implILNS1_25lookback_scan_determinismE0ELb0ELb0ES3_PKS6_PS6_S6_ZZZN2at6native31launch_logcumsumexp_cuda_kernelERKNSD_10TensorBaseESH_lENKUlvE_clEvENKUlvE4_clEvEUlS6_S6_E_S6_EEDaPvRmT3_T4_T5_mT6_P12ihipStream_tbENKUlT_T0_E_clISt17integral_constantIbLb1EESX_IbLb0EEEEDaST_SU_EUlST_E_NS1_11comp_targetILNS1_3genE8ELNS1_11target_archE1030ELNS1_3gpuE2ELNS1_3repE0EEENS1_30default_config_static_selectorELNS0_4arch9wavefront6targetE0EEEvT1_, .Lfunc_end492-_ZN7rocprim17ROCPRIM_400000_NS6detail17trampoline_kernelINS0_14default_configENS1_20scan_config_selectorIN3c108BFloat16EEEZZNS1_9scan_implILNS1_25lookback_scan_determinismE0ELb0ELb0ES3_PKS6_PS6_S6_ZZZN2at6native31launch_logcumsumexp_cuda_kernelERKNSD_10TensorBaseESH_lENKUlvE_clEvENKUlvE4_clEvEUlS6_S6_E_S6_EEDaPvRmT3_T4_T5_mT6_P12ihipStream_tbENKUlT_T0_E_clISt17integral_constantIbLb1EESX_IbLb0EEEEDaST_SU_EUlST_E_NS1_11comp_targetILNS1_3genE8ELNS1_11target_archE1030ELNS1_3gpuE2ELNS1_3repE0EEENS1_30default_config_static_selectorELNS0_4arch9wavefront6targetE0EEEvT1_
                                        ; -- End function
	.set _ZN7rocprim17ROCPRIM_400000_NS6detail17trampoline_kernelINS0_14default_configENS1_20scan_config_selectorIN3c108BFloat16EEEZZNS1_9scan_implILNS1_25lookback_scan_determinismE0ELb0ELb0ES3_PKS6_PS6_S6_ZZZN2at6native31launch_logcumsumexp_cuda_kernelERKNSD_10TensorBaseESH_lENKUlvE_clEvENKUlvE4_clEvEUlS6_S6_E_S6_EEDaPvRmT3_T4_T5_mT6_P12ihipStream_tbENKUlT_T0_E_clISt17integral_constantIbLb1EESX_IbLb0EEEEDaST_SU_EUlST_E_NS1_11comp_targetILNS1_3genE8ELNS1_11target_archE1030ELNS1_3gpuE2ELNS1_3repE0EEENS1_30default_config_static_selectorELNS0_4arch9wavefront6targetE0EEEvT1_.num_vgpr, 0
	.set _ZN7rocprim17ROCPRIM_400000_NS6detail17trampoline_kernelINS0_14default_configENS1_20scan_config_selectorIN3c108BFloat16EEEZZNS1_9scan_implILNS1_25lookback_scan_determinismE0ELb0ELb0ES3_PKS6_PS6_S6_ZZZN2at6native31launch_logcumsumexp_cuda_kernelERKNSD_10TensorBaseESH_lENKUlvE_clEvENKUlvE4_clEvEUlS6_S6_E_S6_EEDaPvRmT3_T4_T5_mT6_P12ihipStream_tbENKUlT_T0_E_clISt17integral_constantIbLb1EESX_IbLb0EEEEDaST_SU_EUlST_E_NS1_11comp_targetILNS1_3genE8ELNS1_11target_archE1030ELNS1_3gpuE2ELNS1_3repE0EEENS1_30default_config_static_selectorELNS0_4arch9wavefront6targetE0EEEvT1_.num_agpr, 0
	.set _ZN7rocprim17ROCPRIM_400000_NS6detail17trampoline_kernelINS0_14default_configENS1_20scan_config_selectorIN3c108BFloat16EEEZZNS1_9scan_implILNS1_25lookback_scan_determinismE0ELb0ELb0ES3_PKS6_PS6_S6_ZZZN2at6native31launch_logcumsumexp_cuda_kernelERKNSD_10TensorBaseESH_lENKUlvE_clEvENKUlvE4_clEvEUlS6_S6_E_S6_EEDaPvRmT3_T4_T5_mT6_P12ihipStream_tbENKUlT_T0_E_clISt17integral_constantIbLb1EESX_IbLb0EEEEDaST_SU_EUlST_E_NS1_11comp_targetILNS1_3genE8ELNS1_11target_archE1030ELNS1_3gpuE2ELNS1_3repE0EEENS1_30default_config_static_selectorELNS0_4arch9wavefront6targetE0EEEvT1_.numbered_sgpr, 0
	.set _ZN7rocprim17ROCPRIM_400000_NS6detail17trampoline_kernelINS0_14default_configENS1_20scan_config_selectorIN3c108BFloat16EEEZZNS1_9scan_implILNS1_25lookback_scan_determinismE0ELb0ELb0ES3_PKS6_PS6_S6_ZZZN2at6native31launch_logcumsumexp_cuda_kernelERKNSD_10TensorBaseESH_lENKUlvE_clEvENKUlvE4_clEvEUlS6_S6_E_S6_EEDaPvRmT3_T4_T5_mT6_P12ihipStream_tbENKUlT_T0_E_clISt17integral_constantIbLb1EESX_IbLb0EEEEDaST_SU_EUlST_E_NS1_11comp_targetILNS1_3genE8ELNS1_11target_archE1030ELNS1_3gpuE2ELNS1_3repE0EEENS1_30default_config_static_selectorELNS0_4arch9wavefront6targetE0EEEvT1_.num_named_barrier, 0
	.set _ZN7rocprim17ROCPRIM_400000_NS6detail17trampoline_kernelINS0_14default_configENS1_20scan_config_selectorIN3c108BFloat16EEEZZNS1_9scan_implILNS1_25lookback_scan_determinismE0ELb0ELb0ES3_PKS6_PS6_S6_ZZZN2at6native31launch_logcumsumexp_cuda_kernelERKNSD_10TensorBaseESH_lENKUlvE_clEvENKUlvE4_clEvEUlS6_S6_E_S6_EEDaPvRmT3_T4_T5_mT6_P12ihipStream_tbENKUlT_T0_E_clISt17integral_constantIbLb1EESX_IbLb0EEEEDaST_SU_EUlST_E_NS1_11comp_targetILNS1_3genE8ELNS1_11target_archE1030ELNS1_3gpuE2ELNS1_3repE0EEENS1_30default_config_static_selectorELNS0_4arch9wavefront6targetE0EEEvT1_.private_seg_size, 0
	.set _ZN7rocprim17ROCPRIM_400000_NS6detail17trampoline_kernelINS0_14default_configENS1_20scan_config_selectorIN3c108BFloat16EEEZZNS1_9scan_implILNS1_25lookback_scan_determinismE0ELb0ELb0ES3_PKS6_PS6_S6_ZZZN2at6native31launch_logcumsumexp_cuda_kernelERKNSD_10TensorBaseESH_lENKUlvE_clEvENKUlvE4_clEvEUlS6_S6_E_S6_EEDaPvRmT3_T4_T5_mT6_P12ihipStream_tbENKUlT_T0_E_clISt17integral_constantIbLb1EESX_IbLb0EEEEDaST_SU_EUlST_E_NS1_11comp_targetILNS1_3genE8ELNS1_11target_archE1030ELNS1_3gpuE2ELNS1_3repE0EEENS1_30default_config_static_selectorELNS0_4arch9wavefront6targetE0EEEvT1_.uses_vcc, 0
	.set _ZN7rocprim17ROCPRIM_400000_NS6detail17trampoline_kernelINS0_14default_configENS1_20scan_config_selectorIN3c108BFloat16EEEZZNS1_9scan_implILNS1_25lookback_scan_determinismE0ELb0ELb0ES3_PKS6_PS6_S6_ZZZN2at6native31launch_logcumsumexp_cuda_kernelERKNSD_10TensorBaseESH_lENKUlvE_clEvENKUlvE4_clEvEUlS6_S6_E_S6_EEDaPvRmT3_T4_T5_mT6_P12ihipStream_tbENKUlT_T0_E_clISt17integral_constantIbLb1EESX_IbLb0EEEEDaST_SU_EUlST_E_NS1_11comp_targetILNS1_3genE8ELNS1_11target_archE1030ELNS1_3gpuE2ELNS1_3repE0EEENS1_30default_config_static_selectorELNS0_4arch9wavefront6targetE0EEEvT1_.uses_flat_scratch, 0
	.set _ZN7rocprim17ROCPRIM_400000_NS6detail17trampoline_kernelINS0_14default_configENS1_20scan_config_selectorIN3c108BFloat16EEEZZNS1_9scan_implILNS1_25lookback_scan_determinismE0ELb0ELb0ES3_PKS6_PS6_S6_ZZZN2at6native31launch_logcumsumexp_cuda_kernelERKNSD_10TensorBaseESH_lENKUlvE_clEvENKUlvE4_clEvEUlS6_S6_E_S6_EEDaPvRmT3_T4_T5_mT6_P12ihipStream_tbENKUlT_T0_E_clISt17integral_constantIbLb1EESX_IbLb0EEEEDaST_SU_EUlST_E_NS1_11comp_targetILNS1_3genE8ELNS1_11target_archE1030ELNS1_3gpuE2ELNS1_3repE0EEENS1_30default_config_static_selectorELNS0_4arch9wavefront6targetE0EEEvT1_.has_dyn_sized_stack, 0
	.set _ZN7rocprim17ROCPRIM_400000_NS6detail17trampoline_kernelINS0_14default_configENS1_20scan_config_selectorIN3c108BFloat16EEEZZNS1_9scan_implILNS1_25lookback_scan_determinismE0ELb0ELb0ES3_PKS6_PS6_S6_ZZZN2at6native31launch_logcumsumexp_cuda_kernelERKNSD_10TensorBaseESH_lENKUlvE_clEvENKUlvE4_clEvEUlS6_S6_E_S6_EEDaPvRmT3_T4_T5_mT6_P12ihipStream_tbENKUlT_T0_E_clISt17integral_constantIbLb1EESX_IbLb0EEEEDaST_SU_EUlST_E_NS1_11comp_targetILNS1_3genE8ELNS1_11target_archE1030ELNS1_3gpuE2ELNS1_3repE0EEENS1_30default_config_static_selectorELNS0_4arch9wavefront6targetE0EEEvT1_.has_recursion, 0
	.set _ZN7rocprim17ROCPRIM_400000_NS6detail17trampoline_kernelINS0_14default_configENS1_20scan_config_selectorIN3c108BFloat16EEEZZNS1_9scan_implILNS1_25lookback_scan_determinismE0ELb0ELb0ES3_PKS6_PS6_S6_ZZZN2at6native31launch_logcumsumexp_cuda_kernelERKNSD_10TensorBaseESH_lENKUlvE_clEvENKUlvE4_clEvEUlS6_S6_E_S6_EEDaPvRmT3_T4_T5_mT6_P12ihipStream_tbENKUlT_T0_E_clISt17integral_constantIbLb1EESX_IbLb0EEEEDaST_SU_EUlST_E_NS1_11comp_targetILNS1_3genE8ELNS1_11target_archE1030ELNS1_3gpuE2ELNS1_3repE0EEENS1_30default_config_static_selectorELNS0_4arch9wavefront6targetE0EEEvT1_.has_indirect_call, 0
	.section	.AMDGPU.csdata,"",@progbits
; Kernel info:
; codeLenInByte = 0
; TotalNumSgprs: 0
; NumVgprs: 0
; ScratchSize: 0
; MemoryBound: 0
; FloatMode: 240
; IeeeMode: 1
; LDSByteSize: 0 bytes/workgroup (compile time only)
; SGPRBlocks: 0
; VGPRBlocks: 0
; NumSGPRsForWavesPerEU: 1
; NumVGPRsForWavesPerEU: 1
; Occupancy: 16
; WaveLimiterHint : 0
; COMPUTE_PGM_RSRC2:SCRATCH_EN: 0
; COMPUTE_PGM_RSRC2:USER_SGPR: 2
; COMPUTE_PGM_RSRC2:TRAP_HANDLER: 0
; COMPUTE_PGM_RSRC2:TGID_X_EN: 1
; COMPUTE_PGM_RSRC2:TGID_Y_EN: 0
; COMPUTE_PGM_RSRC2:TGID_Z_EN: 0
; COMPUTE_PGM_RSRC2:TIDIG_COMP_CNT: 0
	.section	.text._ZN7rocprim17ROCPRIM_400000_NS6detail17trampoline_kernelINS0_14default_configENS1_20scan_config_selectorIN3c108BFloat16EEEZZNS1_9scan_implILNS1_25lookback_scan_determinismE0ELb0ELb0ES3_PKS6_PS6_S6_ZZZN2at6native31launch_logcumsumexp_cuda_kernelERKNSD_10TensorBaseESH_lENKUlvE_clEvENKUlvE4_clEvEUlS6_S6_E_S6_EEDaPvRmT3_T4_T5_mT6_P12ihipStream_tbENKUlT_T0_E_clISt17integral_constantIbLb1EESX_IbLb0EEEEDaST_SU_EUlST_E0_NS1_11comp_targetILNS1_3genE0ELNS1_11target_archE4294967295ELNS1_3gpuE0ELNS1_3repE0EEENS1_30default_config_static_selectorELNS0_4arch9wavefront6targetE0EEEvT1_,"axG",@progbits,_ZN7rocprim17ROCPRIM_400000_NS6detail17trampoline_kernelINS0_14default_configENS1_20scan_config_selectorIN3c108BFloat16EEEZZNS1_9scan_implILNS1_25lookback_scan_determinismE0ELb0ELb0ES3_PKS6_PS6_S6_ZZZN2at6native31launch_logcumsumexp_cuda_kernelERKNSD_10TensorBaseESH_lENKUlvE_clEvENKUlvE4_clEvEUlS6_S6_E_S6_EEDaPvRmT3_T4_T5_mT6_P12ihipStream_tbENKUlT_T0_E_clISt17integral_constantIbLb1EESX_IbLb0EEEEDaST_SU_EUlST_E0_NS1_11comp_targetILNS1_3genE0ELNS1_11target_archE4294967295ELNS1_3gpuE0ELNS1_3repE0EEENS1_30default_config_static_selectorELNS0_4arch9wavefront6targetE0EEEvT1_,comdat
	.globl	_ZN7rocprim17ROCPRIM_400000_NS6detail17trampoline_kernelINS0_14default_configENS1_20scan_config_selectorIN3c108BFloat16EEEZZNS1_9scan_implILNS1_25lookback_scan_determinismE0ELb0ELb0ES3_PKS6_PS6_S6_ZZZN2at6native31launch_logcumsumexp_cuda_kernelERKNSD_10TensorBaseESH_lENKUlvE_clEvENKUlvE4_clEvEUlS6_S6_E_S6_EEDaPvRmT3_T4_T5_mT6_P12ihipStream_tbENKUlT_T0_E_clISt17integral_constantIbLb1EESX_IbLb0EEEEDaST_SU_EUlST_E0_NS1_11comp_targetILNS1_3genE0ELNS1_11target_archE4294967295ELNS1_3gpuE0ELNS1_3repE0EEENS1_30default_config_static_selectorELNS0_4arch9wavefront6targetE0EEEvT1_ ; -- Begin function _ZN7rocprim17ROCPRIM_400000_NS6detail17trampoline_kernelINS0_14default_configENS1_20scan_config_selectorIN3c108BFloat16EEEZZNS1_9scan_implILNS1_25lookback_scan_determinismE0ELb0ELb0ES3_PKS6_PS6_S6_ZZZN2at6native31launch_logcumsumexp_cuda_kernelERKNSD_10TensorBaseESH_lENKUlvE_clEvENKUlvE4_clEvEUlS6_S6_E_S6_EEDaPvRmT3_T4_T5_mT6_P12ihipStream_tbENKUlT_T0_E_clISt17integral_constantIbLb1EESX_IbLb0EEEEDaST_SU_EUlST_E0_NS1_11comp_targetILNS1_3genE0ELNS1_11target_archE4294967295ELNS1_3gpuE0ELNS1_3repE0EEENS1_30default_config_static_selectorELNS0_4arch9wavefront6targetE0EEEvT1_
	.p2align	8
	.type	_ZN7rocprim17ROCPRIM_400000_NS6detail17trampoline_kernelINS0_14default_configENS1_20scan_config_selectorIN3c108BFloat16EEEZZNS1_9scan_implILNS1_25lookback_scan_determinismE0ELb0ELb0ES3_PKS6_PS6_S6_ZZZN2at6native31launch_logcumsumexp_cuda_kernelERKNSD_10TensorBaseESH_lENKUlvE_clEvENKUlvE4_clEvEUlS6_S6_E_S6_EEDaPvRmT3_T4_T5_mT6_P12ihipStream_tbENKUlT_T0_E_clISt17integral_constantIbLb1EESX_IbLb0EEEEDaST_SU_EUlST_E0_NS1_11comp_targetILNS1_3genE0ELNS1_11target_archE4294967295ELNS1_3gpuE0ELNS1_3repE0EEENS1_30default_config_static_selectorELNS0_4arch9wavefront6targetE0EEEvT1_,@function
_ZN7rocprim17ROCPRIM_400000_NS6detail17trampoline_kernelINS0_14default_configENS1_20scan_config_selectorIN3c108BFloat16EEEZZNS1_9scan_implILNS1_25lookback_scan_determinismE0ELb0ELb0ES3_PKS6_PS6_S6_ZZZN2at6native31launch_logcumsumexp_cuda_kernelERKNSD_10TensorBaseESH_lENKUlvE_clEvENKUlvE4_clEvEUlS6_S6_E_S6_EEDaPvRmT3_T4_T5_mT6_P12ihipStream_tbENKUlT_T0_E_clISt17integral_constantIbLb1EESX_IbLb0EEEEDaST_SU_EUlST_E0_NS1_11comp_targetILNS1_3genE0ELNS1_11target_archE4294967295ELNS1_3gpuE0ELNS1_3repE0EEENS1_30default_config_static_selectorELNS0_4arch9wavefront6targetE0EEEvT1_: ; @_ZN7rocprim17ROCPRIM_400000_NS6detail17trampoline_kernelINS0_14default_configENS1_20scan_config_selectorIN3c108BFloat16EEEZZNS1_9scan_implILNS1_25lookback_scan_determinismE0ELb0ELb0ES3_PKS6_PS6_S6_ZZZN2at6native31launch_logcumsumexp_cuda_kernelERKNSD_10TensorBaseESH_lENKUlvE_clEvENKUlvE4_clEvEUlS6_S6_E_S6_EEDaPvRmT3_T4_T5_mT6_P12ihipStream_tbENKUlT_T0_E_clISt17integral_constantIbLb1EESX_IbLb0EEEEDaST_SU_EUlST_E0_NS1_11comp_targetILNS1_3genE0ELNS1_11target_archE4294967295ELNS1_3gpuE0ELNS1_3repE0EEENS1_30default_config_static_selectorELNS0_4arch9wavefront6targetE0EEEvT1_
; %bb.0:
	.section	.rodata,"a",@progbits
	.p2align	6, 0x0
	.amdhsa_kernel _ZN7rocprim17ROCPRIM_400000_NS6detail17trampoline_kernelINS0_14default_configENS1_20scan_config_selectorIN3c108BFloat16EEEZZNS1_9scan_implILNS1_25lookback_scan_determinismE0ELb0ELb0ES3_PKS6_PS6_S6_ZZZN2at6native31launch_logcumsumexp_cuda_kernelERKNSD_10TensorBaseESH_lENKUlvE_clEvENKUlvE4_clEvEUlS6_S6_E_S6_EEDaPvRmT3_T4_T5_mT6_P12ihipStream_tbENKUlT_T0_E_clISt17integral_constantIbLb1EESX_IbLb0EEEEDaST_SU_EUlST_E0_NS1_11comp_targetILNS1_3genE0ELNS1_11target_archE4294967295ELNS1_3gpuE0ELNS1_3repE0EEENS1_30default_config_static_selectorELNS0_4arch9wavefront6targetE0EEEvT1_
		.amdhsa_group_segment_fixed_size 0
		.amdhsa_private_segment_fixed_size 0
		.amdhsa_kernarg_size 32
		.amdhsa_user_sgpr_count 2
		.amdhsa_user_sgpr_dispatch_ptr 0
		.amdhsa_user_sgpr_queue_ptr 0
		.amdhsa_user_sgpr_kernarg_segment_ptr 1
		.amdhsa_user_sgpr_dispatch_id 0
		.amdhsa_user_sgpr_private_segment_size 0
		.amdhsa_wavefront_size32 1
		.amdhsa_uses_dynamic_stack 0
		.amdhsa_enable_private_segment 0
		.amdhsa_system_sgpr_workgroup_id_x 1
		.amdhsa_system_sgpr_workgroup_id_y 0
		.amdhsa_system_sgpr_workgroup_id_z 0
		.amdhsa_system_sgpr_workgroup_info 0
		.amdhsa_system_vgpr_workitem_id 0
		.amdhsa_next_free_vgpr 1
		.amdhsa_next_free_sgpr 1
		.amdhsa_reserve_vcc 0
		.amdhsa_float_round_mode_32 0
		.amdhsa_float_round_mode_16_64 0
		.amdhsa_float_denorm_mode_32 3
		.amdhsa_float_denorm_mode_16_64 3
		.amdhsa_fp16_overflow 0
		.amdhsa_workgroup_processor_mode 1
		.amdhsa_memory_ordered 1
		.amdhsa_forward_progress 1
		.amdhsa_inst_pref_size 0
		.amdhsa_round_robin_scheduling 0
		.amdhsa_exception_fp_ieee_invalid_op 0
		.amdhsa_exception_fp_denorm_src 0
		.amdhsa_exception_fp_ieee_div_zero 0
		.amdhsa_exception_fp_ieee_overflow 0
		.amdhsa_exception_fp_ieee_underflow 0
		.amdhsa_exception_fp_ieee_inexact 0
		.amdhsa_exception_int_div_zero 0
	.end_amdhsa_kernel
	.section	.text._ZN7rocprim17ROCPRIM_400000_NS6detail17trampoline_kernelINS0_14default_configENS1_20scan_config_selectorIN3c108BFloat16EEEZZNS1_9scan_implILNS1_25lookback_scan_determinismE0ELb0ELb0ES3_PKS6_PS6_S6_ZZZN2at6native31launch_logcumsumexp_cuda_kernelERKNSD_10TensorBaseESH_lENKUlvE_clEvENKUlvE4_clEvEUlS6_S6_E_S6_EEDaPvRmT3_T4_T5_mT6_P12ihipStream_tbENKUlT_T0_E_clISt17integral_constantIbLb1EESX_IbLb0EEEEDaST_SU_EUlST_E0_NS1_11comp_targetILNS1_3genE0ELNS1_11target_archE4294967295ELNS1_3gpuE0ELNS1_3repE0EEENS1_30default_config_static_selectorELNS0_4arch9wavefront6targetE0EEEvT1_,"axG",@progbits,_ZN7rocprim17ROCPRIM_400000_NS6detail17trampoline_kernelINS0_14default_configENS1_20scan_config_selectorIN3c108BFloat16EEEZZNS1_9scan_implILNS1_25lookback_scan_determinismE0ELb0ELb0ES3_PKS6_PS6_S6_ZZZN2at6native31launch_logcumsumexp_cuda_kernelERKNSD_10TensorBaseESH_lENKUlvE_clEvENKUlvE4_clEvEUlS6_S6_E_S6_EEDaPvRmT3_T4_T5_mT6_P12ihipStream_tbENKUlT_T0_E_clISt17integral_constantIbLb1EESX_IbLb0EEEEDaST_SU_EUlST_E0_NS1_11comp_targetILNS1_3genE0ELNS1_11target_archE4294967295ELNS1_3gpuE0ELNS1_3repE0EEENS1_30default_config_static_selectorELNS0_4arch9wavefront6targetE0EEEvT1_,comdat
.Lfunc_end493:
	.size	_ZN7rocprim17ROCPRIM_400000_NS6detail17trampoline_kernelINS0_14default_configENS1_20scan_config_selectorIN3c108BFloat16EEEZZNS1_9scan_implILNS1_25lookback_scan_determinismE0ELb0ELb0ES3_PKS6_PS6_S6_ZZZN2at6native31launch_logcumsumexp_cuda_kernelERKNSD_10TensorBaseESH_lENKUlvE_clEvENKUlvE4_clEvEUlS6_S6_E_S6_EEDaPvRmT3_T4_T5_mT6_P12ihipStream_tbENKUlT_T0_E_clISt17integral_constantIbLb1EESX_IbLb0EEEEDaST_SU_EUlST_E0_NS1_11comp_targetILNS1_3genE0ELNS1_11target_archE4294967295ELNS1_3gpuE0ELNS1_3repE0EEENS1_30default_config_static_selectorELNS0_4arch9wavefront6targetE0EEEvT1_, .Lfunc_end493-_ZN7rocprim17ROCPRIM_400000_NS6detail17trampoline_kernelINS0_14default_configENS1_20scan_config_selectorIN3c108BFloat16EEEZZNS1_9scan_implILNS1_25lookback_scan_determinismE0ELb0ELb0ES3_PKS6_PS6_S6_ZZZN2at6native31launch_logcumsumexp_cuda_kernelERKNSD_10TensorBaseESH_lENKUlvE_clEvENKUlvE4_clEvEUlS6_S6_E_S6_EEDaPvRmT3_T4_T5_mT6_P12ihipStream_tbENKUlT_T0_E_clISt17integral_constantIbLb1EESX_IbLb0EEEEDaST_SU_EUlST_E0_NS1_11comp_targetILNS1_3genE0ELNS1_11target_archE4294967295ELNS1_3gpuE0ELNS1_3repE0EEENS1_30default_config_static_selectorELNS0_4arch9wavefront6targetE0EEEvT1_
                                        ; -- End function
	.set _ZN7rocprim17ROCPRIM_400000_NS6detail17trampoline_kernelINS0_14default_configENS1_20scan_config_selectorIN3c108BFloat16EEEZZNS1_9scan_implILNS1_25lookback_scan_determinismE0ELb0ELb0ES3_PKS6_PS6_S6_ZZZN2at6native31launch_logcumsumexp_cuda_kernelERKNSD_10TensorBaseESH_lENKUlvE_clEvENKUlvE4_clEvEUlS6_S6_E_S6_EEDaPvRmT3_T4_T5_mT6_P12ihipStream_tbENKUlT_T0_E_clISt17integral_constantIbLb1EESX_IbLb0EEEEDaST_SU_EUlST_E0_NS1_11comp_targetILNS1_3genE0ELNS1_11target_archE4294967295ELNS1_3gpuE0ELNS1_3repE0EEENS1_30default_config_static_selectorELNS0_4arch9wavefront6targetE0EEEvT1_.num_vgpr, 0
	.set _ZN7rocprim17ROCPRIM_400000_NS6detail17trampoline_kernelINS0_14default_configENS1_20scan_config_selectorIN3c108BFloat16EEEZZNS1_9scan_implILNS1_25lookback_scan_determinismE0ELb0ELb0ES3_PKS6_PS6_S6_ZZZN2at6native31launch_logcumsumexp_cuda_kernelERKNSD_10TensorBaseESH_lENKUlvE_clEvENKUlvE4_clEvEUlS6_S6_E_S6_EEDaPvRmT3_T4_T5_mT6_P12ihipStream_tbENKUlT_T0_E_clISt17integral_constantIbLb1EESX_IbLb0EEEEDaST_SU_EUlST_E0_NS1_11comp_targetILNS1_3genE0ELNS1_11target_archE4294967295ELNS1_3gpuE0ELNS1_3repE0EEENS1_30default_config_static_selectorELNS0_4arch9wavefront6targetE0EEEvT1_.num_agpr, 0
	.set _ZN7rocprim17ROCPRIM_400000_NS6detail17trampoline_kernelINS0_14default_configENS1_20scan_config_selectorIN3c108BFloat16EEEZZNS1_9scan_implILNS1_25lookback_scan_determinismE0ELb0ELb0ES3_PKS6_PS6_S6_ZZZN2at6native31launch_logcumsumexp_cuda_kernelERKNSD_10TensorBaseESH_lENKUlvE_clEvENKUlvE4_clEvEUlS6_S6_E_S6_EEDaPvRmT3_T4_T5_mT6_P12ihipStream_tbENKUlT_T0_E_clISt17integral_constantIbLb1EESX_IbLb0EEEEDaST_SU_EUlST_E0_NS1_11comp_targetILNS1_3genE0ELNS1_11target_archE4294967295ELNS1_3gpuE0ELNS1_3repE0EEENS1_30default_config_static_selectorELNS0_4arch9wavefront6targetE0EEEvT1_.numbered_sgpr, 0
	.set _ZN7rocprim17ROCPRIM_400000_NS6detail17trampoline_kernelINS0_14default_configENS1_20scan_config_selectorIN3c108BFloat16EEEZZNS1_9scan_implILNS1_25lookback_scan_determinismE0ELb0ELb0ES3_PKS6_PS6_S6_ZZZN2at6native31launch_logcumsumexp_cuda_kernelERKNSD_10TensorBaseESH_lENKUlvE_clEvENKUlvE4_clEvEUlS6_S6_E_S6_EEDaPvRmT3_T4_T5_mT6_P12ihipStream_tbENKUlT_T0_E_clISt17integral_constantIbLb1EESX_IbLb0EEEEDaST_SU_EUlST_E0_NS1_11comp_targetILNS1_3genE0ELNS1_11target_archE4294967295ELNS1_3gpuE0ELNS1_3repE0EEENS1_30default_config_static_selectorELNS0_4arch9wavefront6targetE0EEEvT1_.num_named_barrier, 0
	.set _ZN7rocprim17ROCPRIM_400000_NS6detail17trampoline_kernelINS0_14default_configENS1_20scan_config_selectorIN3c108BFloat16EEEZZNS1_9scan_implILNS1_25lookback_scan_determinismE0ELb0ELb0ES3_PKS6_PS6_S6_ZZZN2at6native31launch_logcumsumexp_cuda_kernelERKNSD_10TensorBaseESH_lENKUlvE_clEvENKUlvE4_clEvEUlS6_S6_E_S6_EEDaPvRmT3_T4_T5_mT6_P12ihipStream_tbENKUlT_T0_E_clISt17integral_constantIbLb1EESX_IbLb0EEEEDaST_SU_EUlST_E0_NS1_11comp_targetILNS1_3genE0ELNS1_11target_archE4294967295ELNS1_3gpuE0ELNS1_3repE0EEENS1_30default_config_static_selectorELNS0_4arch9wavefront6targetE0EEEvT1_.private_seg_size, 0
	.set _ZN7rocprim17ROCPRIM_400000_NS6detail17trampoline_kernelINS0_14default_configENS1_20scan_config_selectorIN3c108BFloat16EEEZZNS1_9scan_implILNS1_25lookback_scan_determinismE0ELb0ELb0ES3_PKS6_PS6_S6_ZZZN2at6native31launch_logcumsumexp_cuda_kernelERKNSD_10TensorBaseESH_lENKUlvE_clEvENKUlvE4_clEvEUlS6_S6_E_S6_EEDaPvRmT3_T4_T5_mT6_P12ihipStream_tbENKUlT_T0_E_clISt17integral_constantIbLb1EESX_IbLb0EEEEDaST_SU_EUlST_E0_NS1_11comp_targetILNS1_3genE0ELNS1_11target_archE4294967295ELNS1_3gpuE0ELNS1_3repE0EEENS1_30default_config_static_selectorELNS0_4arch9wavefront6targetE0EEEvT1_.uses_vcc, 0
	.set _ZN7rocprim17ROCPRIM_400000_NS6detail17trampoline_kernelINS0_14default_configENS1_20scan_config_selectorIN3c108BFloat16EEEZZNS1_9scan_implILNS1_25lookback_scan_determinismE0ELb0ELb0ES3_PKS6_PS6_S6_ZZZN2at6native31launch_logcumsumexp_cuda_kernelERKNSD_10TensorBaseESH_lENKUlvE_clEvENKUlvE4_clEvEUlS6_S6_E_S6_EEDaPvRmT3_T4_T5_mT6_P12ihipStream_tbENKUlT_T0_E_clISt17integral_constantIbLb1EESX_IbLb0EEEEDaST_SU_EUlST_E0_NS1_11comp_targetILNS1_3genE0ELNS1_11target_archE4294967295ELNS1_3gpuE0ELNS1_3repE0EEENS1_30default_config_static_selectorELNS0_4arch9wavefront6targetE0EEEvT1_.uses_flat_scratch, 0
	.set _ZN7rocprim17ROCPRIM_400000_NS6detail17trampoline_kernelINS0_14default_configENS1_20scan_config_selectorIN3c108BFloat16EEEZZNS1_9scan_implILNS1_25lookback_scan_determinismE0ELb0ELb0ES3_PKS6_PS6_S6_ZZZN2at6native31launch_logcumsumexp_cuda_kernelERKNSD_10TensorBaseESH_lENKUlvE_clEvENKUlvE4_clEvEUlS6_S6_E_S6_EEDaPvRmT3_T4_T5_mT6_P12ihipStream_tbENKUlT_T0_E_clISt17integral_constantIbLb1EESX_IbLb0EEEEDaST_SU_EUlST_E0_NS1_11comp_targetILNS1_3genE0ELNS1_11target_archE4294967295ELNS1_3gpuE0ELNS1_3repE0EEENS1_30default_config_static_selectorELNS0_4arch9wavefront6targetE0EEEvT1_.has_dyn_sized_stack, 0
	.set _ZN7rocprim17ROCPRIM_400000_NS6detail17trampoline_kernelINS0_14default_configENS1_20scan_config_selectorIN3c108BFloat16EEEZZNS1_9scan_implILNS1_25lookback_scan_determinismE0ELb0ELb0ES3_PKS6_PS6_S6_ZZZN2at6native31launch_logcumsumexp_cuda_kernelERKNSD_10TensorBaseESH_lENKUlvE_clEvENKUlvE4_clEvEUlS6_S6_E_S6_EEDaPvRmT3_T4_T5_mT6_P12ihipStream_tbENKUlT_T0_E_clISt17integral_constantIbLb1EESX_IbLb0EEEEDaST_SU_EUlST_E0_NS1_11comp_targetILNS1_3genE0ELNS1_11target_archE4294967295ELNS1_3gpuE0ELNS1_3repE0EEENS1_30default_config_static_selectorELNS0_4arch9wavefront6targetE0EEEvT1_.has_recursion, 0
	.set _ZN7rocprim17ROCPRIM_400000_NS6detail17trampoline_kernelINS0_14default_configENS1_20scan_config_selectorIN3c108BFloat16EEEZZNS1_9scan_implILNS1_25lookback_scan_determinismE0ELb0ELb0ES3_PKS6_PS6_S6_ZZZN2at6native31launch_logcumsumexp_cuda_kernelERKNSD_10TensorBaseESH_lENKUlvE_clEvENKUlvE4_clEvEUlS6_S6_E_S6_EEDaPvRmT3_T4_T5_mT6_P12ihipStream_tbENKUlT_T0_E_clISt17integral_constantIbLb1EESX_IbLb0EEEEDaST_SU_EUlST_E0_NS1_11comp_targetILNS1_3genE0ELNS1_11target_archE4294967295ELNS1_3gpuE0ELNS1_3repE0EEENS1_30default_config_static_selectorELNS0_4arch9wavefront6targetE0EEEvT1_.has_indirect_call, 0
	.section	.AMDGPU.csdata,"",@progbits
; Kernel info:
; codeLenInByte = 0
; TotalNumSgprs: 0
; NumVgprs: 0
; ScratchSize: 0
; MemoryBound: 0
; FloatMode: 240
; IeeeMode: 1
; LDSByteSize: 0 bytes/workgroup (compile time only)
; SGPRBlocks: 0
; VGPRBlocks: 0
; NumSGPRsForWavesPerEU: 1
; NumVGPRsForWavesPerEU: 1
; Occupancy: 16
; WaveLimiterHint : 0
; COMPUTE_PGM_RSRC2:SCRATCH_EN: 0
; COMPUTE_PGM_RSRC2:USER_SGPR: 2
; COMPUTE_PGM_RSRC2:TRAP_HANDLER: 0
; COMPUTE_PGM_RSRC2:TGID_X_EN: 1
; COMPUTE_PGM_RSRC2:TGID_Y_EN: 0
; COMPUTE_PGM_RSRC2:TGID_Z_EN: 0
; COMPUTE_PGM_RSRC2:TIDIG_COMP_CNT: 0
	.section	.text._ZN7rocprim17ROCPRIM_400000_NS6detail17trampoline_kernelINS0_14default_configENS1_20scan_config_selectorIN3c108BFloat16EEEZZNS1_9scan_implILNS1_25lookback_scan_determinismE0ELb0ELb0ES3_PKS6_PS6_S6_ZZZN2at6native31launch_logcumsumexp_cuda_kernelERKNSD_10TensorBaseESH_lENKUlvE_clEvENKUlvE4_clEvEUlS6_S6_E_S6_EEDaPvRmT3_T4_T5_mT6_P12ihipStream_tbENKUlT_T0_E_clISt17integral_constantIbLb1EESX_IbLb0EEEEDaST_SU_EUlST_E0_NS1_11comp_targetILNS1_3genE5ELNS1_11target_archE942ELNS1_3gpuE9ELNS1_3repE0EEENS1_30default_config_static_selectorELNS0_4arch9wavefront6targetE0EEEvT1_,"axG",@progbits,_ZN7rocprim17ROCPRIM_400000_NS6detail17trampoline_kernelINS0_14default_configENS1_20scan_config_selectorIN3c108BFloat16EEEZZNS1_9scan_implILNS1_25lookback_scan_determinismE0ELb0ELb0ES3_PKS6_PS6_S6_ZZZN2at6native31launch_logcumsumexp_cuda_kernelERKNSD_10TensorBaseESH_lENKUlvE_clEvENKUlvE4_clEvEUlS6_S6_E_S6_EEDaPvRmT3_T4_T5_mT6_P12ihipStream_tbENKUlT_T0_E_clISt17integral_constantIbLb1EESX_IbLb0EEEEDaST_SU_EUlST_E0_NS1_11comp_targetILNS1_3genE5ELNS1_11target_archE942ELNS1_3gpuE9ELNS1_3repE0EEENS1_30default_config_static_selectorELNS0_4arch9wavefront6targetE0EEEvT1_,comdat
	.globl	_ZN7rocprim17ROCPRIM_400000_NS6detail17trampoline_kernelINS0_14default_configENS1_20scan_config_selectorIN3c108BFloat16EEEZZNS1_9scan_implILNS1_25lookback_scan_determinismE0ELb0ELb0ES3_PKS6_PS6_S6_ZZZN2at6native31launch_logcumsumexp_cuda_kernelERKNSD_10TensorBaseESH_lENKUlvE_clEvENKUlvE4_clEvEUlS6_S6_E_S6_EEDaPvRmT3_T4_T5_mT6_P12ihipStream_tbENKUlT_T0_E_clISt17integral_constantIbLb1EESX_IbLb0EEEEDaST_SU_EUlST_E0_NS1_11comp_targetILNS1_3genE5ELNS1_11target_archE942ELNS1_3gpuE9ELNS1_3repE0EEENS1_30default_config_static_selectorELNS0_4arch9wavefront6targetE0EEEvT1_ ; -- Begin function _ZN7rocprim17ROCPRIM_400000_NS6detail17trampoline_kernelINS0_14default_configENS1_20scan_config_selectorIN3c108BFloat16EEEZZNS1_9scan_implILNS1_25lookback_scan_determinismE0ELb0ELb0ES3_PKS6_PS6_S6_ZZZN2at6native31launch_logcumsumexp_cuda_kernelERKNSD_10TensorBaseESH_lENKUlvE_clEvENKUlvE4_clEvEUlS6_S6_E_S6_EEDaPvRmT3_T4_T5_mT6_P12ihipStream_tbENKUlT_T0_E_clISt17integral_constantIbLb1EESX_IbLb0EEEEDaST_SU_EUlST_E0_NS1_11comp_targetILNS1_3genE5ELNS1_11target_archE942ELNS1_3gpuE9ELNS1_3repE0EEENS1_30default_config_static_selectorELNS0_4arch9wavefront6targetE0EEEvT1_
	.p2align	8
	.type	_ZN7rocprim17ROCPRIM_400000_NS6detail17trampoline_kernelINS0_14default_configENS1_20scan_config_selectorIN3c108BFloat16EEEZZNS1_9scan_implILNS1_25lookback_scan_determinismE0ELb0ELb0ES3_PKS6_PS6_S6_ZZZN2at6native31launch_logcumsumexp_cuda_kernelERKNSD_10TensorBaseESH_lENKUlvE_clEvENKUlvE4_clEvEUlS6_S6_E_S6_EEDaPvRmT3_T4_T5_mT6_P12ihipStream_tbENKUlT_T0_E_clISt17integral_constantIbLb1EESX_IbLb0EEEEDaST_SU_EUlST_E0_NS1_11comp_targetILNS1_3genE5ELNS1_11target_archE942ELNS1_3gpuE9ELNS1_3repE0EEENS1_30default_config_static_selectorELNS0_4arch9wavefront6targetE0EEEvT1_,@function
_ZN7rocprim17ROCPRIM_400000_NS6detail17trampoline_kernelINS0_14default_configENS1_20scan_config_selectorIN3c108BFloat16EEEZZNS1_9scan_implILNS1_25lookback_scan_determinismE0ELb0ELb0ES3_PKS6_PS6_S6_ZZZN2at6native31launch_logcumsumexp_cuda_kernelERKNSD_10TensorBaseESH_lENKUlvE_clEvENKUlvE4_clEvEUlS6_S6_E_S6_EEDaPvRmT3_T4_T5_mT6_P12ihipStream_tbENKUlT_T0_E_clISt17integral_constantIbLb1EESX_IbLb0EEEEDaST_SU_EUlST_E0_NS1_11comp_targetILNS1_3genE5ELNS1_11target_archE942ELNS1_3gpuE9ELNS1_3repE0EEENS1_30default_config_static_selectorELNS0_4arch9wavefront6targetE0EEEvT1_: ; @_ZN7rocprim17ROCPRIM_400000_NS6detail17trampoline_kernelINS0_14default_configENS1_20scan_config_selectorIN3c108BFloat16EEEZZNS1_9scan_implILNS1_25lookback_scan_determinismE0ELb0ELb0ES3_PKS6_PS6_S6_ZZZN2at6native31launch_logcumsumexp_cuda_kernelERKNSD_10TensorBaseESH_lENKUlvE_clEvENKUlvE4_clEvEUlS6_S6_E_S6_EEDaPvRmT3_T4_T5_mT6_P12ihipStream_tbENKUlT_T0_E_clISt17integral_constantIbLb1EESX_IbLb0EEEEDaST_SU_EUlST_E0_NS1_11comp_targetILNS1_3genE5ELNS1_11target_archE942ELNS1_3gpuE9ELNS1_3repE0EEENS1_30default_config_static_selectorELNS0_4arch9wavefront6targetE0EEEvT1_
; %bb.0:
	.section	.rodata,"a",@progbits
	.p2align	6, 0x0
	.amdhsa_kernel _ZN7rocprim17ROCPRIM_400000_NS6detail17trampoline_kernelINS0_14default_configENS1_20scan_config_selectorIN3c108BFloat16EEEZZNS1_9scan_implILNS1_25lookback_scan_determinismE0ELb0ELb0ES3_PKS6_PS6_S6_ZZZN2at6native31launch_logcumsumexp_cuda_kernelERKNSD_10TensorBaseESH_lENKUlvE_clEvENKUlvE4_clEvEUlS6_S6_E_S6_EEDaPvRmT3_T4_T5_mT6_P12ihipStream_tbENKUlT_T0_E_clISt17integral_constantIbLb1EESX_IbLb0EEEEDaST_SU_EUlST_E0_NS1_11comp_targetILNS1_3genE5ELNS1_11target_archE942ELNS1_3gpuE9ELNS1_3repE0EEENS1_30default_config_static_selectorELNS0_4arch9wavefront6targetE0EEEvT1_
		.amdhsa_group_segment_fixed_size 0
		.amdhsa_private_segment_fixed_size 0
		.amdhsa_kernarg_size 32
		.amdhsa_user_sgpr_count 2
		.amdhsa_user_sgpr_dispatch_ptr 0
		.amdhsa_user_sgpr_queue_ptr 0
		.amdhsa_user_sgpr_kernarg_segment_ptr 1
		.amdhsa_user_sgpr_dispatch_id 0
		.amdhsa_user_sgpr_private_segment_size 0
		.amdhsa_wavefront_size32 1
		.amdhsa_uses_dynamic_stack 0
		.amdhsa_enable_private_segment 0
		.amdhsa_system_sgpr_workgroup_id_x 1
		.amdhsa_system_sgpr_workgroup_id_y 0
		.amdhsa_system_sgpr_workgroup_id_z 0
		.amdhsa_system_sgpr_workgroup_info 0
		.amdhsa_system_vgpr_workitem_id 0
		.amdhsa_next_free_vgpr 1
		.amdhsa_next_free_sgpr 1
		.amdhsa_reserve_vcc 0
		.amdhsa_float_round_mode_32 0
		.amdhsa_float_round_mode_16_64 0
		.amdhsa_float_denorm_mode_32 3
		.amdhsa_float_denorm_mode_16_64 3
		.amdhsa_fp16_overflow 0
		.amdhsa_workgroup_processor_mode 1
		.amdhsa_memory_ordered 1
		.amdhsa_forward_progress 1
		.amdhsa_inst_pref_size 0
		.amdhsa_round_robin_scheduling 0
		.amdhsa_exception_fp_ieee_invalid_op 0
		.amdhsa_exception_fp_denorm_src 0
		.amdhsa_exception_fp_ieee_div_zero 0
		.amdhsa_exception_fp_ieee_overflow 0
		.amdhsa_exception_fp_ieee_underflow 0
		.amdhsa_exception_fp_ieee_inexact 0
		.amdhsa_exception_int_div_zero 0
	.end_amdhsa_kernel
	.section	.text._ZN7rocprim17ROCPRIM_400000_NS6detail17trampoline_kernelINS0_14default_configENS1_20scan_config_selectorIN3c108BFloat16EEEZZNS1_9scan_implILNS1_25lookback_scan_determinismE0ELb0ELb0ES3_PKS6_PS6_S6_ZZZN2at6native31launch_logcumsumexp_cuda_kernelERKNSD_10TensorBaseESH_lENKUlvE_clEvENKUlvE4_clEvEUlS6_S6_E_S6_EEDaPvRmT3_T4_T5_mT6_P12ihipStream_tbENKUlT_T0_E_clISt17integral_constantIbLb1EESX_IbLb0EEEEDaST_SU_EUlST_E0_NS1_11comp_targetILNS1_3genE5ELNS1_11target_archE942ELNS1_3gpuE9ELNS1_3repE0EEENS1_30default_config_static_selectorELNS0_4arch9wavefront6targetE0EEEvT1_,"axG",@progbits,_ZN7rocprim17ROCPRIM_400000_NS6detail17trampoline_kernelINS0_14default_configENS1_20scan_config_selectorIN3c108BFloat16EEEZZNS1_9scan_implILNS1_25lookback_scan_determinismE0ELb0ELb0ES3_PKS6_PS6_S6_ZZZN2at6native31launch_logcumsumexp_cuda_kernelERKNSD_10TensorBaseESH_lENKUlvE_clEvENKUlvE4_clEvEUlS6_S6_E_S6_EEDaPvRmT3_T4_T5_mT6_P12ihipStream_tbENKUlT_T0_E_clISt17integral_constantIbLb1EESX_IbLb0EEEEDaST_SU_EUlST_E0_NS1_11comp_targetILNS1_3genE5ELNS1_11target_archE942ELNS1_3gpuE9ELNS1_3repE0EEENS1_30default_config_static_selectorELNS0_4arch9wavefront6targetE0EEEvT1_,comdat
.Lfunc_end494:
	.size	_ZN7rocprim17ROCPRIM_400000_NS6detail17trampoline_kernelINS0_14default_configENS1_20scan_config_selectorIN3c108BFloat16EEEZZNS1_9scan_implILNS1_25lookback_scan_determinismE0ELb0ELb0ES3_PKS6_PS6_S6_ZZZN2at6native31launch_logcumsumexp_cuda_kernelERKNSD_10TensorBaseESH_lENKUlvE_clEvENKUlvE4_clEvEUlS6_S6_E_S6_EEDaPvRmT3_T4_T5_mT6_P12ihipStream_tbENKUlT_T0_E_clISt17integral_constantIbLb1EESX_IbLb0EEEEDaST_SU_EUlST_E0_NS1_11comp_targetILNS1_3genE5ELNS1_11target_archE942ELNS1_3gpuE9ELNS1_3repE0EEENS1_30default_config_static_selectorELNS0_4arch9wavefront6targetE0EEEvT1_, .Lfunc_end494-_ZN7rocprim17ROCPRIM_400000_NS6detail17trampoline_kernelINS0_14default_configENS1_20scan_config_selectorIN3c108BFloat16EEEZZNS1_9scan_implILNS1_25lookback_scan_determinismE0ELb0ELb0ES3_PKS6_PS6_S6_ZZZN2at6native31launch_logcumsumexp_cuda_kernelERKNSD_10TensorBaseESH_lENKUlvE_clEvENKUlvE4_clEvEUlS6_S6_E_S6_EEDaPvRmT3_T4_T5_mT6_P12ihipStream_tbENKUlT_T0_E_clISt17integral_constantIbLb1EESX_IbLb0EEEEDaST_SU_EUlST_E0_NS1_11comp_targetILNS1_3genE5ELNS1_11target_archE942ELNS1_3gpuE9ELNS1_3repE0EEENS1_30default_config_static_selectorELNS0_4arch9wavefront6targetE0EEEvT1_
                                        ; -- End function
	.set _ZN7rocprim17ROCPRIM_400000_NS6detail17trampoline_kernelINS0_14default_configENS1_20scan_config_selectorIN3c108BFloat16EEEZZNS1_9scan_implILNS1_25lookback_scan_determinismE0ELb0ELb0ES3_PKS6_PS6_S6_ZZZN2at6native31launch_logcumsumexp_cuda_kernelERKNSD_10TensorBaseESH_lENKUlvE_clEvENKUlvE4_clEvEUlS6_S6_E_S6_EEDaPvRmT3_T4_T5_mT6_P12ihipStream_tbENKUlT_T0_E_clISt17integral_constantIbLb1EESX_IbLb0EEEEDaST_SU_EUlST_E0_NS1_11comp_targetILNS1_3genE5ELNS1_11target_archE942ELNS1_3gpuE9ELNS1_3repE0EEENS1_30default_config_static_selectorELNS0_4arch9wavefront6targetE0EEEvT1_.num_vgpr, 0
	.set _ZN7rocprim17ROCPRIM_400000_NS6detail17trampoline_kernelINS0_14default_configENS1_20scan_config_selectorIN3c108BFloat16EEEZZNS1_9scan_implILNS1_25lookback_scan_determinismE0ELb0ELb0ES3_PKS6_PS6_S6_ZZZN2at6native31launch_logcumsumexp_cuda_kernelERKNSD_10TensorBaseESH_lENKUlvE_clEvENKUlvE4_clEvEUlS6_S6_E_S6_EEDaPvRmT3_T4_T5_mT6_P12ihipStream_tbENKUlT_T0_E_clISt17integral_constantIbLb1EESX_IbLb0EEEEDaST_SU_EUlST_E0_NS1_11comp_targetILNS1_3genE5ELNS1_11target_archE942ELNS1_3gpuE9ELNS1_3repE0EEENS1_30default_config_static_selectorELNS0_4arch9wavefront6targetE0EEEvT1_.num_agpr, 0
	.set _ZN7rocprim17ROCPRIM_400000_NS6detail17trampoline_kernelINS0_14default_configENS1_20scan_config_selectorIN3c108BFloat16EEEZZNS1_9scan_implILNS1_25lookback_scan_determinismE0ELb0ELb0ES3_PKS6_PS6_S6_ZZZN2at6native31launch_logcumsumexp_cuda_kernelERKNSD_10TensorBaseESH_lENKUlvE_clEvENKUlvE4_clEvEUlS6_S6_E_S6_EEDaPvRmT3_T4_T5_mT6_P12ihipStream_tbENKUlT_T0_E_clISt17integral_constantIbLb1EESX_IbLb0EEEEDaST_SU_EUlST_E0_NS1_11comp_targetILNS1_3genE5ELNS1_11target_archE942ELNS1_3gpuE9ELNS1_3repE0EEENS1_30default_config_static_selectorELNS0_4arch9wavefront6targetE0EEEvT1_.numbered_sgpr, 0
	.set _ZN7rocprim17ROCPRIM_400000_NS6detail17trampoline_kernelINS0_14default_configENS1_20scan_config_selectorIN3c108BFloat16EEEZZNS1_9scan_implILNS1_25lookback_scan_determinismE0ELb0ELb0ES3_PKS6_PS6_S6_ZZZN2at6native31launch_logcumsumexp_cuda_kernelERKNSD_10TensorBaseESH_lENKUlvE_clEvENKUlvE4_clEvEUlS6_S6_E_S6_EEDaPvRmT3_T4_T5_mT6_P12ihipStream_tbENKUlT_T0_E_clISt17integral_constantIbLb1EESX_IbLb0EEEEDaST_SU_EUlST_E0_NS1_11comp_targetILNS1_3genE5ELNS1_11target_archE942ELNS1_3gpuE9ELNS1_3repE0EEENS1_30default_config_static_selectorELNS0_4arch9wavefront6targetE0EEEvT1_.num_named_barrier, 0
	.set _ZN7rocprim17ROCPRIM_400000_NS6detail17trampoline_kernelINS0_14default_configENS1_20scan_config_selectorIN3c108BFloat16EEEZZNS1_9scan_implILNS1_25lookback_scan_determinismE0ELb0ELb0ES3_PKS6_PS6_S6_ZZZN2at6native31launch_logcumsumexp_cuda_kernelERKNSD_10TensorBaseESH_lENKUlvE_clEvENKUlvE4_clEvEUlS6_S6_E_S6_EEDaPvRmT3_T4_T5_mT6_P12ihipStream_tbENKUlT_T0_E_clISt17integral_constantIbLb1EESX_IbLb0EEEEDaST_SU_EUlST_E0_NS1_11comp_targetILNS1_3genE5ELNS1_11target_archE942ELNS1_3gpuE9ELNS1_3repE0EEENS1_30default_config_static_selectorELNS0_4arch9wavefront6targetE0EEEvT1_.private_seg_size, 0
	.set _ZN7rocprim17ROCPRIM_400000_NS6detail17trampoline_kernelINS0_14default_configENS1_20scan_config_selectorIN3c108BFloat16EEEZZNS1_9scan_implILNS1_25lookback_scan_determinismE0ELb0ELb0ES3_PKS6_PS6_S6_ZZZN2at6native31launch_logcumsumexp_cuda_kernelERKNSD_10TensorBaseESH_lENKUlvE_clEvENKUlvE4_clEvEUlS6_S6_E_S6_EEDaPvRmT3_T4_T5_mT6_P12ihipStream_tbENKUlT_T0_E_clISt17integral_constantIbLb1EESX_IbLb0EEEEDaST_SU_EUlST_E0_NS1_11comp_targetILNS1_3genE5ELNS1_11target_archE942ELNS1_3gpuE9ELNS1_3repE0EEENS1_30default_config_static_selectorELNS0_4arch9wavefront6targetE0EEEvT1_.uses_vcc, 0
	.set _ZN7rocprim17ROCPRIM_400000_NS6detail17trampoline_kernelINS0_14default_configENS1_20scan_config_selectorIN3c108BFloat16EEEZZNS1_9scan_implILNS1_25lookback_scan_determinismE0ELb0ELb0ES3_PKS6_PS6_S6_ZZZN2at6native31launch_logcumsumexp_cuda_kernelERKNSD_10TensorBaseESH_lENKUlvE_clEvENKUlvE4_clEvEUlS6_S6_E_S6_EEDaPvRmT3_T4_T5_mT6_P12ihipStream_tbENKUlT_T0_E_clISt17integral_constantIbLb1EESX_IbLb0EEEEDaST_SU_EUlST_E0_NS1_11comp_targetILNS1_3genE5ELNS1_11target_archE942ELNS1_3gpuE9ELNS1_3repE0EEENS1_30default_config_static_selectorELNS0_4arch9wavefront6targetE0EEEvT1_.uses_flat_scratch, 0
	.set _ZN7rocprim17ROCPRIM_400000_NS6detail17trampoline_kernelINS0_14default_configENS1_20scan_config_selectorIN3c108BFloat16EEEZZNS1_9scan_implILNS1_25lookback_scan_determinismE0ELb0ELb0ES3_PKS6_PS6_S6_ZZZN2at6native31launch_logcumsumexp_cuda_kernelERKNSD_10TensorBaseESH_lENKUlvE_clEvENKUlvE4_clEvEUlS6_S6_E_S6_EEDaPvRmT3_T4_T5_mT6_P12ihipStream_tbENKUlT_T0_E_clISt17integral_constantIbLb1EESX_IbLb0EEEEDaST_SU_EUlST_E0_NS1_11comp_targetILNS1_3genE5ELNS1_11target_archE942ELNS1_3gpuE9ELNS1_3repE0EEENS1_30default_config_static_selectorELNS0_4arch9wavefront6targetE0EEEvT1_.has_dyn_sized_stack, 0
	.set _ZN7rocprim17ROCPRIM_400000_NS6detail17trampoline_kernelINS0_14default_configENS1_20scan_config_selectorIN3c108BFloat16EEEZZNS1_9scan_implILNS1_25lookback_scan_determinismE0ELb0ELb0ES3_PKS6_PS6_S6_ZZZN2at6native31launch_logcumsumexp_cuda_kernelERKNSD_10TensorBaseESH_lENKUlvE_clEvENKUlvE4_clEvEUlS6_S6_E_S6_EEDaPvRmT3_T4_T5_mT6_P12ihipStream_tbENKUlT_T0_E_clISt17integral_constantIbLb1EESX_IbLb0EEEEDaST_SU_EUlST_E0_NS1_11comp_targetILNS1_3genE5ELNS1_11target_archE942ELNS1_3gpuE9ELNS1_3repE0EEENS1_30default_config_static_selectorELNS0_4arch9wavefront6targetE0EEEvT1_.has_recursion, 0
	.set _ZN7rocprim17ROCPRIM_400000_NS6detail17trampoline_kernelINS0_14default_configENS1_20scan_config_selectorIN3c108BFloat16EEEZZNS1_9scan_implILNS1_25lookback_scan_determinismE0ELb0ELb0ES3_PKS6_PS6_S6_ZZZN2at6native31launch_logcumsumexp_cuda_kernelERKNSD_10TensorBaseESH_lENKUlvE_clEvENKUlvE4_clEvEUlS6_S6_E_S6_EEDaPvRmT3_T4_T5_mT6_P12ihipStream_tbENKUlT_T0_E_clISt17integral_constantIbLb1EESX_IbLb0EEEEDaST_SU_EUlST_E0_NS1_11comp_targetILNS1_3genE5ELNS1_11target_archE942ELNS1_3gpuE9ELNS1_3repE0EEENS1_30default_config_static_selectorELNS0_4arch9wavefront6targetE0EEEvT1_.has_indirect_call, 0
	.section	.AMDGPU.csdata,"",@progbits
; Kernel info:
; codeLenInByte = 0
; TotalNumSgprs: 0
; NumVgprs: 0
; ScratchSize: 0
; MemoryBound: 0
; FloatMode: 240
; IeeeMode: 1
; LDSByteSize: 0 bytes/workgroup (compile time only)
; SGPRBlocks: 0
; VGPRBlocks: 0
; NumSGPRsForWavesPerEU: 1
; NumVGPRsForWavesPerEU: 1
; Occupancy: 16
; WaveLimiterHint : 0
; COMPUTE_PGM_RSRC2:SCRATCH_EN: 0
; COMPUTE_PGM_RSRC2:USER_SGPR: 2
; COMPUTE_PGM_RSRC2:TRAP_HANDLER: 0
; COMPUTE_PGM_RSRC2:TGID_X_EN: 1
; COMPUTE_PGM_RSRC2:TGID_Y_EN: 0
; COMPUTE_PGM_RSRC2:TGID_Z_EN: 0
; COMPUTE_PGM_RSRC2:TIDIG_COMP_CNT: 0
	.section	.text._ZN7rocprim17ROCPRIM_400000_NS6detail17trampoline_kernelINS0_14default_configENS1_20scan_config_selectorIN3c108BFloat16EEEZZNS1_9scan_implILNS1_25lookback_scan_determinismE0ELb0ELb0ES3_PKS6_PS6_S6_ZZZN2at6native31launch_logcumsumexp_cuda_kernelERKNSD_10TensorBaseESH_lENKUlvE_clEvENKUlvE4_clEvEUlS6_S6_E_S6_EEDaPvRmT3_T4_T5_mT6_P12ihipStream_tbENKUlT_T0_E_clISt17integral_constantIbLb1EESX_IbLb0EEEEDaST_SU_EUlST_E0_NS1_11comp_targetILNS1_3genE4ELNS1_11target_archE910ELNS1_3gpuE8ELNS1_3repE0EEENS1_30default_config_static_selectorELNS0_4arch9wavefront6targetE0EEEvT1_,"axG",@progbits,_ZN7rocprim17ROCPRIM_400000_NS6detail17trampoline_kernelINS0_14default_configENS1_20scan_config_selectorIN3c108BFloat16EEEZZNS1_9scan_implILNS1_25lookback_scan_determinismE0ELb0ELb0ES3_PKS6_PS6_S6_ZZZN2at6native31launch_logcumsumexp_cuda_kernelERKNSD_10TensorBaseESH_lENKUlvE_clEvENKUlvE4_clEvEUlS6_S6_E_S6_EEDaPvRmT3_T4_T5_mT6_P12ihipStream_tbENKUlT_T0_E_clISt17integral_constantIbLb1EESX_IbLb0EEEEDaST_SU_EUlST_E0_NS1_11comp_targetILNS1_3genE4ELNS1_11target_archE910ELNS1_3gpuE8ELNS1_3repE0EEENS1_30default_config_static_selectorELNS0_4arch9wavefront6targetE0EEEvT1_,comdat
	.globl	_ZN7rocprim17ROCPRIM_400000_NS6detail17trampoline_kernelINS0_14default_configENS1_20scan_config_selectorIN3c108BFloat16EEEZZNS1_9scan_implILNS1_25lookback_scan_determinismE0ELb0ELb0ES3_PKS6_PS6_S6_ZZZN2at6native31launch_logcumsumexp_cuda_kernelERKNSD_10TensorBaseESH_lENKUlvE_clEvENKUlvE4_clEvEUlS6_S6_E_S6_EEDaPvRmT3_T4_T5_mT6_P12ihipStream_tbENKUlT_T0_E_clISt17integral_constantIbLb1EESX_IbLb0EEEEDaST_SU_EUlST_E0_NS1_11comp_targetILNS1_3genE4ELNS1_11target_archE910ELNS1_3gpuE8ELNS1_3repE0EEENS1_30default_config_static_selectorELNS0_4arch9wavefront6targetE0EEEvT1_ ; -- Begin function _ZN7rocprim17ROCPRIM_400000_NS6detail17trampoline_kernelINS0_14default_configENS1_20scan_config_selectorIN3c108BFloat16EEEZZNS1_9scan_implILNS1_25lookback_scan_determinismE0ELb0ELb0ES3_PKS6_PS6_S6_ZZZN2at6native31launch_logcumsumexp_cuda_kernelERKNSD_10TensorBaseESH_lENKUlvE_clEvENKUlvE4_clEvEUlS6_S6_E_S6_EEDaPvRmT3_T4_T5_mT6_P12ihipStream_tbENKUlT_T0_E_clISt17integral_constantIbLb1EESX_IbLb0EEEEDaST_SU_EUlST_E0_NS1_11comp_targetILNS1_3genE4ELNS1_11target_archE910ELNS1_3gpuE8ELNS1_3repE0EEENS1_30default_config_static_selectorELNS0_4arch9wavefront6targetE0EEEvT1_
	.p2align	8
	.type	_ZN7rocprim17ROCPRIM_400000_NS6detail17trampoline_kernelINS0_14default_configENS1_20scan_config_selectorIN3c108BFloat16EEEZZNS1_9scan_implILNS1_25lookback_scan_determinismE0ELb0ELb0ES3_PKS6_PS6_S6_ZZZN2at6native31launch_logcumsumexp_cuda_kernelERKNSD_10TensorBaseESH_lENKUlvE_clEvENKUlvE4_clEvEUlS6_S6_E_S6_EEDaPvRmT3_T4_T5_mT6_P12ihipStream_tbENKUlT_T0_E_clISt17integral_constantIbLb1EESX_IbLb0EEEEDaST_SU_EUlST_E0_NS1_11comp_targetILNS1_3genE4ELNS1_11target_archE910ELNS1_3gpuE8ELNS1_3repE0EEENS1_30default_config_static_selectorELNS0_4arch9wavefront6targetE0EEEvT1_,@function
_ZN7rocprim17ROCPRIM_400000_NS6detail17trampoline_kernelINS0_14default_configENS1_20scan_config_selectorIN3c108BFloat16EEEZZNS1_9scan_implILNS1_25lookback_scan_determinismE0ELb0ELb0ES3_PKS6_PS6_S6_ZZZN2at6native31launch_logcumsumexp_cuda_kernelERKNSD_10TensorBaseESH_lENKUlvE_clEvENKUlvE4_clEvEUlS6_S6_E_S6_EEDaPvRmT3_T4_T5_mT6_P12ihipStream_tbENKUlT_T0_E_clISt17integral_constantIbLb1EESX_IbLb0EEEEDaST_SU_EUlST_E0_NS1_11comp_targetILNS1_3genE4ELNS1_11target_archE910ELNS1_3gpuE8ELNS1_3repE0EEENS1_30default_config_static_selectorELNS0_4arch9wavefront6targetE0EEEvT1_: ; @_ZN7rocprim17ROCPRIM_400000_NS6detail17trampoline_kernelINS0_14default_configENS1_20scan_config_selectorIN3c108BFloat16EEEZZNS1_9scan_implILNS1_25lookback_scan_determinismE0ELb0ELb0ES3_PKS6_PS6_S6_ZZZN2at6native31launch_logcumsumexp_cuda_kernelERKNSD_10TensorBaseESH_lENKUlvE_clEvENKUlvE4_clEvEUlS6_S6_E_S6_EEDaPvRmT3_T4_T5_mT6_P12ihipStream_tbENKUlT_T0_E_clISt17integral_constantIbLb1EESX_IbLb0EEEEDaST_SU_EUlST_E0_NS1_11comp_targetILNS1_3genE4ELNS1_11target_archE910ELNS1_3gpuE8ELNS1_3repE0EEENS1_30default_config_static_selectorELNS0_4arch9wavefront6targetE0EEEvT1_
; %bb.0:
	.section	.rodata,"a",@progbits
	.p2align	6, 0x0
	.amdhsa_kernel _ZN7rocprim17ROCPRIM_400000_NS6detail17trampoline_kernelINS0_14default_configENS1_20scan_config_selectorIN3c108BFloat16EEEZZNS1_9scan_implILNS1_25lookback_scan_determinismE0ELb0ELb0ES3_PKS6_PS6_S6_ZZZN2at6native31launch_logcumsumexp_cuda_kernelERKNSD_10TensorBaseESH_lENKUlvE_clEvENKUlvE4_clEvEUlS6_S6_E_S6_EEDaPvRmT3_T4_T5_mT6_P12ihipStream_tbENKUlT_T0_E_clISt17integral_constantIbLb1EESX_IbLb0EEEEDaST_SU_EUlST_E0_NS1_11comp_targetILNS1_3genE4ELNS1_11target_archE910ELNS1_3gpuE8ELNS1_3repE0EEENS1_30default_config_static_selectorELNS0_4arch9wavefront6targetE0EEEvT1_
		.amdhsa_group_segment_fixed_size 0
		.amdhsa_private_segment_fixed_size 0
		.amdhsa_kernarg_size 32
		.amdhsa_user_sgpr_count 2
		.amdhsa_user_sgpr_dispatch_ptr 0
		.amdhsa_user_sgpr_queue_ptr 0
		.amdhsa_user_sgpr_kernarg_segment_ptr 1
		.amdhsa_user_sgpr_dispatch_id 0
		.amdhsa_user_sgpr_private_segment_size 0
		.amdhsa_wavefront_size32 1
		.amdhsa_uses_dynamic_stack 0
		.amdhsa_enable_private_segment 0
		.amdhsa_system_sgpr_workgroup_id_x 1
		.amdhsa_system_sgpr_workgroup_id_y 0
		.amdhsa_system_sgpr_workgroup_id_z 0
		.amdhsa_system_sgpr_workgroup_info 0
		.amdhsa_system_vgpr_workitem_id 0
		.amdhsa_next_free_vgpr 1
		.amdhsa_next_free_sgpr 1
		.amdhsa_reserve_vcc 0
		.amdhsa_float_round_mode_32 0
		.amdhsa_float_round_mode_16_64 0
		.amdhsa_float_denorm_mode_32 3
		.amdhsa_float_denorm_mode_16_64 3
		.amdhsa_fp16_overflow 0
		.amdhsa_workgroup_processor_mode 1
		.amdhsa_memory_ordered 1
		.amdhsa_forward_progress 1
		.amdhsa_inst_pref_size 0
		.amdhsa_round_robin_scheduling 0
		.amdhsa_exception_fp_ieee_invalid_op 0
		.amdhsa_exception_fp_denorm_src 0
		.amdhsa_exception_fp_ieee_div_zero 0
		.amdhsa_exception_fp_ieee_overflow 0
		.amdhsa_exception_fp_ieee_underflow 0
		.amdhsa_exception_fp_ieee_inexact 0
		.amdhsa_exception_int_div_zero 0
	.end_amdhsa_kernel
	.section	.text._ZN7rocprim17ROCPRIM_400000_NS6detail17trampoline_kernelINS0_14default_configENS1_20scan_config_selectorIN3c108BFloat16EEEZZNS1_9scan_implILNS1_25lookback_scan_determinismE0ELb0ELb0ES3_PKS6_PS6_S6_ZZZN2at6native31launch_logcumsumexp_cuda_kernelERKNSD_10TensorBaseESH_lENKUlvE_clEvENKUlvE4_clEvEUlS6_S6_E_S6_EEDaPvRmT3_T4_T5_mT6_P12ihipStream_tbENKUlT_T0_E_clISt17integral_constantIbLb1EESX_IbLb0EEEEDaST_SU_EUlST_E0_NS1_11comp_targetILNS1_3genE4ELNS1_11target_archE910ELNS1_3gpuE8ELNS1_3repE0EEENS1_30default_config_static_selectorELNS0_4arch9wavefront6targetE0EEEvT1_,"axG",@progbits,_ZN7rocprim17ROCPRIM_400000_NS6detail17trampoline_kernelINS0_14default_configENS1_20scan_config_selectorIN3c108BFloat16EEEZZNS1_9scan_implILNS1_25lookback_scan_determinismE0ELb0ELb0ES3_PKS6_PS6_S6_ZZZN2at6native31launch_logcumsumexp_cuda_kernelERKNSD_10TensorBaseESH_lENKUlvE_clEvENKUlvE4_clEvEUlS6_S6_E_S6_EEDaPvRmT3_T4_T5_mT6_P12ihipStream_tbENKUlT_T0_E_clISt17integral_constantIbLb1EESX_IbLb0EEEEDaST_SU_EUlST_E0_NS1_11comp_targetILNS1_3genE4ELNS1_11target_archE910ELNS1_3gpuE8ELNS1_3repE0EEENS1_30default_config_static_selectorELNS0_4arch9wavefront6targetE0EEEvT1_,comdat
.Lfunc_end495:
	.size	_ZN7rocprim17ROCPRIM_400000_NS6detail17trampoline_kernelINS0_14default_configENS1_20scan_config_selectorIN3c108BFloat16EEEZZNS1_9scan_implILNS1_25lookback_scan_determinismE0ELb0ELb0ES3_PKS6_PS6_S6_ZZZN2at6native31launch_logcumsumexp_cuda_kernelERKNSD_10TensorBaseESH_lENKUlvE_clEvENKUlvE4_clEvEUlS6_S6_E_S6_EEDaPvRmT3_T4_T5_mT6_P12ihipStream_tbENKUlT_T0_E_clISt17integral_constantIbLb1EESX_IbLb0EEEEDaST_SU_EUlST_E0_NS1_11comp_targetILNS1_3genE4ELNS1_11target_archE910ELNS1_3gpuE8ELNS1_3repE0EEENS1_30default_config_static_selectorELNS0_4arch9wavefront6targetE0EEEvT1_, .Lfunc_end495-_ZN7rocprim17ROCPRIM_400000_NS6detail17trampoline_kernelINS0_14default_configENS1_20scan_config_selectorIN3c108BFloat16EEEZZNS1_9scan_implILNS1_25lookback_scan_determinismE0ELb0ELb0ES3_PKS6_PS6_S6_ZZZN2at6native31launch_logcumsumexp_cuda_kernelERKNSD_10TensorBaseESH_lENKUlvE_clEvENKUlvE4_clEvEUlS6_S6_E_S6_EEDaPvRmT3_T4_T5_mT6_P12ihipStream_tbENKUlT_T0_E_clISt17integral_constantIbLb1EESX_IbLb0EEEEDaST_SU_EUlST_E0_NS1_11comp_targetILNS1_3genE4ELNS1_11target_archE910ELNS1_3gpuE8ELNS1_3repE0EEENS1_30default_config_static_selectorELNS0_4arch9wavefront6targetE0EEEvT1_
                                        ; -- End function
	.set _ZN7rocprim17ROCPRIM_400000_NS6detail17trampoline_kernelINS0_14default_configENS1_20scan_config_selectorIN3c108BFloat16EEEZZNS1_9scan_implILNS1_25lookback_scan_determinismE0ELb0ELb0ES3_PKS6_PS6_S6_ZZZN2at6native31launch_logcumsumexp_cuda_kernelERKNSD_10TensorBaseESH_lENKUlvE_clEvENKUlvE4_clEvEUlS6_S6_E_S6_EEDaPvRmT3_T4_T5_mT6_P12ihipStream_tbENKUlT_T0_E_clISt17integral_constantIbLb1EESX_IbLb0EEEEDaST_SU_EUlST_E0_NS1_11comp_targetILNS1_3genE4ELNS1_11target_archE910ELNS1_3gpuE8ELNS1_3repE0EEENS1_30default_config_static_selectorELNS0_4arch9wavefront6targetE0EEEvT1_.num_vgpr, 0
	.set _ZN7rocprim17ROCPRIM_400000_NS6detail17trampoline_kernelINS0_14default_configENS1_20scan_config_selectorIN3c108BFloat16EEEZZNS1_9scan_implILNS1_25lookback_scan_determinismE0ELb0ELb0ES3_PKS6_PS6_S6_ZZZN2at6native31launch_logcumsumexp_cuda_kernelERKNSD_10TensorBaseESH_lENKUlvE_clEvENKUlvE4_clEvEUlS6_S6_E_S6_EEDaPvRmT3_T4_T5_mT6_P12ihipStream_tbENKUlT_T0_E_clISt17integral_constantIbLb1EESX_IbLb0EEEEDaST_SU_EUlST_E0_NS1_11comp_targetILNS1_3genE4ELNS1_11target_archE910ELNS1_3gpuE8ELNS1_3repE0EEENS1_30default_config_static_selectorELNS0_4arch9wavefront6targetE0EEEvT1_.num_agpr, 0
	.set _ZN7rocprim17ROCPRIM_400000_NS6detail17trampoline_kernelINS0_14default_configENS1_20scan_config_selectorIN3c108BFloat16EEEZZNS1_9scan_implILNS1_25lookback_scan_determinismE0ELb0ELb0ES3_PKS6_PS6_S6_ZZZN2at6native31launch_logcumsumexp_cuda_kernelERKNSD_10TensorBaseESH_lENKUlvE_clEvENKUlvE4_clEvEUlS6_S6_E_S6_EEDaPvRmT3_T4_T5_mT6_P12ihipStream_tbENKUlT_T0_E_clISt17integral_constantIbLb1EESX_IbLb0EEEEDaST_SU_EUlST_E0_NS1_11comp_targetILNS1_3genE4ELNS1_11target_archE910ELNS1_3gpuE8ELNS1_3repE0EEENS1_30default_config_static_selectorELNS0_4arch9wavefront6targetE0EEEvT1_.numbered_sgpr, 0
	.set _ZN7rocprim17ROCPRIM_400000_NS6detail17trampoline_kernelINS0_14default_configENS1_20scan_config_selectorIN3c108BFloat16EEEZZNS1_9scan_implILNS1_25lookback_scan_determinismE0ELb0ELb0ES3_PKS6_PS6_S6_ZZZN2at6native31launch_logcumsumexp_cuda_kernelERKNSD_10TensorBaseESH_lENKUlvE_clEvENKUlvE4_clEvEUlS6_S6_E_S6_EEDaPvRmT3_T4_T5_mT6_P12ihipStream_tbENKUlT_T0_E_clISt17integral_constantIbLb1EESX_IbLb0EEEEDaST_SU_EUlST_E0_NS1_11comp_targetILNS1_3genE4ELNS1_11target_archE910ELNS1_3gpuE8ELNS1_3repE0EEENS1_30default_config_static_selectorELNS0_4arch9wavefront6targetE0EEEvT1_.num_named_barrier, 0
	.set _ZN7rocprim17ROCPRIM_400000_NS6detail17trampoline_kernelINS0_14default_configENS1_20scan_config_selectorIN3c108BFloat16EEEZZNS1_9scan_implILNS1_25lookback_scan_determinismE0ELb0ELb0ES3_PKS6_PS6_S6_ZZZN2at6native31launch_logcumsumexp_cuda_kernelERKNSD_10TensorBaseESH_lENKUlvE_clEvENKUlvE4_clEvEUlS6_S6_E_S6_EEDaPvRmT3_T4_T5_mT6_P12ihipStream_tbENKUlT_T0_E_clISt17integral_constantIbLb1EESX_IbLb0EEEEDaST_SU_EUlST_E0_NS1_11comp_targetILNS1_3genE4ELNS1_11target_archE910ELNS1_3gpuE8ELNS1_3repE0EEENS1_30default_config_static_selectorELNS0_4arch9wavefront6targetE0EEEvT1_.private_seg_size, 0
	.set _ZN7rocprim17ROCPRIM_400000_NS6detail17trampoline_kernelINS0_14default_configENS1_20scan_config_selectorIN3c108BFloat16EEEZZNS1_9scan_implILNS1_25lookback_scan_determinismE0ELb0ELb0ES3_PKS6_PS6_S6_ZZZN2at6native31launch_logcumsumexp_cuda_kernelERKNSD_10TensorBaseESH_lENKUlvE_clEvENKUlvE4_clEvEUlS6_S6_E_S6_EEDaPvRmT3_T4_T5_mT6_P12ihipStream_tbENKUlT_T0_E_clISt17integral_constantIbLb1EESX_IbLb0EEEEDaST_SU_EUlST_E0_NS1_11comp_targetILNS1_3genE4ELNS1_11target_archE910ELNS1_3gpuE8ELNS1_3repE0EEENS1_30default_config_static_selectorELNS0_4arch9wavefront6targetE0EEEvT1_.uses_vcc, 0
	.set _ZN7rocprim17ROCPRIM_400000_NS6detail17trampoline_kernelINS0_14default_configENS1_20scan_config_selectorIN3c108BFloat16EEEZZNS1_9scan_implILNS1_25lookback_scan_determinismE0ELb0ELb0ES3_PKS6_PS6_S6_ZZZN2at6native31launch_logcumsumexp_cuda_kernelERKNSD_10TensorBaseESH_lENKUlvE_clEvENKUlvE4_clEvEUlS6_S6_E_S6_EEDaPvRmT3_T4_T5_mT6_P12ihipStream_tbENKUlT_T0_E_clISt17integral_constantIbLb1EESX_IbLb0EEEEDaST_SU_EUlST_E0_NS1_11comp_targetILNS1_3genE4ELNS1_11target_archE910ELNS1_3gpuE8ELNS1_3repE0EEENS1_30default_config_static_selectorELNS0_4arch9wavefront6targetE0EEEvT1_.uses_flat_scratch, 0
	.set _ZN7rocprim17ROCPRIM_400000_NS6detail17trampoline_kernelINS0_14default_configENS1_20scan_config_selectorIN3c108BFloat16EEEZZNS1_9scan_implILNS1_25lookback_scan_determinismE0ELb0ELb0ES3_PKS6_PS6_S6_ZZZN2at6native31launch_logcumsumexp_cuda_kernelERKNSD_10TensorBaseESH_lENKUlvE_clEvENKUlvE4_clEvEUlS6_S6_E_S6_EEDaPvRmT3_T4_T5_mT6_P12ihipStream_tbENKUlT_T0_E_clISt17integral_constantIbLb1EESX_IbLb0EEEEDaST_SU_EUlST_E0_NS1_11comp_targetILNS1_3genE4ELNS1_11target_archE910ELNS1_3gpuE8ELNS1_3repE0EEENS1_30default_config_static_selectorELNS0_4arch9wavefront6targetE0EEEvT1_.has_dyn_sized_stack, 0
	.set _ZN7rocprim17ROCPRIM_400000_NS6detail17trampoline_kernelINS0_14default_configENS1_20scan_config_selectorIN3c108BFloat16EEEZZNS1_9scan_implILNS1_25lookback_scan_determinismE0ELb0ELb0ES3_PKS6_PS6_S6_ZZZN2at6native31launch_logcumsumexp_cuda_kernelERKNSD_10TensorBaseESH_lENKUlvE_clEvENKUlvE4_clEvEUlS6_S6_E_S6_EEDaPvRmT3_T4_T5_mT6_P12ihipStream_tbENKUlT_T0_E_clISt17integral_constantIbLb1EESX_IbLb0EEEEDaST_SU_EUlST_E0_NS1_11comp_targetILNS1_3genE4ELNS1_11target_archE910ELNS1_3gpuE8ELNS1_3repE0EEENS1_30default_config_static_selectorELNS0_4arch9wavefront6targetE0EEEvT1_.has_recursion, 0
	.set _ZN7rocprim17ROCPRIM_400000_NS6detail17trampoline_kernelINS0_14default_configENS1_20scan_config_selectorIN3c108BFloat16EEEZZNS1_9scan_implILNS1_25lookback_scan_determinismE0ELb0ELb0ES3_PKS6_PS6_S6_ZZZN2at6native31launch_logcumsumexp_cuda_kernelERKNSD_10TensorBaseESH_lENKUlvE_clEvENKUlvE4_clEvEUlS6_S6_E_S6_EEDaPvRmT3_T4_T5_mT6_P12ihipStream_tbENKUlT_T0_E_clISt17integral_constantIbLb1EESX_IbLb0EEEEDaST_SU_EUlST_E0_NS1_11comp_targetILNS1_3genE4ELNS1_11target_archE910ELNS1_3gpuE8ELNS1_3repE0EEENS1_30default_config_static_selectorELNS0_4arch9wavefront6targetE0EEEvT1_.has_indirect_call, 0
	.section	.AMDGPU.csdata,"",@progbits
; Kernel info:
; codeLenInByte = 0
; TotalNumSgprs: 0
; NumVgprs: 0
; ScratchSize: 0
; MemoryBound: 0
; FloatMode: 240
; IeeeMode: 1
; LDSByteSize: 0 bytes/workgroup (compile time only)
; SGPRBlocks: 0
; VGPRBlocks: 0
; NumSGPRsForWavesPerEU: 1
; NumVGPRsForWavesPerEU: 1
; Occupancy: 16
; WaveLimiterHint : 0
; COMPUTE_PGM_RSRC2:SCRATCH_EN: 0
; COMPUTE_PGM_RSRC2:USER_SGPR: 2
; COMPUTE_PGM_RSRC2:TRAP_HANDLER: 0
; COMPUTE_PGM_RSRC2:TGID_X_EN: 1
; COMPUTE_PGM_RSRC2:TGID_Y_EN: 0
; COMPUTE_PGM_RSRC2:TGID_Z_EN: 0
; COMPUTE_PGM_RSRC2:TIDIG_COMP_CNT: 0
	.section	.text._ZN7rocprim17ROCPRIM_400000_NS6detail17trampoline_kernelINS0_14default_configENS1_20scan_config_selectorIN3c108BFloat16EEEZZNS1_9scan_implILNS1_25lookback_scan_determinismE0ELb0ELb0ES3_PKS6_PS6_S6_ZZZN2at6native31launch_logcumsumexp_cuda_kernelERKNSD_10TensorBaseESH_lENKUlvE_clEvENKUlvE4_clEvEUlS6_S6_E_S6_EEDaPvRmT3_T4_T5_mT6_P12ihipStream_tbENKUlT_T0_E_clISt17integral_constantIbLb1EESX_IbLb0EEEEDaST_SU_EUlST_E0_NS1_11comp_targetILNS1_3genE3ELNS1_11target_archE908ELNS1_3gpuE7ELNS1_3repE0EEENS1_30default_config_static_selectorELNS0_4arch9wavefront6targetE0EEEvT1_,"axG",@progbits,_ZN7rocprim17ROCPRIM_400000_NS6detail17trampoline_kernelINS0_14default_configENS1_20scan_config_selectorIN3c108BFloat16EEEZZNS1_9scan_implILNS1_25lookback_scan_determinismE0ELb0ELb0ES3_PKS6_PS6_S6_ZZZN2at6native31launch_logcumsumexp_cuda_kernelERKNSD_10TensorBaseESH_lENKUlvE_clEvENKUlvE4_clEvEUlS6_S6_E_S6_EEDaPvRmT3_T4_T5_mT6_P12ihipStream_tbENKUlT_T0_E_clISt17integral_constantIbLb1EESX_IbLb0EEEEDaST_SU_EUlST_E0_NS1_11comp_targetILNS1_3genE3ELNS1_11target_archE908ELNS1_3gpuE7ELNS1_3repE0EEENS1_30default_config_static_selectorELNS0_4arch9wavefront6targetE0EEEvT1_,comdat
	.globl	_ZN7rocprim17ROCPRIM_400000_NS6detail17trampoline_kernelINS0_14default_configENS1_20scan_config_selectorIN3c108BFloat16EEEZZNS1_9scan_implILNS1_25lookback_scan_determinismE0ELb0ELb0ES3_PKS6_PS6_S6_ZZZN2at6native31launch_logcumsumexp_cuda_kernelERKNSD_10TensorBaseESH_lENKUlvE_clEvENKUlvE4_clEvEUlS6_S6_E_S6_EEDaPvRmT3_T4_T5_mT6_P12ihipStream_tbENKUlT_T0_E_clISt17integral_constantIbLb1EESX_IbLb0EEEEDaST_SU_EUlST_E0_NS1_11comp_targetILNS1_3genE3ELNS1_11target_archE908ELNS1_3gpuE7ELNS1_3repE0EEENS1_30default_config_static_selectorELNS0_4arch9wavefront6targetE0EEEvT1_ ; -- Begin function _ZN7rocprim17ROCPRIM_400000_NS6detail17trampoline_kernelINS0_14default_configENS1_20scan_config_selectorIN3c108BFloat16EEEZZNS1_9scan_implILNS1_25lookback_scan_determinismE0ELb0ELb0ES3_PKS6_PS6_S6_ZZZN2at6native31launch_logcumsumexp_cuda_kernelERKNSD_10TensorBaseESH_lENKUlvE_clEvENKUlvE4_clEvEUlS6_S6_E_S6_EEDaPvRmT3_T4_T5_mT6_P12ihipStream_tbENKUlT_T0_E_clISt17integral_constantIbLb1EESX_IbLb0EEEEDaST_SU_EUlST_E0_NS1_11comp_targetILNS1_3genE3ELNS1_11target_archE908ELNS1_3gpuE7ELNS1_3repE0EEENS1_30default_config_static_selectorELNS0_4arch9wavefront6targetE0EEEvT1_
	.p2align	8
	.type	_ZN7rocprim17ROCPRIM_400000_NS6detail17trampoline_kernelINS0_14default_configENS1_20scan_config_selectorIN3c108BFloat16EEEZZNS1_9scan_implILNS1_25lookback_scan_determinismE0ELb0ELb0ES3_PKS6_PS6_S6_ZZZN2at6native31launch_logcumsumexp_cuda_kernelERKNSD_10TensorBaseESH_lENKUlvE_clEvENKUlvE4_clEvEUlS6_S6_E_S6_EEDaPvRmT3_T4_T5_mT6_P12ihipStream_tbENKUlT_T0_E_clISt17integral_constantIbLb1EESX_IbLb0EEEEDaST_SU_EUlST_E0_NS1_11comp_targetILNS1_3genE3ELNS1_11target_archE908ELNS1_3gpuE7ELNS1_3repE0EEENS1_30default_config_static_selectorELNS0_4arch9wavefront6targetE0EEEvT1_,@function
_ZN7rocprim17ROCPRIM_400000_NS6detail17trampoline_kernelINS0_14default_configENS1_20scan_config_selectorIN3c108BFloat16EEEZZNS1_9scan_implILNS1_25lookback_scan_determinismE0ELb0ELb0ES3_PKS6_PS6_S6_ZZZN2at6native31launch_logcumsumexp_cuda_kernelERKNSD_10TensorBaseESH_lENKUlvE_clEvENKUlvE4_clEvEUlS6_S6_E_S6_EEDaPvRmT3_T4_T5_mT6_P12ihipStream_tbENKUlT_T0_E_clISt17integral_constantIbLb1EESX_IbLb0EEEEDaST_SU_EUlST_E0_NS1_11comp_targetILNS1_3genE3ELNS1_11target_archE908ELNS1_3gpuE7ELNS1_3repE0EEENS1_30default_config_static_selectorELNS0_4arch9wavefront6targetE0EEEvT1_: ; @_ZN7rocprim17ROCPRIM_400000_NS6detail17trampoline_kernelINS0_14default_configENS1_20scan_config_selectorIN3c108BFloat16EEEZZNS1_9scan_implILNS1_25lookback_scan_determinismE0ELb0ELb0ES3_PKS6_PS6_S6_ZZZN2at6native31launch_logcumsumexp_cuda_kernelERKNSD_10TensorBaseESH_lENKUlvE_clEvENKUlvE4_clEvEUlS6_S6_E_S6_EEDaPvRmT3_T4_T5_mT6_P12ihipStream_tbENKUlT_T0_E_clISt17integral_constantIbLb1EESX_IbLb0EEEEDaST_SU_EUlST_E0_NS1_11comp_targetILNS1_3genE3ELNS1_11target_archE908ELNS1_3gpuE7ELNS1_3repE0EEENS1_30default_config_static_selectorELNS0_4arch9wavefront6targetE0EEEvT1_
; %bb.0:
	.section	.rodata,"a",@progbits
	.p2align	6, 0x0
	.amdhsa_kernel _ZN7rocprim17ROCPRIM_400000_NS6detail17trampoline_kernelINS0_14default_configENS1_20scan_config_selectorIN3c108BFloat16EEEZZNS1_9scan_implILNS1_25lookback_scan_determinismE0ELb0ELb0ES3_PKS6_PS6_S6_ZZZN2at6native31launch_logcumsumexp_cuda_kernelERKNSD_10TensorBaseESH_lENKUlvE_clEvENKUlvE4_clEvEUlS6_S6_E_S6_EEDaPvRmT3_T4_T5_mT6_P12ihipStream_tbENKUlT_T0_E_clISt17integral_constantIbLb1EESX_IbLb0EEEEDaST_SU_EUlST_E0_NS1_11comp_targetILNS1_3genE3ELNS1_11target_archE908ELNS1_3gpuE7ELNS1_3repE0EEENS1_30default_config_static_selectorELNS0_4arch9wavefront6targetE0EEEvT1_
		.amdhsa_group_segment_fixed_size 0
		.amdhsa_private_segment_fixed_size 0
		.amdhsa_kernarg_size 32
		.amdhsa_user_sgpr_count 2
		.amdhsa_user_sgpr_dispatch_ptr 0
		.amdhsa_user_sgpr_queue_ptr 0
		.amdhsa_user_sgpr_kernarg_segment_ptr 1
		.amdhsa_user_sgpr_dispatch_id 0
		.amdhsa_user_sgpr_private_segment_size 0
		.amdhsa_wavefront_size32 1
		.amdhsa_uses_dynamic_stack 0
		.amdhsa_enable_private_segment 0
		.amdhsa_system_sgpr_workgroup_id_x 1
		.amdhsa_system_sgpr_workgroup_id_y 0
		.amdhsa_system_sgpr_workgroup_id_z 0
		.amdhsa_system_sgpr_workgroup_info 0
		.amdhsa_system_vgpr_workitem_id 0
		.amdhsa_next_free_vgpr 1
		.amdhsa_next_free_sgpr 1
		.amdhsa_reserve_vcc 0
		.amdhsa_float_round_mode_32 0
		.amdhsa_float_round_mode_16_64 0
		.amdhsa_float_denorm_mode_32 3
		.amdhsa_float_denorm_mode_16_64 3
		.amdhsa_fp16_overflow 0
		.amdhsa_workgroup_processor_mode 1
		.amdhsa_memory_ordered 1
		.amdhsa_forward_progress 1
		.amdhsa_inst_pref_size 0
		.amdhsa_round_robin_scheduling 0
		.amdhsa_exception_fp_ieee_invalid_op 0
		.amdhsa_exception_fp_denorm_src 0
		.amdhsa_exception_fp_ieee_div_zero 0
		.amdhsa_exception_fp_ieee_overflow 0
		.amdhsa_exception_fp_ieee_underflow 0
		.amdhsa_exception_fp_ieee_inexact 0
		.amdhsa_exception_int_div_zero 0
	.end_amdhsa_kernel
	.section	.text._ZN7rocprim17ROCPRIM_400000_NS6detail17trampoline_kernelINS0_14default_configENS1_20scan_config_selectorIN3c108BFloat16EEEZZNS1_9scan_implILNS1_25lookback_scan_determinismE0ELb0ELb0ES3_PKS6_PS6_S6_ZZZN2at6native31launch_logcumsumexp_cuda_kernelERKNSD_10TensorBaseESH_lENKUlvE_clEvENKUlvE4_clEvEUlS6_S6_E_S6_EEDaPvRmT3_T4_T5_mT6_P12ihipStream_tbENKUlT_T0_E_clISt17integral_constantIbLb1EESX_IbLb0EEEEDaST_SU_EUlST_E0_NS1_11comp_targetILNS1_3genE3ELNS1_11target_archE908ELNS1_3gpuE7ELNS1_3repE0EEENS1_30default_config_static_selectorELNS0_4arch9wavefront6targetE0EEEvT1_,"axG",@progbits,_ZN7rocprim17ROCPRIM_400000_NS6detail17trampoline_kernelINS0_14default_configENS1_20scan_config_selectorIN3c108BFloat16EEEZZNS1_9scan_implILNS1_25lookback_scan_determinismE0ELb0ELb0ES3_PKS6_PS6_S6_ZZZN2at6native31launch_logcumsumexp_cuda_kernelERKNSD_10TensorBaseESH_lENKUlvE_clEvENKUlvE4_clEvEUlS6_S6_E_S6_EEDaPvRmT3_T4_T5_mT6_P12ihipStream_tbENKUlT_T0_E_clISt17integral_constantIbLb1EESX_IbLb0EEEEDaST_SU_EUlST_E0_NS1_11comp_targetILNS1_3genE3ELNS1_11target_archE908ELNS1_3gpuE7ELNS1_3repE0EEENS1_30default_config_static_selectorELNS0_4arch9wavefront6targetE0EEEvT1_,comdat
.Lfunc_end496:
	.size	_ZN7rocprim17ROCPRIM_400000_NS6detail17trampoline_kernelINS0_14default_configENS1_20scan_config_selectorIN3c108BFloat16EEEZZNS1_9scan_implILNS1_25lookback_scan_determinismE0ELb0ELb0ES3_PKS6_PS6_S6_ZZZN2at6native31launch_logcumsumexp_cuda_kernelERKNSD_10TensorBaseESH_lENKUlvE_clEvENKUlvE4_clEvEUlS6_S6_E_S6_EEDaPvRmT3_T4_T5_mT6_P12ihipStream_tbENKUlT_T0_E_clISt17integral_constantIbLb1EESX_IbLb0EEEEDaST_SU_EUlST_E0_NS1_11comp_targetILNS1_3genE3ELNS1_11target_archE908ELNS1_3gpuE7ELNS1_3repE0EEENS1_30default_config_static_selectorELNS0_4arch9wavefront6targetE0EEEvT1_, .Lfunc_end496-_ZN7rocprim17ROCPRIM_400000_NS6detail17trampoline_kernelINS0_14default_configENS1_20scan_config_selectorIN3c108BFloat16EEEZZNS1_9scan_implILNS1_25lookback_scan_determinismE0ELb0ELb0ES3_PKS6_PS6_S6_ZZZN2at6native31launch_logcumsumexp_cuda_kernelERKNSD_10TensorBaseESH_lENKUlvE_clEvENKUlvE4_clEvEUlS6_S6_E_S6_EEDaPvRmT3_T4_T5_mT6_P12ihipStream_tbENKUlT_T0_E_clISt17integral_constantIbLb1EESX_IbLb0EEEEDaST_SU_EUlST_E0_NS1_11comp_targetILNS1_3genE3ELNS1_11target_archE908ELNS1_3gpuE7ELNS1_3repE0EEENS1_30default_config_static_selectorELNS0_4arch9wavefront6targetE0EEEvT1_
                                        ; -- End function
	.set _ZN7rocprim17ROCPRIM_400000_NS6detail17trampoline_kernelINS0_14default_configENS1_20scan_config_selectorIN3c108BFloat16EEEZZNS1_9scan_implILNS1_25lookback_scan_determinismE0ELb0ELb0ES3_PKS6_PS6_S6_ZZZN2at6native31launch_logcumsumexp_cuda_kernelERKNSD_10TensorBaseESH_lENKUlvE_clEvENKUlvE4_clEvEUlS6_S6_E_S6_EEDaPvRmT3_T4_T5_mT6_P12ihipStream_tbENKUlT_T0_E_clISt17integral_constantIbLb1EESX_IbLb0EEEEDaST_SU_EUlST_E0_NS1_11comp_targetILNS1_3genE3ELNS1_11target_archE908ELNS1_3gpuE7ELNS1_3repE0EEENS1_30default_config_static_selectorELNS0_4arch9wavefront6targetE0EEEvT1_.num_vgpr, 0
	.set _ZN7rocprim17ROCPRIM_400000_NS6detail17trampoline_kernelINS0_14default_configENS1_20scan_config_selectorIN3c108BFloat16EEEZZNS1_9scan_implILNS1_25lookback_scan_determinismE0ELb0ELb0ES3_PKS6_PS6_S6_ZZZN2at6native31launch_logcumsumexp_cuda_kernelERKNSD_10TensorBaseESH_lENKUlvE_clEvENKUlvE4_clEvEUlS6_S6_E_S6_EEDaPvRmT3_T4_T5_mT6_P12ihipStream_tbENKUlT_T0_E_clISt17integral_constantIbLb1EESX_IbLb0EEEEDaST_SU_EUlST_E0_NS1_11comp_targetILNS1_3genE3ELNS1_11target_archE908ELNS1_3gpuE7ELNS1_3repE0EEENS1_30default_config_static_selectorELNS0_4arch9wavefront6targetE0EEEvT1_.num_agpr, 0
	.set _ZN7rocprim17ROCPRIM_400000_NS6detail17trampoline_kernelINS0_14default_configENS1_20scan_config_selectorIN3c108BFloat16EEEZZNS1_9scan_implILNS1_25lookback_scan_determinismE0ELb0ELb0ES3_PKS6_PS6_S6_ZZZN2at6native31launch_logcumsumexp_cuda_kernelERKNSD_10TensorBaseESH_lENKUlvE_clEvENKUlvE4_clEvEUlS6_S6_E_S6_EEDaPvRmT3_T4_T5_mT6_P12ihipStream_tbENKUlT_T0_E_clISt17integral_constantIbLb1EESX_IbLb0EEEEDaST_SU_EUlST_E0_NS1_11comp_targetILNS1_3genE3ELNS1_11target_archE908ELNS1_3gpuE7ELNS1_3repE0EEENS1_30default_config_static_selectorELNS0_4arch9wavefront6targetE0EEEvT1_.numbered_sgpr, 0
	.set _ZN7rocprim17ROCPRIM_400000_NS6detail17trampoline_kernelINS0_14default_configENS1_20scan_config_selectorIN3c108BFloat16EEEZZNS1_9scan_implILNS1_25lookback_scan_determinismE0ELb0ELb0ES3_PKS6_PS6_S6_ZZZN2at6native31launch_logcumsumexp_cuda_kernelERKNSD_10TensorBaseESH_lENKUlvE_clEvENKUlvE4_clEvEUlS6_S6_E_S6_EEDaPvRmT3_T4_T5_mT6_P12ihipStream_tbENKUlT_T0_E_clISt17integral_constantIbLb1EESX_IbLb0EEEEDaST_SU_EUlST_E0_NS1_11comp_targetILNS1_3genE3ELNS1_11target_archE908ELNS1_3gpuE7ELNS1_3repE0EEENS1_30default_config_static_selectorELNS0_4arch9wavefront6targetE0EEEvT1_.num_named_barrier, 0
	.set _ZN7rocprim17ROCPRIM_400000_NS6detail17trampoline_kernelINS0_14default_configENS1_20scan_config_selectorIN3c108BFloat16EEEZZNS1_9scan_implILNS1_25lookback_scan_determinismE0ELb0ELb0ES3_PKS6_PS6_S6_ZZZN2at6native31launch_logcumsumexp_cuda_kernelERKNSD_10TensorBaseESH_lENKUlvE_clEvENKUlvE4_clEvEUlS6_S6_E_S6_EEDaPvRmT3_T4_T5_mT6_P12ihipStream_tbENKUlT_T0_E_clISt17integral_constantIbLb1EESX_IbLb0EEEEDaST_SU_EUlST_E0_NS1_11comp_targetILNS1_3genE3ELNS1_11target_archE908ELNS1_3gpuE7ELNS1_3repE0EEENS1_30default_config_static_selectorELNS0_4arch9wavefront6targetE0EEEvT1_.private_seg_size, 0
	.set _ZN7rocprim17ROCPRIM_400000_NS6detail17trampoline_kernelINS0_14default_configENS1_20scan_config_selectorIN3c108BFloat16EEEZZNS1_9scan_implILNS1_25lookback_scan_determinismE0ELb0ELb0ES3_PKS6_PS6_S6_ZZZN2at6native31launch_logcumsumexp_cuda_kernelERKNSD_10TensorBaseESH_lENKUlvE_clEvENKUlvE4_clEvEUlS6_S6_E_S6_EEDaPvRmT3_T4_T5_mT6_P12ihipStream_tbENKUlT_T0_E_clISt17integral_constantIbLb1EESX_IbLb0EEEEDaST_SU_EUlST_E0_NS1_11comp_targetILNS1_3genE3ELNS1_11target_archE908ELNS1_3gpuE7ELNS1_3repE0EEENS1_30default_config_static_selectorELNS0_4arch9wavefront6targetE0EEEvT1_.uses_vcc, 0
	.set _ZN7rocprim17ROCPRIM_400000_NS6detail17trampoline_kernelINS0_14default_configENS1_20scan_config_selectorIN3c108BFloat16EEEZZNS1_9scan_implILNS1_25lookback_scan_determinismE0ELb0ELb0ES3_PKS6_PS6_S6_ZZZN2at6native31launch_logcumsumexp_cuda_kernelERKNSD_10TensorBaseESH_lENKUlvE_clEvENKUlvE4_clEvEUlS6_S6_E_S6_EEDaPvRmT3_T4_T5_mT6_P12ihipStream_tbENKUlT_T0_E_clISt17integral_constantIbLb1EESX_IbLb0EEEEDaST_SU_EUlST_E0_NS1_11comp_targetILNS1_3genE3ELNS1_11target_archE908ELNS1_3gpuE7ELNS1_3repE0EEENS1_30default_config_static_selectorELNS0_4arch9wavefront6targetE0EEEvT1_.uses_flat_scratch, 0
	.set _ZN7rocprim17ROCPRIM_400000_NS6detail17trampoline_kernelINS0_14default_configENS1_20scan_config_selectorIN3c108BFloat16EEEZZNS1_9scan_implILNS1_25lookback_scan_determinismE0ELb0ELb0ES3_PKS6_PS6_S6_ZZZN2at6native31launch_logcumsumexp_cuda_kernelERKNSD_10TensorBaseESH_lENKUlvE_clEvENKUlvE4_clEvEUlS6_S6_E_S6_EEDaPvRmT3_T4_T5_mT6_P12ihipStream_tbENKUlT_T0_E_clISt17integral_constantIbLb1EESX_IbLb0EEEEDaST_SU_EUlST_E0_NS1_11comp_targetILNS1_3genE3ELNS1_11target_archE908ELNS1_3gpuE7ELNS1_3repE0EEENS1_30default_config_static_selectorELNS0_4arch9wavefront6targetE0EEEvT1_.has_dyn_sized_stack, 0
	.set _ZN7rocprim17ROCPRIM_400000_NS6detail17trampoline_kernelINS0_14default_configENS1_20scan_config_selectorIN3c108BFloat16EEEZZNS1_9scan_implILNS1_25lookback_scan_determinismE0ELb0ELb0ES3_PKS6_PS6_S6_ZZZN2at6native31launch_logcumsumexp_cuda_kernelERKNSD_10TensorBaseESH_lENKUlvE_clEvENKUlvE4_clEvEUlS6_S6_E_S6_EEDaPvRmT3_T4_T5_mT6_P12ihipStream_tbENKUlT_T0_E_clISt17integral_constantIbLb1EESX_IbLb0EEEEDaST_SU_EUlST_E0_NS1_11comp_targetILNS1_3genE3ELNS1_11target_archE908ELNS1_3gpuE7ELNS1_3repE0EEENS1_30default_config_static_selectorELNS0_4arch9wavefront6targetE0EEEvT1_.has_recursion, 0
	.set _ZN7rocprim17ROCPRIM_400000_NS6detail17trampoline_kernelINS0_14default_configENS1_20scan_config_selectorIN3c108BFloat16EEEZZNS1_9scan_implILNS1_25lookback_scan_determinismE0ELb0ELb0ES3_PKS6_PS6_S6_ZZZN2at6native31launch_logcumsumexp_cuda_kernelERKNSD_10TensorBaseESH_lENKUlvE_clEvENKUlvE4_clEvEUlS6_S6_E_S6_EEDaPvRmT3_T4_T5_mT6_P12ihipStream_tbENKUlT_T0_E_clISt17integral_constantIbLb1EESX_IbLb0EEEEDaST_SU_EUlST_E0_NS1_11comp_targetILNS1_3genE3ELNS1_11target_archE908ELNS1_3gpuE7ELNS1_3repE0EEENS1_30default_config_static_selectorELNS0_4arch9wavefront6targetE0EEEvT1_.has_indirect_call, 0
	.section	.AMDGPU.csdata,"",@progbits
; Kernel info:
; codeLenInByte = 0
; TotalNumSgprs: 0
; NumVgprs: 0
; ScratchSize: 0
; MemoryBound: 0
; FloatMode: 240
; IeeeMode: 1
; LDSByteSize: 0 bytes/workgroup (compile time only)
; SGPRBlocks: 0
; VGPRBlocks: 0
; NumSGPRsForWavesPerEU: 1
; NumVGPRsForWavesPerEU: 1
; Occupancy: 16
; WaveLimiterHint : 0
; COMPUTE_PGM_RSRC2:SCRATCH_EN: 0
; COMPUTE_PGM_RSRC2:USER_SGPR: 2
; COMPUTE_PGM_RSRC2:TRAP_HANDLER: 0
; COMPUTE_PGM_RSRC2:TGID_X_EN: 1
; COMPUTE_PGM_RSRC2:TGID_Y_EN: 0
; COMPUTE_PGM_RSRC2:TGID_Z_EN: 0
; COMPUTE_PGM_RSRC2:TIDIG_COMP_CNT: 0
	.section	.text._ZN7rocprim17ROCPRIM_400000_NS6detail17trampoline_kernelINS0_14default_configENS1_20scan_config_selectorIN3c108BFloat16EEEZZNS1_9scan_implILNS1_25lookback_scan_determinismE0ELb0ELb0ES3_PKS6_PS6_S6_ZZZN2at6native31launch_logcumsumexp_cuda_kernelERKNSD_10TensorBaseESH_lENKUlvE_clEvENKUlvE4_clEvEUlS6_S6_E_S6_EEDaPvRmT3_T4_T5_mT6_P12ihipStream_tbENKUlT_T0_E_clISt17integral_constantIbLb1EESX_IbLb0EEEEDaST_SU_EUlST_E0_NS1_11comp_targetILNS1_3genE2ELNS1_11target_archE906ELNS1_3gpuE6ELNS1_3repE0EEENS1_30default_config_static_selectorELNS0_4arch9wavefront6targetE0EEEvT1_,"axG",@progbits,_ZN7rocprim17ROCPRIM_400000_NS6detail17trampoline_kernelINS0_14default_configENS1_20scan_config_selectorIN3c108BFloat16EEEZZNS1_9scan_implILNS1_25lookback_scan_determinismE0ELb0ELb0ES3_PKS6_PS6_S6_ZZZN2at6native31launch_logcumsumexp_cuda_kernelERKNSD_10TensorBaseESH_lENKUlvE_clEvENKUlvE4_clEvEUlS6_S6_E_S6_EEDaPvRmT3_T4_T5_mT6_P12ihipStream_tbENKUlT_T0_E_clISt17integral_constantIbLb1EESX_IbLb0EEEEDaST_SU_EUlST_E0_NS1_11comp_targetILNS1_3genE2ELNS1_11target_archE906ELNS1_3gpuE6ELNS1_3repE0EEENS1_30default_config_static_selectorELNS0_4arch9wavefront6targetE0EEEvT1_,comdat
	.globl	_ZN7rocprim17ROCPRIM_400000_NS6detail17trampoline_kernelINS0_14default_configENS1_20scan_config_selectorIN3c108BFloat16EEEZZNS1_9scan_implILNS1_25lookback_scan_determinismE0ELb0ELb0ES3_PKS6_PS6_S6_ZZZN2at6native31launch_logcumsumexp_cuda_kernelERKNSD_10TensorBaseESH_lENKUlvE_clEvENKUlvE4_clEvEUlS6_S6_E_S6_EEDaPvRmT3_T4_T5_mT6_P12ihipStream_tbENKUlT_T0_E_clISt17integral_constantIbLb1EESX_IbLb0EEEEDaST_SU_EUlST_E0_NS1_11comp_targetILNS1_3genE2ELNS1_11target_archE906ELNS1_3gpuE6ELNS1_3repE0EEENS1_30default_config_static_selectorELNS0_4arch9wavefront6targetE0EEEvT1_ ; -- Begin function _ZN7rocprim17ROCPRIM_400000_NS6detail17trampoline_kernelINS0_14default_configENS1_20scan_config_selectorIN3c108BFloat16EEEZZNS1_9scan_implILNS1_25lookback_scan_determinismE0ELb0ELb0ES3_PKS6_PS6_S6_ZZZN2at6native31launch_logcumsumexp_cuda_kernelERKNSD_10TensorBaseESH_lENKUlvE_clEvENKUlvE4_clEvEUlS6_S6_E_S6_EEDaPvRmT3_T4_T5_mT6_P12ihipStream_tbENKUlT_T0_E_clISt17integral_constantIbLb1EESX_IbLb0EEEEDaST_SU_EUlST_E0_NS1_11comp_targetILNS1_3genE2ELNS1_11target_archE906ELNS1_3gpuE6ELNS1_3repE0EEENS1_30default_config_static_selectorELNS0_4arch9wavefront6targetE0EEEvT1_
	.p2align	8
	.type	_ZN7rocprim17ROCPRIM_400000_NS6detail17trampoline_kernelINS0_14default_configENS1_20scan_config_selectorIN3c108BFloat16EEEZZNS1_9scan_implILNS1_25lookback_scan_determinismE0ELb0ELb0ES3_PKS6_PS6_S6_ZZZN2at6native31launch_logcumsumexp_cuda_kernelERKNSD_10TensorBaseESH_lENKUlvE_clEvENKUlvE4_clEvEUlS6_S6_E_S6_EEDaPvRmT3_T4_T5_mT6_P12ihipStream_tbENKUlT_T0_E_clISt17integral_constantIbLb1EESX_IbLb0EEEEDaST_SU_EUlST_E0_NS1_11comp_targetILNS1_3genE2ELNS1_11target_archE906ELNS1_3gpuE6ELNS1_3repE0EEENS1_30default_config_static_selectorELNS0_4arch9wavefront6targetE0EEEvT1_,@function
_ZN7rocprim17ROCPRIM_400000_NS6detail17trampoline_kernelINS0_14default_configENS1_20scan_config_selectorIN3c108BFloat16EEEZZNS1_9scan_implILNS1_25lookback_scan_determinismE0ELb0ELb0ES3_PKS6_PS6_S6_ZZZN2at6native31launch_logcumsumexp_cuda_kernelERKNSD_10TensorBaseESH_lENKUlvE_clEvENKUlvE4_clEvEUlS6_S6_E_S6_EEDaPvRmT3_T4_T5_mT6_P12ihipStream_tbENKUlT_T0_E_clISt17integral_constantIbLb1EESX_IbLb0EEEEDaST_SU_EUlST_E0_NS1_11comp_targetILNS1_3genE2ELNS1_11target_archE906ELNS1_3gpuE6ELNS1_3repE0EEENS1_30default_config_static_selectorELNS0_4arch9wavefront6targetE0EEEvT1_: ; @_ZN7rocprim17ROCPRIM_400000_NS6detail17trampoline_kernelINS0_14default_configENS1_20scan_config_selectorIN3c108BFloat16EEEZZNS1_9scan_implILNS1_25lookback_scan_determinismE0ELb0ELb0ES3_PKS6_PS6_S6_ZZZN2at6native31launch_logcumsumexp_cuda_kernelERKNSD_10TensorBaseESH_lENKUlvE_clEvENKUlvE4_clEvEUlS6_S6_E_S6_EEDaPvRmT3_T4_T5_mT6_P12ihipStream_tbENKUlT_T0_E_clISt17integral_constantIbLb1EESX_IbLb0EEEEDaST_SU_EUlST_E0_NS1_11comp_targetILNS1_3genE2ELNS1_11target_archE906ELNS1_3gpuE6ELNS1_3repE0EEENS1_30default_config_static_selectorELNS0_4arch9wavefront6targetE0EEEvT1_
; %bb.0:
	.section	.rodata,"a",@progbits
	.p2align	6, 0x0
	.amdhsa_kernel _ZN7rocprim17ROCPRIM_400000_NS6detail17trampoline_kernelINS0_14default_configENS1_20scan_config_selectorIN3c108BFloat16EEEZZNS1_9scan_implILNS1_25lookback_scan_determinismE0ELb0ELb0ES3_PKS6_PS6_S6_ZZZN2at6native31launch_logcumsumexp_cuda_kernelERKNSD_10TensorBaseESH_lENKUlvE_clEvENKUlvE4_clEvEUlS6_S6_E_S6_EEDaPvRmT3_T4_T5_mT6_P12ihipStream_tbENKUlT_T0_E_clISt17integral_constantIbLb1EESX_IbLb0EEEEDaST_SU_EUlST_E0_NS1_11comp_targetILNS1_3genE2ELNS1_11target_archE906ELNS1_3gpuE6ELNS1_3repE0EEENS1_30default_config_static_selectorELNS0_4arch9wavefront6targetE0EEEvT1_
		.amdhsa_group_segment_fixed_size 0
		.amdhsa_private_segment_fixed_size 0
		.amdhsa_kernarg_size 32
		.amdhsa_user_sgpr_count 2
		.amdhsa_user_sgpr_dispatch_ptr 0
		.amdhsa_user_sgpr_queue_ptr 0
		.amdhsa_user_sgpr_kernarg_segment_ptr 1
		.amdhsa_user_sgpr_dispatch_id 0
		.amdhsa_user_sgpr_private_segment_size 0
		.amdhsa_wavefront_size32 1
		.amdhsa_uses_dynamic_stack 0
		.amdhsa_enable_private_segment 0
		.amdhsa_system_sgpr_workgroup_id_x 1
		.amdhsa_system_sgpr_workgroup_id_y 0
		.amdhsa_system_sgpr_workgroup_id_z 0
		.amdhsa_system_sgpr_workgroup_info 0
		.amdhsa_system_vgpr_workitem_id 0
		.amdhsa_next_free_vgpr 1
		.amdhsa_next_free_sgpr 1
		.amdhsa_reserve_vcc 0
		.amdhsa_float_round_mode_32 0
		.amdhsa_float_round_mode_16_64 0
		.amdhsa_float_denorm_mode_32 3
		.amdhsa_float_denorm_mode_16_64 3
		.amdhsa_fp16_overflow 0
		.amdhsa_workgroup_processor_mode 1
		.amdhsa_memory_ordered 1
		.amdhsa_forward_progress 1
		.amdhsa_inst_pref_size 0
		.amdhsa_round_robin_scheduling 0
		.amdhsa_exception_fp_ieee_invalid_op 0
		.amdhsa_exception_fp_denorm_src 0
		.amdhsa_exception_fp_ieee_div_zero 0
		.amdhsa_exception_fp_ieee_overflow 0
		.amdhsa_exception_fp_ieee_underflow 0
		.amdhsa_exception_fp_ieee_inexact 0
		.amdhsa_exception_int_div_zero 0
	.end_amdhsa_kernel
	.section	.text._ZN7rocprim17ROCPRIM_400000_NS6detail17trampoline_kernelINS0_14default_configENS1_20scan_config_selectorIN3c108BFloat16EEEZZNS1_9scan_implILNS1_25lookback_scan_determinismE0ELb0ELb0ES3_PKS6_PS6_S6_ZZZN2at6native31launch_logcumsumexp_cuda_kernelERKNSD_10TensorBaseESH_lENKUlvE_clEvENKUlvE4_clEvEUlS6_S6_E_S6_EEDaPvRmT3_T4_T5_mT6_P12ihipStream_tbENKUlT_T0_E_clISt17integral_constantIbLb1EESX_IbLb0EEEEDaST_SU_EUlST_E0_NS1_11comp_targetILNS1_3genE2ELNS1_11target_archE906ELNS1_3gpuE6ELNS1_3repE0EEENS1_30default_config_static_selectorELNS0_4arch9wavefront6targetE0EEEvT1_,"axG",@progbits,_ZN7rocprim17ROCPRIM_400000_NS6detail17trampoline_kernelINS0_14default_configENS1_20scan_config_selectorIN3c108BFloat16EEEZZNS1_9scan_implILNS1_25lookback_scan_determinismE0ELb0ELb0ES3_PKS6_PS6_S6_ZZZN2at6native31launch_logcumsumexp_cuda_kernelERKNSD_10TensorBaseESH_lENKUlvE_clEvENKUlvE4_clEvEUlS6_S6_E_S6_EEDaPvRmT3_T4_T5_mT6_P12ihipStream_tbENKUlT_T0_E_clISt17integral_constantIbLb1EESX_IbLb0EEEEDaST_SU_EUlST_E0_NS1_11comp_targetILNS1_3genE2ELNS1_11target_archE906ELNS1_3gpuE6ELNS1_3repE0EEENS1_30default_config_static_selectorELNS0_4arch9wavefront6targetE0EEEvT1_,comdat
.Lfunc_end497:
	.size	_ZN7rocprim17ROCPRIM_400000_NS6detail17trampoline_kernelINS0_14default_configENS1_20scan_config_selectorIN3c108BFloat16EEEZZNS1_9scan_implILNS1_25lookback_scan_determinismE0ELb0ELb0ES3_PKS6_PS6_S6_ZZZN2at6native31launch_logcumsumexp_cuda_kernelERKNSD_10TensorBaseESH_lENKUlvE_clEvENKUlvE4_clEvEUlS6_S6_E_S6_EEDaPvRmT3_T4_T5_mT6_P12ihipStream_tbENKUlT_T0_E_clISt17integral_constantIbLb1EESX_IbLb0EEEEDaST_SU_EUlST_E0_NS1_11comp_targetILNS1_3genE2ELNS1_11target_archE906ELNS1_3gpuE6ELNS1_3repE0EEENS1_30default_config_static_selectorELNS0_4arch9wavefront6targetE0EEEvT1_, .Lfunc_end497-_ZN7rocprim17ROCPRIM_400000_NS6detail17trampoline_kernelINS0_14default_configENS1_20scan_config_selectorIN3c108BFloat16EEEZZNS1_9scan_implILNS1_25lookback_scan_determinismE0ELb0ELb0ES3_PKS6_PS6_S6_ZZZN2at6native31launch_logcumsumexp_cuda_kernelERKNSD_10TensorBaseESH_lENKUlvE_clEvENKUlvE4_clEvEUlS6_S6_E_S6_EEDaPvRmT3_T4_T5_mT6_P12ihipStream_tbENKUlT_T0_E_clISt17integral_constantIbLb1EESX_IbLb0EEEEDaST_SU_EUlST_E0_NS1_11comp_targetILNS1_3genE2ELNS1_11target_archE906ELNS1_3gpuE6ELNS1_3repE0EEENS1_30default_config_static_selectorELNS0_4arch9wavefront6targetE0EEEvT1_
                                        ; -- End function
	.set _ZN7rocprim17ROCPRIM_400000_NS6detail17trampoline_kernelINS0_14default_configENS1_20scan_config_selectorIN3c108BFloat16EEEZZNS1_9scan_implILNS1_25lookback_scan_determinismE0ELb0ELb0ES3_PKS6_PS6_S6_ZZZN2at6native31launch_logcumsumexp_cuda_kernelERKNSD_10TensorBaseESH_lENKUlvE_clEvENKUlvE4_clEvEUlS6_S6_E_S6_EEDaPvRmT3_T4_T5_mT6_P12ihipStream_tbENKUlT_T0_E_clISt17integral_constantIbLb1EESX_IbLb0EEEEDaST_SU_EUlST_E0_NS1_11comp_targetILNS1_3genE2ELNS1_11target_archE906ELNS1_3gpuE6ELNS1_3repE0EEENS1_30default_config_static_selectorELNS0_4arch9wavefront6targetE0EEEvT1_.num_vgpr, 0
	.set _ZN7rocprim17ROCPRIM_400000_NS6detail17trampoline_kernelINS0_14default_configENS1_20scan_config_selectorIN3c108BFloat16EEEZZNS1_9scan_implILNS1_25lookback_scan_determinismE0ELb0ELb0ES3_PKS6_PS6_S6_ZZZN2at6native31launch_logcumsumexp_cuda_kernelERKNSD_10TensorBaseESH_lENKUlvE_clEvENKUlvE4_clEvEUlS6_S6_E_S6_EEDaPvRmT3_T4_T5_mT6_P12ihipStream_tbENKUlT_T0_E_clISt17integral_constantIbLb1EESX_IbLb0EEEEDaST_SU_EUlST_E0_NS1_11comp_targetILNS1_3genE2ELNS1_11target_archE906ELNS1_3gpuE6ELNS1_3repE0EEENS1_30default_config_static_selectorELNS0_4arch9wavefront6targetE0EEEvT1_.num_agpr, 0
	.set _ZN7rocprim17ROCPRIM_400000_NS6detail17trampoline_kernelINS0_14default_configENS1_20scan_config_selectorIN3c108BFloat16EEEZZNS1_9scan_implILNS1_25lookback_scan_determinismE0ELb0ELb0ES3_PKS6_PS6_S6_ZZZN2at6native31launch_logcumsumexp_cuda_kernelERKNSD_10TensorBaseESH_lENKUlvE_clEvENKUlvE4_clEvEUlS6_S6_E_S6_EEDaPvRmT3_T4_T5_mT6_P12ihipStream_tbENKUlT_T0_E_clISt17integral_constantIbLb1EESX_IbLb0EEEEDaST_SU_EUlST_E0_NS1_11comp_targetILNS1_3genE2ELNS1_11target_archE906ELNS1_3gpuE6ELNS1_3repE0EEENS1_30default_config_static_selectorELNS0_4arch9wavefront6targetE0EEEvT1_.numbered_sgpr, 0
	.set _ZN7rocprim17ROCPRIM_400000_NS6detail17trampoline_kernelINS0_14default_configENS1_20scan_config_selectorIN3c108BFloat16EEEZZNS1_9scan_implILNS1_25lookback_scan_determinismE0ELb0ELb0ES3_PKS6_PS6_S6_ZZZN2at6native31launch_logcumsumexp_cuda_kernelERKNSD_10TensorBaseESH_lENKUlvE_clEvENKUlvE4_clEvEUlS6_S6_E_S6_EEDaPvRmT3_T4_T5_mT6_P12ihipStream_tbENKUlT_T0_E_clISt17integral_constantIbLb1EESX_IbLb0EEEEDaST_SU_EUlST_E0_NS1_11comp_targetILNS1_3genE2ELNS1_11target_archE906ELNS1_3gpuE6ELNS1_3repE0EEENS1_30default_config_static_selectorELNS0_4arch9wavefront6targetE0EEEvT1_.num_named_barrier, 0
	.set _ZN7rocprim17ROCPRIM_400000_NS6detail17trampoline_kernelINS0_14default_configENS1_20scan_config_selectorIN3c108BFloat16EEEZZNS1_9scan_implILNS1_25lookback_scan_determinismE0ELb0ELb0ES3_PKS6_PS6_S6_ZZZN2at6native31launch_logcumsumexp_cuda_kernelERKNSD_10TensorBaseESH_lENKUlvE_clEvENKUlvE4_clEvEUlS6_S6_E_S6_EEDaPvRmT3_T4_T5_mT6_P12ihipStream_tbENKUlT_T0_E_clISt17integral_constantIbLb1EESX_IbLb0EEEEDaST_SU_EUlST_E0_NS1_11comp_targetILNS1_3genE2ELNS1_11target_archE906ELNS1_3gpuE6ELNS1_3repE0EEENS1_30default_config_static_selectorELNS0_4arch9wavefront6targetE0EEEvT1_.private_seg_size, 0
	.set _ZN7rocprim17ROCPRIM_400000_NS6detail17trampoline_kernelINS0_14default_configENS1_20scan_config_selectorIN3c108BFloat16EEEZZNS1_9scan_implILNS1_25lookback_scan_determinismE0ELb0ELb0ES3_PKS6_PS6_S6_ZZZN2at6native31launch_logcumsumexp_cuda_kernelERKNSD_10TensorBaseESH_lENKUlvE_clEvENKUlvE4_clEvEUlS6_S6_E_S6_EEDaPvRmT3_T4_T5_mT6_P12ihipStream_tbENKUlT_T0_E_clISt17integral_constantIbLb1EESX_IbLb0EEEEDaST_SU_EUlST_E0_NS1_11comp_targetILNS1_3genE2ELNS1_11target_archE906ELNS1_3gpuE6ELNS1_3repE0EEENS1_30default_config_static_selectorELNS0_4arch9wavefront6targetE0EEEvT1_.uses_vcc, 0
	.set _ZN7rocprim17ROCPRIM_400000_NS6detail17trampoline_kernelINS0_14default_configENS1_20scan_config_selectorIN3c108BFloat16EEEZZNS1_9scan_implILNS1_25lookback_scan_determinismE0ELb0ELb0ES3_PKS6_PS6_S6_ZZZN2at6native31launch_logcumsumexp_cuda_kernelERKNSD_10TensorBaseESH_lENKUlvE_clEvENKUlvE4_clEvEUlS6_S6_E_S6_EEDaPvRmT3_T4_T5_mT6_P12ihipStream_tbENKUlT_T0_E_clISt17integral_constantIbLb1EESX_IbLb0EEEEDaST_SU_EUlST_E0_NS1_11comp_targetILNS1_3genE2ELNS1_11target_archE906ELNS1_3gpuE6ELNS1_3repE0EEENS1_30default_config_static_selectorELNS0_4arch9wavefront6targetE0EEEvT1_.uses_flat_scratch, 0
	.set _ZN7rocprim17ROCPRIM_400000_NS6detail17trampoline_kernelINS0_14default_configENS1_20scan_config_selectorIN3c108BFloat16EEEZZNS1_9scan_implILNS1_25lookback_scan_determinismE0ELb0ELb0ES3_PKS6_PS6_S6_ZZZN2at6native31launch_logcumsumexp_cuda_kernelERKNSD_10TensorBaseESH_lENKUlvE_clEvENKUlvE4_clEvEUlS6_S6_E_S6_EEDaPvRmT3_T4_T5_mT6_P12ihipStream_tbENKUlT_T0_E_clISt17integral_constantIbLb1EESX_IbLb0EEEEDaST_SU_EUlST_E0_NS1_11comp_targetILNS1_3genE2ELNS1_11target_archE906ELNS1_3gpuE6ELNS1_3repE0EEENS1_30default_config_static_selectorELNS0_4arch9wavefront6targetE0EEEvT1_.has_dyn_sized_stack, 0
	.set _ZN7rocprim17ROCPRIM_400000_NS6detail17trampoline_kernelINS0_14default_configENS1_20scan_config_selectorIN3c108BFloat16EEEZZNS1_9scan_implILNS1_25lookback_scan_determinismE0ELb0ELb0ES3_PKS6_PS6_S6_ZZZN2at6native31launch_logcumsumexp_cuda_kernelERKNSD_10TensorBaseESH_lENKUlvE_clEvENKUlvE4_clEvEUlS6_S6_E_S6_EEDaPvRmT3_T4_T5_mT6_P12ihipStream_tbENKUlT_T0_E_clISt17integral_constantIbLb1EESX_IbLb0EEEEDaST_SU_EUlST_E0_NS1_11comp_targetILNS1_3genE2ELNS1_11target_archE906ELNS1_3gpuE6ELNS1_3repE0EEENS1_30default_config_static_selectorELNS0_4arch9wavefront6targetE0EEEvT1_.has_recursion, 0
	.set _ZN7rocprim17ROCPRIM_400000_NS6detail17trampoline_kernelINS0_14default_configENS1_20scan_config_selectorIN3c108BFloat16EEEZZNS1_9scan_implILNS1_25lookback_scan_determinismE0ELb0ELb0ES3_PKS6_PS6_S6_ZZZN2at6native31launch_logcumsumexp_cuda_kernelERKNSD_10TensorBaseESH_lENKUlvE_clEvENKUlvE4_clEvEUlS6_S6_E_S6_EEDaPvRmT3_T4_T5_mT6_P12ihipStream_tbENKUlT_T0_E_clISt17integral_constantIbLb1EESX_IbLb0EEEEDaST_SU_EUlST_E0_NS1_11comp_targetILNS1_3genE2ELNS1_11target_archE906ELNS1_3gpuE6ELNS1_3repE0EEENS1_30default_config_static_selectorELNS0_4arch9wavefront6targetE0EEEvT1_.has_indirect_call, 0
	.section	.AMDGPU.csdata,"",@progbits
; Kernel info:
; codeLenInByte = 0
; TotalNumSgprs: 0
; NumVgprs: 0
; ScratchSize: 0
; MemoryBound: 0
; FloatMode: 240
; IeeeMode: 1
; LDSByteSize: 0 bytes/workgroup (compile time only)
; SGPRBlocks: 0
; VGPRBlocks: 0
; NumSGPRsForWavesPerEU: 1
; NumVGPRsForWavesPerEU: 1
; Occupancy: 16
; WaveLimiterHint : 0
; COMPUTE_PGM_RSRC2:SCRATCH_EN: 0
; COMPUTE_PGM_RSRC2:USER_SGPR: 2
; COMPUTE_PGM_RSRC2:TRAP_HANDLER: 0
; COMPUTE_PGM_RSRC2:TGID_X_EN: 1
; COMPUTE_PGM_RSRC2:TGID_Y_EN: 0
; COMPUTE_PGM_RSRC2:TGID_Z_EN: 0
; COMPUTE_PGM_RSRC2:TIDIG_COMP_CNT: 0
	.section	.text._ZN7rocprim17ROCPRIM_400000_NS6detail17trampoline_kernelINS0_14default_configENS1_20scan_config_selectorIN3c108BFloat16EEEZZNS1_9scan_implILNS1_25lookback_scan_determinismE0ELb0ELb0ES3_PKS6_PS6_S6_ZZZN2at6native31launch_logcumsumexp_cuda_kernelERKNSD_10TensorBaseESH_lENKUlvE_clEvENKUlvE4_clEvEUlS6_S6_E_S6_EEDaPvRmT3_T4_T5_mT6_P12ihipStream_tbENKUlT_T0_E_clISt17integral_constantIbLb1EESX_IbLb0EEEEDaST_SU_EUlST_E0_NS1_11comp_targetILNS1_3genE10ELNS1_11target_archE1201ELNS1_3gpuE5ELNS1_3repE0EEENS1_30default_config_static_selectorELNS0_4arch9wavefront6targetE0EEEvT1_,"axG",@progbits,_ZN7rocprim17ROCPRIM_400000_NS6detail17trampoline_kernelINS0_14default_configENS1_20scan_config_selectorIN3c108BFloat16EEEZZNS1_9scan_implILNS1_25lookback_scan_determinismE0ELb0ELb0ES3_PKS6_PS6_S6_ZZZN2at6native31launch_logcumsumexp_cuda_kernelERKNSD_10TensorBaseESH_lENKUlvE_clEvENKUlvE4_clEvEUlS6_S6_E_S6_EEDaPvRmT3_T4_T5_mT6_P12ihipStream_tbENKUlT_T0_E_clISt17integral_constantIbLb1EESX_IbLb0EEEEDaST_SU_EUlST_E0_NS1_11comp_targetILNS1_3genE10ELNS1_11target_archE1201ELNS1_3gpuE5ELNS1_3repE0EEENS1_30default_config_static_selectorELNS0_4arch9wavefront6targetE0EEEvT1_,comdat
	.globl	_ZN7rocprim17ROCPRIM_400000_NS6detail17trampoline_kernelINS0_14default_configENS1_20scan_config_selectorIN3c108BFloat16EEEZZNS1_9scan_implILNS1_25lookback_scan_determinismE0ELb0ELb0ES3_PKS6_PS6_S6_ZZZN2at6native31launch_logcumsumexp_cuda_kernelERKNSD_10TensorBaseESH_lENKUlvE_clEvENKUlvE4_clEvEUlS6_S6_E_S6_EEDaPvRmT3_T4_T5_mT6_P12ihipStream_tbENKUlT_T0_E_clISt17integral_constantIbLb1EESX_IbLb0EEEEDaST_SU_EUlST_E0_NS1_11comp_targetILNS1_3genE10ELNS1_11target_archE1201ELNS1_3gpuE5ELNS1_3repE0EEENS1_30default_config_static_selectorELNS0_4arch9wavefront6targetE0EEEvT1_ ; -- Begin function _ZN7rocprim17ROCPRIM_400000_NS6detail17trampoline_kernelINS0_14default_configENS1_20scan_config_selectorIN3c108BFloat16EEEZZNS1_9scan_implILNS1_25lookback_scan_determinismE0ELb0ELb0ES3_PKS6_PS6_S6_ZZZN2at6native31launch_logcumsumexp_cuda_kernelERKNSD_10TensorBaseESH_lENKUlvE_clEvENKUlvE4_clEvEUlS6_S6_E_S6_EEDaPvRmT3_T4_T5_mT6_P12ihipStream_tbENKUlT_T0_E_clISt17integral_constantIbLb1EESX_IbLb0EEEEDaST_SU_EUlST_E0_NS1_11comp_targetILNS1_3genE10ELNS1_11target_archE1201ELNS1_3gpuE5ELNS1_3repE0EEENS1_30default_config_static_selectorELNS0_4arch9wavefront6targetE0EEEvT1_
	.p2align	8
	.type	_ZN7rocprim17ROCPRIM_400000_NS6detail17trampoline_kernelINS0_14default_configENS1_20scan_config_selectorIN3c108BFloat16EEEZZNS1_9scan_implILNS1_25lookback_scan_determinismE0ELb0ELb0ES3_PKS6_PS6_S6_ZZZN2at6native31launch_logcumsumexp_cuda_kernelERKNSD_10TensorBaseESH_lENKUlvE_clEvENKUlvE4_clEvEUlS6_S6_E_S6_EEDaPvRmT3_T4_T5_mT6_P12ihipStream_tbENKUlT_T0_E_clISt17integral_constantIbLb1EESX_IbLb0EEEEDaST_SU_EUlST_E0_NS1_11comp_targetILNS1_3genE10ELNS1_11target_archE1201ELNS1_3gpuE5ELNS1_3repE0EEENS1_30default_config_static_selectorELNS0_4arch9wavefront6targetE0EEEvT1_,@function
_ZN7rocprim17ROCPRIM_400000_NS6detail17trampoline_kernelINS0_14default_configENS1_20scan_config_selectorIN3c108BFloat16EEEZZNS1_9scan_implILNS1_25lookback_scan_determinismE0ELb0ELb0ES3_PKS6_PS6_S6_ZZZN2at6native31launch_logcumsumexp_cuda_kernelERKNSD_10TensorBaseESH_lENKUlvE_clEvENKUlvE4_clEvEUlS6_S6_E_S6_EEDaPvRmT3_T4_T5_mT6_P12ihipStream_tbENKUlT_T0_E_clISt17integral_constantIbLb1EESX_IbLb0EEEEDaST_SU_EUlST_E0_NS1_11comp_targetILNS1_3genE10ELNS1_11target_archE1201ELNS1_3gpuE5ELNS1_3repE0EEENS1_30default_config_static_selectorELNS0_4arch9wavefront6targetE0EEEvT1_: ; @_ZN7rocprim17ROCPRIM_400000_NS6detail17trampoline_kernelINS0_14default_configENS1_20scan_config_selectorIN3c108BFloat16EEEZZNS1_9scan_implILNS1_25lookback_scan_determinismE0ELb0ELb0ES3_PKS6_PS6_S6_ZZZN2at6native31launch_logcumsumexp_cuda_kernelERKNSD_10TensorBaseESH_lENKUlvE_clEvENKUlvE4_clEvEUlS6_S6_E_S6_EEDaPvRmT3_T4_T5_mT6_P12ihipStream_tbENKUlT_T0_E_clISt17integral_constantIbLb1EESX_IbLb0EEEEDaST_SU_EUlST_E0_NS1_11comp_targetILNS1_3genE10ELNS1_11target_archE1201ELNS1_3gpuE5ELNS1_3repE0EEENS1_30default_config_static_selectorELNS0_4arch9wavefront6targetE0EEEvT1_
; %bb.0:
	s_load_b128 s[16:19], s[0:1], 0x0
	v_mov_b32_e32 v1, 0
	s_wait_kmcnt 0x0
	global_load_u16 v1, v1, s[16:17]
	v_cmp_gt_u32_e32 vcc_lo, s18, v0
	s_wait_loadcnt 0x0
	v_dual_mov_b32 v2, v1 :: v_dual_lshlrev_b32 v7, 1, v0
	s_and_saveexec_b32 s2, vcc_lo
	s_cbranch_execz .LBB498_2
; %bb.1:
	global_load_u16 v2, v7, s[16:17]
.LBB498_2:
	s_or_b32 exec_lo, exec_lo, s2
	v_or_b32_e32 v3, 0x100, v0
	s_delay_alu instid0(VALU_DEP_1)
	v_cmp_gt_u32_e64 s2, s18, v3
	v_mov_b32_e32 v3, v1
	s_and_saveexec_b32 s3, s2
	s_cbranch_execz .LBB498_4
; %bb.3:
	global_load_u16 v3, v7, s[16:17] offset:512
.LBB498_4:
	s_or_b32 exec_lo, exec_lo, s3
	v_or_b32_e32 v4, 0x200, v0
	s_delay_alu instid0(VALU_DEP_1)
	v_cmp_gt_u32_e64 s3, s18, v4
	v_mov_b32_e32 v4, v1
	s_and_saveexec_b32 s4, s3
	s_cbranch_execz .LBB498_6
; %bb.5:
	global_load_u16 v4, v7, s[16:17] offset:1024
.LBB498_6:
	;; [unrolled: 10-line block ×10, first 2 shown]
	s_or_b32 exec_lo, exec_lo, s12
	v_or_b32_e32 v14, 0xb00, v0
	s_delay_alu instid0(VALU_DEP_1) | instskip(SKIP_2) | instid1(SALU_CYCLE_1)
	v_cmp_gt_u32_e64 s12, s18, v14
	v_cmp_le_u32_e64 s13, s18, v14
	s_and_saveexec_b32 s14, s13
	s_xor_b32 s13, exec_lo, s14
	s_delay_alu instid0(SALU_CYCLE_1)
	s_and_not1_saveexec_b32 s13, s13
	s_cbranch_execz .LBB498_24
; %bb.23:
	v_lshlrev_b32_e32 v1, 1, v0
	global_load_u16 v1, v1, s[16:17] offset:5632
.LBB498_24:
	s_or_b32 exec_lo, exec_lo, s13
	s_wait_loadcnt 0x0
	ds_store_b16 v7, v2
	ds_store_b16 v7, v3 offset:512
	ds_store_b16 v7, v4 offset:1024
	;; [unrolled: 1-line block ×11, first 2 shown]
	v_mad_u32_u24 v5, v0, 22, v7
	s_wait_dscnt 0x0
	s_barrier_signal -1
	s_barrier_wait -1
	global_inv scope:SCOPE_SE
	ds_load_2addr_b64 v[1:4], v5 offset1:1
	ds_load_b64 v[5:6], v5 offset:16
	s_wait_loadcnt_dscnt 0x0
	s_barrier_signal -1
	s_barrier_wait -1
	global_inv scope:SCOPE_SE
	v_lshlrev_b32_e32 v25, 16, v1
	s_delay_alu instid0(VALU_DEP_1) | instskip(SKIP_1) | instid1(VALU_DEP_1)
	v_max_num_f32_e32 v28, v25, v25
	v_and_b32_e32 v8, 0xffff0000, v1
	v_max_num_f32_e32 v12, v8, v8
	v_cmp_u_f32_e64 s24, v25, v25
	s_delay_alu instid0(VALU_DEP_2) | instskip(SKIP_2) | instid1(VALU_DEP_3)
	v_min_num_f32_e32 v26, v28, v12
	v_max_num_f32_e32 v27, v28, v12
	v_cmp_u_f32_e64 s13, v8, v8
	v_cndmask_b32_e64 v9, v26, v25, s24
	s_delay_alu instid0(VALU_DEP_3) | instskip(NEXT) | instid1(VALU_DEP_2)
	v_cndmask_b32_e64 v10, v27, v25, s24
	v_cndmask_b32_e64 v11, v9, v8, s13
	s_delay_alu instid0(VALU_DEP_2) | instskip(SKIP_1) | instid1(VALU_DEP_3)
	v_cndmask_b32_e64 v9, v10, v8, s13
	v_mov_b32_e32 v10, v25
	v_cmp_class_f32_e64 s15, v11, 0x1f8
	s_delay_alu instid0(VALU_DEP_3) | instskip(SKIP_1) | instid1(SALU_CYCLE_1)
	v_cmp_neq_f32_e64 s14, v11, v9
	s_or_b32 s14, s14, s15
	s_and_saveexec_b32 s15, s14
	s_cbranch_execz .LBB498_26
; %bb.25:
	v_sub_f32_e32 v10, v11, v9
	s_delay_alu instid0(VALU_DEP_1) | instskip(SKIP_1) | instid1(VALU_DEP_2)
	v_mul_f32_e32 v11, 0x3fb8aa3b, v10
	v_cmp_ngt_f32_e64 s14, 0xc2ce8ed0, v10
	v_fma_f32 v13, 0x3fb8aa3b, v10, -v11
	v_rndne_f32_e32 v14, v11
	s_delay_alu instid0(VALU_DEP_2) | instskip(NEXT) | instid1(VALU_DEP_2)
	v_fmamk_f32 v13, v10, 0x32a5705f, v13
	v_sub_f32_e32 v11, v11, v14
	s_delay_alu instid0(VALU_DEP_1) | instskip(SKIP_1) | instid1(VALU_DEP_2)
	v_add_f32_e32 v11, v11, v13
	v_cvt_i32_f32_e32 v13, v14
	v_exp_f32_e32 v11, v11
	s_delay_alu instid0(TRANS32_DEP_1) | instskip(NEXT) | instid1(VALU_DEP_1)
	v_ldexp_f32 v11, v11, v13
	v_cndmask_b32_e64 v11, 0, v11, s14
	v_cmp_nlt_f32_e64 s14, 0x42b17218, v10
	s_wait_alu 0xf1ff
	s_delay_alu instid0(VALU_DEP_1) | instskip(NEXT) | instid1(VALU_DEP_1)
	v_cndmask_b32_e64 v13, 0x7f800000, v11, s14
	v_add_f32_e32 v14, 1.0, v13
	s_delay_alu instid0(VALU_DEP_1) | instskip(NEXT) | instid1(VALU_DEP_1)
	v_cvt_f64_f32_e32 v[10:11], v14
	v_frexp_exp_i32_f64_e32 v10, v[10:11]
	v_frexp_mant_f32_e32 v11, v14
	s_delay_alu instid0(VALU_DEP_1) | instskip(SKIP_1) | instid1(VALU_DEP_1)
	v_cmp_gt_f32_e64 s14, 0x3f2aaaab, v11
	v_add_f32_e32 v11, -1.0, v14
	v_sub_f32_e32 v16, v11, v14
	s_delay_alu instid0(VALU_DEP_1)
	v_add_f32_e32 v16, 1.0, v16
	s_wait_alu 0xf1ff
	v_subrev_co_ci_u32_e64 v10, null, 0, v10, s14
	s_mov_b32 s14, 0x3e9b6dac
	v_sub_nc_u32_e32 v15, 0, v10
	v_cvt_f32_i32_e32 v10, v10
	s_delay_alu instid0(VALU_DEP_2) | instskip(NEXT) | instid1(VALU_DEP_1)
	v_ldexp_f32 v14, v14, v15
	v_add_f32_e32 v17, 1.0, v14
	v_sub_f32_e32 v11, v13, v11
	s_delay_alu instid0(VALU_DEP_1) | instskip(NEXT) | instid1(VALU_DEP_1)
	v_add_f32_e32 v11, v11, v16
	v_ldexp_f32 v11, v11, v15
	v_add_f32_e32 v15, -1.0, v14
	s_delay_alu instid0(VALU_DEP_1) | instskip(SKIP_1) | instid1(VALU_DEP_1)
	v_add_f32_e32 v18, 1.0, v15
	v_add_f32_e32 v16, -1.0, v17
	v_sub_f32_e32 v16, v14, v16
	s_delay_alu instid0(VALU_DEP_3) | instskip(NEXT) | instid1(VALU_DEP_2)
	v_sub_f32_e32 v14, v14, v18
	v_add_f32_e32 v16, v11, v16
	s_delay_alu instid0(VALU_DEP_1) | instskip(NEXT) | instid1(VALU_DEP_1)
	v_dual_add_f32 v11, v11, v14 :: v_dual_add_f32 v18, v17, v16
	v_rcp_f32_e32 v14, v18
	v_sub_f32_e32 v17, v17, v18
	s_delay_alu instid0(VALU_DEP_1) | instskip(NEXT) | instid1(VALU_DEP_1)
	v_dual_add_f32 v19, v15, v11 :: v_dual_add_f32 v16, v16, v17
	v_sub_f32_e32 v15, v15, v19
	s_delay_alu instid0(TRANS32_DEP_1) | instskip(NEXT) | instid1(VALU_DEP_2)
	v_mul_f32_e32 v20, v19, v14
	v_add_f32_e32 v11, v11, v15
	s_delay_alu instid0(VALU_DEP_2) | instskip(NEXT) | instid1(VALU_DEP_1)
	v_mul_f32_e32 v21, v18, v20
	v_fma_f32 v17, v20, v18, -v21
	s_delay_alu instid0(VALU_DEP_1) | instskip(NEXT) | instid1(VALU_DEP_1)
	v_fmac_f32_e32 v17, v20, v16
	v_add_f32_e32 v22, v21, v17
	s_delay_alu instid0(VALU_DEP_1) | instskip(SKIP_1) | instid1(VALU_DEP_2)
	v_sub_f32_e32 v23, v19, v22
	v_sub_f32_e32 v15, v22, v21
	;; [unrolled: 1-line block ×3, first 2 shown]
	s_delay_alu instid0(VALU_DEP_2) | instskip(NEXT) | instid1(VALU_DEP_2)
	v_sub_f32_e32 v15, v15, v17
	v_sub_f32_e32 v19, v19, v22
	s_delay_alu instid0(VALU_DEP_1) | instskip(NEXT) | instid1(VALU_DEP_1)
	v_add_f32_e32 v11, v11, v19
	v_add_f32_e32 v11, v15, v11
	s_delay_alu instid0(VALU_DEP_1) | instskip(NEXT) | instid1(VALU_DEP_1)
	v_add_f32_e32 v15, v23, v11
	v_mul_f32_e32 v17, v14, v15
	s_delay_alu instid0(VALU_DEP_1) | instskip(NEXT) | instid1(VALU_DEP_1)
	v_mul_f32_e32 v19, v18, v17
	v_fma_f32 v18, v17, v18, -v19
	s_delay_alu instid0(VALU_DEP_1) | instskip(SKIP_1) | instid1(VALU_DEP_2)
	v_fmac_f32_e32 v18, v17, v16
	v_sub_f32_e32 v22, v23, v15
	v_add_f32_e32 v16, v19, v18
	s_delay_alu instid0(VALU_DEP_2) | instskip(NEXT) | instid1(VALU_DEP_2)
	v_add_f32_e32 v11, v11, v22
	v_sub_f32_e32 v21, v15, v16
	v_sub_f32_e32 v19, v16, v19
	s_delay_alu instid0(VALU_DEP_2) | instskip(NEXT) | instid1(VALU_DEP_1)
	v_sub_f32_e32 v15, v15, v21
	v_sub_f32_e32 v15, v15, v16
	s_delay_alu instid0(VALU_DEP_3) | instskip(NEXT) | instid1(VALU_DEP_2)
	v_sub_f32_e32 v16, v19, v18
	v_add_f32_e32 v11, v11, v15
	v_add_f32_e32 v15, v20, v17
	s_delay_alu instid0(VALU_DEP_1) | instskip(NEXT) | instid1(VALU_DEP_1)
	v_dual_add_f32 v11, v16, v11 :: v_dual_sub_f32 v16, v15, v20
	v_add_f32_e32 v11, v21, v11
	s_delay_alu instid0(VALU_DEP_1) | instskip(NEXT) | instid1(VALU_DEP_1)
	v_dual_sub_f32 v16, v17, v16 :: v_dual_mul_f32 v11, v14, v11
	v_add_f32_e32 v11, v16, v11
	s_delay_alu instid0(VALU_DEP_1) | instskip(NEXT) | instid1(VALU_DEP_1)
	v_add_f32_e32 v14, v15, v11
	v_mul_f32_e32 v16, v14, v14
	s_wait_alu 0xfffe
	s_delay_alu instid0(VALU_DEP_1) | instskip(SKIP_2) | instid1(VALU_DEP_3)
	v_fmaak_f32 v17, s14, v16, 0x3ecc95a3
	v_mul_f32_e32 v18, v14, v16
	v_cmp_neq_f32_e64 s14, 0x7f800000, v13
	v_fmaak_f32 v16, v16, v17, 0x3f2aaada
	v_ldexp_f32 v17, v14, 1
	v_sub_f32_e32 v14, v14, v15
	s_delay_alu instid0(VALU_DEP_3) | instskip(SKIP_1) | instid1(VALU_DEP_3)
	v_mul_f32_e32 v16, v18, v16
	v_mul_f32_e32 v18, 0x3f317218, v10
	v_sub_f32_e32 v11, v11, v14
	s_delay_alu instid0(VALU_DEP_3) | instskip(NEXT) | instid1(VALU_DEP_2)
	v_add_f32_e32 v15, v17, v16
	v_ldexp_f32 v11, v11, 1
	s_delay_alu instid0(VALU_DEP_2) | instskip(SKIP_1) | instid1(VALU_DEP_2)
	v_sub_f32_e32 v14, v15, v17
	v_fma_f32 v17, 0x3f317218, v10, -v18
	v_sub_f32_e32 v14, v16, v14
	s_delay_alu instid0(VALU_DEP_1) | instskip(NEXT) | instid1(VALU_DEP_1)
	v_dual_fmamk_f32 v10, v10, 0xb102e308, v17 :: v_dual_add_f32 v11, v11, v14
	v_add_f32_e32 v14, v18, v10
	s_delay_alu instid0(VALU_DEP_2) | instskip(NEXT) | instid1(VALU_DEP_2)
	v_add_f32_e32 v16, v15, v11
	v_sub_f32_e32 v18, v14, v18
	s_delay_alu instid0(VALU_DEP_2) | instskip(NEXT) | instid1(VALU_DEP_2)
	v_add_f32_e32 v17, v14, v16
	v_dual_sub_f32 v15, v16, v15 :: v_dual_sub_f32 v10, v10, v18
	s_delay_alu instid0(VALU_DEP_2) | instskip(NEXT) | instid1(VALU_DEP_2)
	v_sub_f32_e32 v19, v17, v14
	v_sub_f32_e32 v11, v11, v15
	s_delay_alu instid0(VALU_DEP_2) | instskip(SKIP_1) | instid1(VALU_DEP_3)
	v_sub_f32_e32 v20, v17, v19
	v_sub_f32_e32 v15, v16, v19
	v_add_f32_e32 v16, v10, v11
	s_delay_alu instid0(VALU_DEP_3) | instskip(NEXT) | instid1(VALU_DEP_1)
	v_sub_f32_e32 v14, v14, v20
	v_add_f32_e32 v14, v15, v14
	s_delay_alu instid0(VALU_DEP_3) | instskip(NEXT) | instid1(VALU_DEP_2)
	v_sub_f32_e32 v15, v16, v10
	v_add_f32_e32 v14, v16, v14
	s_delay_alu instid0(VALU_DEP_2) | instskip(NEXT) | instid1(VALU_DEP_1)
	v_sub_f32_e32 v16, v16, v15
	v_dual_sub_f32 v11, v11, v15 :: v_dual_sub_f32 v10, v10, v16
	s_delay_alu instid0(VALU_DEP_1) | instskip(NEXT) | instid1(VALU_DEP_4)
	v_add_f32_e32 v10, v11, v10
	v_add_f32_e32 v18, v17, v14
	s_delay_alu instid0(VALU_DEP_1) | instskip(NEXT) | instid1(VALU_DEP_1)
	v_sub_f32_e32 v15, v18, v17
	v_sub_f32_e32 v11, v14, v15
	s_delay_alu instid0(VALU_DEP_1) | instskip(NEXT) | instid1(VALU_DEP_1)
	v_add_f32_e32 v10, v10, v11
	v_add_f32_e32 v10, v18, v10
	s_wait_alu 0xf1ff
	s_delay_alu instid0(VALU_DEP_1) | instskip(SKIP_2) | instid1(VALU_DEP_1)
	v_cndmask_b32_e64 v10, 0x7f800000, v10, s14
	v_cmp_gt_f32_e64 s14, 0x33800000, |v13|
	s_wait_alu 0xf1ff
	v_cndmask_b32_e64 v10, v10, v13, s14
	s_delay_alu instid0(VALU_DEP_1)
	v_add_f32_e32 v10, v9, v10
.LBB498_26:
	s_or_b32 exec_lo, exec_lo, s15
	s_delay_alu instid0(VALU_DEP_1) | instskip(SKIP_1) | instid1(VALU_DEP_2)
	v_bfe_u32 v9, v10, 16, 1
	v_cmp_o_f32_e64 s14, v10, v10
	v_add3_u32 v9, v10, v9, 0x7fff
	s_delay_alu instid0(VALU_DEP_1) | instskip(SKIP_1) | instid1(VALU_DEP_1)
	v_and_b32_e32 v11, 0xffff0000, v9
	s_wait_alu 0xf1ff
	v_cndmask_b32_e64 v13, 0x7fc00000, v11, s14
	s_delay_alu instid0(VALU_DEP_1) | instskip(NEXT) | instid1(VALU_DEP_1)
	v_dual_max_num_f32 v10, v13, v13 :: v_dual_lshlrev_b32 v9, 16, v2
	v_max_num_f32_e32 v11, v9, v9
	v_cmp_u_f32_e64 s14, v13, v13
	s_delay_alu instid0(VALU_DEP_2) | instskip(SKIP_2) | instid1(VALU_DEP_2)
	v_min_num_f32_e32 v14, v10, v11
	v_max_num_f32_e32 v10, v10, v11
	s_wait_alu 0xf1ff
	v_cndmask_b32_e64 v14, v14, v13, s14
	s_delay_alu instid0(VALU_DEP_2) | instskip(SKIP_2) | instid1(VALU_DEP_1)
	v_cndmask_b32_e64 v10, v10, v13, s14
	v_cmp_u_f32_e64 s14, v9, v9
	s_wait_alu 0xf1ff
	v_cndmask_b32_e64 v14, v14, v9, s14
	s_delay_alu instid0(VALU_DEP_3) | instskip(NEXT) | instid1(VALU_DEP_2)
	v_cndmask_b32_e64 v10, v10, v9, s14
	v_cmp_class_f32_e64 s16, v14, 0x1f8
	s_delay_alu instid0(VALU_DEP_2)
	v_cmp_neq_f32_e64 s15, v14, v10
	s_or_b32 s15, s15, s16
	s_wait_alu 0xfffe
	s_and_saveexec_b32 s16, s15
	s_cbranch_execz .LBB498_28
; %bb.27:
	v_sub_f32_e32 v13, v14, v10
	s_delay_alu instid0(VALU_DEP_1) | instskip(SKIP_1) | instid1(VALU_DEP_2)
	v_mul_f32_e32 v14, 0x3fb8aa3b, v13
	v_cmp_ngt_f32_e64 s15, 0xc2ce8ed0, v13
	v_fma_f32 v15, 0x3fb8aa3b, v13, -v14
	v_rndne_f32_e32 v16, v14
	s_delay_alu instid0(VALU_DEP_1) | instskip(NEXT) | instid1(VALU_DEP_1)
	v_dual_fmamk_f32 v15, v13, 0x32a5705f, v15 :: v_dual_sub_f32 v14, v14, v16
	v_add_f32_e32 v14, v14, v15
	v_cvt_i32_f32_e32 v15, v16
	s_delay_alu instid0(VALU_DEP_2) | instskip(NEXT) | instid1(TRANS32_DEP_1)
	v_exp_f32_e32 v14, v14
	v_ldexp_f32 v14, v14, v15
	s_wait_alu 0xf1ff
	s_delay_alu instid0(VALU_DEP_1) | instskip(SKIP_2) | instid1(VALU_DEP_1)
	v_cndmask_b32_e64 v14, 0, v14, s15
	v_cmp_nlt_f32_e64 s15, 0x42b17218, v13
	s_wait_alu 0xf1ff
	v_cndmask_b32_e64 v15, 0x7f800000, v14, s15
	s_delay_alu instid0(VALU_DEP_1) | instskip(NEXT) | instid1(VALU_DEP_1)
	v_add_f32_e32 v16, 1.0, v15
	v_cvt_f64_f32_e32 v[13:14], v16
	s_delay_alu instid0(VALU_DEP_1) | instskip(SKIP_1) | instid1(VALU_DEP_1)
	v_frexp_exp_i32_f64_e32 v13, v[13:14]
	v_frexp_mant_f32_e32 v14, v16
	v_cmp_gt_f32_e64 s15, 0x3f2aaaab, v14
	v_add_f32_e32 v14, -1.0, v16
	s_delay_alu instid0(VALU_DEP_1)
	v_sub_f32_e32 v18, v14, v16
	v_sub_f32_e32 v14, v15, v14
	s_wait_alu 0xf1ff
	v_subrev_co_ci_u32_e64 v13, null, 0, v13, s15
	s_mov_b32 s15, 0x3e9b6dac
	v_sub_nc_u32_e32 v17, 0, v13
	v_cvt_f32_i32_e32 v13, v13
	s_delay_alu instid0(VALU_DEP_2) | instskip(NEXT) | instid1(VALU_DEP_1)
	v_ldexp_f32 v16, v16, v17
	v_dual_add_f32 v19, 1.0, v16 :: v_dual_add_f32 v18, 1.0, v18
	s_delay_alu instid0(VALU_DEP_1) | instskip(NEXT) | instid1(VALU_DEP_2)
	v_add_f32_e32 v14, v14, v18
	v_add_f32_e32 v18, -1.0, v19
	s_delay_alu instid0(VALU_DEP_2) | instskip(NEXT) | instid1(VALU_DEP_2)
	v_ldexp_f32 v14, v14, v17
	v_dual_add_f32 v17, -1.0, v16 :: v_dual_sub_f32 v18, v16, v18
	s_delay_alu instid0(VALU_DEP_1) | instskip(NEXT) | instid1(VALU_DEP_2)
	v_add_f32_e32 v20, 1.0, v17
	v_add_f32_e32 v18, v14, v18
	s_delay_alu instid0(VALU_DEP_2) | instskip(NEXT) | instid1(VALU_DEP_2)
	v_sub_f32_e32 v16, v16, v20
	v_add_f32_e32 v20, v19, v18
	s_delay_alu instid0(VALU_DEP_2) | instskip(NEXT) | instid1(VALU_DEP_2)
	v_add_f32_e32 v14, v14, v16
	v_rcp_f32_e32 v16, v20
	v_sub_f32_e32 v19, v19, v20
	s_delay_alu instid0(VALU_DEP_1) | instskip(NEXT) | instid1(VALU_DEP_1)
	v_dual_add_f32 v21, v17, v14 :: v_dual_add_f32 v18, v18, v19
	v_sub_f32_e32 v17, v17, v21
	s_delay_alu instid0(TRANS32_DEP_1) | instskip(NEXT) | instid1(VALU_DEP_1)
	v_mul_f32_e32 v22, v21, v16
	v_dual_add_f32 v14, v14, v17 :: v_dual_mul_f32 v23, v20, v22
	s_delay_alu instid0(VALU_DEP_1) | instskip(NEXT) | instid1(VALU_DEP_1)
	v_fma_f32 v19, v22, v20, -v23
	v_fmac_f32_e32 v19, v22, v18
	s_delay_alu instid0(VALU_DEP_1) | instskip(NEXT) | instid1(VALU_DEP_1)
	v_add_f32_e32 v24, v23, v19
	v_sub_f32_e32 v29, v21, v24
	v_sub_f32_e32 v17, v24, v23
	s_delay_alu instid0(VALU_DEP_2) | instskip(NEXT) | instid1(VALU_DEP_2)
	v_sub_f32_e32 v21, v21, v29
	v_sub_f32_e32 v17, v17, v19
	s_delay_alu instid0(VALU_DEP_2) | instskip(NEXT) | instid1(VALU_DEP_1)
	v_sub_f32_e32 v21, v21, v24
	v_add_f32_e32 v14, v14, v21
	s_delay_alu instid0(VALU_DEP_1) | instskip(NEXT) | instid1(VALU_DEP_1)
	v_add_f32_e32 v14, v17, v14
	v_add_f32_e32 v17, v29, v14
	s_delay_alu instid0(VALU_DEP_1) | instskip(NEXT) | instid1(VALU_DEP_1)
	v_mul_f32_e32 v19, v16, v17
	v_dual_sub_f32 v24, v29, v17 :: v_dual_mul_f32 v21, v20, v19
	s_delay_alu instid0(VALU_DEP_1) | instskip(NEXT) | instid1(VALU_DEP_2)
	v_add_f32_e32 v14, v14, v24
	v_fma_f32 v20, v19, v20, -v21
	s_delay_alu instid0(VALU_DEP_1) | instskip(NEXT) | instid1(VALU_DEP_1)
	v_fmac_f32_e32 v20, v19, v18
	v_add_f32_e32 v18, v21, v20
	s_delay_alu instid0(VALU_DEP_1) | instskip(SKIP_1) | instid1(VALU_DEP_2)
	v_sub_f32_e32 v23, v17, v18
	v_sub_f32_e32 v21, v18, v21
	;; [unrolled: 1-line block ×3, first 2 shown]
	s_delay_alu instid0(VALU_DEP_1) | instskip(NEXT) | instid1(VALU_DEP_3)
	v_sub_f32_e32 v17, v17, v18
	v_sub_f32_e32 v18, v21, v20
	s_delay_alu instid0(VALU_DEP_2) | instskip(SKIP_1) | instid1(VALU_DEP_2)
	v_add_f32_e32 v14, v14, v17
	v_add_f32_e32 v17, v22, v19
	;; [unrolled: 1-line block ×3, first 2 shown]
	s_delay_alu instid0(VALU_DEP_2) | instskip(NEXT) | instid1(VALU_DEP_2)
	v_sub_f32_e32 v18, v17, v22
	v_add_f32_e32 v14, v23, v14
	s_delay_alu instid0(VALU_DEP_2) | instskip(NEXT) | instid1(VALU_DEP_2)
	v_sub_f32_e32 v18, v19, v18
	v_mul_f32_e32 v14, v16, v14
	s_delay_alu instid0(VALU_DEP_1) | instskip(NEXT) | instid1(VALU_DEP_1)
	v_add_f32_e32 v14, v18, v14
	v_add_f32_e32 v16, v17, v14
	s_delay_alu instid0(VALU_DEP_1) | instskip(SKIP_1) | instid1(VALU_DEP_1)
	v_mul_f32_e32 v18, v16, v16
	s_wait_alu 0xfffe
	v_fmaak_f32 v19, s15, v18, 0x3ecc95a3
	v_mul_f32_e32 v20, v16, v18
	v_cmp_neq_f32_e64 s15, 0x7f800000, v15
	s_delay_alu instid0(VALU_DEP_3) | instskip(SKIP_2) | instid1(VALU_DEP_3)
	v_fmaak_f32 v18, v18, v19, 0x3f2aaada
	v_ldexp_f32 v19, v16, 1
	v_sub_f32_e32 v16, v16, v17
	v_mul_f32_e32 v18, v20, v18
	v_mul_f32_e32 v20, 0x3f317218, v13
	s_delay_alu instid0(VALU_DEP_2) | instskip(NEXT) | instid1(VALU_DEP_1)
	v_dual_sub_f32 v14, v14, v16 :: v_dual_add_f32 v17, v19, v18
	v_ldexp_f32 v14, v14, 1
	s_delay_alu instid0(VALU_DEP_2) | instskip(NEXT) | instid1(VALU_DEP_4)
	v_sub_f32_e32 v16, v17, v19
	v_fma_f32 v19, 0x3f317218, v13, -v20
	s_delay_alu instid0(VALU_DEP_1) | instskip(NEXT) | instid1(VALU_DEP_1)
	v_dual_sub_f32 v16, v18, v16 :: v_dual_fmamk_f32 v13, v13, 0xb102e308, v19
	v_add_f32_e32 v14, v14, v16
	s_delay_alu instid0(VALU_DEP_2) | instskip(NEXT) | instid1(VALU_DEP_2)
	v_add_f32_e32 v16, v20, v13
	v_add_f32_e32 v18, v17, v14
	s_delay_alu instid0(VALU_DEP_2) | instskip(NEXT) | instid1(VALU_DEP_2)
	v_sub_f32_e32 v20, v16, v20
	v_add_f32_e32 v19, v16, v18
	v_sub_f32_e32 v17, v18, v17
	s_delay_alu instid0(VALU_DEP_3) | instskip(NEXT) | instid1(VALU_DEP_2)
	v_sub_f32_e32 v13, v13, v20
	v_dual_sub_f32 v21, v19, v16 :: v_dual_sub_f32 v14, v14, v17
	s_delay_alu instid0(VALU_DEP_1) | instskip(NEXT) | instid1(VALU_DEP_2)
	v_sub_f32_e32 v22, v19, v21
	v_dual_sub_f32 v17, v18, v21 :: v_dual_add_f32 v18, v13, v14
	s_delay_alu instid0(VALU_DEP_2) | instskip(NEXT) | instid1(VALU_DEP_1)
	v_sub_f32_e32 v16, v16, v22
	v_dual_add_f32 v16, v17, v16 :: v_dual_sub_f32 v17, v18, v13
	s_delay_alu instid0(VALU_DEP_1) | instskip(NEXT) | instid1(VALU_DEP_2)
	v_add_f32_e32 v16, v18, v16
	v_sub_f32_e32 v18, v18, v17
	v_sub_f32_e32 v14, v14, v17
	s_delay_alu instid0(VALU_DEP_2) | instskip(NEXT) | instid1(VALU_DEP_1)
	v_dual_add_f32 v20, v19, v16 :: v_dual_sub_f32 v13, v13, v18
	v_sub_f32_e32 v17, v20, v19
	s_delay_alu instid0(VALU_DEP_2) | instskip(NEXT) | instid1(VALU_DEP_2)
	v_add_f32_e32 v13, v14, v13
	v_sub_f32_e32 v14, v16, v17
	s_delay_alu instid0(VALU_DEP_1) | instskip(NEXT) | instid1(VALU_DEP_1)
	v_add_f32_e32 v13, v13, v14
	v_add_f32_e32 v13, v20, v13
	s_wait_alu 0xf1ff
	s_delay_alu instid0(VALU_DEP_1) | instskip(SKIP_2) | instid1(VALU_DEP_1)
	v_cndmask_b32_e64 v13, 0x7f800000, v13, s15
	v_cmp_gt_f32_e64 s15, 0x33800000, |v15|
	s_wait_alu 0xf1ff
	v_cndmask_b32_e64 v13, v13, v15, s15
	s_delay_alu instid0(VALU_DEP_1)
	v_add_f32_e32 v13, v10, v13
.LBB498_28:
	s_or_b32 exec_lo, exec_lo, s16
	s_delay_alu instid0(VALU_DEP_1) | instskip(SKIP_1) | instid1(VALU_DEP_2)
	v_bfe_u32 v10, v13, 16, 1
	v_cmp_o_f32_e64 s15, v13, v13
	v_add3_u32 v10, v13, v10, 0x7fff
	s_delay_alu instid0(VALU_DEP_1) | instskip(SKIP_1) | instid1(VALU_DEP_1)
	v_and_b32_e32 v10, 0xffff0000, v10
	s_wait_alu 0xf1ff
	v_cndmask_b32_e64 v14, 0x7fc00000, v10, s15
	s_delay_alu instid0(VALU_DEP_1) | instskip(SKIP_2) | instid1(VALU_DEP_2)
	v_max_num_f32_e32 v10, v14, v14
	v_and_b32_e32 v2, 0xffff0000, v2
	v_cmp_u_f32_e64 s15, v14, v14
	v_max_num_f32_e32 v13, v2, v2
	s_delay_alu instid0(VALU_DEP_1) | instskip(SKIP_2) | instid1(VALU_DEP_2)
	v_min_num_f32_e32 v15, v10, v13
	v_max_num_f32_e32 v10, v10, v13
	s_wait_alu 0xf1ff
	v_cndmask_b32_e64 v15, v15, v14, s15
	s_delay_alu instid0(VALU_DEP_2) | instskip(SKIP_2) | instid1(VALU_DEP_1)
	v_cndmask_b32_e64 v10, v10, v14, s15
	v_cmp_u_f32_e64 s15, v2, v2
	s_wait_alu 0xf1ff
	v_cndmask_b32_e64 v15, v15, v2, s15
	s_delay_alu instid0(VALU_DEP_3) | instskip(NEXT) | instid1(VALU_DEP_2)
	v_cndmask_b32_e64 v10, v10, v2, s15
	v_cmp_class_f32_e64 s17, v15, 0x1f8
	s_delay_alu instid0(VALU_DEP_2) | instskip(SKIP_1) | instid1(SALU_CYCLE_1)
	v_cmp_neq_f32_e64 s16, v15, v10
	s_or_b32 s16, s16, s17
	s_and_saveexec_b32 s17, s16
	s_cbranch_execz .LBB498_30
; %bb.29:
	v_sub_f32_e32 v14, v15, v10
	s_delay_alu instid0(VALU_DEP_1) | instskip(SKIP_1) | instid1(VALU_DEP_2)
	v_mul_f32_e32 v15, 0x3fb8aa3b, v14
	v_cmp_ngt_f32_e64 s16, 0xc2ce8ed0, v14
	v_fma_f32 v16, 0x3fb8aa3b, v14, -v15
	v_rndne_f32_e32 v17, v15
	s_delay_alu instid0(VALU_DEP_1) | instskip(NEXT) | instid1(VALU_DEP_1)
	v_dual_fmamk_f32 v16, v14, 0x32a5705f, v16 :: v_dual_sub_f32 v15, v15, v17
	v_add_f32_e32 v15, v15, v16
	v_cvt_i32_f32_e32 v16, v17
	s_delay_alu instid0(VALU_DEP_2) | instskip(NEXT) | instid1(TRANS32_DEP_1)
	v_exp_f32_e32 v15, v15
	v_ldexp_f32 v15, v15, v16
	s_delay_alu instid0(VALU_DEP_1) | instskip(SKIP_2) | instid1(VALU_DEP_1)
	v_cndmask_b32_e64 v15, 0, v15, s16
	v_cmp_nlt_f32_e64 s16, 0x42b17218, v14
	s_wait_alu 0xf1ff
	v_cndmask_b32_e64 v16, 0x7f800000, v15, s16
	s_delay_alu instid0(VALU_DEP_1) | instskip(NEXT) | instid1(VALU_DEP_1)
	v_add_f32_e32 v17, 1.0, v16
	v_cvt_f64_f32_e32 v[14:15], v17
	s_delay_alu instid0(VALU_DEP_1) | instskip(SKIP_1) | instid1(VALU_DEP_1)
	v_frexp_exp_i32_f64_e32 v14, v[14:15]
	v_frexp_mant_f32_e32 v15, v17
	v_cmp_gt_f32_e64 s16, 0x3f2aaaab, v15
	v_add_f32_e32 v15, -1.0, v17
	s_delay_alu instid0(VALU_DEP_1)
	v_sub_f32_e32 v19, v15, v17
	v_sub_f32_e32 v15, v16, v15
	s_wait_alu 0xf1ff
	v_subrev_co_ci_u32_e64 v14, null, 0, v14, s16
	s_mov_b32 s16, 0x3e9b6dac
	v_sub_nc_u32_e32 v18, 0, v14
	v_cvt_f32_i32_e32 v14, v14
	s_delay_alu instid0(VALU_DEP_2) | instskip(NEXT) | instid1(VALU_DEP_1)
	v_ldexp_f32 v17, v17, v18
	v_dual_add_f32 v20, 1.0, v17 :: v_dual_add_f32 v19, 1.0, v19
	s_delay_alu instid0(VALU_DEP_1) | instskip(NEXT) | instid1(VALU_DEP_2)
	v_add_f32_e32 v15, v15, v19
	v_add_f32_e32 v19, -1.0, v20
	s_delay_alu instid0(VALU_DEP_2) | instskip(NEXT) | instid1(VALU_DEP_2)
	v_ldexp_f32 v15, v15, v18
	v_dual_add_f32 v18, -1.0, v17 :: v_dual_sub_f32 v19, v17, v19
	s_delay_alu instid0(VALU_DEP_1) | instskip(NEXT) | instid1(VALU_DEP_2)
	v_add_f32_e32 v21, 1.0, v18
	v_add_f32_e32 v19, v15, v19
	s_delay_alu instid0(VALU_DEP_2) | instskip(NEXT) | instid1(VALU_DEP_2)
	v_sub_f32_e32 v17, v17, v21
	v_add_f32_e32 v21, v20, v19
	s_delay_alu instid0(VALU_DEP_2) | instskip(NEXT) | instid1(VALU_DEP_2)
	v_add_f32_e32 v15, v15, v17
	v_rcp_f32_e32 v17, v21
	v_sub_f32_e32 v20, v20, v21
	s_delay_alu instid0(VALU_DEP_1) | instskip(NEXT) | instid1(VALU_DEP_1)
	v_dual_add_f32 v22, v18, v15 :: v_dual_add_f32 v19, v19, v20
	v_sub_f32_e32 v18, v18, v22
	s_delay_alu instid0(TRANS32_DEP_1) | instskip(NEXT) | instid1(VALU_DEP_1)
	v_mul_f32_e32 v23, v22, v17
	v_dual_add_f32 v15, v15, v18 :: v_dual_mul_f32 v24, v21, v23
	s_delay_alu instid0(VALU_DEP_1) | instskip(NEXT) | instid1(VALU_DEP_1)
	v_fma_f32 v20, v23, v21, -v24
	v_fmac_f32_e32 v20, v23, v19
	s_delay_alu instid0(VALU_DEP_1) | instskip(NEXT) | instid1(VALU_DEP_1)
	v_add_f32_e32 v29, v24, v20
	v_sub_f32_e32 v30, v22, v29
	v_sub_f32_e32 v18, v29, v24
	s_delay_alu instid0(VALU_DEP_2) | instskip(NEXT) | instid1(VALU_DEP_2)
	v_sub_f32_e32 v22, v22, v30
	v_sub_f32_e32 v18, v18, v20
	s_delay_alu instid0(VALU_DEP_2) | instskip(NEXT) | instid1(VALU_DEP_1)
	v_sub_f32_e32 v22, v22, v29
	v_add_f32_e32 v15, v15, v22
	s_delay_alu instid0(VALU_DEP_1) | instskip(NEXT) | instid1(VALU_DEP_1)
	v_add_f32_e32 v15, v18, v15
	v_add_f32_e32 v18, v30, v15
	s_delay_alu instid0(VALU_DEP_1) | instskip(NEXT) | instid1(VALU_DEP_1)
	v_mul_f32_e32 v20, v17, v18
	v_dual_sub_f32 v29, v30, v18 :: v_dual_mul_f32 v22, v21, v20
	s_delay_alu instid0(VALU_DEP_1) | instskip(NEXT) | instid1(VALU_DEP_2)
	v_add_f32_e32 v15, v15, v29
	v_fma_f32 v21, v20, v21, -v22
	s_delay_alu instid0(VALU_DEP_1) | instskip(NEXT) | instid1(VALU_DEP_1)
	v_fmac_f32_e32 v21, v20, v19
	v_add_f32_e32 v19, v22, v21
	s_delay_alu instid0(VALU_DEP_1) | instskip(SKIP_1) | instid1(VALU_DEP_2)
	v_sub_f32_e32 v24, v18, v19
	v_sub_f32_e32 v22, v19, v22
	v_sub_f32_e32 v18, v18, v24
	s_delay_alu instid0(VALU_DEP_1) | instskip(NEXT) | instid1(VALU_DEP_3)
	v_sub_f32_e32 v18, v18, v19
	v_sub_f32_e32 v19, v22, v21
	s_delay_alu instid0(VALU_DEP_2) | instskip(SKIP_1) | instid1(VALU_DEP_2)
	v_add_f32_e32 v15, v15, v18
	v_add_f32_e32 v18, v23, v20
	;; [unrolled: 1-line block ×3, first 2 shown]
	s_delay_alu instid0(VALU_DEP_2) | instskip(NEXT) | instid1(VALU_DEP_2)
	v_sub_f32_e32 v19, v18, v23
	v_add_f32_e32 v15, v24, v15
	s_delay_alu instid0(VALU_DEP_2) | instskip(NEXT) | instid1(VALU_DEP_2)
	v_sub_f32_e32 v19, v20, v19
	v_mul_f32_e32 v15, v17, v15
	s_delay_alu instid0(VALU_DEP_1) | instskip(NEXT) | instid1(VALU_DEP_1)
	v_add_f32_e32 v15, v19, v15
	v_add_f32_e32 v17, v18, v15
	s_delay_alu instid0(VALU_DEP_1) | instskip(SKIP_1) | instid1(VALU_DEP_1)
	v_mul_f32_e32 v19, v17, v17
	s_wait_alu 0xfffe
	v_fmaak_f32 v20, s16, v19, 0x3ecc95a3
	v_mul_f32_e32 v21, v17, v19
	v_cmp_neq_f32_e64 s16, 0x7f800000, v16
	s_delay_alu instid0(VALU_DEP_3) | instskip(SKIP_2) | instid1(VALU_DEP_3)
	v_fmaak_f32 v19, v19, v20, 0x3f2aaada
	v_ldexp_f32 v20, v17, 1
	v_sub_f32_e32 v17, v17, v18
	v_mul_f32_e32 v19, v21, v19
	v_mul_f32_e32 v21, 0x3f317218, v14
	s_delay_alu instid0(VALU_DEP_2) | instskip(NEXT) | instid1(VALU_DEP_1)
	v_dual_sub_f32 v15, v15, v17 :: v_dual_add_f32 v18, v20, v19
	v_ldexp_f32 v15, v15, 1
	s_delay_alu instid0(VALU_DEP_2) | instskip(NEXT) | instid1(VALU_DEP_4)
	v_sub_f32_e32 v17, v18, v20
	v_fma_f32 v20, 0x3f317218, v14, -v21
	s_delay_alu instid0(VALU_DEP_1) | instskip(NEXT) | instid1(VALU_DEP_1)
	v_dual_sub_f32 v17, v19, v17 :: v_dual_fmamk_f32 v14, v14, 0xb102e308, v20
	v_add_f32_e32 v15, v15, v17
	s_delay_alu instid0(VALU_DEP_2) | instskip(NEXT) | instid1(VALU_DEP_2)
	v_add_f32_e32 v17, v21, v14
	v_add_f32_e32 v19, v18, v15
	s_delay_alu instid0(VALU_DEP_2) | instskip(NEXT) | instid1(VALU_DEP_2)
	v_sub_f32_e32 v21, v17, v21
	v_add_f32_e32 v20, v17, v19
	v_sub_f32_e32 v18, v19, v18
	s_delay_alu instid0(VALU_DEP_3) | instskip(NEXT) | instid1(VALU_DEP_2)
	v_sub_f32_e32 v14, v14, v21
	v_dual_sub_f32 v22, v20, v17 :: v_dual_sub_f32 v15, v15, v18
	s_delay_alu instid0(VALU_DEP_1) | instskip(NEXT) | instid1(VALU_DEP_2)
	v_sub_f32_e32 v23, v20, v22
	v_dual_sub_f32 v18, v19, v22 :: v_dual_add_f32 v19, v14, v15
	s_delay_alu instid0(VALU_DEP_2) | instskip(NEXT) | instid1(VALU_DEP_1)
	v_sub_f32_e32 v17, v17, v23
	v_dual_add_f32 v17, v18, v17 :: v_dual_sub_f32 v18, v19, v14
	s_delay_alu instid0(VALU_DEP_1) | instskip(NEXT) | instid1(VALU_DEP_2)
	v_add_f32_e32 v17, v19, v17
	v_sub_f32_e32 v19, v19, v18
	v_sub_f32_e32 v15, v15, v18
	s_delay_alu instid0(VALU_DEP_2) | instskip(NEXT) | instid1(VALU_DEP_1)
	v_dual_add_f32 v21, v20, v17 :: v_dual_sub_f32 v14, v14, v19
	v_sub_f32_e32 v18, v21, v20
	s_delay_alu instid0(VALU_DEP_2) | instskip(NEXT) | instid1(VALU_DEP_2)
	v_add_f32_e32 v14, v15, v14
	v_sub_f32_e32 v15, v17, v18
	s_delay_alu instid0(VALU_DEP_1) | instskip(NEXT) | instid1(VALU_DEP_1)
	v_add_f32_e32 v14, v14, v15
	v_add_f32_e32 v14, v21, v14
	s_wait_alu 0xf1ff
	s_delay_alu instid0(VALU_DEP_1) | instskip(SKIP_2) | instid1(VALU_DEP_1)
	v_cndmask_b32_e64 v14, 0x7f800000, v14, s16
	v_cmp_gt_f32_e64 s16, 0x33800000, |v16|
	s_wait_alu 0xf1ff
	v_cndmask_b32_e64 v14, v14, v16, s16
	s_delay_alu instid0(VALU_DEP_1)
	v_add_f32_e32 v14, v10, v14
.LBB498_30:
	s_or_b32 exec_lo, exec_lo, s17
	s_delay_alu instid0(VALU_DEP_1) | instskip(SKIP_1) | instid1(VALU_DEP_2)
	v_bfe_u32 v10, v14, 16, 1
	v_cmp_o_f32_e64 s16, v14, v14
	v_add3_u32 v10, v14, v10, 0x7fff
	s_delay_alu instid0(VALU_DEP_1) | instskip(SKIP_2) | instid1(VALU_DEP_2)
	v_and_b32_e32 v15, 0xffff0000, v10
	v_lshlrev_b32_e32 v10, 16, v3
	s_wait_alu 0xf1ff
	v_cndmask_b32_e64 v16, 0x7fc00000, v15, s16
	s_delay_alu instid0(VALU_DEP_1) | instskip(SKIP_1) | instid1(VALU_DEP_2)
	v_dual_max_num_f32 v15, v10, v10 :: v_dual_max_num_f32 v14, v16, v16
	v_cmp_u_f32_e64 s16, v16, v16
	v_min_num_f32_e32 v17, v14, v15
	v_max_num_f32_e32 v14, v14, v15
	s_wait_alu 0xf1ff
	s_delay_alu instid0(VALU_DEP_2) | instskip(NEXT) | instid1(VALU_DEP_2)
	v_cndmask_b32_e64 v17, v17, v16, s16
	v_cndmask_b32_e64 v14, v14, v16, s16
	v_cmp_u_f32_e64 s16, v10, v10
	s_wait_alu 0xf1ff
	s_delay_alu instid0(VALU_DEP_1) | instskip(NEXT) | instid1(VALU_DEP_3)
	v_cndmask_b32_e64 v17, v17, v10, s16
	v_cndmask_b32_e64 v14, v14, v10, s16
	s_delay_alu instid0(VALU_DEP_2) | instskip(NEXT) | instid1(VALU_DEP_2)
	v_cmp_class_f32_e64 s18, v17, 0x1f8
	v_cmp_neq_f32_e64 s17, v17, v14
	s_or_b32 s17, s17, s18
	s_wait_alu 0xfffe
	s_and_saveexec_b32 s18, s17
	s_cbranch_execz .LBB498_32
; %bb.31:
	v_sub_f32_e32 v16, v17, v14
	s_delay_alu instid0(VALU_DEP_1) | instskip(SKIP_1) | instid1(VALU_DEP_2)
	v_mul_f32_e32 v17, 0x3fb8aa3b, v16
	v_cmp_ngt_f32_e64 s17, 0xc2ce8ed0, v16
	v_fma_f32 v18, 0x3fb8aa3b, v16, -v17
	v_rndne_f32_e32 v19, v17
	s_delay_alu instid0(VALU_DEP_1) | instskip(NEXT) | instid1(VALU_DEP_1)
	v_dual_fmamk_f32 v18, v16, 0x32a5705f, v18 :: v_dual_sub_f32 v17, v17, v19
	v_add_f32_e32 v17, v17, v18
	v_cvt_i32_f32_e32 v18, v19
	s_delay_alu instid0(VALU_DEP_2) | instskip(NEXT) | instid1(TRANS32_DEP_1)
	v_exp_f32_e32 v17, v17
	v_ldexp_f32 v17, v17, v18
	s_wait_alu 0xf1ff
	s_delay_alu instid0(VALU_DEP_1) | instskip(SKIP_2) | instid1(VALU_DEP_1)
	v_cndmask_b32_e64 v17, 0, v17, s17
	v_cmp_nlt_f32_e64 s17, 0x42b17218, v16
	s_wait_alu 0xf1ff
	v_cndmask_b32_e64 v18, 0x7f800000, v17, s17
	s_delay_alu instid0(VALU_DEP_1) | instskip(NEXT) | instid1(VALU_DEP_1)
	v_add_f32_e32 v19, 1.0, v18
	v_cvt_f64_f32_e32 v[16:17], v19
	s_delay_alu instid0(VALU_DEP_1) | instskip(SKIP_1) | instid1(VALU_DEP_1)
	v_frexp_exp_i32_f64_e32 v16, v[16:17]
	v_frexp_mant_f32_e32 v17, v19
	v_cmp_gt_f32_e64 s17, 0x3f2aaaab, v17
	v_add_f32_e32 v17, -1.0, v19
	s_delay_alu instid0(VALU_DEP_1)
	v_sub_f32_e32 v21, v17, v19
	v_sub_f32_e32 v17, v18, v17
	s_wait_alu 0xf1ff
	v_subrev_co_ci_u32_e64 v16, null, 0, v16, s17
	s_mov_b32 s17, 0x3e9b6dac
	v_sub_nc_u32_e32 v20, 0, v16
	v_cvt_f32_i32_e32 v16, v16
	s_delay_alu instid0(VALU_DEP_2) | instskip(NEXT) | instid1(VALU_DEP_1)
	v_ldexp_f32 v19, v19, v20
	v_dual_add_f32 v22, 1.0, v19 :: v_dual_add_f32 v21, 1.0, v21
	s_delay_alu instid0(VALU_DEP_1) | instskip(NEXT) | instid1(VALU_DEP_2)
	v_add_f32_e32 v17, v17, v21
	v_add_f32_e32 v21, -1.0, v22
	s_delay_alu instid0(VALU_DEP_2) | instskip(NEXT) | instid1(VALU_DEP_2)
	v_ldexp_f32 v17, v17, v20
	v_dual_add_f32 v20, -1.0, v19 :: v_dual_sub_f32 v21, v19, v21
	s_delay_alu instid0(VALU_DEP_1) | instskip(NEXT) | instid1(VALU_DEP_2)
	v_add_f32_e32 v23, 1.0, v20
	v_add_f32_e32 v21, v17, v21
	s_delay_alu instid0(VALU_DEP_2) | instskip(NEXT) | instid1(VALU_DEP_2)
	v_sub_f32_e32 v19, v19, v23
	v_add_f32_e32 v23, v22, v21
	s_delay_alu instid0(VALU_DEP_2) | instskip(NEXT) | instid1(VALU_DEP_2)
	v_add_f32_e32 v17, v17, v19
	v_rcp_f32_e32 v19, v23
	v_sub_f32_e32 v22, v22, v23
	s_delay_alu instid0(VALU_DEP_1) | instskip(NEXT) | instid1(VALU_DEP_1)
	v_dual_add_f32 v24, v20, v17 :: v_dual_add_f32 v21, v21, v22
	v_sub_f32_e32 v20, v20, v24
	s_delay_alu instid0(TRANS32_DEP_1) | instskip(NEXT) | instid1(VALU_DEP_1)
	v_mul_f32_e32 v29, v24, v19
	v_dual_add_f32 v17, v17, v20 :: v_dual_mul_f32 v30, v23, v29
	s_delay_alu instid0(VALU_DEP_1) | instskip(NEXT) | instid1(VALU_DEP_1)
	v_fma_f32 v22, v29, v23, -v30
	v_fmac_f32_e32 v22, v29, v21
	s_delay_alu instid0(VALU_DEP_1) | instskip(NEXT) | instid1(VALU_DEP_1)
	v_add_f32_e32 v31, v30, v22
	v_sub_f32_e32 v32, v24, v31
	v_sub_f32_e32 v20, v31, v30
	s_delay_alu instid0(VALU_DEP_2) | instskip(NEXT) | instid1(VALU_DEP_2)
	v_sub_f32_e32 v24, v24, v32
	v_sub_f32_e32 v20, v20, v22
	s_delay_alu instid0(VALU_DEP_2) | instskip(NEXT) | instid1(VALU_DEP_1)
	v_sub_f32_e32 v24, v24, v31
	v_add_f32_e32 v17, v17, v24
	s_delay_alu instid0(VALU_DEP_1) | instskip(NEXT) | instid1(VALU_DEP_1)
	v_add_f32_e32 v17, v20, v17
	v_add_f32_e32 v20, v32, v17
	s_delay_alu instid0(VALU_DEP_1) | instskip(NEXT) | instid1(VALU_DEP_1)
	v_mul_f32_e32 v22, v19, v20
	v_dual_sub_f32 v31, v32, v20 :: v_dual_mul_f32 v24, v23, v22
	s_delay_alu instid0(VALU_DEP_1) | instskip(NEXT) | instid1(VALU_DEP_2)
	v_add_f32_e32 v17, v17, v31
	v_fma_f32 v23, v22, v23, -v24
	s_delay_alu instid0(VALU_DEP_1) | instskip(NEXT) | instid1(VALU_DEP_1)
	v_fmac_f32_e32 v23, v22, v21
	v_add_f32_e32 v21, v24, v23
	s_delay_alu instid0(VALU_DEP_1) | instskip(SKIP_1) | instid1(VALU_DEP_2)
	v_sub_f32_e32 v30, v20, v21
	v_sub_f32_e32 v24, v21, v24
	;; [unrolled: 1-line block ×3, first 2 shown]
	s_delay_alu instid0(VALU_DEP_1) | instskip(NEXT) | instid1(VALU_DEP_3)
	v_sub_f32_e32 v20, v20, v21
	v_sub_f32_e32 v21, v24, v23
	s_delay_alu instid0(VALU_DEP_2) | instskip(SKIP_1) | instid1(VALU_DEP_2)
	v_add_f32_e32 v17, v17, v20
	v_add_f32_e32 v20, v29, v22
	;; [unrolled: 1-line block ×3, first 2 shown]
	s_delay_alu instid0(VALU_DEP_2) | instskip(NEXT) | instid1(VALU_DEP_2)
	v_sub_f32_e32 v21, v20, v29
	v_add_f32_e32 v17, v30, v17
	s_delay_alu instid0(VALU_DEP_2) | instskip(NEXT) | instid1(VALU_DEP_2)
	v_sub_f32_e32 v21, v22, v21
	v_mul_f32_e32 v17, v19, v17
	s_delay_alu instid0(VALU_DEP_1) | instskip(NEXT) | instid1(VALU_DEP_1)
	v_add_f32_e32 v17, v21, v17
	v_add_f32_e32 v19, v20, v17
	s_delay_alu instid0(VALU_DEP_1) | instskip(SKIP_1) | instid1(VALU_DEP_1)
	v_mul_f32_e32 v21, v19, v19
	s_wait_alu 0xfffe
	v_fmaak_f32 v22, s17, v21, 0x3ecc95a3
	v_mul_f32_e32 v23, v19, v21
	v_cmp_neq_f32_e64 s17, 0x7f800000, v18
	s_delay_alu instid0(VALU_DEP_3) | instskip(SKIP_2) | instid1(VALU_DEP_3)
	v_fmaak_f32 v21, v21, v22, 0x3f2aaada
	v_ldexp_f32 v22, v19, 1
	v_sub_f32_e32 v19, v19, v20
	v_mul_f32_e32 v21, v23, v21
	v_mul_f32_e32 v23, 0x3f317218, v16
	s_delay_alu instid0(VALU_DEP_2) | instskip(NEXT) | instid1(VALU_DEP_1)
	v_dual_sub_f32 v17, v17, v19 :: v_dual_add_f32 v20, v22, v21
	v_ldexp_f32 v17, v17, 1
	s_delay_alu instid0(VALU_DEP_2) | instskip(NEXT) | instid1(VALU_DEP_4)
	v_sub_f32_e32 v19, v20, v22
	v_fma_f32 v22, 0x3f317218, v16, -v23
	s_delay_alu instid0(VALU_DEP_1) | instskip(NEXT) | instid1(VALU_DEP_1)
	v_dual_sub_f32 v19, v21, v19 :: v_dual_fmamk_f32 v16, v16, 0xb102e308, v22
	v_add_f32_e32 v17, v17, v19
	s_delay_alu instid0(VALU_DEP_2) | instskip(NEXT) | instid1(VALU_DEP_2)
	v_add_f32_e32 v19, v23, v16
	v_add_f32_e32 v21, v20, v17
	s_delay_alu instid0(VALU_DEP_2) | instskip(NEXT) | instid1(VALU_DEP_2)
	v_sub_f32_e32 v23, v19, v23
	v_add_f32_e32 v22, v19, v21
	v_sub_f32_e32 v20, v21, v20
	s_delay_alu instid0(VALU_DEP_3) | instskip(NEXT) | instid1(VALU_DEP_2)
	v_sub_f32_e32 v16, v16, v23
	v_dual_sub_f32 v24, v22, v19 :: v_dual_sub_f32 v17, v17, v20
	s_delay_alu instid0(VALU_DEP_1) | instskip(NEXT) | instid1(VALU_DEP_2)
	v_sub_f32_e32 v29, v22, v24
	v_dual_sub_f32 v20, v21, v24 :: v_dual_add_f32 v21, v16, v17
	s_delay_alu instid0(VALU_DEP_2) | instskip(NEXT) | instid1(VALU_DEP_1)
	v_sub_f32_e32 v19, v19, v29
	v_dual_add_f32 v19, v20, v19 :: v_dual_sub_f32 v20, v21, v16
	s_delay_alu instid0(VALU_DEP_1) | instskip(NEXT) | instid1(VALU_DEP_2)
	v_add_f32_e32 v19, v21, v19
	v_sub_f32_e32 v21, v21, v20
	v_sub_f32_e32 v17, v17, v20
	s_delay_alu instid0(VALU_DEP_2) | instskip(NEXT) | instid1(VALU_DEP_1)
	v_dual_add_f32 v23, v22, v19 :: v_dual_sub_f32 v16, v16, v21
	v_sub_f32_e32 v20, v23, v22
	s_delay_alu instid0(VALU_DEP_2) | instskip(NEXT) | instid1(VALU_DEP_2)
	v_add_f32_e32 v16, v17, v16
	v_sub_f32_e32 v17, v19, v20
	s_delay_alu instid0(VALU_DEP_1) | instskip(NEXT) | instid1(VALU_DEP_1)
	v_add_f32_e32 v16, v16, v17
	v_add_f32_e32 v16, v23, v16
	s_wait_alu 0xf1ff
	s_delay_alu instid0(VALU_DEP_1) | instskip(SKIP_2) | instid1(VALU_DEP_1)
	v_cndmask_b32_e64 v16, 0x7f800000, v16, s17
	v_cmp_gt_f32_e64 s17, 0x33800000, |v18|
	s_wait_alu 0xf1ff
	v_cndmask_b32_e64 v16, v16, v18, s17
	s_delay_alu instid0(VALU_DEP_1)
	v_add_f32_e32 v16, v14, v16
.LBB498_32:
	s_wait_alu 0xfffe
	s_or_b32 exec_lo, exec_lo, s18
	s_delay_alu instid0(VALU_DEP_1) | instskip(SKIP_1) | instid1(VALU_DEP_2)
	v_bfe_u32 v14, v16, 16, 1
	v_cmp_o_f32_e64 s17, v16, v16
	v_add3_u32 v14, v16, v14, 0x7fff
	s_delay_alu instid0(VALU_DEP_1) | instskip(SKIP_1) | instid1(VALU_DEP_1)
	v_and_b32_e32 v14, 0xffff0000, v14
	s_wait_alu 0xf1ff
	v_cndmask_b32_e64 v17, 0x7fc00000, v14, s17
	s_delay_alu instid0(VALU_DEP_1) | instskip(NEXT) | instid1(VALU_DEP_1)
	v_dual_max_num_f32 v14, v17, v17 :: v_dual_and_b32 v3, 0xffff0000, v3
	v_max_num_f32_e32 v16, v3, v3
	v_cmp_u_f32_e64 s17, v17, v17
	s_delay_alu instid0(VALU_DEP_2) | instskip(SKIP_2) | instid1(VALU_DEP_2)
	v_min_num_f32_e32 v18, v14, v16
	v_max_num_f32_e32 v14, v14, v16
	s_wait_alu 0xf1ff
	v_cndmask_b32_e64 v18, v18, v17, s17
	s_delay_alu instid0(VALU_DEP_2) | instskip(SKIP_2) | instid1(VALU_DEP_1)
	v_cndmask_b32_e64 v14, v14, v17, s17
	v_cmp_u_f32_e64 s17, v3, v3
	s_wait_alu 0xf1ff
	v_cndmask_b32_e64 v18, v18, v3, s17
	s_delay_alu instid0(VALU_DEP_3) | instskip(NEXT) | instid1(VALU_DEP_2)
	v_cndmask_b32_e64 v14, v14, v3, s17
	v_cmp_class_f32_e64 s19, v18, 0x1f8
	s_delay_alu instid0(VALU_DEP_2)
	v_cmp_neq_f32_e64 s18, v18, v14
	s_or_b32 s18, s18, s19
	s_wait_alu 0xfffe
	s_and_saveexec_b32 s19, s18
	s_cbranch_execz .LBB498_34
; %bb.33:
	v_sub_f32_e32 v17, v18, v14
	s_delay_alu instid0(VALU_DEP_1) | instskip(SKIP_1) | instid1(VALU_DEP_2)
	v_mul_f32_e32 v18, 0x3fb8aa3b, v17
	v_cmp_ngt_f32_e64 s18, 0xc2ce8ed0, v17
	v_fma_f32 v19, 0x3fb8aa3b, v17, -v18
	v_rndne_f32_e32 v20, v18
	s_delay_alu instid0(VALU_DEP_1) | instskip(NEXT) | instid1(VALU_DEP_1)
	v_dual_fmamk_f32 v19, v17, 0x32a5705f, v19 :: v_dual_sub_f32 v18, v18, v20
	v_add_f32_e32 v18, v18, v19
	v_cvt_i32_f32_e32 v19, v20
	s_delay_alu instid0(VALU_DEP_2) | instskip(NEXT) | instid1(TRANS32_DEP_1)
	v_exp_f32_e32 v18, v18
	v_ldexp_f32 v18, v18, v19
	s_wait_alu 0xf1ff
	s_delay_alu instid0(VALU_DEP_1) | instskip(SKIP_2) | instid1(VALU_DEP_1)
	v_cndmask_b32_e64 v18, 0, v18, s18
	v_cmp_nlt_f32_e64 s18, 0x42b17218, v17
	s_wait_alu 0xf1ff
	v_cndmask_b32_e64 v19, 0x7f800000, v18, s18
	s_delay_alu instid0(VALU_DEP_1) | instskip(NEXT) | instid1(VALU_DEP_1)
	v_add_f32_e32 v20, 1.0, v19
	v_cvt_f64_f32_e32 v[17:18], v20
	s_delay_alu instid0(VALU_DEP_1) | instskip(SKIP_1) | instid1(VALU_DEP_1)
	v_frexp_exp_i32_f64_e32 v17, v[17:18]
	v_frexp_mant_f32_e32 v18, v20
	v_cmp_gt_f32_e64 s18, 0x3f2aaaab, v18
	v_add_f32_e32 v18, -1.0, v20
	s_delay_alu instid0(VALU_DEP_1)
	v_sub_f32_e32 v22, v18, v20
	v_sub_f32_e32 v18, v19, v18
	s_wait_alu 0xf1ff
	v_subrev_co_ci_u32_e64 v17, null, 0, v17, s18
	s_mov_b32 s18, 0x3e9b6dac
	v_sub_nc_u32_e32 v21, 0, v17
	v_cvt_f32_i32_e32 v17, v17
	s_delay_alu instid0(VALU_DEP_2) | instskip(NEXT) | instid1(VALU_DEP_1)
	v_ldexp_f32 v20, v20, v21
	v_dual_add_f32 v23, 1.0, v20 :: v_dual_add_f32 v22, 1.0, v22
	s_delay_alu instid0(VALU_DEP_1) | instskip(NEXT) | instid1(VALU_DEP_2)
	v_add_f32_e32 v18, v18, v22
	v_add_f32_e32 v22, -1.0, v23
	s_delay_alu instid0(VALU_DEP_2) | instskip(NEXT) | instid1(VALU_DEP_2)
	v_ldexp_f32 v18, v18, v21
	v_dual_add_f32 v21, -1.0, v20 :: v_dual_sub_f32 v22, v20, v22
	s_delay_alu instid0(VALU_DEP_1) | instskip(NEXT) | instid1(VALU_DEP_2)
	v_add_f32_e32 v24, 1.0, v21
	v_add_f32_e32 v22, v18, v22
	s_delay_alu instid0(VALU_DEP_2) | instskip(NEXT) | instid1(VALU_DEP_2)
	v_sub_f32_e32 v20, v20, v24
	v_add_f32_e32 v24, v23, v22
	s_delay_alu instid0(VALU_DEP_2) | instskip(NEXT) | instid1(VALU_DEP_2)
	v_add_f32_e32 v18, v18, v20
	v_rcp_f32_e32 v20, v24
	v_sub_f32_e32 v23, v23, v24
	s_delay_alu instid0(VALU_DEP_1) | instskip(NEXT) | instid1(VALU_DEP_1)
	v_dual_add_f32 v29, v21, v18 :: v_dual_add_f32 v22, v22, v23
	v_sub_f32_e32 v21, v21, v29
	s_delay_alu instid0(TRANS32_DEP_1) | instskip(NEXT) | instid1(VALU_DEP_1)
	v_mul_f32_e32 v30, v29, v20
	v_dual_add_f32 v18, v18, v21 :: v_dual_mul_f32 v31, v24, v30
	s_delay_alu instid0(VALU_DEP_1) | instskip(NEXT) | instid1(VALU_DEP_1)
	v_fma_f32 v23, v30, v24, -v31
	v_fmac_f32_e32 v23, v30, v22
	s_delay_alu instid0(VALU_DEP_1) | instskip(NEXT) | instid1(VALU_DEP_1)
	v_add_f32_e32 v32, v31, v23
	v_sub_f32_e32 v33, v29, v32
	v_sub_f32_e32 v21, v32, v31
	s_delay_alu instid0(VALU_DEP_2) | instskip(NEXT) | instid1(VALU_DEP_2)
	v_sub_f32_e32 v29, v29, v33
	v_sub_f32_e32 v21, v21, v23
	s_delay_alu instid0(VALU_DEP_2) | instskip(NEXT) | instid1(VALU_DEP_1)
	v_sub_f32_e32 v29, v29, v32
	v_add_f32_e32 v18, v18, v29
	s_delay_alu instid0(VALU_DEP_1) | instskip(NEXT) | instid1(VALU_DEP_1)
	v_add_f32_e32 v18, v21, v18
	v_add_f32_e32 v21, v33, v18
	s_delay_alu instid0(VALU_DEP_1) | instskip(NEXT) | instid1(VALU_DEP_1)
	v_mul_f32_e32 v23, v20, v21
	v_dual_sub_f32 v32, v33, v21 :: v_dual_mul_f32 v29, v24, v23
	s_delay_alu instid0(VALU_DEP_1) | instskip(NEXT) | instid1(VALU_DEP_2)
	v_add_f32_e32 v18, v18, v32
	v_fma_f32 v24, v23, v24, -v29
	s_delay_alu instid0(VALU_DEP_1) | instskip(NEXT) | instid1(VALU_DEP_1)
	v_fmac_f32_e32 v24, v23, v22
	v_add_f32_e32 v22, v29, v24
	s_delay_alu instid0(VALU_DEP_1) | instskip(SKIP_1) | instid1(VALU_DEP_2)
	v_sub_f32_e32 v31, v21, v22
	v_sub_f32_e32 v29, v22, v29
	;; [unrolled: 1-line block ×3, first 2 shown]
	s_delay_alu instid0(VALU_DEP_1) | instskip(NEXT) | instid1(VALU_DEP_3)
	v_sub_f32_e32 v21, v21, v22
	v_sub_f32_e32 v22, v29, v24
	s_delay_alu instid0(VALU_DEP_2) | instskip(SKIP_1) | instid1(VALU_DEP_2)
	v_add_f32_e32 v18, v18, v21
	v_add_f32_e32 v21, v30, v23
	;; [unrolled: 1-line block ×3, first 2 shown]
	s_delay_alu instid0(VALU_DEP_2) | instskip(NEXT) | instid1(VALU_DEP_2)
	v_sub_f32_e32 v22, v21, v30
	v_add_f32_e32 v18, v31, v18
	s_delay_alu instid0(VALU_DEP_2) | instskip(NEXT) | instid1(VALU_DEP_2)
	v_sub_f32_e32 v22, v23, v22
	v_mul_f32_e32 v18, v20, v18
	s_delay_alu instid0(VALU_DEP_1) | instskip(NEXT) | instid1(VALU_DEP_1)
	v_add_f32_e32 v18, v22, v18
	v_add_f32_e32 v20, v21, v18
	s_delay_alu instid0(VALU_DEP_1) | instskip(SKIP_1) | instid1(VALU_DEP_1)
	v_mul_f32_e32 v22, v20, v20
	s_wait_alu 0xfffe
	v_fmaak_f32 v23, s18, v22, 0x3ecc95a3
	v_mul_f32_e32 v24, v20, v22
	v_cmp_neq_f32_e64 s18, 0x7f800000, v19
	s_delay_alu instid0(VALU_DEP_3) | instskip(SKIP_2) | instid1(VALU_DEP_3)
	v_fmaak_f32 v22, v22, v23, 0x3f2aaada
	v_ldexp_f32 v23, v20, 1
	v_sub_f32_e32 v20, v20, v21
	v_mul_f32_e32 v22, v24, v22
	v_mul_f32_e32 v24, 0x3f317218, v17
	s_delay_alu instid0(VALU_DEP_2) | instskip(NEXT) | instid1(VALU_DEP_1)
	v_dual_sub_f32 v18, v18, v20 :: v_dual_add_f32 v21, v23, v22
	v_ldexp_f32 v18, v18, 1
	s_delay_alu instid0(VALU_DEP_2) | instskip(NEXT) | instid1(VALU_DEP_4)
	v_sub_f32_e32 v20, v21, v23
	v_fma_f32 v23, 0x3f317218, v17, -v24
	s_delay_alu instid0(VALU_DEP_1) | instskip(NEXT) | instid1(VALU_DEP_1)
	v_dual_sub_f32 v20, v22, v20 :: v_dual_fmamk_f32 v17, v17, 0xb102e308, v23
	v_add_f32_e32 v18, v18, v20
	s_delay_alu instid0(VALU_DEP_2) | instskip(NEXT) | instid1(VALU_DEP_2)
	v_add_f32_e32 v20, v24, v17
	v_add_f32_e32 v22, v21, v18
	s_delay_alu instid0(VALU_DEP_2) | instskip(NEXT) | instid1(VALU_DEP_2)
	v_sub_f32_e32 v24, v20, v24
	v_add_f32_e32 v23, v20, v22
	v_sub_f32_e32 v21, v22, v21
	s_delay_alu instid0(VALU_DEP_3) | instskip(NEXT) | instid1(VALU_DEP_2)
	v_sub_f32_e32 v17, v17, v24
	v_dual_sub_f32 v29, v23, v20 :: v_dual_sub_f32 v18, v18, v21
	s_delay_alu instid0(VALU_DEP_1) | instskip(NEXT) | instid1(VALU_DEP_2)
	v_sub_f32_e32 v30, v23, v29
	v_dual_sub_f32 v21, v22, v29 :: v_dual_add_f32 v22, v17, v18
	s_delay_alu instid0(VALU_DEP_2) | instskip(NEXT) | instid1(VALU_DEP_1)
	v_sub_f32_e32 v20, v20, v30
	v_dual_add_f32 v20, v21, v20 :: v_dual_sub_f32 v21, v22, v17
	s_delay_alu instid0(VALU_DEP_1) | instskip(NEXT) | instid1(VALU_DEP_2)
	v_add_f32_e32 v20, v22, v20
	v_sub_f32_e32 v22, v22, v21
	v_sub_f32_e32 v18, v18, v21
	s_delay_alu instid0(VALU_DEP_2) | instskip(NEXT) | instid1(VALU_DEP_1)
	v_dual_add_f32 v24, v23, v20 :: v_dual_sub_f32 v17, v17, v22
	v_sub_f32_e32 v21, v24, v23
	s_delay_alu instid0(VALU_DEP_2) | instskip(NEXT) | instid1(VALU_DEP_2)
	v_add_f32_e32 v17, v18, v17
	v_sub_f32_e32 v18, v20, v21
	s_delay_alu instid0(VALU_DEP_1) | instskip(NEXT) | instid1(VALU_DEP_1)
	v_add_f32_e32 v17, v17, v18
	v_add_f32_e32 v17, v24, v17
	s_wait_alu 0xf1ff
	s_delay_alu instid0(VALU_DEP_1) | instskip(SKIP_2) | instid1(VALU_DEP_1)
	v_cndmask_b32_e64 v17, 0x7f800000, v17, s18
	v_cmp_gt_f32_e64 s18, 0x33800000, |v19|
	s_wait_alu 0xf1ff
	v_cndmask_b32_e64 v17, v17, v19, s18
	s_delay_alu instid0(VALU_DEP_1)
	v_add_f32_e32 v17, v14, v17
.LBB498_34:
	s_wait_alu 0xfffe
	s_or_b32 exec_lo, exec_lo, s19
	s_delay_alu instid0(VALU_DEP_1) | instskip(SKIP_1) | instid1(VALU_DEP_2)
	v_bfe_u32 v14, v17, 16, 1
	v_cmp_o_f32_e64 s18, v17, v17
	v_add3_u32 v14, v17, v14, 0x7fff
	s_delay_alu instid0(VALU_DEP_1) | instskip(SKIP_1) | instid1(VALU_DEP_1)
	v_and_b32_e32 v18, 0xffff0000, v14
	s_wait_alu 0xf1ff
	v_cndmask_b32_e64 v19, 0x7fc00000, v18, s18
	s_delay_alu instid0(VALU_DEP_1) | instskip(SKIP_1) | instid1(VALU_DEP_2)
	v_dual_max_num_f32 v17, v19, v19 :: v_dual_lshlrev_b32 v14, 16, v4
	v_cmp_u_f32_e64 s18, v19, v19
	v_max_num_f32_e32 v18, v14, v14
	s_delay_alu instid0(VALU_DEP_1) | instskip(SKIP_2) | instid1(VALU_DEP_2)
	v_min_num_f32_e32 v20, v17, v18
	v_max_num_f32_e32 v17, v17, v18
	s_wait_alu 0xf1ff
	v_cndmask_b32_e64 v20, v20, v19, s18
	s_delay_alu instid0(VALU_DEP_2) | instskip(SKIP_2) | instid1(VALU_DEP_1)
	v_cndmask_b32_e64 v17, v17, v19, s18
	v_cmp_u_f32_e64 s18, v14, v14
	s_wait_alu 0xf1ff
	v_cndmask_b32_e64 v20, v20, v14, s18
	s_delay_alu instid0(VALU_DEP_3) | instskip(NEXT) | instid1(VALU_DEP_2)
	v_cndmask_b32_e64 v17, v17, v14, s18
	v_cmp_class_f32_e64 s20, v20, 0x1f8
	s_delay_alu instid0(VALU_DEP_2)
	v_cmp_neq_f32_e64 s19, v20, v17
	s_or_b32 s19, s19, s20
	s_wait_alu 0xfffe
	s_and_saveexec_b32 s20, s19
	s_cbranch_execz .LBB498_36
; %bb.35:
	v_sub_f32_e32 v19, v20, v17
	s_delay_alu instid0(VALU_DEP_1) | instskip(SKIP_1) | instid1(VALU_DEP_2)
	v_mul_f32_e32 v20, 0x3fb8aa3b, v19
	v_cmp_ngt_f32_e64 s19, 0xc2ce8ed0, v19
	v_fma_f32 v21, 0x3fb8aa3b, v19, -v20
	v_rndne_f32_e32 v22, v20
	s_delay_alu instid0(VALU_DEP_1) | instskip(NEXT) | instid1(VALU_DEP_1)
	v_dual_fmamk_f32 v21, v19, 0x32a5705f, v21 :: v_dual_sub_f32 v20, v20, v22
	v_add_f32_e32 v20, v20, v21
	v_cvt_i32_f32_e32 v21, v22
	s_delay_alu instid0(VALU_DEP_2) | instskip(NEXT) | instid1(TRANS32_DEP_1)
	v_exp_f32_e32 v20, v20
	v_ldexp_f32 v20, v20, v21
	s_wait_alu 0xf1ff
	s_delay_alu instid0(VALU_DEP_1) | instskip(SKIP_2) | instid1(VALU_DEP_1)
	v_cndmask_b32_e64 v20, 0, v20, s19
	v_cmp_nlt_f32_e64 s19, 0x42b17218, v19
	s_wait_alu 0xf1ff
	v_cndmask_b32_e64 v21, 0x7f800000, v20, s19
	s_delay_alu instid0(VALU_DEP_1) | instskip(NEXT) | instid1(VALU_DEP_1)
	v_add_f32_e32 v22, 1.0, v21
	v_cvt_f64_f32_e32 v[19:20], v22
	s_delay_alu instid0(VALU_DEP_1) | instskip(SKIP_1) | instid1(VALU_DEP_1)
	v_frexp_exp_i32_f64_e32 v19, v[19:20]
	v_frexp_mant_f32_e32 v20, v22
	v_cmp_gt_f32_e64 s19, 0x3f2aaaab, v20
	v_add_f32_e32 v20, -1.0, v22
	s_delay_alu instid0(VALU_DEP_1)
	v_sub_f32_e32 v24, v20, v22
	v_sub_f32_e32 v20, v21, v20
	s_wait_alu 0xf1ff
	v_subrev_co_ci_u32_e64 v19, null, 0, v19, s19
	s_mov_b32 s19, 0x3e9b6dac
	v_sub_nc_u32_e32 v23, 0, v19
	v_cvt_f32_i32_e32 v19, v19
	s_delay_alu instid0(VALU_DEP_2) | instskip(NEXT) | instid1(VALU_DEP_1)
	v_ldexp_f32 v22, v22, v23
	v_dual_add_f32 v29, 1.0, v22 :: v_dual_add_f32 v24, 1.0, v24
	s_delay_alu instid0(VALU_DEP_1) | instskip(NEXT) | instid1(VALU_DEP_2)
	v_add_f32_e32 v20, v20, v24
	v_add_f32_e32 v24, -1.0, v29
	s_delay_alu instid0(VALU_DEP_2) | instskip(NEXT) | instid1(VALU_DEP_2)
	v_ldexp_f32 v20, v20, v23
	v_dual_add_f32 v23, -1.0, v22 :: v_dual_sub_f32 v24, v22, v24
	s_delay_alu instid0(VALU_DEP_1) | instskip(NEXT) | instid1(VALU_DEP_2)
	v_add_f32_e32 v30, 1.0, v23
	v_add_f32_e32 v24, v20, v24
	s_delay_alu instid0(VALU_DEP_2) | instskip(NEXT) | instid1(VALU_DEP_2)
	v_sub_f32_e32 v22, v22, v30
	v_add_f32_e32 v30, v29, v24
	s_delay_alu instid0(VALU_DEP_2) | instskip(NEXT) | instid1(VALU_DEP_2)
	v_add_f32_e32 v20, v20, v22
	v_rcp_f32_e32 v22, v30
	v_sub_f32_e32 v29, v29, v30
	s_delay_alu instid0(VALU_DEP_1) | instskip(NEXT) | instid1(VALU_DEP_1)
	v_dual_add_f32 v31, v23, v20 :: v_dual_add_f32 v24, v24, v29
	v_sub_f32_e32 v23, v23, v31
	s_delay_alu instid0(TRANS32_DEP_1) | instskip(NEXT) | instid1(VALU_DEP_1)
	v_mul_f32_e32 v32, v31, v22
	v_dual_add_f32 v20, v20, v23 :: v_dual_mul_f32 v33, v30, v32
	s_delay_alu instid0(VALU_DEP_1) | instskip(NEXT) | instid1(VALU_DEP_1)
	v_fma_f32 v29, v32, v30, -v33
	v_fmac_f32_e32 v29, v32, v24
	s_delay_alu instid0(VALU_DEP_1) | instskip(NEXT) | instid1(VALU_DEP_1)
	v_add_f32_e32 v34, v33, v29
	v_sub_f32_e32 v35, v31, v34
	v_sub_f32_e32 v23, v34, v33
	s_delay_alu instid0(VALU_DEP_2) | instskip(NEXT) | instid1(VALU_DEP_2)
	v_sub_f32_e32 v31, v31, v35
	v_sub_f32_e32 v23, v23, v29
	s_delay_alu instid0(VALU_DEP_2) | instskip(NEXT) | instid1(VALU_DEP_1)
	v_sub_f32_e32 v31, v31, v34
	v_add_f32_e32 v20, v20, v31
	s_delay_alu instid0(VALU_DEP_1) | instskip(NEXT) | instid1(VALU_DEP_1)
	v_add_f32_e32 v20, v23, v20
	v_add_f32_e32 v23, v35, v20
	s_delay_alu instid0(VALU_DEP_1) | instskip(NEXT) | instid1(VALU_DEP_1)
	v_mul_f32_e32 v29, v22, v23
	v_dual_sub_f32 v34, v35, v23 :: v_dual_mul_f32 v31, v30, v29
	s_delay_alu instid0(VALU_DEP_1) | instskip(NEXT) | instid1(VALU_DEP_2)
	v_add_f32_e32 v20, v20, v34
	v_fma_f32 v30, v29, v30, -v31
	s_delay_alu instid0(VALU_DEP_1) | instskip(NEXT) | instid1(VALU_DEP_1)
	v_fmac_f32_e32 v30, v29, v24
	v_add_f32_e32 v24, v31, v30
	s_delay_alu instid0(VALU_DEP_1) | instskip(SKIP_1) | instid1(VALU_DEP_2)
	v_sub_f32_e32 v33, v23, v24
	v_sub_f32_e32 v31, v24, v31
	;; [unrolled: 1-line block ×3, first 2 shown]
	s_delay_alu instid0(VALU_DEP_1) | instskip(NEXT) | instid1(VALU_DEP_3)
	v_sub_f32_e32 v23, v23, v24
	v_sub_f32_e32 v24, v31, v30
	s_delay_alu instid0(VALU_DEP_2) | instskip(SKIP_1) | instid1(VALU_DEP_2)
	v_add_f32_e32 v20, v20, v23
	v_add_f32_e32 v23, v32, v29
	;; [unrolled: 1-line block ×3, first 2 shown]
	s_delay_alu instid0(VALU_DEP_2) | instskip(NEXT) | instid1(VALU_DEP_2)
	v_sub_f32_e32 v24, v23, v32
	v_add_f32_e32 v20, v33, v20
	s_delay_alu instid0(VALU_DEP_2) | instskip(NEXT) | instid1(VALU_DEP_2)
	v_sub_f32_e32 v24, v29, v24
	v_mul_f32_e32 v20, v22, v20
	s_delay_alu instid0(VALU_DEP_1) | instskip(NEXT) | instid1(VALU_DEP_1)
	v_add_f32_e32 v20, v24, v20
	v_add_f32_e32 v22, v23, v20
	s_delay_alu instid0(VALU_DEP_1) | instskip(SKIP_1) | instid1(VALU_DEP_1)
	v_mul_f32_e32 v24, v22, v22
	s_wait_alu 0xfffe
	v_fmaak_f32 v29, s19, v24, 0x3ecc95a3
	v_mul_f32_e32 v30, v22, v24
	v_cmp_neq_f32_e64 s19, 0x7f800000, v21
	s_delay_alu instid0(VALU_DEP_3) | instskip(SKIP_2) | instid1(VALU_DEP_3)
	v_fmaak_f32 v24, v24, v29, 0x3f2aaada
	v_ldexp_f32 v29, v22, 1
	v_sub_f32_e32 v22, v22, v23
	v_mul_f32_e32 v24, v30, v24
	v_mul_f32_e32 v30, 0x3f317218, v19
	s_delay_alu instid0(VALU_DEP_2) | instskip(NEXT) | instid1(VALU_DEP_1)
	v_dual_sub_f32 v20, v20, v22 :: v_dual_add_f32 v23, v29, v24
	v_ldexp_f32 v20, v20, 1
	s_delay_alu instid0(VALU_DEP_2) | instskip(NEXT) | instid1(VALU_DEP_4)
	v_sub_f32_e32 v22, v23, v29
	v_fma_f32 v29, 0x3f317218, v19, -v30
	s_delay_alu instid0(VALU_DEP_1) | instskip(NEXT) | instid1(VALU_DEP_1)
	v_dual_sub_f32 v22, v24, v22 :: v_dual_fmamk_f32 v19, v19, 0xb102e308, v29
	v_add_f32_e32 v20, v20, v22
	s_delay_alu instid0(VALU_DEP_2) | instskip(NEXT) | instid1(VALU_DEP_2)
	v_add_f32_e32 v22, v30, v19
	v_add_f32_e32 v24, v23, v20
	s_delay_alu instid0(VALU_DEP_2) | instskip(NEXT) | instid1(VALU_DEP_2)
	v_sub_f32_e32 v30, v22, v30
	v_add_f32_e32 v29, v22, v24
	v_sub_f32_e32 v23, v24, v23
	s_delay_alu instid0(VALU_DEP_3) | instskip(NEXT) | instid1(VALU_DEP_2)
	v_sub_f32_e32 v19, v19, v30
	v_dual_sub_f32 v31, v29, v22 :: v_dual_sub_f32 v20, v20, v23
	s_delay_alu instid0(VALU_DEP_1) | instskip(NEXT) | instid1(VALU_DEP_2)
	v_sub_f32_e32 v32, v29, v31
	v_dual_sub_f32 v23, v24, v31 :: v_dual_add_f32 v24, v19, v20
	s_delay_alu instid0(VALU_DEP_2) | instskip(NEXT) | instid1(VALU_DEP_1)
	v_sub_f32_e32 v22, v22, v32
	v_dual_add_f32 v22, v23, v22 :: v_dual_sub_f32 v23, v24, v19
	s_delay_alu instid0(VALU_DEP_1) | instskip(NEXT) | instid1(VALU_DEP_2)
	v_add_f32_e32 v22, v24, v22
	v_sub_f32_e32 v24, v24, v23
	v_sub_f32_e32 v20, v20, v23
	s_delay_alu instid0(VALU_DEP_2) | instskip(NEXT) | instid1(VALU_DEP_1)
	v_dual_add_f32 v30, v29, v22 :: v_dual_sub_f32 v19, v19, v24
	v_sub_f32_e32 v23, v30, v29
	s_delay_alu instid0(VALU_DEP_2) | instskip(NEXT) | instid1(VALU_DEP_2)
	v_add_f32_e32 v19, v20, v19
	v_sub_f32_e32 v20, v22, v23
	s_delay_alu instid0(VALU_DEP_1) | instskip(NEXT) | instid1(VALU_DEP_1)
	v_add_f32_e32 v19, v19, v20
	v_add_f32_e32 v19, v30, v19
	s_wait_alu 0xf1ff
	s_delay_alu instid0(VALU_DEP_1) | instskip(SKIP_2) | instid1(VALU_DEP_1)
	v_cndmask_b32_e64 v19, 0x7f800000, v19, s19
	v_cmp_gt_f32_e64 s19, 0x33800000, |v21|
	s_wait_alu 0xf1ff
	v_cndmask_b32_e64 v19, v19, v21, s19
	s_delay_alu instid0(VALU_DEP_1)
	v_add_f32_e32 v19, v17, v19
.LBB498_36:
	s_or_b32 exec_lo, exec_lo, s20
	s_delay_alu instid0(VALU_DEP_1) | instskip(SKIP_1) | instid1(VALU_DEP_2)
	v_bfe_u32 v17, v19, 16, 1
	v_cmp_o_f32_e64 s19, v19, v19
	v_add3_u32 v17, v19, v17, 0x7fff
	s_delay_alu instid0(VALU_DEP_1) | instskip(SKIP_1) | instid1(VALU_DEP_1)
	v_and_b32_e32 v17, 0xffff0000, v17
	s_wait_alu 0xf1ff
	v_cndmask_b32_e64 v20, 0x7fc00000, v17, s19
	s_delay_alu instid0(VALU_DEP_1) | instskip(SKIP_2) | instid1(VALU_DEP_2)
	v_max_num_f32_e32 v17, v20, v20
	v_and_b32_e32 v4, 0xffff0000, v4
	v_cmp_u_f32_e64 s19, v20, v20
	v_max_num_f32_e32 v19, v4, v4
	s_delay_alu instid0(VALU_DEP_1) | instskip(SKIP_2) | instid1(VALU_DEP_2)
	v_min_num_f32_e32 v21, v17, v19
	v_max_num_f32_e32 v17, v17, v19
	s_wait_alu 0xf1ff
	v_cndmask_b32_e64 v21, v21, v20, s19
	s_delay_alu instid0(VALU_DEP_2) | instskip(SKIP_2) | instid1(VALU_DEP_1)
	v_cndmask_b32_e64 v17, v17, v20, s19
	v_cmp_u_f32_e64 s19, v4, v4
	s_wait_alu 0xf1ff
	v_cndmask_b32_e64 v21, v21, v4, s19
	s_delay_alu instid0(VALU_DEP_3) | instskip(NEXT) | instid1(VALU_DEP_2)
	v_cndmask_b32_e64 v17, v17, v4, s19
	v_cmp_class_f32_e64 s21, v21, 0x1f8
	s_delay_alu instid0(VALU_DEP_2) | instskip(SKIP_1) | instid1(SALU_CYCLE_1)
	v_cmp_neq_f32_e64 s20, v21, v17
	s_or_b32 s20, s20, s21
	s_and_saveexec_b32 s21, s20
	s_cbranch_execz .LBB498_38
; %bb.37:
	v_sub_f32_e32 v20, v21, v17
	s_delay_alu instid0(VALU_DEP_1) | instskip(SKIP_1) | instid1(VALU_DEP_2)
	v_mul_f32_e32 v21, 0x3fb8aa3b, v20
	v_cmp_ngt_f32_e64 s20, 0xc2ce8ed0, v20
	v_fma_f32 v22, 0x3fb8aa3b, v20, -v21
	v_rndne_f32_e32 v23, v21
	s_delay_alu instid0(VALU_DEP_1) | instskip(NEXT) | instid1(VALU_DEP_1)
	v_dual_fmamk_f32 v22, v20, 0x32a5705f, v22 :: v_dual_sub_f32 v21, v21, v23
	v_add_f32_e32 v21, v21, v22
	v_cvt_i32_f32_e32 v22, v23
	s_delay_alu instid0(VALU_DEP_2) | instskip(NEXT) | instid1(TRANS32_DEP_1)
	v_exp_f32_e32 v21, v21
	v_ldexp_f32 v21, v21, v22
	s_delay_alu instid0(VALU_DEP_1) | instskip(SKIP_2) | instid1(VALU_DEP_1)
	v_cndmask_b32_e64 v21, 0, v21, s20
	v_cmp_nlt_f32_e64 s20, 0x42b17218, v20
	s_wait_alu 0xf1ff
	v_cndmask_b32_e64 v22, 0x7f800000, v21, s20
	s_delay_alu instid0(VALU_DEP_1) | instskip(NEXT) | instid1(VALU_DEP_1)
	v_add_f32_e32 v23, 1.0, v22
	v_cvt_f64_f32_e32 v[20:21], v23
	s_delay_alu instid0(VALU_DEP_1) | instskip(SKIP_1) | instid1(VALU_DEP_1)
	v_frexp_exp_i32_f64_e32 v20, v[20:21]
	v_frexp_mant_f32_e32 v21, v23
	v_cmp_gt_f32_e64 s20, 0x3f2aaaab, v21
	v_add_f32_e32 v21, -1.0, v23
	s_delay_alu instid0(VALU_DEP_1)
	v_sub_f32_e32 v29, v21, v23
	v_sub_f32_e32 v21, v22, v21
	s_wait_alu 0xf1ff
	v_subrev_co_ci_u32_e64 v20, null, 0, v20, s20
	s_mov_b32 s20, 0x3e9b6dac
	v_sub_nc_u32_e32 v24, 0, v20
	v_cvt_f32_i32_e32 v20, v20
	s_delay_alu instid0(VALU_DEP_2) | instskip(NEXT) | instid1(VALU_DEP_1)
	v_ldexp_f32 v23, v23, v24
	v_dual_add_f32 v30, 1.0, v23 :: v_dual_add_f32 v29, 1.0, v29
	s_delay_alu instid0(VALU_DEP_1) | instskip(NEXT) | instid1(VALU_DEP_2)
	v_add_f32_e32 v21, v21, v29
	v_add_f32_e32 v29, -1.0, v30
	s_delay_alu instid0(VALU_DEP_2) | instskip(NEXT) | instid1(VALU_DEP_2)
	v_ldexp_f32 v21, v21, v24
	v_dual_add_f32 v24, -1.0, v23 :: v_dual_sub_f32 v29, v23, v29
	s_delay_alu instid0(VALU_DEP_1) | instskip(NEXT) | instid1(VALU_DEP_2)
	v_add_f32_e32 v31, 1.0, v24
	v_add_f32_e32 v29, v21, v29
	s_delay_alu instid0(VALU_DEP_2) | instskip(NEXT) | instid1(VALU_DEP_2)
	v_sub_f32_e32 v23, v23, v31
	v_add_f32_e32 v31, v30, v29
	s_delay_alu instid0(VALU_DEP_2) | instskip(NEXT) | instid1(VALU_DEP_2)
	v_add_f32_e32 v21, v21, v23
	v_rcp_f32_e32 v23, v31
	v_sub_f32_e32 v30, v30, v31
	s_delay_alu instid0(VALU_DEP_1) | instskip(NEXT) | instid1(VALU_DEP_1)
	v_dual_add_f32 v32, v24, v21 :: v_dual_add_f32 v29, v29, v30
	v_sub_f32_e32 v24, v24, v32
	s_delay_alu instid0(TRANS32_DEP_1) | instskip(NEXT) | instid1(VALU_DEP_1)
	v_mul_f32_e32 v33, v32, v23
	v_dual_add_f32 v21, v21, v24 :: v_dual_mul_f32 v34, v31, v33
	s_delay_alu instid0(VALU_DEP_1) | instskip(NEXT) | instid1(VALU_DEP_1)
	v_fma_f32 v30, v33, v31, -v34
	v_fmac_f32_e32 v30, v33, v29
	s_delay_alu instid0(VALU_DEP_1) | instskip(NEXT) | instid1(VALU_DEP_1)
	v_add_f32_e32 v35, v34, v30
	v_sub_f32_e32 v36, v32, v35
	v_sub_f32_e32 v24, v35, v34
	s_delay_alu instid0(VALU_DEP_2) | instskip(NEXT) | instid1(VALU_DEP_2)
	v_sub_f32_e32 v32, v32, v36
	v_sub_f32_e32 v24, v24, v30
	s_delay_alu instid0(VALU_DEP_2) | instskip(NEXT) | instid1(VALU_DEP_1)
	v_sub_f32_e32 v32, v32, v35
	v_add_f32_e32 v21, v21, v32
	s_delay_alu instid0(VALU_DEP_1) | instskip(NEXT) | instid1(VALU_DEP_1)
	v_add_f32_e32 v21, v24, v21
	v_add_f32_e32 v24, v36, v21
	s_delay_alu instid0(VALU_DEP_1) | instskip(NEXT) | instid1(VALU_DEP_1)
	v_mul_f32_e32 v30, v23, v24
	v_dual_sub_f32 v35, v36, v24 :: v_dual_mul_f32 v32, v31, v30
	s_delay_alu instid0(VALU_DEP_1) | instskip(NEXT) | instid1(VALU_DEP_2)
	v_add_f32_e32 v21, v21, v35
	v_fma_f32 v31, v30, v31, -v32
	s_delay_alu instid0(VALU_DEP_1) | instskip(NEXT) | instid1(VALU_DEP_1)
	v_fmac_f32_e32 v31, v30, v29
	v_add_f32_e32 v29, v32, v31
	s_delay_alu instid0(VALU_DEP_1) | instskip(SKIP_1) | instid1(VALU_DEP_2)
	v_sub_f32_e32 v34, v24, v29
	v_sub_f32_e32 v32, v29, v32
	;; [unrolled: 1-line block ×3, first 2 shown]
	s_delay_alu instid0(VALU_DEP_1) | instskip(NEXT) | instid1(VALU_DEP_3)
	v_sub_f32_e32 v24, v24, v29
	v_sub_f32_e32 v29, v32, v31
	s_delay_alu instid0(VALU_DEP_2) | instskip(SKIP_1) | instid1(VALU_DEP_2)
	v_add_f32_e32 v21, v21, v24
	v_add_f32_e32 v24, v33, v30
	;; [unrolled: 1-line block ×3, first 2 shown]
	s_delay_alu instid0(VALU_DEP_2) | instskip(NEXT) | instid1(VALU_DEP_2)
	v_sub_f32_e32 v29, v24, v33
	v_add_f32_e32 v21, v34, v21
	s_delay_alu instid0(VALU_DEP_2) | instskip(NEXT) | instid1(VALU_DEP_2)
	v_sub_f32_e32 v29, v30, v29
	v_mul_f32_e32 v21, v23, v21
	s_delay_alu instid0(VALU_DEP_1) | instskip(NEXT) | instid1(VALU_DEP_1)
	v_add_f32_e32 v21, v29, v21
	v_add_f32_e32 v23, v24, v21
	s_delay_alu instid0(VALU_DEP_1) | instskip(SKIP_1) | instid1(VALU_DEP_1)
	v_mul_f32_e32 v29, v23, v23
	s_wait_alu 0xfffe
	v_fmaak_f32 v30, s20, v29, 0x3ecc95a3
	v_mul_f32_e32 v31, v23, v29
	v_cmp_neq_f32_e64 s20, 0x7f800000, v22
	s_delay_alu instid0(VALU_DEP_3) | instskip(SKIP_2) | instid1(VALU_DEP_3)
	v_fmaak_f32 v29, v29, v30, 0x3f2aaada
	v_ldexp_f32 v30, v23, 1
	v_sub_f32_e32 v23, v23, v24
	v_mul_f32_e32 v29, v31, v29
	v_mul_f32_e32 v31, 0x3f317218, v20
	s_delay_alu instid0(VALU_DEP_2) | instskip(NEXT) | instid1(VALU_DEP_1)
	v_dual_sub_f32 v21, v21, v23 :: v_dual_add_f32 v24, v30, v29
	v_ldexp_f32 v21, v21, 1
	s_delay_alu instid0(VALU_DEP_2) | instskip(NEXT) | instid1(VALU_DEP_4)
	v_sub_f32_e32 v23, v24, v30
	v_fma_f32 v30, 0x3f317218, v20, -v31
	s_delay_alu instid0(VALU_DEP_1) | instskip(NEXT) | instid1(VALU_DEP_1)
	v_dual_sub_f32 v23, v29, v23 :: v_dual_fmamk_f32 v20, v20, 0xb102e308, v30
	v_add_f32_e32 v21, v21, v23
	s_delay_alu instid0(VALU_DEP_2) | instskip(NEXT) | instid1(VALU_DEP_2)
	v_add_f32_e32 v23, v31, v20
	v_add_f32_e32 v29, v24, v21
	s_delay_alu instid0(VALU_DEP_2) | instskip(NEXT) | instid1(VALU_DEP_2)
	v_sub_f32_e32 v31, v23, v31
	v_add_f32_e32 v30, v23, v29
	v_sub_f32_e32 v24, v29, v24
	s_delay_alu instid0(VALU_DEP_3) | instskip(NEXT) | instid1(VALU_DEP_2)
	v_sub_f32_e32 v20, v20, v31
	v_dual_sub_f32 v32, v30, v23 :: v_dual_sub_f32 v21, v21, v24
	s_delay_alu instid0(VALU_DEP_1) | instskip(NEXT) | instid1(VALU_DEP_2)
	v_sub_f32_e32 v33, v30, v32
	v_dual_sub_f32 v24, v29, v32 :: v_dual_add_f32 v29, v20, v21
	s_delay_alu instid0(VALU_DEP_2) | instskip(NEXT) | instid1(VALU_DEP_1)
	v_sub_f32_e32 v23, v23, v33
	v_dual_add_f32 v23, v24, v23 :: v_dual_sub_f32 v24, v29, v20
	s_delay_alu instid0(VALU_DEP_1) | instskip(NEXT) | instid1(VALU_DEP_2)
	v_add_f32_e32 v23, v29, v23
	v_sub_f32_e32 v29, v29, v24
	v_sub_f32_e32 v21, v21, v24
	s_delay_alu instid0(VALU_DEP_2) | instskip(NEXT) | instid1(VALU_DEP_1)
	v_dual_add_f32 v31, v30, v23 :: v_dual_sub_f32 v20, v20, v29
	v_sub_f32_e32 v24, v31, v30
	s_delay_alu instid0(VALU_DEP_2) | instskip(NEXT) | instid1(VALU_DEP_2)
	v_add_f32_e32 v20, v21, v20
	v_sub_f32_e32 v21, v23, v24
	s_delay_alu instid0(VALU_DEP_1) | instskip(NEXT) | instid1(VALU_DEP_1)
	v_add_f32_e32 v20, v20, v21
	v_add_f32_e32 v20, v31, v20
	s_wait_alu 0xf1ff
	s_delay_alu instid0(VALU_DEP_1) | instskip(SKIP_2) | instid1(VALU_DEP_1)
	v_cndmask_b32_e64 v20, 0x7f800000, v20, s20
	v_cmp_gt_f32_e64 s20, 0x33800000, |v22|
	s_wait_alu 0xf1ff
	v_cndmask_b32_e64 v20, v20, v22, s20
	s_delay_alu instid0(VALU_DEP_1)
	v_add_f32_e32 v20, v17, v20
.LBB498_38:
	s_or_b32 exec_lo, exec_lo, s21
	s_delay_alu instid0(VALU_DEP_1) | instskip(SKIP_1) | instid1(VALU_DEP_2)
	v_bfe_u32 v17, v20, 16, 1
	v_cmp_o_f32_e64 s20, v20, v20
	v_add3_u32 v17, v20, v17, 0x7fff
	s_delay_alu instid0(VALU_DEP_1) | instskip(SKIP_2) | instid1(VALU_DEP_2)
	v_and_b32_e32 v21, 0xffff0000, v17
	v_lshlrev_b32_e32 v17, 16, v5
	s_wait_alu 0xf1ff
	v_cndmask_b32_e64 v22, 0x7fc00000, v21, s20
	s_delay_alu instid0(VALU_DEP_1) | instskip(SKIP_1) | instid1(VALU_DEP_2)
	v_dual_max_num_f32 v21, v17, v17 :: v_dual_max_num_f32 v20, v22, v22
	v_cmp_u_f32_e64 s20, v22, v22
	v_min_num_f32_e32 v23, v20, v21
	v_max_num_f32_e32 v20, v20, v21
	s_wait_alu 0xf1ff
	s_delay_alu instid0(VALU_DEP_2) | instskip(NEXT) | instid1(VALU_DEP_2)
	v_cndmask_b32_e64 v23, v23, v22, s20
	v_cndmask_b32_e64 v20, v20, v22, s20
	v_cmp_u_f32_e64 s20, v17, v17
	s_wait_alu 0xf1ff
	s_delay_alu instid0(VALU_DEP_1) | instskip(NEXT) | instid1(VALU_DEP_3)
	v_cndmask_b32_e64 v23, v23, v17, s20
	v_cndmask_b32_e64 v20, v20, v17, s20
	s_delay_alu instid0(VALU_DEP_2) | instskip(NEXT) | instid1(VALU_DEP_2)
	v_cmp_class_f32_e64 s22, v23, 0x1f8
	v_cmp_neq_f32_e64 s21, v23, v20
	s_or_b32 s21, s21, s22
	s_wait_alu 0xfffe
	s_and_saveexec_b32 s22, s21
	s_cbranch_execz .LBB498_40
; %bb.39:
	v_sub_f32_e32 v22, v23, v20
	s_delay_alu instid0(VALU_DEP_1) | instskip(SKIP_1) | instid1(VALU_DEP_2)
	v_mul_f32_e32 v23, 0x3fb8aa3b, v22
	v_cmp_ngt_f32_e64 s21, 0xc2ce8ed0, v22
	v_fma_f32 v24, 0x3fb8aa3b, v22, -v23
	v_rndne_f32_e32 v29, v23
	s_delay_alu instid0(VALU_DEP_1) | instskip(NEXT) | instid1(VALU_DEP_1)
	v_dual_fmamk_f32 v24, v22, 0x32a5705f, v24 :: v_dual_sub_f32 v23, v23, v29
	v_add_f32_e32 v23, v23, v24
	v_cvt_i32_f32_e32 v24, v29
	s_delay_alu instid0(VALU_DEP_2) | instskip(NEXT) | instid1(TRANS32_DEP_1)
	v_exp_f32_e32 v23, v23
	v_ldexp_f32 v23, v23, v24
	s_wait_alu 0xf1ff
	s_delay_alu instid0(VALU_DEP_1) | instskip(SKIP_2) | instid1(VALU_DEP_1)
	v_cndmask_b32_e64 v23, 0, v23, s21
	v_cmp_nlt_f32_e64 s21, 0x42b17218, v22
	s_wait_alu 0xf1ff
	v_cndmask_b32_e64 v24, 0x7f800000, v23, s21
	s_delay_alu instid0(VALU_DEP_1) | instskip(NEXT) | instid1(VALU_DEP_1)
	v_add_f32_e32 v29, 1.0, v24
	v_cvt_f64_f32_e32 v[22:23], v29
	s_delay_alu instid0(VALU_DEP_1) | instskip(SKIP_1) | instid1(VALU_DEP_1)
	v_frexp_exp_i32_f64_e32 v22, v[22:23]
	v_frexp_mant_f32_e32 v23, v29
	v_cmp_gt_f32_e64 s21, 0x3f2aaaab, v23
	v_add_f32_e32 v23, -1.0, v29
	s_delay_alu instid0(VALU_DEP_1)
	v_sub_f32_e32 v31, v23, v29
	v_sub_f32_e32 v23, v24, v23
	s_wait_alu 0xf1ff
	v_subrev_co_ci_u32_e64 v22, null, 0, v22, s21
	s_mov_b32 s21, 0x3e9b6dac
	v_sub_nc_u32_e32 v30, 0, v22
	v_cvt_f32_i32_e32 v22, v22
	s_delay_alu instid0(VALU_DEP_2) | instskip(NEXT) | instid1(VALU_DEP_1)
	v_ldexp_f32 v29, v29, v30
	v_dual_add_f32 v32, 1.0, v29 :: v_dual_add_f32 v31, 1.0, v31
	s_delay_alu instid0(VALU_DEP_1) | instskip(NEXT) | instid1(VALU_DEP_2)
	v_add_f32_e32 v23, v23, v31
	v_add_f32_e32 v31, -1.0, v32
	s_delay_alu instid0(VALU_DEP_2) | instskip(NEXT) | instid1(VALU_DEP_2)
	v_ldexp_f32 v23, v23, v30
	v_dual_add_f32 v30, -1.0, v29 :: v_dual_sub_f32 v31, v29, v31
	s_delay_alu instid0(VALU_DEP_1) | instskip(NEXT) | instid1(VALU_DEP_2)
	v_add_f32_e32 v33, 1.0, v30
	v_add_f32_e32 v31, v23, v31
	s_delay_alu instid0(VALU_DEP_2) | instskip(NEXT) | instid1(VALU_DEP_2)
	v_sub_f32_e32 v29, v29, v33
	v_add_f32_e32 v33, v32, v31
	s_delay_alu instid0(VALU_DEP_2) | instskip(NEXT) | instid1(VALU_DEP_2)
	v_add_f32_e32 v23, v23, v29
	v_rcp_f32_e32 v29, v33
	v_sub_f32_e32 v32, v32, v33
	s_delay_alu instid0(VALU_DEP_1) | instskip(NEXT) | instid1(VALU_DEP_1)
	v_dual_add_f32 v34, v30, v23 :: v_dual_add_f32 v31, v31, v32
	v_sub_f32_e32 v30, v30, v34
	s_delay_alu instid0(TRANS32_DEP_1) | instskip(NEXT) | instid1(VALU_DEP_1)
	v_mul_f32_e32 v35, v34, v29
	v_dual_add_f32 v23, v23, v30 :: v_dual_mul_f32 v36, v33, v35
	s_delay_alu instid0(VALU_DEP_1) | instskip(NEXT) | instid1(VALU_DEP_1)
	v_fma_f32 v32, v35, v33, -v36
	v_fmac_f32_e32 v32, v35, v31
	s_delay_alu instid0(VALU_DEP_1) | instskip(NEXT) | instid1(VALU_DEP_1)
	v_add_f32_e32 v37, v36, v32
	v_sub_f32_e32 v38, v34, v37
	v_sub_f32_e32 v30, v37, v36
	s_delay_alu instid0(VALU_DEP_2) | instskip(NEXT) | instid1(VALU_DEP_2)
	v_sub_f32_e32 v34, v34, v38
	v_sub_f32_e32 v30, v30, v32
	s_delay_alu instid0(VALU_DEP_2) | instskip(NEXT) | instid1(VALU_DEP_1)
	v_sub_f32_e32 v34, v34, v37
	v_add_f32_e32 v23, v23, v34
	s_delay_alu instid0(VALU_DEP_1) | instskip(NEXT) | instid1(VALU_DEP_1)
	v_add_f32_e32 v23, v30, v23
	v_add_f32_e32 v30, v38, v23
	s_delay_alu instid0(VALU_DEP_1) | instskip(NEXT) | instid1(VALU_DEP_1)
	v_mul_f32_e32 v32, v29, v30
	v_dual_sub_f32 v37, v38, v30 :: v_dual_mul_f32 v34, v33, v32
	s_delay_alu instid0(VALU_DEP_1) | instskip(NEXT) | instid1(VALU_DEP_2)
	v_add_f32_e32 v23, v23, v37
	v_fma_f32 v33, v32, v33, -v34
	s_delay_alu instid0(VALU_DEP_1) | instskip(NEXT) | instid1(VALU_DEP_1)
	v_fmac_f32_e32 v33, v32, v31
	v_add_f32_e32 v31, v34, v33
	s_delay_alu instid0(VALU_DEP_1) | instskip(SKIP_1) | instid1(VALU_DEP_2)
	v_sub_f32_e32 v36, v30, v31
	v_sub_f32_e32 v34, v31, v34
	;; [unrolled: 1-line block ×3, first 2 shown]
	s_delay_alu instid0(VALU_DEP_1) | instskip(NEXT) | instid1(VALU_DEP_3)
	v_sub_f32_e32 v30, v30, v31
	v_sub_f32_e32 v31, v34, v33
	s_delay_alu instid0(VALU_DEP_2) | instskip(SKIP_1) | instid1(VALU_DEP_2)
	v_add_f32_e32 v23, v23, v30
	v_add_f32_e32 v30, v35, v32
	;; [unrolled: 1-line block ×3, first 2 shown]
	s_delay_alu instid0(VALU_DEP_2) | instskip(NEXT) | instid1(VALU_DEP_2)
	v_sub_f32_e32 v31, v30, v35
	v_add_f32_e32 v23, v36, v23
	s_delay_alu instid0(VALU_DEP_2) | instskip(NEXT) | instid1(VALU_DEP_2)
	v_sub_f32_e32 v31, v32, v31
	v_mul_f32_e32 v23, v29, v23
	s_delay_alu instid0(VALU_DEP_1) | instskip(NEXT) | instid1(VALU_DEP_1)
	v_add_f32_e32 v23, v31, v23
	v_add_f32_e32 v29, v30, v23
	s_delay_alu instid0(VALU_DEP_1) | instskip(SKIP_1) | instid1(VALU_DEP_1)
	v_mul_f32_e32 v31, v29, v29
	s_wait_alu 0xfffe
	v_fmaak_f32 v32, s21, v31, 0x3ecc95a3
	v_mul_f32_e32 v33, v29, v31
	v_cmp_neq_f32_e64 s21, 0x7f800000, v24
	s_delay_alu instid0(VALU_DEP_3) | instskip(SKIP_2) | instid1(VALU_DEP_3)
	v_fmaak_f32 v31, v31, v32, 0x3f2aaada
	v_ldexp_f32 v32, v29, 1
	v_sub_f32_e32 v29, v29, v30
	v_mul_f32_e32 v31, v33, v31
	v_mul_f32_e32 v33, 0x3f317218, v22
	s_delay_alu instid0(VALU_DEP_2) | instskip(NEXT) | instid1(VALU_DEP_1)
	v_dual_sub_f32 v23, v23, v29 :: v_dual_add_f32 v30, v32, v31
	v_ldexp_f32 v23, v23, 1
	s_delay_alu instid0(VALU_DEP_2) | instskip(NEXT) | instid1(VALU_DEP_4)
	v_sub_f32_e32 v29, v30, v32
	v_fma_f32 v32, 0x3f317218, v22, -v33
	s_delay_alu instid0(VALU_DEP_1) | instskip(NEXT) | instid1(VALU_DEP_1)
	v_dual_sub_f32 v29, v31, v29 :: v_dual_fmamk_f32 v22, v22, 0xb102e308, v32
	v_add_f32_e32 v23, v23, v29
	s_delay_alu instid0(VALU_DEP_2) | instskip(NEXT) | instid1(VALU_DEP_2)
	v_add_f32_e32 v29, v33, v22
	v_add_f32_e32 v31, v30, v23
	s_delay_alu instid0(VALU_DEP_2) | instskip(NEXT) | instid1(VALU_DEP_2)
	v_sub_f32_e32 v33, v29, v33
	v_add_f32_e32 v32, v29, v31
	v_sub_f32_e32 v30, v31, v30
	s_delay_alu instid0(VALU_DEP_3) | instskip(NEXT) | instid1(VALU_DEP_2)
	v_sub_f32_e32 v22, v22, v33
	v_dual_sub_f32 v34, v32, v29 :: v_dual_sub_f32 v23, v23, v30
	s_delay_alu instid0(VALU_DEP_1) | instskip(NEXT) | instid1(VALU_DEP_2)
	v_sub_f32_e32 v35, v32, v34
	v_dual_sub_f32 v30, v31, v34 :: v_dual_add_f32 v31, v22, v23
	s_delay_alu instid0(VALU_DEP_2) | instskip(NEXT) | instid1(VALU_DEP_1)
	v_sub_f32_e32 v29, v29, v35
	v_dual_add_f32 v29, v30, v29 :: v_dual_sub_f32 v30, v31, v22
	s_delay_alu instid0(VALU_DEP_1) | instskip(NEXT) | instid1(VALU_DEP_2)
	v_add_f32_e32 v29, v31, v29
	v_sub_f32_e32 v31, v31, v30
	v_sub_f32_e32 v23, v23, v30
	s_delay_alu instid0(VALU_DEP_2) | instskip(NEXT) | instid1(VALU_DEP_1)
	v_dual_add_f32 v33, v32, v29 :: v_dual_sub_f32 v22, v22, v31
	v_sub_f32_e32 v30, v33, v32
	s_delay_alu instid0(VALU_DEP_2) | instskip(NEXT) | instid1(VALU_DEP_2)
	v_add_f32_e32 v22, v23, v22
	v_sub_f32_e32 v23, v29, v30
	s_delay_alu instid0(VALU_DEP_1) | instskip(NEXT) | instid1(VALU_DEP_1)
	v_add_f32_e32 v22, v22, v23
	v_add_f32_e32 v22, v33, v22
	s_wait_alu 0xf1ff
	s_delay_alu instid0(VALU_DEP_1) | instskip(SKIP_2) | instid1(VALU_DEP_1)
	v_cndmask_b32_e64 v22, 0x7f800000, v22, s21
	v_cmp_gt_f32_e64 s21, 0x33800000, |v24|
	s_wait_alu 0xf1ff
	v_cndmask_b32_e64 v22, v22, v24, s21
	s_delay_alu instid0(VALU_DEP_1)
	v_add_f32_e32 v22, v20, v22
.LBB498_40:
	s_or_b32 exec_lo, exec_lo, s22
	s_delay_alu instid0(VALU_DEP_1) | instskip(SKIP_1) | instid1(VALU_DEP_2)
	v_bfe_u32 v20, v22, 16, 1
	v_cmp_o_f32_e64 s21, v22, v22
	v_add3_u32 v20, v22, v20, 0x7fff
	s_delay_alu instid0(VALU_DEP_1) | instskip(SKIP_1) | instid1(VALU_DEP_1)
	v_and_b32_e32 v20, 0xffff0000, v20
	s_wait_alu 0xf1ff
	v_cndmask_b32_e64 v23, 0x7fc00000, v20, s21
	s_delay_alu instid0(VALU_DEP_1) | instskip(NEXT) | instid1(VALU_DEP_1)
	v_dual_max_num_f32 v20, v23, v23 :: v_dual_and_b32 v5, 0xffff0000, v5
	v_max_num_f32_e32 v22, v5, v5
	v_cmp_u_f32_e64 s21, v23, v23
	s_delay_alu instid0(VALU_DEP_2) | instskip(SKIP_2) | instid1(VALU_DEP_2)
	v_min_num_f32_e32 v24, v20, v22
	v_max_num_f32_e32 v20, v20, v22
	s_wait_alu 0xf1ff
	v_cndmask_b32_e64 v24, v24, v23, s21
	s_delay_alu instid0(VALU_DEP_2) | instskip(SKIP_2) | instid1(VALU_DEP_1)
	v_cndmask_b32_e64 v20, v20, v23, s21
	v_cmp_u_f32_e64 s21, v5, v5
	s_wait_alu 0xf1ff
	v_cndmask_b32_e64 v24, v24, v5, s21
	s_delay_alu instid0(VALU_DEP_3) | instskip(NEXT) | instid1(VALU_DEP_2)
	v_cndmask_b32_e64 v20, v20, v5, s21
	v_cmp_class_f32_e64 s23, v24, 0x1f8
	s_delay_alu instid0(VALU_DEP_2) | instskip(SKIP_1) | instid1(SALU_CYCLE_1)
	v_cmp_neq_f32_e64 s22, v24, v20
	s_or_b32 s22, s22, s23
	s_and_saveexec_b32 s23, s22
	s_cbranch_execz .LBB498_42
; %bb.41:
	v_sub_f32_e32 v23, v24, v20
	s_delay_alu instid0(VALU_DEP_1) | instskip(SKIP_1) | instid1(VALU_DEP_2)
	v_mul_f32_e32 v24, 0x3fb8aa3b, v23
	v_cmp_ngt_f32_e64 s22, 0xc2ce8ed0, v23
	v_fma_f32 v29, 0x3fb8aa3b, v23, -v24
	v_rndne_f32_e32 v30, v24
	s_delay_alu instid0(VALU_DEP_1) | instskip(NEXT) | instid1(VALU_DEP_1)
	v_dual_fmamk_f32 v29, v23, 0x32a5705f, v29 :: v_dual_sub_f32 v24, v24, v30
	v_add_f32_e32 v24, v24, v29
	v_cvt_i32_f32_e32 v29, v30
	s_delay_alu instid0(VALU_DEP_2) | instskip(NEXT) | instid1(TRANS32_DEP_1)
	v_exp_f32_e32 v24, v24
	v_ldexp_f32 v24, v24, v29
	s_delay_alu instid0(VALU_DEP_1) | instskip(SKIP_2) | instid1(VALU_DEP_1)
	v_cndmask_b32_e64 v24, 0, v24, s22
	v_cmp_nlt_f32_e64 s22, 0x42b17218, v23
	s_wait_alu 0xf1ff
	v_cndmask_b32_e64 v29, 0x7f800000, v24, s22
	s_delay_alu instid0(VALU_DEP_1) | instskip(NEXT) | instid1(VALU_DEP_1)
	v_add_f32_e32 v30, 1.0, v29
	v_cvt_f64_f32_e32 v[23:24], v30
	s_delay_alu instid0(VALU_DEP_1) | instskip(SKIP_1) | instid1(VALU_DEP_1)
	v_frexp_exp_i32_f64_e32 v23, v[23:24]
	v_frexp_mant_f32_e32 v24, v30
	v_cmp_gt_f32_e64 s22, 0x3f2aaaab, v24
	v_add_f32_e32 v24, -1.0, v30
	s_delay_alu instid0(VALU_DEP_1)
	v_sub_f32_e32 v32, v24, v30
	v_sub_f32_e32 v24, v29, v24
	s_wait_alu 0xf1ff
	v_subrev_co_ci_u32_e64 v23, null, 0, v23, s22
	s_mov_b32 s22, 0x3e9b6dac
	v_sub_nc_u32_e32 v31, 0, v23
	v_cvt_f32_i32_e32 v23, v23
	s_delay_alu instid0(VALU_DEP_2) | instskip(NEXT) | instid1(VALU_DEP_1)
	v_ldexp_f32 v30, v30, v31
	v_dual_add_f32 v33, 1.0, v30 :: v_dual_add_f32 v32, 1.0, v32
	s_delay_alu instid0(VALU_DEP_1) | instskip(NEXT) | instid1(VALU_DEP_2)
	v_add_f32_e32 v24, v24, v32
	v_add_f32_e32 v32, -1.0, v33
	s_delay_alu instid0(VALU_DEP_2) | instskip(NEXT) | instid1(VALU_DEP_2)
	v_ldexp_f32 v24, v24, v31
	v_dual_add_f32 v31, -1.0, v30 :: v_dual_sub_f32 v32, v30, v32
	s_delay_alu instid0(VALU_DEP_1) | instskip(NEXT) | instid1(VALU_DEP_2)
	v_add_f32_e32 v34, 1.0, v31
	v_add_f32_e32 v32, v24, v32
	s_delay_alu instid0(VALU_DEP_2) | instskip(NEXT) | instid1(VALU_DEP_2)
	v_sub_f32_e32 v30, v30, v34
	v_add_f32_e32 v34, v33, v32
	s_delay_alu instid0(VALU_DEP_2) | instskip(NEXT) | instid1(VALU_DEP_2)
	v_add_f32_e32 v24, v24, v30
	v_rcp_f32_e32 v30, v34
	v_sub_f32_e32 v33, v33, v34
	s_delay_alu instid0(VALU_DEP_1) | instskip(NEXT) | instid1(VALU_DEP_1)
	v_dual_add_f32 v35, v31, v24 :: v_dual_add_f32 v32, v32, v33
	v_sub_f32_e32 v31, v31, v35
	s_delay_alu instid0(TRANS32_DEP_1) | instskip(NEXT) | instid1(VALU_DEP_1)
	v_mul_f32_e32 v36, v35, v30
	v_dual_add_f32 v24, v24, v31 :: v_dual_mul_f32 v37, v34, v36
	s_delay_alu instid0(VALU_DEP_1) | instskip(NEXT) | instid1(VALU_DEP_1)
	v_fma_f32 v33, v36, v34, -v37
	v_fmac_f32_e32 v33, v36, v32
	s_delay_alu instid0(VALU_DEP_1) | instskip(NEXT) | instid1(VALU_DEP_1)
	v_add_f32_e32 v38, v37, v33
	v_sub_f32_e32 v39, v35, v38
	v_sub_f32_e32 v31, v38, v37
	s_delay_alu instid0(VALU_DEP_2) | instskip(NEXT) | instid1(VALU_DEP_2)
	v_sub_f32_e32 v35, v35, v39
	v_sub_f32_e32 v31, v31, v33
	s_delay_alu instid0(VALU_DEP_2) | instskip(NEXT) | instid1(VALU_DEP_1)
	v_sub_f32_e32 v35, v35, v38
	v_add_f32_e32 v24, v24, v35
	s_delay_alu instid0(VALU_DEP_1) | instskip(NEXT) | instid1(VALU_DEP_1)
	v_add_f32_e32 v24, v31, v24
	v_add_f32_e32 v31, v39, v24
	s_delay_alu instid0(VALU_DEP_1) | instskip(NEXT) | instid1(VALU_DEP_1)
	v_mul_f32_e32 v33, v30, v31
	v_dual_sub_f32 v38, v39, v31 :: v_dual_mul_f32 v35, v34, v33
	s_delay_alu instid0(VALU_DEP_1) | instskip(NEXT) | instid1(VALU_DEP_2)
	v_add_f32_e32 v24, v24, v38
	v_fma_f32 v34, v33, v34, -v35
	s_delay_alu instid0(VALU_DEP_1) | instskip(NEXT) | instid1(VALU_DEP_1)
	v_fmac_f32_e32 v34, v33, v32
	v_add_f32_e32 v32, v35, v34
	s_delay_alu instid0(VALU_DEP_1) | instskip(SKIP_1) | instid1(VALU_DEP_2)
	v_sub_f32_e32 v37, v31, v32
	v_sub_f32_e32 v35, v32, v35
	;; [unrolled: 1-line block ×3, first 2 shown]
	s_delay_alu instid0(VALU_DEP_1) | instskip(NEXT) | instid1(VALU_DEP_3)
	v_sub_f32_e32 v31, v31, v32
	v_sub_f32_e32 v32, v35, v34
	s_delay_alu instid0(VALU_DEP_2) | instskip(SKIP_1) | instid1(VALU_DEP_2)
	v_add_f32_e32 v24, v24, v31
	v_add_f32_e32 v31, v36, v33
	;; [unrolled: 1-line block ×3, first 2 shown]
	s_delay_alu instid0(VALU_DEP_2) | instskip(NEXT) | instid1(VALU_DEP_2)
	v_sub_f32_e32 v32, v31, v36
	v_add_f32_e32 v24, v37, v24
	s_delay_alu instid0(VALU_DEP_2) | instskip(NEXT) | instid1(VALU_DEP_2)
	v_sub_f32_e32 v32, v33, v32
	v_mul_f32_e32 v24, v30, v24
	s_delay_alu instid0(VALU_DEP_1) | instskip(NEXT) | instid1(VALU_DEP_1)
	v_add_f32_e32 v24, v32, v24
	v_add_f32_e32 v30, v31, v24
	s_delay_alu instid0(VALU_DEP_1) | instskip(SKIP_1) | instid1(VALU_DEP_1)
	v_mul_f32_e32 v32, v30, v30
	s_wait_alu 0xfffe
	v_fmaak_f32 v33, s22, v32, 0x3ecc95a3
	v_mul_f32_e32 v34, v30, v32
	v_cmp_neq_f32_e64 s22, 0x7f800000, v29
	s_delay_alu instid0(VALU_DEP_3) | instskip(SKIP_2) | instid1(VALU_DEP_3)
	v_fmaak_f32 v32, v32, v33, 0x3f2aaada
	v_ldexp_f32 v33, v30, 1
	v_sub_f32_e32 v30, v30, v31
	v_mul_f32_e32 v32, v34, v32
	v_mul_f32_e32 v34, 0x3f317218, v23
	s_delay_alu instid0(VALU_DEP_2) | instskip(NEXT) | instid1(VALU_DEP_1)
	v_dual_sub_f32 v24, v24, v30 :: v_dual_add_f32 v31, v33, v32
	v_ldexp_f32 v24, v24, 1
	s_delay_alu instid0(VALU_DEP_2) | instskip(NEXT) | instid1(VALU_DEP_4)
	v_sub_f32_e32 v30, v31, v33
	v_fma_f32 v33, 0x3f317218, v23, -v34
	s_delay_alu instid0(VALU_DEP_1) | instskip(NEXT) | instid1(VALU_DEP_1)
	v_dual_sub_f32 v30, v32, v30 :: v_dual_fmamk_f32 v23, v23, 0xb102e308, v33
	v_add_f32_e32 v24, v24, v30
	s_delay_alu instid0(VALU_DEP_2) | instskip(NEXT) | instid1(VALU_DEP_2)
	v_add_f32_e32 v30, v34, v23
	v_add_f32_e32 v32, v31, v24
	s_delay_alu instid0(VALU_DEP_2) | instskip(NEXT) | instid1(VALU_DEP_2)
	v_sub_f32_e32 v34, v30, v34
	v_add_f32_e32 v33, v30, v32
	v_sub_f32_e32 v31, v32, v31
	s_delay_alu instid0(VALU_DEP_3) | instskip(NEXT) | instid1(VALU_DEP_2)
	v_sub_f32_e32 v23, v23, v34
	v_dual_sub_f32 v35, v33, v30 :: v_dual_sub_f32 v24, v24, v31
	s_delay_alu instid0(VALU_DEP_1) | instskip(NEXT) | instid1(VALU_DEP_2)
	v_sub_f32_e32 v36, v33, v35
	v_dual_sub_f32 v31, v32, v35 :: v_dual_add_f32 v32, v23, v24
	s_delay_alu instid0(VALU_DEP_2) | instskip(NEXT) | instid1(VALU_DEP_1)
	v_sub_f32_e32 v30, v30, v36
	v_dual_add_f32 v30, v31, v30 :: v_dual_sub_f32 v31, v32, v23
	s_delay_alu instid0(VALU_DEP_1) | instskip(NEXT) | instid1(VALU_DEP_2)
	v_add_f32_e32 v30, v32, v30
	v_sub_f32_e32 v32, v32, v31
	v_sub_f32_e32 v24, v24, v31
	s_delay_alu instid0(VALU_DEP_2) | instskip(NEXT) | instid1(VALU_DEP_1)
	v_dual_add_f32 v34, v33, v30 :: v_dual_sub_f32 v23, v23, v32
	v_sub_f32_e32 v31, v34, v33
	s_delay_alu instid0(VALU_DEP_2) | instskip(NEXT) | instid1(VALU_DEP_2)
	v_add_f32_e32 v23, v24, v23
	v_sub_f32_e32 v24, v30, v31
	s_delay_alu instid0(VALU_DEP_1) | instskip(NEXT) | instid1(VALU_DEP_1)
	v_add_f32_e32 v23, v23, v24
	v_add_f32_e32 v23, v34, v23
	s_wait_alu 0xf1ff
	s_delay_alu instid0(VALU_DEP_1) | instskip(SKIP_2) | instid1(VALU_DEP_1)
	v_cndmask_b32_e64 v23, 0x7f800000, v23, s22
	v_cmp_gt_f32_e64 s22, 0x33800000, |v29|
	s_wait_alu 0xf1ff
	v_cndmask_b32_e64 v23, v23, v29, s22
	s_delay_alu instid0(VALU_DEP_1)
	v_add_f32_e32 v23, v20, v23
.LBB498_42:
	s_or_b32 exec_lo, exec_lo, s23
	s_delay_alu instid0(VALU_DEP_1) | instskip(SKIP_1) | instid1(VALU_DEP_2)
	v_bfe_u32 v20, v23, 16, 1
	v_cmp_o_f32_e64 s22, v23, v23
	v_add3_u32 v20, v23, v20, 0x7fff
	s_delay_alu instid0(VALU_DEP_1) | instskip(SKIP_2) | instid1(VALU_DEP_2)
	v_and_b32_e32 v24, 0xffff0000, v20
	v_lshlrev_b32_e32 v20, 16, v6
	s_wait_alu 0xf1ff
	v_cndmask_b32_e64 v29, 0x7fc00000, v24, s22
	s_delay_alu instid0(VALU_DEP_1) | instskip(SKIP_1) | instid1(VALU_DEP_2)
	v_dual_max_num_f32 v23, v20, v20 :: v_dual_max_num_f32 v24, v29, v29
	v_cmp_u_f32_e64 s22, v29, v29
	v_min_num_f32_e32 v30, v24, v23
	v_max_num_f32_e32 v24, v24, v23
	s_wait_alu 0xf1ff
	s_delay_alu instid0(VALU_DEP_2) | instskip(NEXT) | instid1(VALU_DEP_2)
	v_cndmask_b32_e64 v30, v30, v29, s22
	v_cndmask_b32_e64 v24, v24, v29, s22
	v_cmp_u_f32_e64 s22, v20, v20
	s_wait_alu 0xf1ff
	s_delay_alu instid0(VALU_DEP_1) | instskip(NEXT) | instid1(VALU_DEP_3)
	v_cndmask_b32_e64 v30, v30, v20, s22
	v_cndmask_b32_e64 v24, v24, v20, s22
	s_delay_alu instid0(VALU_DEP_2) | instskip(NEXT) | instid1(VALU_DEP_2)
	v_cmp_class_f32_e64 s25, v30, 0x1f8
	v_cmp_neq_f32_e64 s23, v30, v24
	s_or_b32 s23, s23, s25
	s_wait_alu 0xfffe
	s_and_saveexec_b32 s25, s23
	s_cbranch_execz .LBB498_44
; %bb.43:
	v_sub_f32_e32 v29, v30, v24
	s_delay_alu instid0(VALU_DEP_1) | instskip(SKIP_1) | instid1(VALU_DEP_2)
	v_mul_f32_e32 v30, 0x3fb8aa3b, v29
	v_cmp_ngt_f32_e64 s23, 0xc2ce8ed0, v29
	v_fma_f32 v31, 0x3fb8aa3b, v29, -v30
	v_rndne_f32_e32 v32, v30
	s_delay_alu instid0(VALU_DEP_1) | instskip(NEXT) | instid1(VALU_DEP_1)
	v_dual_fmamk_f32 v31, v29, 0x32a5705f, v31 :: v_dual_sub_f32 v30, v30, v32
	v_add_f32_e32 v30, v30, v31
	v_cvt_i32_f32_e32 v31, v32
	s_delay_alu instid0(VALU_DEP_2) | instskip(NEXT) | instid1(TRANS32_DEP_1)
	v_exp_f32_e32 v30, v30
	v_ldexp_f32 v30, v30, v31
	s_wait_alu 0xf1ff
	s_delay_alu instid0(VALU_DEP_1) | instskip(SKIP_2) | instid1(VALU_DEP_1)
	v_cndmask_b32_e64 v30, 0, v30, s23
	v_cmp_nlt_f32_e64 s23, 0x42b17218, v29
	s_wait_alu 0xf1ff
	v_cndmask_b32_e64 v31, 0x7f800000, v30, s23
	s_delay_alu instid0(VALU_DEP_1) | instskip(NEXT) | instid1(VALU_DEP_1)
	v_add_f32_e32 v32, 1.0, v31
	v_cvt_f64_f32_e32 v[29:30], v32
	s_delay_alu instid0(VALU_DEP_1) | instskip(SKIP_1) | instid1(VALU_DEP_1)
	v_frexp_exp_i32_f64_e32 v29, v[29:30]
	v_frexp_mant_f32_e32 v30, v32
	v_cmp_gt_f32_e64 s23, 0x3f2aaaab, v30
	v_add_f32_e32 v30, -1.0, v32
	s_delay_alu instid0(VALU_DEP_1)
	v_sub_f32_e32 v34, v30, v32
	v_sub_f32_e32 v30, v31, v30
	s_wait_alu 0xf1ff
	v_subrev_co_ci_u32_e64 v29, null, 0, v29, s23
	s_mov_b32 s23, 0x3e9b6dac
	v_sub_nc_u32_e32 v33, 0, v29
	v_cvt_f32_i32_e32 v29, v29
	s_delay_alu instid0(VALU_DEP_2) | instskip(NEXT) | instid1(VALU_DEP_1)
	v_ldexp_f32 v32, v32, v33
	v_dual_add_f32 v35, 1.0, v32 :: v_dual_add_f32 v34, 1.0, v34
	s_delay_alu instid0(VALU_DEP_1) | instskip(NEXT) | instid1(VALU_DEP_2)
	v_add_f32_e32 v30, v30, v34
	v_add_f32_e32 v34, -1.0, v35
	s_delay_alu instid0(VALU_DEP_2) | instskip(NEXT) | instid1(VALU_DEP_2)
	v_ldexp_f32 v30, v30, v33
	v_dual_add_f32 v33, -1.0, v32 :: v_dual_sub_f32 v34, v32, v34
	s_delay_alu instid0(VALU_DEP_1) | instskip(NEXT) | instid1(VALU_DEP_2)
	v_add_f32_e32 v36, 1.0, v33
	v_add_f32_e32 v34, v30, v34
	s_delay_alu instid0(VALU_DEP_2) | instskip(NEXT) | instid1(VALU_DEP_2)
	v_sub_f32_e32 v32, v32, v36
	v_add_f32_e32 v36, v35, v34
	s_delay_alu instid0(VALU_DEP_2) | instskip(NEXT) | instid1(VALU_DEP_2)
	v_add_f32_e32 v30, v30, v32
	v_rcp_f32_e32 v32, v36
	v_sub_f32_e32 v35, v35, v36
	s_delay_alu instid0(VALU_DEP_1) | instskip(NEXT) | instid1(VALU_DEP_1)
	v_dual_add_f32 v37, v33, v30 :: v_dual_add_f32 v34, v34, v35
	v_sub_f32_e32 v33, v33, v37
	s_delay_alu instid0(TRANS32_DEP_1) | instskip(NEXT) | instid1(VALU_DEP_1)
	v_mul_f32_e32 v38, v37, v32
	v_dual_add_f32 v30, v30, v33 :: v_dual_mul_f32 v39, v36, v38
	s_delay_alu instid0(VALU_DEP_1) | instskip(NEXT) | instid1(VALU_DEP_1)
	v_fma_f32 v35, v38, v36, -v39
	v_fmac_f32_e32 v35, v38, v34
	s_delay_alu instid0(VALU_DEP_1) | instskip(NEXT) | instid1(VALU_DEP_1)
	v_add_f32_e32 v40, v39, v35
	v_sub_f32_e32 v41, v37, v40
	v_sub_f32_e32 v33, v40, v39
	s_delay_alu instid0(VALU_DEP_2) | instskip(NEXT) | instid1(VALU_DEP_2)
	v_sub_f32_e32 v37, v37, v41
	v_sub_f32_e32 v33, v33, v35
	s_delay_alu instid0(VALU_DEP_2) | instskip(NEXT) | instid1(VALU_DEP_1)
	v_sub_f32_e32 v37, v37, v40
	v_add_f32_e32 v30, v30, v37
	s_delay_alu instid0(VALU_DEP_1) | instskip(NEXT) | instid1(VALU_DEP_1)
	v_add_f32_e32 v30, v33, v30
	v_add_f32_e32 v33, v41, v30
	s_delay_alu instid0(VALU_DEP_1) | instskip(NEXT) | instid1(VALU_DEP_1)
	v_mul_f32_e32 v35, v32, v33
	v_dual_sub_f32 v40, v41, v33 :: v_dual_mul_f32 v37, v36, v35
	s_delay_alu instid0(VALU_DEP_1) | instskip(NEXT) | instid1(VALU_DEP_2)
	v_add_f32_e32 v30, v30, v40
	v_fma_f32 v36, v35, v36, -v37
	s_delay_alu instid0(VALU_DEP_1) | instskip(NEXT) | instid1(VALU_DEP_1)
	v_fmac_f32_e32 v36, v35, v34
	v_add_f32_e32 v34, v37, v36
	s_delay_alu instid0(VALU_DEP_1) | instskip(SKIP_1) | instid1(VALU_DEP_2)
	v_sub_f32_e32 v39, v33, v34
	v_sub_f32_e32 v37, v34, v37
	;; [unrolled: 1-line block ×3, first 2 shown]
	s_delay_alu instid0(VALU_DEP_1) | instskip(NEXT) | instid1(VALU_DEP_3)
	v_sub_f32_e32 v33, v33, v34
	v_sub_f32_e32 v34, v37, v36
	s_delay_alu instid0(VALU_DEP_2) | instskip(SKIP_1) | instid1(VALU_DEP_2)
	v_add_f32_e32 v30, v30, v33
	v_add_f32_e32 v33, v38, v35
	;; [unrolled: 1-line block ×3, first 2 shown]
	s_delay_alu instid0(VALU_DEP_2) | instskip(NEXT) | instid1(VALU_DEP_2)
	v_sub_f32_e32 v34, v33, v38
	v_add_f32_e32 v30, v39, v30
	s_delay_alu instid0(VALU_DEP_2) | instskip(NEXT) | instid1(VALU_DEP_2)
	v_sub_f32_e32 v34, v35, v34
	v_mul_f32_e32 v30, v32, v30
	s_delay_alu instid0(VALU_DEP_1) | instskip(NEXT) | instid1(VALU_DEP_1)
	v_add_f32_e32 v30, v34, v30
	v_add_f32_e32 v32, v33, v30
	s_delay_alu instid0(VALU_DEP_1) | instskip(SKIP_1) | instid1(VALU_DEP_1)
	v_mul_f32_e32 v34, v32, v32
	s_wait_alu 0xfffe
	v_fmaak_f32 v35, s23, v34, 0x3ecc95a3
	v_mul_f32_e32 v36, v32, v34
	v_cmp_neq_f32_e64 s23, 0x7f800000, v31
	s_delay_alu instid0(VALU_DEP_3) | instskip(SKIP_2) | instid1(VALU_DEP_3)
	v_fmaak_f32 v34, v34, v35, 0x3f2aaada
	v_ldexp_f32 v35, v32, 1
	v_sub_f32_e32 v32, v32, v33
	v_mul_f32_e32 v34, v36, v34
	v_mul_f32_e32 v36, 0x3f317218, v29
	s_delay_alu instid0(VALU_DEP_2) | instskip(NEXT) | instid1(VALU_DEP_1)
	v_dual_sub_f32 v30, v30, v32 :: v_dual_add_f32 v33, v35, v34
	v_ldexp_f32 v30, v30, 1
	s_delay_alu instid0(VALU_DEP_2) | instskip(NEXT) | instid1(VALU_DEP_4)
	v_sub_f32_e32 v32, v33, v35
	v_fma_f32 v35, 0x3f317218, v29, -v36
	s_delay_alu instid0(VALU_DEP_1) | instskip(NEXT) | instid1(VALU_DEP_1)
	v_dual_sub_f32 v32, v34, v32 :: v_dual_fmamk_f32 v29, v29, 0xb102e308, v35
	v_add_f32_e32 v30, v30, v32
	s_delay_alu instid0(VALU_DEP_2) | instskip(NEXT) | instid1(VALU_DEP_2)
	v_add_f32_e32 v32, v36, v29
	v_add_f32_e32 v34, v33, v30
	s_delay_alu instid0(VALU_DEP_2) | instskip(NEXT) | instid1(VALU_DEP_2)
	v_sub_f32_e32 v36, v32, v36
	v_add_f32_e32 v35, v32, v34
	v_sub_f32_e32 v33, v34, v33
	s_delay_alu instid0(VALU_DEP_3) | instskip(NEXT) | instid1(VALU_DEP_2)
	v_sub_f32_e32 v29, v29, v36
	v_dual_sub_f32 v37, v35, v32 :: v_dual_sub_f32 v30, v30, v33
	s_delay_alu instid0(VALU_DEP_1) | instskip(NEXT) | instid1(VALU_DEP_2)
	v_sub_f32_e32 v38, v35, v37
	v_dual_sub_f32 v33, v34, v37 :: v_dual_add_f32 v34, v29, v30
	s_delay_alu instid0(VALU_DEP_2) | instskip(NEXT) | instid1(VALU_DEP_1)
	v_sub_f32_e32 v32, v32, v38
	v_dual_add_f32 v32, v33, v32 :: v_dual_sub_f32 v33, v34, v29
	s_delay_alu instid0(VALU_DEP_1) | instskip(NEXT) | instid1(VALU_DEP_2)
	v_add_f32_e32 v32, v34, v32
	v_sub_f32_e32 v34, v34, v33
	v_sub_f32_e32 v30, v30, v33
	s_delay_alu instid0(VALU_DEP_2) | instskip(NEXT) | instid1(VALU_DEP_1)
	v_dual_add_f32 v36, v35, v32 :: v_dual_sub_f32 v29, v29, v34
	v_sub_f32_e32 v33, v36, v35
	s_delay_alu instid0(VALU_DEP_2) | instskip(NEXT) | instid1(VALU_DEP_2)
	v_add_f32_e32 v29, v30, v29
	v_sub_f32_e32 v30, v32, v33
	s_delay_alu instid0(VALU_DEP_1) | instskip(NEXT) | instid1(VALU_DEP_1)
	v_add_f32_e32 v29, v29, v30
	v_add_f32_e32 v29, v36, v29
	s_wait_alu 0xf1ff
	s_delay_alu instid0(VALU_DEP_1) | instskip(SKIP_2) | instid1(VALU_DEP_1)
	v_cndmask_b32_e64 v29, 0x7f800000, v29, s23
	v_cmp_gt_f32_e64 s23, 0x33800000, |v31|
	s_wait_alu 0xf1ff
	v_cndmask_b32_e64 v29, v29, v31, s23
	s_delay_alu instid0(VALU_DEP_1)
	v_add_f32_e32 v29, v24, v29
.LBB498_44:
	s_wait_alu 0xfffe
	s_or_b32 exec_lo, exec_lo, s25
	s_delay_alu instid0(VALU_DEP_1) | instskip(SKIP_1) | instid1(VALU_DEP_2)
	v_bfe_u32 v24, v29, 16, 1
	v_cmp_o_f32_e64 s23, v29, v29
	v_add3_u32 v24, v29, v24, 0x7fff
	s_delay_alu instid0(VALU_DEP_1) | instskip(SKIP_1) | instid1(VALU_DEP_1)
	v_and_b32_e32 v24, 0xffff0000, v24
	s_wait_alu 0xf1ff
	v_cndmask_b32_e64 v30, 0x7fc00000, v24, s23
	s_delay_alu instid0(VALU_DEP_1) | instskip(SKIP_2) | instid1(VALU_DEP_2)
	v_max_num_f32_e32 v29, v30, v30
	v_and_b32_e32 v6, 0xffff0000, v6
	v_cmp_u_f32_e64 s23, v30, v30
	v_max_num_f32_e32 v24, v6, v6
	s_delay_alu instid0(VALU_DEP_1) | instskip(SKIP_2) | instid1(VALU_DEP_2)
	v_min_num_f32_e32 v31, v29, v24
	v_max_num_f32_e32 v29, v29, v24
	s_wait_alu 0xf1ff
	v_cndmask_b32_e64 v31, v31, v30, s23
	s_delay_alu instid0(VALU_DEP_2) | instskip(SKIP_2) | instid1(VALU_DEP_1)
	v_cndmask_b32_e64 v29, v29, v30, s23
	v_cmp_u_f32_e64 s23, v6, v6
	s_wait_alu 0xf1ff
	v_cndmask_b32_e64 v31, v31, v6, s23
	s_delay_alu instid0(VALU_DEP_3) | instskip(NEXT) | instid1(VALU_DEP_2)
	v_cndmask_b32_e64 v29, v29, v6, s23
	v_cmp_class_f32_e64 s26, v31, 0x1f8
	s_delay_alu instid0(VALU_DEP_2)
	v_cmp_neq_f32_e64 s25, v31, v29
	s_or_b32 s25, s25, s26
	s_wait_alu 0xfffe
	s_and_saveexec_b32 s26, s25
	s_cbranch_execz .LBB498_46
; %bb.45:
	v_sub_f32_e32 v30, v31, v29
	s_delay_alu instid0(VALU_DEP_1) | instskip(SKIP_1) | instid1(VALU_DEP_2)
	v_mul_f32_e32 v31, 0x3fb8aa3b, v30
	v_cmp_ngt_f32_e64 s25, 0xc2ce8ed0, v30
	v_fma_f32 v32, 0x3fb8aa3b, v30, -v31
	v_rndne_f32_e32 v33, v31
	s_delay_alu instid0(VALU_DEP_1) | instskip(NEXT) | instid1(VALU_DEP_1)
	v_dual_fmamk_f32 v32, v30, 0x32a5705f, v32 :: v_dual_sub_f32 v31, v31, v33
	v_add_f32_e32 v31, v31, v32
	v_cvt_i32_f32_e32 v32, v33
	s_delay_alu instid0(VALU_DEP_2) | instskip(NEXT) | instid1(TRANS32_DEP_1)
	v_exp_f32_e32 v31, v31
	v_ldexp_f32 v31, v31, v32
	s_wait_alu 0xf1ff
	s_delay_alu instid0(VALU_DEP_1) | instskip(SKIP_2) | instid1(VALU_DEP_1)
	v_cndmask_b32_e64 v31, 0, v31, s25
	v_cmp_nlt_f32_e64 s25, 0x42b17218, v30
	s_wait_alu 0xf1ff
	v_cndmask_b32_e64 v32, 0x7f800000, v31, s25
	s_delay_alu instid0(VALU_DEP_1) | instskip(NEXT) | instid1(VALU_DEP_1)
	v_add_f32_e32 v33, 1.0, v32
	v_cvt_f64_f32_e32 v[30:31], v33
	s_delay_alu instid0(VALU_DEP_1) | instskip(SKIP_1) | instid1(VALU_DEP_1)
	v_frexp_exp_i32_f64_e32 v30, v[30:31]
	v_frexp_mant_f32_e32 v31, v33
	v_cmp_gt_f32_e64 s25, 0x3f2aaaab, v31
	v_add_f32_e32 v31, -1.0, v33
	s_delay_alu instid0(VALU_DEP_1)
	v_sub_f32_e32 v35, v31, v33
	v_sub_f32_e32 v31, v32, v31
	s_wait_alu 0xf1ff
	v_subrev_co_ci_u32_e64 v30, null, 0, v30, s25
	s_mov_b32 s25, 0x3e9b6dac
	v_sub_nc_u32_e32 v34, 0, v30
	v_cvt_f32_i32_e32 v30, v30
	s_delay_alu instid0(VALU_DEP_2) | instskip(NEXT) | instid1(VALU_DEP_1)
	v_ldexp_f32 v33, v33, v34
	v_dual_add_f32 v36, 1.0, v33 :: v_dual_add_f32 v35, 1.0, v35
	s_delay_alu instid0(VALU_DEP_1) | instskip(NEXT) | instid1(VALU_DEP_2)
	v_add_f32_e32 v31, v31, v35
	v_add_f32_e32 v35, -1.0, v36
	s_delay_alu instid0(VALU_DEP_2) | instskip(NEXT) | instid1(VALU_DEP_2)
	v_ldexp_f32 v31, v31, v34
	v_dual_add_f32 v34, -1.0, v33 :: v_dual_sub_f32 v35, v33, v35
	s_delay_alu instid0(VALU_DEP_1) | instskip(NEXT) | instid1(VALU_DEP_2)
	v_add_f32_e32 v37, 1.0, v34
	v_add_f32_e32 v35, v31, v35
	s_delay_alu instid0(VALU_DEP_2) | instskip(NEXT) | instid1(VALU_DEP_2)
	v_sub_f32_e32 v33, v33, v37
	v_add_f32_e32 v37, v36, v35
	s_delay_alu instid0(VALU_DEP_2) | instskip(NEXT) | instid1(VALU_DEP_2)
	v_add_f32_e32 v31, v31, v33
	v_rcp_f32_e32 v33, v37
	v_sub_f32_e32 v36, v36, v37
	s_delay_alu instid0(VALU_DEP_1) | instskip(NEXT) | instid1(VALU_DEP_1)
	v_dual_add_f32 v38, v34, v31 :: v_dual_add_f32 v35, v35, v36
	v_sub_f32_e32 v34, v34, v38
	s_delay_alu instid0(TRANS32_DEP_1) | instskip(NEXT) | instid1(VALU_DEP_1)
	v_mul_f32_e32 v39, v38, v33
	v_dual_add_f32 v31, v31, v34 :: v_dual_mul_f32 v40, v37, v39
	s_delay_alu instid0(VALU_DEP_1) | instskip(NEXT) | instid1(VALU_DEP_1)
	v_fma_f32 v36, v39, v37, -v40
	v_fmac_f32_e32 v36, v39, v35
	s_delay_alu instid0(VALU_DEP_1) | instskip(NEXT) | instid1(VALU_DEP_1)
	v_add_f32_e32 v41, v40, v36
	v_sub_f32_e32 v42, v38, v41
	v_sub_f32_e32 v34, v41, v40
	s_delay_alu instid0(VALU_DEP_2) | instskip(NEXT) | instid1(VALU_DEP_2)
	v_sub_f32_e32 v38, v38, v42
	v_sub_f32_e32 v34, v34, v36
	s_delay_alu instid0(VALU_DEP_2) | instskip(NEXT) | instid1(VALU_DEP_1)
	v_sub_f32_e32 v38, v38, v41
	v_add_f32_e32 v31, v31, v38
	s_delay_alu instid0(VALU_DEP_1) | instskip(NEXT) | instid1(VALU_DEP_1)
	v_add_f32_e32 v31, v34, v31
	v_add_f32_e32 v34, v42, v31
	s_delay_alu instid0(VALU_DEP_1) | instskip(NEXT) | instid1(VALU_DEP_1)
	v_mul_f32_e32 v36, v33, v34
	v_dual_sub_f32 v41, v42, v34 :: v_dual_mul_f32 v38, v37, v36
	s_delay_alu instid0(VALU_DEP_1) | instskip(NEXT) | instid1(VALU_DEP_2)
	v_add_f32_e32 v31, v31, v41
	v_fma_f32 v37, v36, v37, -v38
	s_delay_alu instid0(VALU_DEP_1) | instskip(NEXT) | instid1(VALU_DEP_1)
	v_fmac_f32_e32 v37, v36, v35
	v_add_f32_e32 v35, v38, v37
	s_delay_alu instid0(VALU_DEP_1) | instskip(SKIP_1) | instid1(VALU_DEP_2)
	v_sub_f32_e32 v40, v34, v35
	v_sub_f32_e32 v38, v35, v38
	;; [unrolled: 1-line block ×3, first 2 shown]
	s_delay_alu instid0(VALU_DEP_1) | instskip(NEXT) | instid1(VALU_DEP_3)
	v_sub_f32_e32 v34, v34, v35
	v_sub_f32_e32 v35, v38, v37
	s_delay_alu instid0(VALU_DEP_2) | instskip(SKIP_1) | instid1(VALU_DEP_2)
	v_add_f32_e32 v31, v31, v34
	v_add_f32_e32 v34, v39, v36
	;; [unrolled: 1-line block ×3, first 2 shown]
	s_delay_alu instid0(VALU_DEP_2) | instskip(NEXT) | instid1(VALU_DEP_2)
	v_sub_f32_e32 v35, v34, v39
	v_add_f32_e32 v31, v40, v31
	s_delay_alu instid0(VALU_DEP_2) | instskip(NEXT) | instid1(VALU_DEP_2)
	v_sub_f32_e32 v35, v36, v35
	v_mul_f32_e32 v31, v33, v31
	s_delay_alu instid0(VALU_DEP_1) | instskip(NEXT) | instid1(VALU_DEP_1)
	v_add_f32_e32 v31, v35, v31
	v_add_f32_e32 v33, v34, v31
	s_delay_alu instid0(VALU_DEP_1) | instskip(SKIP_1) | instid1(VALU_DEP_1)
	v_mul_f32_e32 v35, v33, v33
	s_wait_alu 0xfffe
	v_fmaak_f32 v36, s25, v35, 0x3ecc95a3
	v_mul_f32_e32 v37, v33, v35
	v_cmp_neq_f32_e64 s25, 0x7f800000, v32
	s_delay_alu instid0(VALU_DEP_3) | instskip(SKIP_2) | instid1(VALU_DEP_3)
	v_fmaak_f32 v35, v35, v36, 0x3f2aaada
	v_ldexp_f32 v36, v33, 1
	v_sub_f32_e32 v33, v33, v34
	v_mul_f32_e32 v35, v37, v35
	v_mul_f32_e32 v37, 0x3f317218, v30
	s_delay_alu instid0(VALU_DEP_2) | instskip(NEXT) | instid1(VALU_DEP_1)
	v_dual_sub_f32 v31, v31, v33 :: v_dual_add_f32 v34, v36, v35
	v_ldexp_f32 v31, v31, 1
	s_delay_alu instid0(VALU_DEP_2) | instskip(NEXT) | instid1(VALU_DEP_4)
	v_sub_f32_e32 v33, v34, v36
	v_fma_f32 v36, 0x3f317218, v30, -v37
	s_delay_alu instid0(VALU_DEP_1) | instskip(NEXT) | instid1(VALU_DEP_1)
	v_dual_sub_f32 v33, v35, v33 :: v_dual_fmamk_f32 v30, v30, 0xb102e308, v36
	v_add_f32_e32 v31, v31, v33
	s_delay_alu instid0(VALU_DEP_2) | instskip(NEXT) | instid1(VALU_DEP_2)
	v_add_f32_e32 v33, v37, v30
	v_add_f32_e32 v35, v34, v31
	s_delay_alu instid0(VALU_DEP_2) | instskip(NEXT) | instid1(VALU_DEP_2)
	v_sub_f32_e32 v37, v33, v37
	v_add_f32_e32 v36, v33, v35
	v_sub_f32_e32 v34, v35, v34
	s_delay_alu instid0(VALU_DEP_3) | instskip(NEXT) | instid1(VALU_DEP_2)
	v_sub_f32_e32 v30, v30, v37
	v_dual_sub_f32 v38, v36, v33 :: v_dual_sub_f32 v31, v31, v34
	s_delay_alu instid0(VALU_DEP_1) | instskip(NEXT) | instid1(VALU_DEP_2)
	v_sub_f32_e32 v39, v36, v38
	v_dual_sub_f32 v34, v35, v38 :: v_dual_add_f32 v35, v30, v31
	s_delay_alu instid0(VALU_DEP_2) | instskip(NEXT) | instid1(VALU_DEP_1)
	v_sub_f32_e32 v33, v33, v39
	v_dual_add_f32 v33, v34, v33 :: v_dual_sub_f32 v34, v35, v30
	s_delay_alu instid0(VALU_DEP_1) | instskip(NEXT) | instid1(VALU_DEP_2)
	v_add_f32_e32 v33, v35, v33
	v_sub_f32_e32 v35, v35, v34
	v_sub_f32_e32 v31, v31, v34
	s_delay_alu instid0(VALU_DEP_2) | instskip(NEXT) | instid1(VALU_DEP_1)
	v_dual_add_f32 v37, v36, v33 :: v_dual_sub_f32 v30, v30, v35
	v_sub_f32_e32 v34, v37, v36
	s_delay_alu instid0(VALU_DEP_2) | instskip(NEXT) | instid1(VALU_DEP_2)
	v_add_f32_e32 v30, v31, v30
	v_sub_f32_e32 v31, v33, v34
	s_delay_alu instid0(VALU_DEP_1) | instskip(NEXT) | instid1(VALU_DEP_1)
	v_add_f32_e32 v30, v30, v31
	v_add_f32_e32 v30, v37, v30
	s_wait_alu 0xf1ff
	s_delay_alu instid0(VALU_DEP_1) | instskip(SKIP_2) | instid1(VALU_DEP_1)
	v_cndmask_b32_e64 v30, 0x7f800000, v30, s25
	v_cmp_gt_f32_e64 s25, 0x33800000, |v32|
	s_wait_alu 0xf1ff
	v_cndmask_b32_e64 v30, v30, v32, s25
	s_delay_alu instid0(VALU_DEP_1)
	v_add_f32_e32 v30, v29, v30
.LBB498_46:
	s_or_b32 exec_lo, exec_lo, s26
	s_delay_alu instid0(VALU_DEP_1)
	v_bfe_u32 v29, v30, 16, 1
	s_load_b64 s[26:27], s[0:1], 0x18
	v_lshrrev_b32_e32 v31, 4, v0
	v_cmp_o_f32_e64 s0, v30, v30
	s_mov_b32 s25, exec_lo
	v_add3_u32 v29, v30, v29, 0x7fff
	v_and_b32_e32 v31, 14, v31
	s_delay_alu instid0(VALU_DEP_2) | instskip(NEXT) | instid1(VALU_DEP_2)
	v_lshrrev_b32_e32 v29, 16, v29
	v_lshl_add_u32 v31, v0, 1, v31
	s_delay_alu instid0(VALU_DEP_2)
	v_cndmask_b32_e64 v30, 0x7fc0, v29, s0
	ds_store_b16 v31, v30
	s_wait_loadcnt_dscnt 0x0
	s_barrier_signal -1
	s_barrier_wait -1
	global_inv scope:SCOPE_SE
	v_cmpx_gt_u32_e32 32, v0
	s_cbranch_execz .LBB498_98
; %bb.47:
	v_lshrrev_b32_e32 v29, 1, v0
	v_lshlrev_b32_e32 v31, 4, v0
	s_delay_alu instid0(VALU_DEP_2) | instskip(NEXT) | instid1(VALU_DEP_1)
	v_and_b32_e32 v29, 0x7e, v29
	v_add_nc_u32_e32 v29, v29, v31
	ds_load_u16 v31, v29 offset:2
	ds_load_u16 v32, v29
	s_wait_dscnt 0x1
	v_lshlrev_b32_e32 v33, 16, v31
	s_wait_dscnt 0x0
	s_delay_alu instid0(VALU_DEP_1) | instskip(NEXT) | instid1(VALU_DEP_1)
	v_dual_max_num_f32 v34, v33, v33 :: v_dual_lshlrev_b32 v31, 16, v32
	v_max_num_f32_e32 v32, v31, v31
	v_cmp_u_f32_e64 s0, v31, v31
	v_cmp_u_f32_e64 s1, v33, v33
	s_delay_alu instid0(VALU_DEP_3) | instskip(SKIP_2) | instid1(VALU_DEP_2)
	v_min_num_f32_e32 v35, v32, v34
	v_max_num_f32_e32 v34, v32, v34
	s_wait_alu 0xf1ff
	v_cndmask_b32_e64 v35, v35, v31, s0
	s_delay_alu instid0(VALU_DEP_2) | instskip(NEXT) | instid1(VALU_DEP_2)
	v_cndmask_b32_e64 v34, v34, v31, s0
	v_cndmask_b32_e64 v35, v35, v33, s1
	s_delay_alu instid0(VALU_DEP_2) | instskip(SKIP_1) | instid1(VALU_DEP_3)
	v_cndmask_b32_e64 v33, v34, v33, s1
	v_mov_b32_e32 v34, v31
	v_cmp_class_f32_e64 s28, v35, 0x1f8
	s_delay_alu instid0(VALU_DEP_3)
	v_cmp_neq_f32_e64 s1, v35, v33
	s_or_b32 s1, s1, s28
	s_wait_alu 0xfffe
	s_and_saveexec_b32 s28, s1
	s_cbranch_execz .LBB498_49
; %bb.48:
	v_sub_f32_e32 v34, v35, v33
	s_delay_alu instid0(VALU_DEP_1) | instskip(SKIP_1) | instid1(VALU_DEP_2)
	v_mul_f32_e32 v35, 0x3fb8aa3b, v34
	v_cmp_ngt_f32_e64 s1, 0xc2ce8ed0, v34
	v_fma_f32 v36, 0x3fb8aa3b, v34, -v35
	v_rndne_f32_e32 v37, v35
	s_delay_alu instid0(VALU_DEP_1) | instskip(NEXT) | instid1(VALU_DEP_1)
	v_dual_fmamk_f32 v36, v34, 0x32a5705f, v36 :: v_dual_sub_f32 v35, v35, v37
	v_add_f32_e32 v35, v35, v36
	v_cvt_i32_f32_e32 v36, v37
	s_delay_alu instid0(VALU_DEP_2) | instskip(NEXT) | instid1(TRANS32_DEP_1)
	v_exp_f32_e32 v35, v35
	v_ldexp_f32 v35, v35, v36
	s_wait_alu 0xf1ff
	s_delay_alu instid0(VALU_DEP_1) | instskip(SKIP_2) | instid1(VALU_DEP_1)
	v_cndmask_b32_e64 v35, 0, v35, s1
	v_cmp_nlt_f32_e64 s1, 0x42b17218, v34
	s_wait_alu 0xf1ff
	v_cndmask_b32_e64 v36, 0x7f800000, v35, s1
	s_delay_alu instid0(VALU_DEP_1) | instskip(NEXT) | instid1(VALU_DEP_1)
	v_add_f32_e32 v37, 1.0, v36
	v_cvt_f64_f32_e32 v[34:35], v37
	s_delay_alu instid0(VALU_DEP_1) | instskip(SKIP_1) | instid1(VALU_DEP_1)
	v_frexp_exp_i32_f64_e32 v34, v[34:35]
	v_frexp_mant_f32_e32 v35, v37
	v_cmp_gt_f32_e64 s1, 0x3f2aaaab, v35
	v_add_f32_e32 v35, -1.0, v37
	s_delay_alu instid0(VALU_DEP_1)
	v_sub_f32_e32 v39, v35, v37
	v_sub_f32_e32 v35, v36, v35
	s_wait_alu 0xf1ff
	v_subrev_co_ci_u32_e64 v34, null, 0, v34, s1
	s_mov_b32 s1, 0x3e9b6dac
	v_sub_nc_u32_e32 v38, 0, v34
	v_cvt_f32_i32_e32 v34, v34
	s_delay_alu instid0(VALU_DEP_2) | instskip(NEXT) | instid1(VALU_DEP_1)
	v_ldexp_f32 v37, v37, v38
	v_dual_add_f32 v40, 1.0, v37 :: v_dual_add_f32 v39, 1.0, v39
	s_delay_alu instid0(VALU_DEP_1) | instskip(NEXT) | instid1(VALU_DEP_2)
	v_add_f32_e32 v35, v35, v39
	v_add_f32_e32 v39, -1.0, v40
	s_delay_alu instid0(VALU_DEP_2) | instskip(NEXT) | instid1(VALU_DEP_2)
	v_ldexp_f32 v35, v35, v38
	v_dual_add_f32 v38, -1.0, v37 :: v_dual_sub_f32 v39, v37, v39
	s_delay_alu instid0(VALU_DEP_1) | instskip(NEXT) | instid1(VALU_DEP_2)
	v_add_f32_e32 v41, 1.0, v38
	v_add_f32_e32 v39, v35, v39
	s_delay_alu instid0(VALU_DEP_2) | instskip(NEXT) | instid1(VALU_DEP_2)
	v_sub_f32_e32 v37, v37, v41
	v_add_f32_e32 v41, v40, v39
	s_delay_alu instid0(VALU_DEP_2) | instskip(NEXT) | instid1(VALU_DEP_2)
	v_add_f32_e32 v35, v35, v37
	v_rcp_f32_e32 v37, v41
	v_sub_f32_e32 v40, v40, v41
	s_delay_alu instid0(VALU_DEP_1) | instskip(NEXT) | instid1(VALU_DEP_1)
	v_dual_add_f32 v42, v38, v35 :: v_dual_add_f32 v39, v39, v40
	v_sub_f32_e32 v38, v38, v42
	s_delay_alu instid0(TRANS32_DEP_1) | instskip(NEXT) | instid1(VALU_DEP_1)
	v_mul_f32_e32 v43, v42, v37
	v_dual_add_f32 v35, v35, v38 :: v_dual_mul_f32 v44, v41, v43
	s_delay_alu instid0(VALU_DEP_1) | instskip(NEXT) | instid1(VALU_DEP_1)
	v_fma_f32 v40, v43, v41, -v44
	v_fmac_f32_e32 v40, v43, v39
	s_delay_alu instid0(VALU_DEP_1) | instskip(NEXT) | instid1(VALU_DEP_1)
	v_add_f32_e32 v45, v44, v40
	v_sub_f32_e32 v46, v42, v45
	v_sub_f32_e32 v38, v45, v44
	s_delay_alu instid0(VALU_DEP_2) | instskip(NEXT) | instid1(VALU_DEP_2)
	v_sub_f32_e32 v42, v42, v46
	v_sub_f32_e32 v38, v38, v40
	s_delay_alu instid0(VALU_DEP_2) | instskip(NEXT) | instid1(VALU_DEP_1)
	v_sub_f32_e32 v42, v42, v45
	v_add_f32_e32 v35, v35, v42
	s_delay_alu instid0(VALU_DEP_1) | instskip(NEXT) | instid1(VALU_DEP_1)
	v_add_f32_e32 v35, v38, v35
	v_add_f32_e32 v38, v46, v35
	s_delay_alu instid0(VALU_DEP_1) | instskip(NEXT) | instid1(VALU_DEP_1)
	v_mul_f32_e32 v40, v37, v38
	v_dual_sub_f32 v45, v46, v38 :: v_dual_mul_f32 v42, v41, v40
	s_delay_alu instid0(VALU_DEP_1) | instskip(NEXT) | instid1(VALU_DEP_2)
	v_add_f32_e32 v35, v35, v45
	v_fma_f32 v41, v40, v41, -v42
	s_delay_alu instid0(VALU_DEP_1) | instskip(NEXT) | instid1(VALU_DEP_1)
	v_fmac_f32_e32 v41, v40, v39
	v_add_f32_e32 v39, v42, v41
	s_delay_alu instid0(VALU_DEP_1) | instskip(SKIP_1) | instid1(VALU_DEP_2)
	v_sub_f32_e32 v44, v38, v39
	v_sub_f32_e32 v42, v39, v42
	;; [unrolled: 1-line block ×3, first 2 shown]
	s_delay_alu instid0(VALU_DEP_1) | instskip(NEXT) | instid1(VALU_DEP_3)
	v_sub_f32_e32 v38, v38, v39
	v_sub_f32_e32 v39, v42, v41
	s_delay_alu instid0(VALU_DEP_2) | instskip(SKIP_1) | instid1(VALU_DEP_2)
	v_add_f32_e32 v35, v35, v38
	v_add_f32_e32 v38, v43, v40
	;; [unrolled: 1-line block ×3, first 2 shown]
	s_delay_alu instid0(VALU_DEP_2) | instskip(NEXT) | instid1(VALU_DEP_2)
	v_sub_f32_e32 v39, v38, v43
	v_add_f32_e32 v35, v44, v35
	s_delay_alu instid0(VALU_DEP_2) | instskip(NEXT) | instid1(VALU_DEP_2)
	v_sub_f32_e32 v39, v40, v39
	v_mul_f32_e32 v35, v37, v35
	s_delay_alu instid0(VALU_DEP_1) | instskip(NEXT) | instid1(VALU_DEP_1)
	v_add_f32_e32 v35, v39, v35
	v_add_f32_e32 v37, v38, v35
	s_delay_alu instid0(VALU_DEP_1) | instskip(SKIP_1) | instid1(VALU_DEP_1)
	v_mul_f32_e32 v39, v37, v37
	s_wait_alu 0xfffe
	v_fmaak_f32 v40, s1, v39, 0x3ecc95a3
	v_mul_f32_e32 v41, v37, v39
	v_cmp_neq_f32_e64 s1, 0x7f800000, v36
	s_delay_alu instid0(VALU_DEP_3) | instskip(SKIP_2) | instid1(VALU_DEP_3)
	v_fmaak_f32 v39, v39, v40, 0x3f2aaada
	v_ldexp_f32 v40, v37, 1
	v_sub_f32_e32 v37, v37, v38
	v_mul_f32_e32 v39, v41, v39
	v_mul_f32_e32 v41, 0x3f317218, v34
	s_delay_alu instid0(VALU_DEP_2) | instskip(NEXT) | instid1(VALU_DEP_1)
	v_dual_sub_f32 v35, v35, v37 :: v_dual_add_f32 v38, v40, v39
	v_ldexp_f32 v35, v35, 1
	s_delay_alu instid0(VALU_DEP_2) | instskip(NEXT) | instid1(VALU_DEP_4)
	v_sub_f32_e32 v37, v38, v40
	v_fma_f32 v40, 0x3f317218, v34, -v41
	s_delay_alu instid0(VALU_DEP_1) | instskip(NEXT) | instid1(VALU_DEP_1)
	v_dual_sub_f32 v37, v39, v37 :: v_dual_fmamk_f32 v34, v34, 0xb102e308, v40
	v_add_f32_e32 v35, v35, v37
	s_delay_alu instid0(VALU_DEP_2) | instskip(NEXT) | instid1(VALU_DEP_2)
	v_add_f32_e32 v37, v41, v34
	v_add_f32_e32 v39, v38, v35
	s_delay_alu instid0(VALU_DEP_2) | instskip(NEXT) | instid1(VALU_DEP_2)
	v_sub_f32_e32 v41, v37, v41
	v_add_f32_e32 v40, v37, v39
	v_sub_f32_e32 v38, v39, v38
	s_delay_alu instid0(VALU_DEP_3) | instskip(NEXT) | instid1(VALU_DEP_2)
	v_sub_f32_e32 v34, v34, v41
	v_dual_sub_f32 v42, v40, v37 :: v_dual_sub_f32 v35, v35, v38
	s_delay_alu instid0(VALU_DEP_1) | instskip(NEXT) | instid1(VALU_DEP_2)
	v_sub_f32_e32 v43, v40, v42
	v_dual_sub_f32 v38, v39, v42 :: v_dual_add_f32 v39, v34, v35
	s_delay_alu instid0(VALU_DEP_2) | instskip(NEXT) | instid1(VALU_DEP_1)
	v_sub_f32_e32 v37, v37, v43
	v_dual_add_f32 v37, v38, v37 :: v_dual_sub_f32 v38, v39, v34
	s_delay_alu instid0(VALU_DEP_1) | instskip(NEXT) | instid1(VALU_DEP_2)
	v_add_f32_e32 v37, v39, v37
	v_sub_f32_e32 v39, v39, v38
	v_sub_f32_e32 v35, v35, v38
	s_delay_alu instid0(VALU_DEP_2) | instskip(NEXT) | instid1(VALU_DEP_1)
	v_dual_add_f32 v41, v40, v37 :: v_dual_sub_f32 v34, v34, v39
	v_sub_f32_e32 v38, v41, v40
	s_delay_alu instid0(VALU_DEP_2) | instskip(NEXT) | instid1(VALU_DEP_2)
	v_add_f32_e32 v34, v35, v34
	v_sub_f32_e32 v35, v37, v38
	s_delay_alu instid0(VALU_DEP_1) | instskip(NEXT) | instid1(VALU_DEP_1)
	v_add_f32_e32 v34, v34, v35
	v_add_f32_e32 v34, v41, v34
	s_wait_alu 0xf1ff
	s_delay_alu instid0(VALU_DEP_1) | instskip(SKIP_2) | instid1(VALU_DEP_1)
	v_cndmask_b32_e64 v34, 0x7f800000, v34, s1
	v_cmp_gt_f32_e64 s1, 0x33800000, |v36|
	s_wait_alu 0xf1ff
	v_cndmask_b32_e64 v34, v34, v36, s1
	s_delay_alu instid0(VALU_DEP_1)
	v_add_f32_e32 v34, v33, v34
.LBB498_49:
	s_or_b32 exec_lo, exec_lo, s28
	ds_load_u16 v33, v29 offset:4
	v_bfe_u32 v35, v34, 16, 1
	v_cmp_o_f32_e64 s1, v34, v34
	s_delay_alu instid0(VALU_DEP_2) | instskip(SKIP_2) | instid1(VALU_DEP_1)
	v_add3_u32 v35, v34, v35, 0x7fff
	s_wait_dscnt 0x0
	v_lshlrev_b32_e32 v33, 16, v33
	v_dual_max_num_f32 v36, v33, v33 :: v_dual_and_b32 v35, 0xffff0000, v35
	s_wait_alu 0xf1ff
	s_delay_alu instid0(VALU_DEP_1) | instskip(NEXT) | instid1(VALU_DEP_1)
	v_cndmask_b32_e64 v34, 0x7fc00000, v35, s1
	v_max_num_f32_e32 v35, v34, v34
	v_cmp_u_f32_e64 s1, v34, v34
	s_delay_alu instid0(VALU_DEP_2) | instskip(SKIP_2) | instid1(VALU_DEP_2)
	v_min_num_f32_e32 v37, v35, v36
	v_max_num_f32_e32 v35, v35, v36
	s_wait_alu 0xf1ff
	v_cndmask_b32_e64 v36, v37, v34, s1
	s_delay_alu instid0(VALU_DEP_2) | instskip(SKIP_2) | instid1(VALU_DEP_1)
	v_cndmask_b32_e64 v37, v35, v34, s1
	v_cmp_u_f32_e64 s1, v33, v33
	s_wait_alu 0xf1ff
	v_cndmask_b32_e64 v35, v36, v33, s1
	s_delay_alu instid0(VALU_DEP_3) | instskip(NEXT) | instid1(VALU_DEP_2)
	v_cndmask_b32_e64 v33, v37, v33, s1
	v_cmp_class_f32_e64 s28, v35, 0x1f8
	s_delay_alu instid0(VALU_DEP_2)
	v_cmp_neq_f32_e64 s1, v35, v33
	s_or_b32 s1, s1, s28
	s_wait_alu 0xfffe
	s_and_saveexec_b32 s28, s1
	s_cbranch_execz .LBB498_51
; %bb.50:
	v_sub_f32_e32 v34, v35, v33
	s_delay_alu instid0(VALU_DEP_1) | instskip(SKIP_1) | instid1(VALU_DEP_2)
	v_mul_f32_e32 v35, 0x3fb8aa3b, v34
	v_cmp_ngt_f32_e64 s1, 0xc2ce8ed0, v34
	v_fma_f32 v36, 0x3fb8aa3b, v34, -v35
	v_rndne_f32_e32 v37, v35
	s_delay_alu instid0(VALU_DEP_1) | instskip(NEXT) | instid1(VALU_DEP_1)
	v_dual_fmamk_f32 v36, v34, 0x32a5705f, v36 :: v_dual_sub_f32 v35, v35, v37
	v_add_f32_e32 v35, v35, v36
	v_cvt_i32_f32_e32 v36, v37
	s_delay_alu instid0(VALU_DEP_2) | instskip(NEXT) | instid1(TRANS32_DEP_1)
	v_exp_f32_e32 v35, v35
	v_ldexp_f32 v35, v35, v36
	s_wait_alu 0xf1ff
	s_delay_alu instid0(VALU_DEP_1) | instskip(SKIP_2) | instid1(VALU_DEP_1)
	v_cndmask_b32_e64 v35, 0, v35, s1
	v_cmp_nlt_f32_e64 s1, 0x42b17218, v34
	s_wait_alu 0xf1ff
	v_cndmask_b32_e64 v36, 0x7f800000, v35, s1
	s_delay_alu instid0(VALU_DEP_1) | instskip(NEXT) | instid1(VALU_DEP_1)
	v_add_f32_e32 v37, 1.0, v36
	v_cvt_f64_f32_e32 v[34:35], v37
	s_delay_alu instid0(VALU_DEP_1) | instskip(SKIP_1) | instid1(VALU_DEP_1)
	v_frexp_exp_i32_f64_e32 v34, v[34:35]
	v_frexp_mant_f32_e32 v35, v37
	v_cmp_gt_f32_e64 s1, 0x3f2aaaab, v35
	v_add_f32_e32 v35, -1.0, v37
	s_delay_alu instid0(VALU_DEP_1)
	v_sub_f32_e32 v39, v35, v37
	v_sub_f32_e32 v35, v36, v35
	s_wait_alu 0xf1ff
	v_subrev_co_ci_u32_e64 v34, null, 0, v34, s1
	s_mov_b32 s1, 0x3e9b6dac
	v_sub_nc_u32_e32 v38, 0, v34
	v_cvt_f32_i32_e32 v34, v34
	s_delay_alu instid0(VALU_DEP_2) | instskip(NEXT) | instid1(VALU_DEP_1)
	v_ldexp_f32 v37, v37, v38
	v_dual_add_f32 v40, 1.0, v37 :: v_dual_add_f32 v39, 1.0, v39
	s_delay_alu instid0(VALU_DEP_1) | instskip(NEXT) | instid1(VALU_DEP_2)
	v_add_f32_e32 v35, v35, v39
	v_add_f32_e32 v39, -1.0, v40
	s_delay_alu instid0(VALU_DEP_2) | instskip(NEXT) | instid1(VALU_DEP_2)
	v_ldexp_f32 v35, v35, v38
	v_dual_add_f32 v38, -1.0, v37 :: v_dual_sub_f32 v39, v37, v39
	s_delay_alu instid0(VALU_DEP_1) | instskip(NEXT) | instid1(VALU_DEP_2)
	v_add_f32_e32 v41, 1.0, v38
	v_add_f32_e32 v39, v35, v39
	s_delay_alu instid0(VALU_DEP_2) | instskip(NEXT) | instid1(VALU_DEP_2)
	v_sub_f32_e32 v37, v37, v41
	v_add_f32_e32 v41, v40, v39
	s_delay_alu instid0(VALU_DEP_2) | instskip(NEXT) | instid1(VALU_DEP_2)
	v_add_f32_e32 v35, v35, v37
	v_rcp_f32_e32 v37, v41
	v_sub_f32_e32 v40, v40, v41
	s_delay_alu instid0(VALU_DEP_1) | instskip(NEXT) | instid1(VALU_DEP_1)
	v_dual_add_f32 v42, v38, v35 :: v_dual_add_f32 v39, v39, v40
	v_sub_f32_e32 v38, v38, v42
	s_delay_alu instid0(TRANS32_DEP_1) | instskip(NEXT) | instid1(VALU_DEP_1)
	v_mul_f32_e32 v43, v42, v37
	v_dual_add_f32 v35, v35, v38 :: v_dual_mul_f32 v44, v41, v43
	s_delay_alu instid0(VALU_DEP_1) | instskip(NEXT) | instid1(VALU_DEP_1)
	v_fma_f32 v40, v43, v41, -v44
	v_fmac_f32_e32 v40, v43, v39
	s_delay_alu instid0(VALU_DEP_1) | instskip(NEXT) | instid1(VALU_DEP_1)
	v_add_f32_e32 v45, v44, v40
	v_sub_f32_e32 v46, v42, v45
	v_sub_f32_e32 v38, v45, v44
	s_delay_alu instid0(VALU_DEP_2) | instskip(NEXT) | instid1(VALU_DEP_2)
	v_sub_f32_e32 v42, v42, v46
	v_sub_f32_e32 v38, v38, v40
	s_delay_alu instid0(VALU_DEP_2) | instskip(NEXT) | instid1(VALU_DEP_1)
	v_sub_f32_e32 v42, v42, v45
	v_add_f32_e32 v35, v35, v42
	s_delay_alu instid0(VALU_DEP_1) | instskip(NEXT) | instid1(VALU_DEP_1)
	v_add_f32_e32 v35, v38, v35
	v_add_f32_e32 v38, v46, v35
	s_delay_alu instid0(VALU_DEP_1) | instskip(NEXT) | instid1(VALU_DEP_1)
	v_mul_f32_e32 v40, v37, v38
	v_dual_sub_f32 v45, v46, v38 :: v_dual_mul_f32 v42, v41, v40
	s_delay_alu instid0(VALU_DEP_1) | instskip(NEXT) | instid1(VALU_DEP_2)
	v_add_f32_e32 v35, v35, v45
	v_fma_f32 v41, v40, v41, -v42
	s_delay_alu instid0(VALU_DEP_1) | instskip(NEXT) | instid1(VALU_DEP_1)
	v_fmac_f32_e32 v41, v40, v39
	v_add_f32_e32 v39, v42, v41
	s_delay_alu instid0(VALU_DEP_1) | instskip(SKIP_1) | instid1(VALU_DEP_2)
	v_sub_f32_e32 v44, v38, v39
	v_sub_f32_e32 v42, v39, v42
	;; [unrolled: 1-line block ×3, first 2 shown]
	s_delay_alu instid0(VALU_DEP_1) | instskip(NEXT) | instid1(VALU_DEP_3)
	v_sub_f32_e32 v38, v38, v39
	v_sub_f32_e32 v39, v42, v41
	s_delay_alu instid0(VALU_DEP_2) | instskip(SKIP_1) | instid1(VALU_DEP_2)
	v_add_f32_e32 v35, v35, v38
	v_add_f32_e32 v38, v43, v40
	v_add_f32_e32 v35, v39, v35
	s_delay_alu instid0(VALU_DEP_2) | instskip(NEXT) | instid1(VALU_DEP_2)
	v_sub_f32_e32 v39, v38, v43
	v_add_f32_e32 v35, v44, v35
	s_delay_alu instid0(VALU_DEP_2) | instskip(NEXT) | instid1(VALU_DEP_2)
	v_sub_f32_e32 v39, v40, v39
	v_mul_f32_e32 v35, v37, v35
	s_delay_alu instid0(VALU_DEP_1) | instskip(NEXT) | instid1(VALU_DEP_1)
	v_add_f32_e32 v35, v39, v35
	v_add_f32_e32 v37, v38, v35
	s_delay_alu instid0(VALU_DEP_1) | instskip(SKIP_1) | instid1(VALU_DEP_1)
	v_mul_f32_e32 v39, v37, v37
	s_wait_alu 0xfffe
	v_fmaak_f32 v40, s1, v39, 0x3ecc95a3
	v_mul_f32_e32 v41, v37, v39
	v_cmp_neq_f32_e64 s1, 0x7f800000, v36
	s_delay_alu instid0(VALU_DEP_3) | instskip(SKIP_2) | instid1(VALU_DEP_3)
	v_fmaak_f32 v39, v39, v40, 0x3f2aaada
	v_ldexp_f32 v40, v37, 1
	v_sub_f32_e32 v37, v37, v38
	v_mul_f32_e32 v39, v41, v39
	v_mul_f32_e32 v41, 0x3f317218, v34
	s_delay_alu instid0(VALU_DEP_2) | instskip(NEXT) | instid1(VALU_DEP_1)
	v_dual_sub_f32 v35, v35, v37 :: v_dual_add_f32 v38, v40, v39
	v_ldexp_f32 v35, v35, 1
	s_delay_alu instid0(VALU_DEP_2) | instskip(NEXT) | instid1(VALU_DEP_4)
	v_sub_f32_e32 v37, v38, v40
	v_fma_f32 v40, 0x3f317218, v34, -v41
	s_delay_alu instid0(VALU_DEP_1) | instskip(NEXT) | instid1(VALU_DEP_1)
	v_dual_sub_f32 v37, v39, v37 :: v_dual_fmamk_f32 v34, v34, 0xb102e308, v40
	v_add_f32_e32 v35, v35, v37
	s_delay_alu instid0(VALU_DEP_2) | instskip(NEXT) | instid1(VALU_DEP_2)
	v_add_f32_e32 v37, v41, v34
	v_add_f32_e32 v39, v38, v35
	s_delay_alu instid0(VALU_DEP_2) | instskip(NEXT) | instid1(VALU_DEP_2)
	v_sub_f32_e32 v41, v37, v41
	v_add_f32_e32 v40, v37, v39
	v_sub_f32_e32 v38, v39, v38
	s_delay_alu instid0(VALU_DEP_3) | instskip(NEXT) | instid1(VALU_DEP_2)
	v_sub_f32_e32 v34, v34, v41
	v_dual_sub_f32 v42, v40, v37 :: v_dual_sub_f32 v35, v35, v38
	s_delay_alu instid0(VALU_DEP_1) | instskip(NEXT) | instid1(VALU_DEP_2)
	v_sub_f32_e32 v43, v40, v42
	v_dual_sub_f32 v38, v39, v42 :: v_dual_add_f32 v39, v34, v35
	s_delay_alu instid0(VALU_DEP_2) | instskip(NEXT) | instid1(VALU_DEP_1)
	v_sub_f32_e32 v37, v37, v43
	v_dual_add_f32 v37, v38, v37 :: v_dual_sub_f32 v38, v39, v34
	s_delay_alu instid0(VALU_DEP_1) | instskip(NEXT) | instid1(VALU_DEP_2)
	v_add_f32_e32 v37, v39, v37
	v_sub_f32_e32 v39, v39, v38
	v_sub_f32_e32 v35, v35, v38
	s_delay_alu instid0(VALU_DEP_2) | instskip(NEXT) | instid1(VALU_DEP_1)
	v_dual_add_f32 v41, v40, v37 :: v_dual_sub_f32 v34, v34, v39
	v_sub_f32_e32 v38, v41, v40
	s_delay_alu instid0(VALU_DEP_2) | instskip(NEXT) | instid1(VALU_DEP_2)
	v_add_f32_e32 v34, v35, v34
	v_sub_f32_e32 v35, v37, v38
	s_delay_alu instid0(VALU_DEP_1) | instskip(NEXT) | instid1(VALU_DEP_1)
	v_add_f32_e32 v34, v34, v35
	v_add_f32_e32 v34, v41, v34
	s_wait_alu 0xf1ff
	s_delay_alu instid0(VALU_DEP_1) | instskip(SKIP_2) | instid1(VALU_DEP_1)
	v_cndmask_b32_e64 v34, 0x7f800000, v34, s1
	v_cmp_gt_f32_e64 s1, 0x33800000, |v36|
	s_wait_alu 0xf1ff
	v_cndmask_b32_e64 v34, v34, v36, s1
	s_delay_alu instid0(VALU_DEP_1)
	v_add_f32_e32 v34, v33, v34
.LBB498_51:
	s_or_b32 exec_lo, exec_lo, s28
	ds_load_u16 v33, v29 offset:6
	v_bfe_u32 v35, v34, 16, 1
	v_cmp_o_f32_e64 s1, v34, v34
	s_delay_alu instid0(VALU_DEP_2) | instskip(SKIP_2) | instid1(VALU_DEP_1)
	v_add3_u32 v35, v34, v35, 0x7fff
	s_wait_dscnt 0x0
	v_lshlrev_b32_e32 v33, 16, v33
	v_dual_max_num_f32 v36, v33, v33 :: v_dual_and_b32 v35, 0xffff0000, v35
	s_wait_alu 0xf1ff
	s_delay_alu instid0(VALU_DEP_1) | instskip(NEXT) | instid1(VALU_DEP_1)
	v_cndmask_b32_e64 v34, 0x7fc00000, v35, s1
	v_max_num_f32_e32 v35, v34, v34
	v_cmp_u_f32_e64 s1, v34, v34
	s_delay_alu instid0(VALU_DEP_2) | instskip(SKIP_2) | instid1(VALU_DEP_2)
	v_min_num_f32_e32 v37, v35, v36
	v_max_num_f32_e32 v35, v35, v36
	s_wait_alu 0xf1ff
	v_cndmask_b32_e64 v36, v37, v34, s1
	s_delay_alu instid0(VALU_DEP_2) | instskip(SKIP_2) | instid1(VALU_DEP_1)
	v_cndmask_b32_e64 v37, v35, v34, s1
	v_cmp_u_f32_e64 s1, v33, v33
	s_wait_alu 0xf1ff
	v_cndmask_b32_e64 v35, v36, v33, s1
	s_delay_alu instid0(VALU_DEP_3) | instskip(NEXT) | instid1(VALU_DEP_2)
	v_cndmask_b32_e64 v33, v37, v33, s1
	v_cmp_class_f32_e64 s28, v35, 0x1f8
	s_delay_alu instid0(VALU_DEP_2)
	v_cmp_neq_f32_e64 s1, v35, v33
	s_or_b32 s1, s1, s28
	s_wait_alu 0xfffe
	s_and_saveexec_b32 s28, s1
	s_cbranch_execz .LBB498_53
; %bb.52:
	v_sub_f32_e32 v34, v35, v33
	s_delay_alu instid0(VALU_DEP_1) | instskip(SKIP_1) | instid1(VALU_DEP_2)
	v_mul_f32_e32 v35, 0x3fb8aa3b, v34
	v_cmp_ngt_f32_e64 s1, 0xc2ce8ed0, v34
	v_fma_f32 v36, 0x3fb8aa3b, v34, -v35
	v_rndne_f32_e32 v37, v35
	s_delay_alu instid0(VALU_DEP_1) | instskip(NEXT) | instid1(VALU_DEP_1)
	v_dual_fmamk_f32 v36, v34, 0x32a5705f, v36 :: v_dual_sub_f32 v35, v35, v37
	v_add_f32_e32 v35, v35, v36
	v_cvt_i32_f32_e32 v36, v37
	s_delay_alu instid0(VALU_DEP_2) | instskip(NEXT) | instid1(TRANS32_DEP_1)
	v_exp_f32_e32 v35, v35
	v_ldexp_f32 v35, v35, v36
	s_wait_alu 0xf1ff
	s_delay_alu instid0(VALU_DEP_1) | instskip(SKIP_2) | instid1(VALU_DEP_1)
	v_cndmask_b32_e64 v35, 0, v35, s1
	v_cmp_nlt_f32_e64 s1, 0x42b17218, v34
	s_wait_alu 0xf1ff
	v_cndmask_b32_e64 v36, 0x7f800000, v35, s1
	s_delay_alu instid0(VALU_DEP_1) | instskip(NEXT) | instid1(VALU_DEP_1)
	v_add_f32_e32 v37, 1.0, v36
	v_cvt_f64_f32_e32 v[34:35], v37
	s_delay_alu instid0(VALU_DEP_1) | instskip(SKIP_1) | instid1(VALU_DEP_1)
	v_frexp_exp_i32_f64_e32 v34, v[34:35]
	v_frexp_mant_f32_e32 v35, v37
	v_cmp_gt_f32_e64 s1, 0x3f2aaaab, v35
	v_add_f32_e32 v35, -1.0, v37
	s_delay_alu instid0(VALU_DEP_1)
	v_sub_f32_e32 v39, v35, v37
	v_sub_f32_e32 v35, v36, v35
	s_wait_alu 0xf1ff
	v_subrev_co_ci_u32_e64 v34, null, 0, v34, s1
	s_mov_b32 s1, 0x3e9b6dac
	v_sub_nc_u32_e32 v38, 0, v34
	v_cvt_f32_i32_e32 v34, v34
	s_delay_alu instid0(VALU_DEP_2) | instskip(NEXT) | instid1(VALU_DEP_1)
	v_ldexp_f32 v37, v37, v38
	v_dual_add_f32 v40, 1.0, v37 :: v_dual_add_f32 v39, 1.0, v39
	s_delay_alu instid0(VALU_DEP_1) | instskip(NEXT) | instid1(VALU_DEP_2)
	v_add_f32_e32 v35, v35, v39
	v_add_f32_e32 v39, -1.0, v40
	s_delay_alu instid0(VALU_DEP_2) | instskip(NEXT) | instid1(VALU_DEP_2)
	v_ldexp_f32 v35, v35, v38
	v_dual_add_f32 v38, -1.0, v37 :: v_dual_sub_f32 v39, v37, v39
	s_delay_alu instid0(VALU_DEP_1) | instskip(NEXT) | instid1(VALU_DEP_2)
	v_add_f32_e32 v41, 1.0, v38
	v_add_f32_e32 v39, v35, v39
	s_delay_alu instid0(VALU_DEP_2) | instskip(NEXT) | instid1(VALU_DEP_2)
	v_sub_f32_e32 v37, v37, v41
	v_add_f32_e32 v41, v40, v39
	s_delay_alu instid0(VALU_DEP_2) | instskip(NEXT) | instid1(VALU_DEP_2)
	v_add_f32_e32 v35, v35, v37
	v_rcp_f32_e32 v37, v41
	v_sub_f32_e32 v40, v40, v41
	s_delay_alu instid0(VALU_DEP_1) | instskip(NEXT) | instid1(VALU_DEP_1)
	v_dual_add_f32 v42, v38, v35 :: v_dual_add_f32 v39, v39, v40
	v_sub_f32_e32 v38, v38, v42
	s_delay_alu instid0(TRANS32_DEP_1) | instskip(NEXT) | instid1(VALU_DEP_1)
	v_mul_f32_e32 v43, v42, v37
	v_dual_add_f32 v35, v35, v38 :: v_dual_mul_f32 v44, v41, v43
	s_delay_alu instid0(VALU_DEP_1) | instskip(NEXT) | instid1(VALU_DEP_1)
	v_fma_f32 v40, v43, v41, -v44
	v_fmac_f32_e32 v40, v43, v39
	s_delay_alu instid0(VALU_DEP_1) | instskip(NEXT) | instid1(VALU_DEP_1)
	v_add_f32_e32 v45, v44, v40
	v_sub_f32_e32 v46, v42, v45
	v_sub_f32_e32 v38, v45, v44
	s_delay_alu instid0(VALU_DEP_2) | instskip(NEXT) | instid1(VALU_DEP_2)
	v_sub_f32_e32 v42, v42, v46
	v_sub_f32_e32 v38, v38, v40
	s_delay_alu instid0(VALU_DEP_2) | instskip(NEXT) | instid1(VALU_DEP_1)
	v_sub_f32_e32 v42, v42, v45
	v_add_f32_e32 v35, v35, v42
	s_delay_alu instid0(VALU_DEP_1) | instskip(NEXT) | instid1(VALU_DEP_1)
	v_add_f32_e32 v35, v38, v35
	v_add_f32_e32 v38, v46, v35
	s_delay_alu instid0(VALU_DEP_1) | instskip(NEXT) | instid1(VALU_DEP_1)
	v_mul_f32_e32 v40, v37, v38
	v_dual_sub_f32 v45, v46, v38 :: v_dual_mul_f32 v42, v41, v40
	s_delay_alu instid0(VALU_DEP_1) | instskip(NEXT) | instid1(VALU_DEP_2)
	v_add_f32_e32 v35, v35, v45
	v_fma_f32 v41, v40, v41, -v42
	s_delay_alu instid0(VALU_DEP_1) | instskip(NEXT) | instid1(VALU_DEP_1)
	v_fmac_f32_e32 v41, v40, v39
	v_add_f32_e32 v39, v42, v41
	s_delay_alu instid0(VALU_DEP_1) | instskip(SKIP_1) | instid1(VALU_DEP_2)
	v_sub_f32_e32 v44, v38, v39
	v_sub_f32_e32 v42, v39, v42
	;; [unrolled: 1-line block ×3, first 2 shown]
	s_delay_alu instid0(VALU_DEP_1) | instskip(NEXT) | instid1(VALU_DEP_3)
	v_sub_f32_e32 v38, v38, v39
	v_sub_f32_e32 v39, v42, v41
	s_delay_alu instid0(VALU_DEP_2) | instskip(SKIP_1) | instid1(VALU_DEP_2)
	v_add_f32_e32 v35, v35, v38
	v_add_f32_e32 v38, v43, v40
	;; [unrolled: 1-line block ×3, first 2 shown]
	s_delay_alu instid0(VALU_DEP_2) | instskip(NEXT) | instid1(VALU_DEP_2)
	v_sub_f32_e32 v39, v38, v43
	v_add_f32_e32 v35, v44, v35
	s_delay_alu instid0(VALU_DEP_2) | instskip(NEXT) | instid1(VALU_DEP_2)
	v_sub_f32_e32 v39, v40, v39
	v_mul_f32_e32 v35, v37, v35
	s_delay_alu instid0(VALU_DEP_1) | instskip(NEXT) | instid1(VALU_DEP_1)
	v_add_f32_e32 v35, v39, v35
	v_add_f32_e32 v37, v38, v35
	s_delay_alu instid0(VALU_DEP_1) | instskip(SKIP_1) | instid1(VALU_DEP_1)
	v_mul_f32_e32 v39, v37, v37
	s_wait_alu 0xfffe
	v_fmaak_f32 v40, s1, v39, 0x3ecc95a3
	v_mul_f32_e32 v41, v37, v39
	v_cmp_neq_f32_e64 s1, 0x7f800000, v36
	s_delay_alu instid0(VALU_DEP_3) | instskip(SKIP_2) | instid1(VALU_DEP_3)
	v_fmaak_f32 v39, v39, v40, 0x3f2aaada
	v_ldexp_f32 v40, v37, 1
	v_sub_f32_e32 v37, v37, v38
	v_mul_f32_e32 v39, v41, v39
	v_mul_f32_e32 v41, 0x3f317218, v34
	s_delay_alu instid0(VALU_DEP_2) | instskip(NEXT) | instid1(VALU_DEP_1)
	v_dual_sub_f32 v35, v35, v37 :: v_dual_add_f32 v38, v40, v39
	v_ldexp_f32 v35, v35, 1
	s_delay_alu instid0(VALU_DEP_2) | instskip(NEXT) | instid1(VALU_DEP_4)
	v_sub_f32_e32 v37, v38, v40
	v_fma_f32 v40, 0x3f317218, v34, -v41
	s_delay_alu instid0(VALU_DEP_1) | instskip(NEXT) | instid1(VALU_DEP_1)
	v_dual_sub_f32 v37, v39, v37 :: v_dual_fmamk_f32 v34, v34, 0xb102e308, v40
	v_add_f32_e32 v35, v35, v37
	s_delay_alu instid0(VALU_DEP_2) | instskip(NEXT) | instid1(VALU_DEP_2)
	v_add_f32_e32 v37, v41, v34
	v_add_f32_e32 v39, v38, v35
	s_delay_alu instid0(VALU_DEP_2) | instskip(NEXT) | instid1(VALU_DEP_2)
	v_sub_f32_e32 v41, v37, v41
	v_add_f32_e32 v40, v37, v39
	v_sub_f32_e32 v38, v39, v38
	s_delay_alu instid0(VALU_DEP_3) | instskip(NEXT) | instid1(VALU_DEP_2)
	v_sub_f32_e32 v34, v34, v41
	v_dual_sub_f32 v42, v40, v37 :: v_dual_sub_f32 v35, v35, v38
	s_delay_alu instid0(VALU_DEP_1) | instskip(NEXT) | instid1(VALU_DEP_2)
	v_sub_f32_e32 v43, v40, v42
	v_dual_sub_f32 v38, v39, v42 :: v_dual_add_f32 v39, v34, v35
	s_delay_alu instid0(VALU_DEP_2) | instskip(NEXT) | instid1(VALU_DEP_1)
	v_sub_f32_e32 v37, v37, v43
	v_dual_add_f32 v37, v38, v37 :: v_dual_sub_f32 v38, v39, v34
	s_delay_alu instid0(VALU_DEP_1) | instskip(NEXT) | instid1(VALU_DEP_2)
	v_add_f32_e32 v37, v39, v37
	v_sub_f32_e32 v39, v39, v38
	v_sub_f32_e32 v35, v35, v38
	s_delay_alu instid0(VALU_DEP_2) | instskip(NEXT) | instid1(VALU_DEP_1)
	v_dual_add_f32 v41, v40, v37 :: v_dual_sub_f32 v34, v34, v39
	v_sub_f32_e32 v38, v41, v40
	s_delay_alu instid0(VALU_DEP_2) | instskip(NEXT) | instid1(VALU_DEP_2)
	v_add_f32_e32 v34, v35, v34
	v_sub_f32_e32 v35, v37, v38
	s_delay_alu instid0(VALU_DEP_1) | instskip(NEXT) | instid1(VALU_DEP_1)
	v_add_f32_e32 v34, v34, v35
	v_add_f32_e32 v34, v41, v34
	s_wait_alu 0xf1ff
	s_delay_alu instid0(VALU_DEP_1) | instskip(SKIP_2) | instid1(VALU_DEP_1)
	v_cndmask_b32_e64 v34, 0x7f800000, v34, s1
	v_cmp_gt_f32_e64 s1, 0x33800000, |v36|
	s_wait_alu 0xf1ff
	v_cndmask_b32_e64 v34, v34, v36, s1
	s_delay_alu instid0(VALU_DEP_1)
	v_add_f32_e32 v34, v33, v34
.LBB498_53:
	s_or_b32 exec_lo, exec_lo, s28
	ds_load_u16 v33, v29 offset:8
	v_bfe_u32 v35, v34, 16, 1
	v_cmp_o_f32_e64 s1, v34, v34
	s_delay_alu instid0(VALU_DEP_2) | instskip(SKIP_2) | instid1(VALU_DEP_1)
	v_add3_u32 v35, v34, v35, 0x7fff
	s_wait_dscnt 0x0
	v_lshlrev_b32_e32 v33, 16, v33
	v_dual_max_num_f32 v36, v33, v33 :: v_dual_and_b32 v35, 0xffff0000, v35
	s_wait_alu 0xf1ff
	s_delay_alu instid0(VALU_DEP_1) | instskip(NEXT) | instid1(VALU_DEP_1)
	v_cndmask_b32_e64 v34, 0x7fc00000, v35, s1
	v_max_num_f32_e32 v35, v34, v34
	v_cmp_u_f32_e64 s1, v34, v34
	s_delay_alu instid0(VALU_DEP_2) | instskip(SKIP_2) | instid1(VALU_DEP_2)
	v_min_num_f32_e32 v37, v35, v36
	v_max_num_f32_e32 v35, v35, v36
	s_wait_alu 0xf1ff
	v_cndmask_b32_e64 v36, v37, v34, s1
	s_delay_alu instid0(VALU_DEP_2) | instskip(SKIP_2) | instid1(VALU_DEP_1)
	v_cndmask_b32_e64 v37, v35, v34, s1
	v_cmp_u_f32_e64 s1, v33, v33
	s_wait_alu 0xf1ff
	v_cndmask_b32_e64 v35, v36, v33, s1
	s_delay_alu instid0(VALU_DEP_3) | instskip(NEXT) | instid1(VALU_DEP_2)
	v_cndmask_b32_e64 v33, v37, v33, s1
	v_cmp_class_f32_e64 s28, v35, 0x1f8
	s_delay_alu instid0(VALU_DEP_2)
	v_cmp_neq_f32_e64 s1, v35, v33
	s_or_b32 s1, s1, s28
	s_wait_alu 0xfffe
	s_and_saveexec_b32 s28, s1
	s_cbranch_execz .LBB498_55
; %bb.54:
	v_sub_f32_e32 v34, v35, v33
	s_delay_alu instid0(VALU_DEP_1) | instskip(SKIP_1) | instid1(VALU_DEP_2)
	v_mul_f32_e32 v35, 0x3fb8aa3b, v34
	v_cmp_ngt_f32_e64 s1, 0xc2ce8ed0, v34
	v_fma_f32 v36, 0x3fb8aa3b, v34, -v35
	v_rndne_f32_e32 v37, v35
	s_delay_alu instid0(VALU_DEP_1) | instskip(NEXT) | instid1(VALU_DEP_1)
	v_dual_fmamk_f32 v36, v34, 0x32a5705f, v36 :: v_dual_sub_f32 v35, v35, v37
	v_add_f32_e32 v35, v35, v36
	v_cvt_i32_f32_e32 v36, v37
	s_delay_alu instid0(VALU_DEP_2) | instskip(NEXT) | instid1(TRANS32_DEP_1)
	v_exp_f32_e32 v35, v35
	v_ldexp_f32 v35, v35, v36
	s_wait_alu 0xf1ff
	s_delay_alu instid0(VALU_DEP_1) | instskip(SKIP_2) | instid1(VALU_DEP_1)
	v_cndmask_b32_e64 v35, 0, v35, s1
	v_cmp_nlt_f32_e64 s1, 0x42b17218, v34
	s_wait_alu 0xf1ff
	v_cndmask_b32_e64 v36, 0x7f800000, v35, s1
	s_delay_alu instid0(VALU_DEP_1) | instskip(NEXT) | instid1(VALU_DEP_1)
	v_add_f32_e32 v37, 1.0, v36
	v_cvt_f64_f32_e32 v[34:35], v37
	s_delay_alu instid0(VALU_DEP_1) | instskip(SKIP_1) | instid1(VALU_DEP_1)
	v_frexp_exp_i32_f64_e32 v34, v[34:35]
	v_frexp_mant_f32_e32 v35, v37
	v_cmp_gt_f32_e64 s1, 0x3f2aaaab, v35
	v_add_f32_e32 v35, -1.0, v37
	s_delay_alu instid0(VALU_DEP_1)
	v_sub_f32_e32 v39, v35, v37
	v_sub_f32_e32 v35, v36, v35
	s_wait_alu 0xf1ff
	v_subrev_co_ci_u32_e64 v34, null, 0, v34, s1
	s_mov_b32 s1, 0x3e9b6dac
	v_sub_nc_u32_e32 v38, 0, v34
	v_cvt_f32_i32_e32 v34, v34
	s_delay_alu instid0(VALU_DEP_2) | instskip(NEXT) | instid1(VALU_DEP_1)
	v_ldexp_f32 v37, v37, v38
	v_dual_add_f32 v40, 1.0, v37 :: v_dual_add_f32 v39, 1.0, v39
	s_delay_alu instid0(VALU_DEP_1) | instskip(NEXT) | instid1(VALU_DEP_2)
	v_add_f32_e32 v35, v35, v39
	v_add_f32_e32 v39, -1.0, v40
	s_delay_alu instid0(VALU_DEP_2) | instskip(NEXT) | instid1(VALU_DEP_2)
	v_ldexp_f32 v35, v35, v38
	v_dual_add_f32 v38, -1.0, v37 :: v_dual_sub_f32 v39, v37, v39
	s_delay_alu instid0(VALU_DEP_1) | instskip(NEXT) | instid1(VALU_DEP_2)
	v_add_f32_e32 v41, 1.0, v38
	v_add_f32_e32 v39, v35, v39
	s_delay_alu instid0(VALU_DEP_2) | instskip(NEXT) | instid1(VALU_DEP_2)
	v_sub_f32_e32 v37, v37, v41
	v_add_f32_e32 v41, v40, v39
	s_delay_alu instid0(VALU_DEP_2) | instskip(NEXT) | instid1(VALU_DEP_2)
	v_add_f32_e32 v35, v35, v37
	v_rcp_f32_e32 v37, v41
	v_sub_f32_e32 v40, v40, v41
	s_delay_alu instid0(VALU_DEP_1) | instskip(NEXT) | instid1(VALU_DEP_1)
	v_dual_add_f32 v42, v38, v35 :: v_dual_add_f32 v39, v39, v40
	v_sub_f32_e32 v38, v38, v42
	s_delay_alu instid0(TRANS32_DEP_1) | instskip(NEXT) | instid1(VALU_DEP_1)
	v_mul_f32_e32 v43, v42, v37
	v_dual_add_f32 v35, v35, v38 :: v_dual_mul_f32 v44, v41, v43
	s_delay_alu instid0(VALU_DEP_1) | instskip(NEXT) | instid1(VALU_DEP_1)
	v_fma_f32 v40, v43, v41, -v44
	v_fmac_f32_e32 v40, v43, v39
	s_delay_alu instid0(VALU_DEP_1) | instskip(NEXT) | instid1(VALU_DEP_1)
	v_add_f32_e32 v45, v44, v40
	v_sub_f32_e32 v46, v42, v45
	v_sub_f32_e32 v38, v45, v44
	s_delay_alu instid0(VALU_DEP_2) | instskip(NEXT) | instid1(VALU_DEP_2)
	v_sub_f32_e32 v42, v42, v46
	v_sub_f32_e32 v38, v38, v40
	s_delay_alu instid0(VALU_DEP_2) | instskip(NEXT) | instid1(VALU_DEP_1)
	v_sub_f32_e32 v42, v42, v45
	v_add_f32_e32 v35, v35, v42
	s_delay_alu instid0(VALU_DEP_1) | instskip(NEXT) | instid1(VALU_DEP_1)
	v_add_f32_e32 v35, v38, v35
	v_add_f32_e32 v38, v46, v35
	s_delay_alu instid0(VALU_DEP_1) | instskip(NEXT) | instid1(VALU_DEP_1)
	v_mul_f32_e32 v40, v37, v38
	v_dual_sub_f32 v45, v46, v38 :: v_dual_mul_f32 v42, v41, v40
	s_delay_alu instid0(VALU_DEP_1) | instskip(NEXT) | instid1(VALU_DEP_2)
	v_add_f32_e32 v35, v35, v45
	v_fma_f32 v41, v40, v41, -v42
	s_delay_alu instid0(VALU_DEP_1) | instskip(NEXT) | instid1(VALU_DEP_1)
	v_fmac_f32_e32 v41, v40, v39
	v_add_f32_e32 v39, v42, v41
	s_delay_alu instid0(VALU_DEP_1) | instskip(SKIP_1) | instid1(VALU_DEP_2)
	v_sub_f32_e32 v44, v38, v39
	v_sub_f32_e32 v42, v39, v42
	;; [unrolled: 1-line block ×3, first 2 shown]
	s_delay_alu instid0(VALU_DEP_1) | instskip(NEXT) | instid1(VALU_DEP_3)
	v_sub_f32_e32 v38, v38, v39
	v_sub_f32_e32 v39, v42, v41
	s_delay_alu instid0(VALU_DEP_2) | instskip(SKIP_1) | instid1(VALU_DEP_2)
	v_add_f32_e32 v35, v35, v38
	v_add_f32_e32 v38, v43, v40
	;; [unrolled: 1-line block ×3, first 2 shown]
	s_delay_alu instid0(VALU_DEP_2) | instskip(NEXT) | instid1(VALU_DEP_2)
	v_sub_f32_e32 v39, v38, v43
	v_add_f32_e32 v35, v44, v35
	s_delay_alu instid0(VALU_DEP_2) | instskip(NEXT) | instid1(VALU_DEP_2)
	v_sub_f32_e32 v39, v40, v39
	v_mul_f32_e32 v35, v37, v35
	s_delay_alu instid0(VALU_DEP_1) | instskip(NEXT) | instid1(VALU_DEP_1)
	v_add_f32_e32 v35, v39, v35
	v_add_f32_e32 v37, v38, v35
	s_delay_alu instid0(VALU_DEP_1) | instskip(SKIP_1) | instid1(VALU_DEP_1)
	v_mul_f32_e32 v39, v37, v37
	s_wait_alu 0xfffe
	v_fmaak_f32 v40, s1, v39, 0x3ecc95a3
	v_mul_f32_e32 v41, v37, v39
	v_cmp_neq_f32_e64 s1, 0x7f800000, v36
	s_delay_alu instid0(VALU_DEP_3) | instskip(SKIP_2) | instid1(VALU_DEP_3)
	v_fmaak_f32 v39, v39, v40, 0x3f2aaada
	v_ldexp_f32 v40, v37, 1
	v_sub_f32_e32 v37, v37, v38
	v_mul_f32_e32 v39, v41, v39
	v_mul_f32_e32 v41, 0x3f317218, v34
	s_delay_alu instid0(VALU_DEP_2) | instskip(NEXT) | instid1(VALU_DEP_1)
	v_dual_sub_f32 v35, v35, v37 :: v_dual_add_f32 v38, v40, v39
	v_ldexp_f32 v35, v35, 1
	s_delay_alu instid0(VALU_DEP_2) | instskip(NEXT) | instid1(VALU_DEP_4)
	v_sub_f32_e32 v37, v38, v40
	v_fma_f32 v40, 0x3f317218, v34, -v41
	s_delay_alu instid0(VALU_DEP_1) | instskip(NEXT) | instid1(VALU_DEP_1)
	v_dual_sub_f32 v37, v39, v37 :: v_dual_fmamk_f32 v34, v34, 0xb102e308, v40
	v_add_f32_e32 v35, v35, v37
	s_delay_alu instid0(VALU_DEP_2) | instskip(NEXT) | instid1(VALU_DEP_2)
	v_add_f32_e32 v37, v41, v34
	v_add_f32_e32 v39, v38, v35
	s_delay_alu instid0(VALU_DEP_2) | instskip(NEXT) | instid1(VALU_DEP_2)
	v_sub_f32_e32 v41, v37, v41
	v_add_f32_e32 v40, v37, v39
	v_sub_f32_e32 v38, v39, v38
	s_delay_alu instid0(VALU_DEP_3) | instskip(NEXT) | instid1(VALU_DEP_2)
	v_sub_f32_e32 v34, v34, v41
	v_dual_sub_f32 v42, v40, v37 :: v_dual_sub_f32 v35, v35, v38
	s_delay_alu instid0(VALU_DEP_1) | instskip(NEXT) | instid1(VALU_DEP_2)
	v_sub_f32_e32 v43, v40, v42
	v_dual_sub_f32 v38, v39, v42 :: v_dual_add_f32 v39, v34, v35
	s_delay_alu instid0(VALU_DEP_2) | instskip(NEXT) | instid1(VALU_DEP_1)
	v_sub_f32_e32 v37, v37, v43
	v_dual_add_f32 v37, v38, v37 :: v_dual_sub_f32 v38, v39, v34
	s_delay_alu instid0(VALU_DEP_1) | instskip(NEXT) | instid1(VALU_DEP_2)
	v_add_f32_e32 v37, v39, v37
	v_sub_f32_e32 v39, v39, v38
	v_sub_f32_e32 v35, v35, v38
	s_delay_alu instid0(VALU_DEP_2) | instskip(NEXT) | instid1(VALU_DEP_1)
	v_dual_add_f32 v41, v40, v37 :: v_dual_sub_f32 v34, v34, v39
	v_sub_f32_e32 v38, v41, v40
	s_delay_alu instid0(VALU_DEP_2) | instskip(NEXT) | instid1(VALU_DEP_2)
	v_add_f32_e32 v34, v35, v34
	v_sub_f32_e32 v35, v37, v38
	s_delay_alu instid0(VALU_DEP_1) | instskip(NEXT) | instid1(VALU_DEP_1)
	v_add_f32_e32 v34, v34, v35
	v_add_f32_e32 v34, v41, v34
	s_wait_alu 0xf1ff
	s_delay_alu instid0(VALU_DEP_1) | instskip(SKIP_2) | instid1(VALU_DEP_1)
	v_cndmask_b32_e64 v34, 0x7f800000, v34, s1
	v_cmp_gt_f32_e64 s1, 0x33800000, |v36|
	s_wait_alu 0xf1ff
	v_cndmask_b32_e64 v34, v34, v36, s1
	s_delay_alu instid0(VALU_DEP_1)
	v_add_f32_e32 v34, v33, v34
.LBB498_55:
	s_or_b32 exec_lo, exec_lo, s28
	ds_load_u16 v33, v29 offset:10
	v_bfe_u32 v35, v34, 16, 1
	v_cmp_o_f32_e64 s1, v34, v34
	s_delay_alu instid0(VALU_DEP_2) | instskip(SKIP_2) | instid1(VALU_DEP_1)
	v_add3_u32 v35, v34, v35, 0x7fff
	s_wait_dscnt 0x0
	v_lshlrev_b32_e32 v33, 16, v33
	v_dual_max_num_f32 v36, v33, v33 :: v_dual_and_b32 v35, 0xffff0000, v35
	s_wait_alu 0xf1ff
	s_delay_alu instid0(VALU_DEP_1) | instskip(NEXT) | instid1(VALU_DEP_1)
	v_cndmask_b32_e64 v34, 0x7fc00000, v35, s1
	v_max_num_f32_e32 v35, v34, v34
	v_cmp_u_f32_e64 s1, v34, v34
	s_delay_alu instid0(VALU_DEP_2) | instskip(SKIP_2) | instid1(VALU_DEP_2)
	v_min_num_f32_e32 v37, v35, v36
	v_max_num_f32_e32 v35, v35, v36
	s_wait_alu 0xf1ff
	v_cndmask_b32_e64 v36, v37, v34, s1
	s_delay_alu instid0(VALU_DEP_2) | instskip(SKIP_2) | instid1(VALU_DEP_1)
	v_cndmask_b32_e64 v37, v35, v34, s1
	v_cmp_u_f32_e64 s1, v33, v33
	s_wait_alu 0xf1ff
	v_cndmask_b32_e64 v35, v36, v33, s1
	s_delay_alu instid0(VALU_DEP_3) | instskip(NEXT) | instid1(VALU_DEP_2)
	v_cndmask_b32_e64 v33, v37, v33, s1
	v_cmp_class_f32_e64 s28, v35, 0x1f8
	s_delay_alu instid0(VALU_DEP_2)
	v_cmp_neq_f32_e64 s1, v35, v33
	s_or_b32 s1, s1, s28
	s_wait_alu 0xfffe
	s_and_saveexec_b32 s28, s1
	s_cbranch_execz .LBB498_57
; %bb.56:
	v_sub_f32_e32 v34, v35, v33
	s_delay_alu instid0(VALU_DEP_1) | instskip(SKIP_1) | instid1(VALU_DEP_2)
	v_mul_f32_e32 v35, 0x3fb8aa3b, v34
	v_cmp_ngt_f32_e64 s1, 0xc2ce8ed0, v34
	v_fma_f32 v36, 0x3fb8aa3b, v34, -v35
	v_rndne_f32_e32 v37, v35
	s_delay_alu instid0(VALU_DEP_1) | instskip(NEXT) | instid1(VALU_DEP_1)
	v_dual_fmamk_f32 v36, v34, 0x32a5705f, v36 :: v_dual_sub_f32 v35, v35, v37
	v_add_f32_e32 v35, v35, v36
	v_cvt_i32_f32_e32 v36, v37
	s_delay_alu instid0(VALU_DEP_2) | instskip(NEXT) | instid1(TRANS32_DEP_1)
	v_exp_f32_e32 v35, v35
	v_ldexp_f32 v35, v35, v36
	s_wait_alu 0xf1ff
	s_delay_alu instid0(VALU_DEP_1) | instskip(SKIP_2) | instid1(VALU_DEP_1)
	v_cndmask_b32_e64 v35, 0, v35, s1
	v_cmp_nlt_f32_e64 s1, 0x42b17218, v34
	s_wait_alu 0xf1ff
	v_cndmask_b32_e64 v36, 0x7f800000, v35, s1
	s_delay_alu instid0(VALU_DEP_1) | instskip(NEXT) | instid1(VALU_DEP_1)
	v_add_f32_e32 v37, 1.0, v36
	v_cvt_f64_f32_e32 v[34:35], v37
	s_delay_alu instid0(VALU_DEP_1) | instskip(SKIP_1) | instid1(VALU_DEP_1)
	v_frexp_exp_i32_f64_e32 v34, v[34:35]
	v_frexp_mant_f32_e32 v35, v37
	v_cmp_gt_f32_e64 s1, 0x3f2aaaab, v35
	v_add_f32_e32 v35, -1.0, v37
	s_delay_alu instid0(VALU_DEP_1)
	v_sub_f32_e32 v39, v35, v37
	v_sub_f32_e32 v35, v36, v35
	s_wait_alu 0xf1ff
	v_subrev_co_ci_u32_e64 v34, null, 0, v34, s1
	s_mov_b32 s1, 0x3e9b6dac
	v_sub_nc_u32_e32 v38, 0, v34
	v_cvt_f32_i32_e32 v34, v34
	s_delay_alu instid0(VALU_DEP_2) | instskip(NEXT) | instid1(VALU_DEP_1)
	v_ldexp_f32 v37, v37, v38
	v_dual_add_f32 v40, 1.0, v37 :: v_dual_add_f32 v39, 1.0, v39
	s_delay_alu instid0(VALU_DEP_1) | instskip(NEXT) | instid1(VALU_DEP_2)
	v_add_f32_e32 v35, v35, v39
	v_add_f32_e32 v39, -1.0, v40
	s_delay_alu instid0(VALU_DEP_2) | instskip(NEXT) | instid1(VALU_DEP_2)
	v_ldexp_f32 v35, v35, v38
	v_dual_add_f32 v38, -1.0, v37 :: v_dual_sub_f32 v39, v37, v39
	s_delay_alu instid0(VALU_DEP_1) | instskip(NEXT) | instid1(VALU_DEP_2)
	v_add_f32_e32 v41, 1.0, v38
	v_add_f32_e32 v39, v35, v39
	s_delay_alu instid0(VALU_DEP_2) | instskip(NEXT) | instid1(VALU_DEP_2)
	v_sub_f32_e32 v37, v37, v41
	v_add_f32_e32 v41, v40, v39
	s_delay_alu instid0(VALU_DEP_2) | instskip(NEXT) | instid1(VALU_DEP_2)
	v_add_f32_e32 v35, v35, v37
	v_rcp_f32_e32 v37, v41
	v_sub_f32_e32 v40, v40, v41
	s_delay_alu instid0(VALU_DEP_1) | instskip(NEXT) | instid1(VALU_DEP_1)
	v_dual_add_f32 v42, v38, v35 :: v_dual_add_f32 v39, v39, v40
	v_sub_f32_e32 v38, v38, v42
	s_delay_alu instid0(TRANS32_DEP_1) | instskip(NEXT) | instid1(VALU_DEP_1)
	v_mul_f32_e32 v43, v42, v37
	v_dual_add_f32 v35, v35, v38 :: v_dual_mul_f32 v44, v41, v43
	s_delay_alu instid0(VALU_DEP_1) | instskip(NEXT) | instid1(VALU_DEP_1)
	v_fma_f32 v40, v43, v41, -v44
	v_fmac_f32_e32 v40, v43, v39
	s_delay_alu instid0(VALU_DEP_1) | instskip(NEXT) | instid1(VALU_DEP_1)
	v_add_f32_e32 v45, v44, v40
	v_sub_f32_e32 v46, v42, v45
	v_sub_f32_e32 v38, v45, v44
	s_delay_alu instid0(VALU_DEP_2) | instskip(NEXT) | instid1(VALU_DEP_2)
	v_sub_f32_e32 v42, v42, v46
	v_sub_f32_e32 v38, v38, v40
	s_delay_alu instid0(VALU_DEP_2) | instskip(NEXT) | instid1(VALU_DEP_1)
	v_sub_f32_e32 v42, v42, v45
	v_add_f32_e32 v35, v35, v42
	s_delay_alu instid0(VALU_DEP_1) | instskip(NEXT) | instid1(VALU_DEP_1)
	v_add_f32_e32 v35, v38, v35
	v_add_f32_e32 v38, v46, v35
	s_delay_alu instid0(VALU_DEP_1) | instskip(NEXT) | instid1(VALU_DEP_1)
	v_mul_f32_e32 v40, v37, v38
	v_dual_sub_f32 v45, v46, v38 :: v_dual_mul_f32 v42, v41, v40
	s_delay_alu instid0(VALU_DEP_1) | instskip(NEXT) | instid1(VALU_DEP_2)
	v_add_f32_e32 v35, v35, v45
	v_fma_f32 v41, v40, v41, -v42
	s_delay_alu instid0(VALU_DEP_1) | instskip(NEXT) | instid1(VALU_DEP_1)
	v_fmac_f32_e32 v41, v40, v39
	v_add_f32_e32 v39, v42, v41
	s_delay_alu instid0(VALU_DEP_1) | instskip(SKIP_1) | instid1(VALU_DEP_2)
	v_sub_f32_e32 v44, v38, v39
	v_sub_f32_e32 v42, v39, v42
	;; [unrolled: 1-line block ×3, first 2 shown]
	s_delay_alu instid0(VALU_DEP_1) | instskip(NEXT) | instid1(VALU_DEP_3)
	v_sub_f32_e32 v38, v38, v39
	v_sub_f32_e32 v39, v42, v41
	s_delay_alu instid0(VALU_DEP_2) | instskip(SKIP_1) | instid1(VALU_DEP_2)
	v_add_f32_e32 v35, v35, v38
	v_add_f32_e32 v38, v43, v40
	;; [unrolled: 1-line block ×3, first 2 shown]
	s_delay_alu instid0(VALU_DEP_2) | instskip(NEXT) | instid1(VALU_DEP_2)
	v_sub_f32_e32 v39, v38, v43
	v_add_f32_e32 v35, v44, v35
	s_delay_alu instid0(VALU_DEP_2) | instskip(NEXT) | instid1(VALU_DEP_2)
	v_sub_f32_e32 v39, v40, v39
	v_mul_f32_e32 v35, v37, v35
	s_delay_alu instid0(VALU_DEP_1) | instskip(NEXT) | instid1(VALU_DEP_1)
	v_add_f32_e32 v35, v39, v35
	v_add_f32_e32 v37, v38, v35
	s_delay_alu instid0(VALU_DEP_1) | instskip(SKIP_1) | instid1(VALU_DEP_1)
	v_mul_f32_e32 v39, v37, v37
	s_wait_alu 0xfffe
	v_fmaak_f32 v40, s1, v39, 0x3ecc95a3
	v_mul_f32_e32 v41, v37, v39
	v_cmp_neq_f32_e64 s1, 0x7f800000, v36
	s_delay_alu instid0(VALU_DEP_3) | instskip(SKIP_2) | instid1(VALU_DEP_3)
	v_fmaak_f32 v39, v39, v40, 0x3f2aaada
	v_ldexp_f32 v40, v37, 1
	v_sub_f32_e32 v37, v37, v38
	v_mul_f32_e32 v39, v41, v39
	v_mul_f32_e32 v41, 0x3f317218, v34
	s_delay_alu instid0(VALU_DEP_2) | instskip(NEXT) | instid1(VALU_DEP_1)
	v_dual_sub_f32 v35, v35, v37 :: v_dual_add_f32 v38, v40, v39
	v_ldexp_f32 v35, v35, 1
	s_delay_alu instid0(VALU_DEP_2) | instskip(NEXT) | instid1(VALU_DEP_4)
	v_sub_f32_e32 v37, v38, v40
	v_fma_f32 v40, 0x3f317218, v34, -v41
	s_delay_alu instid0(VALU_DEP_1) | instskip(NEXT) | instid1(VALU_DEP_1)
	v_dual_sub_f32 v37, v39, v37 :: v_dual_fmamk_f32 v34, v34, 0xb102e308, v40
	v_add_f32_e32 v35, v35, v37
	s_delay_alu instid0(VALU_DEP_2) | instskip(NEXT) | instid1(VALU_DEP_2)
	v_add_f32_e32 v37, v41, v34
	v_add_f32_e32 v39, v38, v35
	s_delay_alu instid0(VALU_DEP_2) | instskip(NEXT) | instid1(VALU_DEP_2)
	v_sub_f32_e32 v41, v37, v41
	v_add_f32_e32 v40, v37, v39
	v_sub_f32_e32 v38, v39, v38
	s_delay_alu instid0(VALU_DEP_3) | instskip(NEXT) | instid1(VALU_DEP_2)
	v_sub_f32_e32 v34, v34, v41
	v_dual_sub_f32 v42, v40, v37 :: v_dual_sub_f32 v35, v35, v38
	s_delay_alu instid0(VALU_DEP_1) | instskip(NEXT) | instid1(VALU_DEP_2)
	v_sub_f32_e32 v43, v40, v42
	v_dual_sub_f32 v38, v39, v42 :: v_dual_add_f32 v39, v34, v35
	s_delay_alu instid0(VALU_DEP_2) | instskip(NEXT) | instid1(VALU_DEP_1)
	v_sub_f32_e32 v37, v37, v43
	v_dual_add_f32 v37, v38, v37 :: v_dual_sub_f32 v38, v39, v34
	s_delay_alu instid0(VALU_DEP_1) | instskip(NEXT) | instid1(VALU_DEP_2)
	v_add_f32_e32 v37, v39, v37
	v_sub_f32_e32 v39, v39, v38
	v_sub_f32_e32 v35, v35, v38
	s_delay_alu instid0(VALU_DEP_2) | instskip(NEXT) | instid1(VALU_DEP_1)
	v_dual_add_f32 v41, v40, v37 :: v_dual_sub_f32 v34, v34, v39
	v_sub_f32_e32 v38, v41, v40
	s_delay_alu instid0(VALU_DEP_2) | instskip(NEXT) | instid1(VALU_DEP_2)
	v_add_f32_e32 v34, v35, v34
	v_sub_f32_e32 v35, v37, v38
	s_delay_alu instid0(VALU_DEP_1) | instskip(NEXT) | instid1(VALU_DEP_1)
	v_add_f32_e32 v34, v34, v35
	v_add_f32_e32 v34, v41, v34
	s_wait_alu 0xf1ff
	s_delay_alu instid0(VALU_DEP_1) | instskip(SKIP_2) | instid1(VALU_DEP_1)
	v_cndmask_b32_e64 v34, 0x7f800000, v34, s1
	v_cmp_gt_f32_e64 s1, 0x33800000, |v36|
	s_wait_alu 0xf1ff
	v_cndmask_b32_e64 v34, v34, v36, s1
	s_delay_alu instid0(VALU_DEP_1)
	v_add_f32_e32 v34, v33, v34
.LBB498_57:
	s_or_b32 exec_lo, exec_lo, s28
	ds_load_u16 v33, v29 offset:12
	v_bfe_u32 v35, v34, 16, 1
	v_cmp_o_f32_e64 s1, v34, v34
	s_delay_alu instid0(VALU_DEP_2) | instskip(SKIP_2) | instid1(VALU_DEP_1)
	v_add3_u32 v35, v34, v35, 0x7fff
	s_wait_dscnt 0x0
	v_lshlrev_b32_e32 v33, 16, v33
	v_dual_max_num_f32 v36, v33, v33 :: v_dual_and_b32 v35, 0xffff0000, v35
	s_wait_alu 0xf1ff
	s_delay_alu instid0(VALU_DEP_1) | instskip(NEXT) | instid1(VALU_DEP_1)
	v_cndmask_b32_e64 v34, 0x7fc00000, v35, s1
	v_max_num_f32_e32 v35, v34, v34
	v_cmp_u_f32_e64 s1, v34, v34
	s_delay_alu instid0(VALU_DEP_2) | instskip(SKIP_2) | instid1(VALU_DEP_2)
	v_min_num_f32_e32 v37, v35, v36
	v_max_num_f32_e32 v35, v35, v36
	s_wait_alu 0xf1ff
	v_cndmask_b32_e64 v36, v37, v34, s1
	s_delay_alu instid0(VALU_DEP_2) | instskip(SKIP_2) | instid1(VALU_DEP_1)
	v_cndmask_b32_e64 v37, v35, v34, s1
	v_cmp_u_f32_e64 s1, v33, v33
	s_wait_alu 0xf1ff
	v_cndmask_b32_e64 v35, v36, v33, s1
	s_delay_alu instid0(VALU_DEP_3) | instskip(NEXT) | instid1(VALU_DEP_2)
	v_cndmask_b32_e64 v33, v37, v33, s1
	v_cmp_class_f32_e64 s28, v35, 0x1f8
	s_delay_alu instid0(VALU_DEP_2)
	v_cmp_neq_f32_e64 s1, v35, v33
	s_or_b32 s1, s1, s28
	s_wait_alu 0xfffe
	s_and_saveexec_b32 s28, s1
	s_cbranch_execz .LBB498_59
; %bb.58:
	v_sub_f32_e32 v34, v35, v33
	s_delay_alu instid0(VALU_DEP_1) | instskip(SKIP_1) | instid1(VALU_DEP_2)
	v_mul_f32_e32 v35, 0x3fb8aa3b, v34
	v_cmp_ngt_f32_e64 s1, 0xc2ce8ed0, v34
	v_fma_f32 v36, 0x3fb8aa3b, v34, -v35
	v_rndne_f32_e32 v37, v35
	s_delay_alu instid0(VALU_DEP_1) | instskip(NEXT) | instid1(VALU_DEP_1)
	v_dual_fmamk_f32 v36, v34, 0x32a5705f, v36 :: v_dual_sub_f32 v35, v35, v37
	v_add_f32_e32 v35, v35, v36
	v_cvt_i32_f32_e32 v36, v37
	s_delay_alu instid0(VALU_DEP_2) | instskip(NEXT) | instid1(TRANS32_DEP_1)
	v_exp_f32_e32 v35, v35
	v_ldexp_f32 v35, v35, v36
	s_wait_alu 0xf1ff
	s_delay_alu instid0(VALU_DEP_1) | instskip(SKIP_2) | instid1(VALU_DEP_1)
	v_cndmask_b32_e64 v35, 0, v35, s1
	v_cmp_nlt_f32_e64 s1, 0x42b17218, v34
	s_wait_alu 0xf1ff
	v_cndmask_b32_e64 v36, 0x7f800000, v35, s1
	s_delay_alu instid0(VALU_DEP_1) | instskip(NEXT) | instid1(VALU_DEP_1)
	v_add_f32_e32 v37, 1.0, v36
	v_cvt_f64_f32_e32 v[34:35], v37
	s_delay_alu instid0(VALU_DEP_1) | instskip(SKIP_1) | instid1(VALU_DEP_1)
	v_frexp_exp_i32_f64_e32 v34, v[34:35]
	v_frexp_mant_f32_e32 v35, v37
	v_cmp_gt_f32_e64 s1, 0x3f2aaaab, v35
	v_add_f32_e32 v35, -1.0, v37
	s_delay_alu instid0(VALU_DEP_1)
	v_sub_f32_e32 v39, v35, v37
	v_sub_f32_e32 v35, v36, v35
	s_wait_alu 0xf1ff
	v_subrev_co_ci_u32_e64 v34, null, 0, v34, s1
	s_mov_b32 s1, 0x3e9b6dac
	v_sub_nc_u32_e32 v38, 0, v34
	v_cvt_f32_i32_e32 v34, v34
	s_delay_alu instid0(VALU_DEP_2) | instskip(NEXT) | instid1(VALU_DEP_1)
	v_ldexp_f32 v37, v37, v38
	v_dual_add_f32 v40, 1.0, v37 :: v_dual_add_f32 v39, 1.0, v39
	s_delay_alu instid0(VALU_DEP_1) | instskip(NEXT) | instid1(VALU_DEP_2)
	v_add_f32_e32 v35, v35, v39
	v_add_f32_e32 v39, -1.0, v40
	s_delay_alu instid0(VALU_DEP_2) | instskip(NEXT) | instid1(VALU_DEP_2)
	v_ldexp_f32 v35, v35, v38
	v_dual_add_f32 v38, -1.0, v37 :: v_dual_sub_f32 v39, v37, v39
	s_delay_alu instid0(VALU_DEP_1) | instskip(NEXT) | instid1(VALU_DEP_2)
	v_add_f32_e32 v41, 1.0, v38
	v_add_f32_e32 v39, v35, v39
	s_delay_alu instid0(VALU_DEP_2) | instskip(NEXT) | instid1(VALU_DEP_2)
	v_sub_f32_e32 v37, v37, v41
	v_add_f32_e32 v41, v40, v39
	s_delay_alu instid0(VALU_DEP_2) | instskip(NEXT) | instid1(VALU_DEP_2)
	v_add_f32_e32 v35, v35, v37
	v_rcp_f32_e32 v37, v41
	v_sub_f32_e32 v40, v40, v41
	s_delay_alu instid0(VALU_DEP_1) | instskip(NEXT) | instid1(VALU_DEP_1)
	v_dual_add_f32 v42, v38, v35 :: v_dual_add_f32 v39, v39, v40
	v_sub_f32_e32 v38, v38, v42
	s_delay_alu instid0(TRANS32_DEP_1) | instskip(NEXT) | instid1(VALU_DEP_1)
	v_mul_f32_e32 v43, v42, v37
	v_dual_add_f32 v35, v35, v38 :: v_dual_mul_f32 v44, v41, v43
	s_delay_alu instid0(VALU_DEP_1) | instskip(NEXT) | instid1(VALU_DEP_1)
	v_fma_f32 v40, v43, v41, -v44
	v_fmac_f32_e32 v40, v43, v39
	s_delay_alu instid0(VALU_DEP_1) | instskip(NEXT) | instid1(VALU_DEP_1)
	v_add_f32_e32 v45, v44, v40
	v_sub_f32_e32 v46, v42, v45
	v_sub_f32_e32 v38, v45, v44
	s_delay_alu instid0(VALU_DEP_2) | instskip(NEXT) | instid1(VALU_DEP_2)
	v_sub_f32_e32 v42, v42, v46
	v_sub_f32_e32 v38, v38, v40
	s_delay_alu instid0(VALU_DEP_2) | instskip(NEXT) | instid1(VALU_DEP_1)
	v_sub_f32_e32 v42, v42, v45
	v_add_f32_e32 v35, v35, v42
	s_delay_alu instid0(VALU_DEP_1) | instskip(NEXT) | instid1(VALU_DEP_1)
	v_add_f32_e32 v35, v38, v35
	v_add_f32_e32 v38, v46, v35
	s_delay_alu instid0(VALU_DEP_1) | instskip(NEXT) | instid1(VALU_DEP_1)
	v_mul_f32_e32 v40, v37, v38
	v_dual_sub_f32 v45, v46, v38 :: v_dual_mul_f32 v42, v41, v40
	s_delay_alu instid0(VALU_DEP_1) | instskip(NEXT) | instid1(VALU_DEP_2)
	v_add_f32_e32 v35, v35, v45
	v_fma_f32 v41, v40, v41, -v42
	s_delay_alu instid0(VALU_DEP_1) | instskip(NEXT) | instid1(VALU_DEP_1)
	v_fmac_f32_e32 v41, v40, v39
	v_add_f32_e32 v39, v42, v41
	s_delay_alu instid0(VALU_DEP_1) | instskip(SKIP_1) | instid1(VALU_DEP_2)
	v_sub_f32_e32 v44, v38, v39
	v_sub_f32_e32 v42, v39, v42
	;; [unrolled: 1-line block ×3, first 2 shown]
	s_delay_alu instid0(VALU_DEP_1) | instskip(NEXT) | instid1(VALU_DEP_3)
	v_sub_f32_e32 v38, v38, v39
	v_sub_f32_e32 v39, v42, v41
	s_delay_alu instid0(VALU_DEP_2) | instskip(SKIP_1) | instid1(VALU_DEP_2)
	v_add_f32_e32 v35, v35, v38
	v_add_f32_e32 v38, v43, v40
	;; [unrolled: 1-line block ×3, first 2 shown]
	s_delay_alu instid0(VALU_DEP_2) | instskip(NEXT) | instid1(VALU_DEP_2)
	v_sub_f32_e32 v39, v38, v43
	v_add_f32_e32 v35, v44, v35
	s_delay_alu instid0(VALU_DEP_2) | instskip(NEXT) | instid1(VALU_DEP_2)
	v_sub_f32_e32 v39, v40, v39
	v_mul_f32_e32 v35, v37, v35
	s_delay_alu instid0(VALU_DEP_1) | instskip(NEXT) | instid1(VALU_DEP_1)
	v_add_f32_e32 v35, v39, v35
	v_add_f32_e32 v37, v38, v35
	s_delay_alu instid0(VALU_DEP_1) | instskip(SKIP_1) | instid1(VALU_DEP_1)
	v_mul_f32_e32 v39, v37, v37
	s_wait_alu 0xfffe
	v_fmaak_f32 v40, s1, v39, 0x3ecc95a3
	v_mul_f32_e32 v41, v37, v39
	v_cmp_neq_f32_e64 s1, 0x7f800000, v36
	s_delay_alu instid0(VALU_DEP_3) | instskip(SKIP_2) | instid1(VALU_DEP_3)
	v_fmaak_f32 v39, v39, v40, 0x3f2aaada
	v_ldexp_f32 v40, v37, 1
	v_sub_f32_e32 v37, v37, v38
	v_mul_f32_e32 v39, v41, v39
	v_mul_f32_e32 v41, 0x3f317218, v34
	s_delay_alu instid0(VALU_DEP_2) | instskip(NEXT) | instid1(VALU_DEP_1)
	v_dual_sub_f32 v35, v35, v37 :: v_dual_add_f32 v38, v40, v39
	v_ldexp_f32 v35, v35, 1
	s_delay_alu instid0(VALU_DEP_2) | instskip(NEXT) | instid1(VALU_DEP_4)
	v_sub_f32_e32 v37, v38, v40
	v_fma_f32 v40, 0x3f317218, v34, -v41
	s_delay_alu instid0(VALU_DEP_1) | instskip(NEXT) | instid1(VALU_DEP_1)
	v_dual_sub_f32 v37, v39, v37 :: v_dual_fmamk_f32 v34, v34, 0xb102e308, v40
	v_add_f32_e32 v35, v35, v37
	s_delay_alu instid0(VALU_DEP_2) | instskip(NEXT) | instid1(VALU_DEP_2)
	v_add_f32_e32 v37, v41, v34
	v_add_f32_e32 v39, v38, v35
	s_delay_alu instid0(VALU_DEP_2) | instskip(NEXT) | instid1(VALU_DEP_2)
	v_sub_f32_e32 v41, v37, v41
	v_add_f32_e32 v40, v37, v39
	v_sub_f32_e32 v38, v39, v38
	s_delay_alu instid0(VALU_DEP_3) | instskip(NEXT) | instid1(VALU_DEP_2)
	v_sub_f32_e32 v34, v34, v41
	v_dual_sub_f32 v42, v40, v37 :: v_dual_sub_f32 v35, v35, v38
	s_delay_alu instid0(VALU_DEP_1) | instskip(NEXT) | instid1(VALU_DEP_2)
	v_sub_f32_e32 v43, v40, v42
	v_dual_sub_f32 v38, v39, v42 :: v_dual_add_f32 v39, v34, v35
	s_delay_alu instid0(VALU_DEP_2) | instskip(NEXT) | instid1(VALU_DEP_1)
	v_sub_f32_e32 v37, v37, v43
	v_dual_add_f32 v37, v38, v37 :: v_dual_sub_f32 v38, v39, v34
	s_delay_alu instid0(VALU_DEP_1) | instskip(NEXT) | instid1(VALU_DEP_2)
	v_add_f32_e32 v37, v39, v37
	v_sub_f32_e32 v39, v39, v38
	v_sub_f32_e32 v35, v35, v38
	s_delay_alu instid0(VALU_DEP_2) | instskip(NEXT) | instid1(VALU_DEP_1)
	v_dual_add_f32 v41, v40, v37 :: v_dual_sub_f32 v34, v34, v39
	v_sub_f32_e32 v38, v41, v40
	s_delay_alu instid0(VALU_DEP_2) | instskip(NEXT) | instid1(VALU_DEP_2)
	v_add_f32_e32 v34, v35, v34
	v_sub_f32_e32 v35, v37, v38
	s_delay_alu instid0(VALU_DEP_1) | instskip(NEXT) | instid1(VALU_DEP_1)
	v_add_f32_e32 v34, v34, v35
	v_add_f32_e32 v34, v41, v34
	s_wait_alu 0xf1ff
	s_delay_alu instid0(VALU_DEP_1) | instskip(SKIP_2) | instid1(VALU_DEP_1)
	v_cndmask_b32_e64 v34, 0x7f800000, v34, s1
	v_cmp_gt_f32_e64 s1, 0x33800000, |v36|
	s_wait_alu 0xf1ff
	v_cndmask_b32_e64 v34, v34, v36, s1
	s_delay_alu instid0(VALU_DEP_1)
	v_add_f32_e32 v34, v33, v34
.LBB498_59:
	s_or_b32 exec_lo, exec_lo, s28
	ds_load_u16 v33, v29 offset:14
	v_bfe_u32 v35, v34, 16, 1
	v_cmp_o_f32_e64 s1, v34, v34
	s_delay_alu instid0(VALU_DEP_2) | instskip(SKIP_2) | instid1(VALU_DEP_1)
	v_add3_u32 v35, v34, v35, 0x7fff
	s_wait_dscnt 0x0
	v_lshlrev_b32_e32 v33, 16, v33
	v_dual_max_num_f32 v36, v33, v33 :: v_dual_and_b32 v35, 0xffff0000, v35
	s_wait_alu 0xf1ff
	s_delay_alu instid0(VALU_DEP_1) | instskip(NEXT) | instid1(VALU_DEP_1)
	v_cndmask_b32_e64 v34, 0x7fc00000, v35, s1
	v_max_num_f32_e32 v35, v34, v34
	v_cmp_u_f32_e64 s1, v34, v34
	s_delay_alu instid0(VALU_DEP_2) | instskip(SKIP_2) | instid1(VALU_DEP_2)
	v_min_num_f32_e32 v37, v35, v36
	v_max_num_f32_e32 v35, v35, v36
	s_wait_alu 0xf1ff
	v_cndmask_b32_e64 v36, v37, v34, s1
	s_delay_alu instid0(VALU_DEP_2) | instskip(SKIP_2) | instid1(VALU_DEP_1)
	v_cndmask_b32_e64 v37, v35, v34, s1
	v_cmp_u_f32_e64 s1, v33, v33
	s_wait_alu 0xf1ff
	v_cndmask_b32_e64 v35, v36, v33, s1
	s_delay_alu instid0(VALU_DEP_3) | instskip(NEXT) | instid1(VALU_DEP_2)
	v_cndmask_b32_e64 v33, v37, v33, s1
	v_cmp_class_f32_e64 s28, v35, 0x1f8
	s_delay_alu instid0(VALU_DEP_2)
	v_cmp_neq_f32_e64 s1, v35, v33
	s_or_b32 s1, s1, s28
	s_wait_alu 0xfffe
	s_and_saveexec_b32 s28, s1
	s_cbranch_execz .LBB498_61
; %bb.60:
	v_sub_f32_e32 v34, v35, v33
	s_delay_alu instid0(VALU_DEP_1) | instskip(SKIP_1) | instid1(VALU_DEP_2)
	v_mul_f32_e32 v35, 0x3fb8aa3b, v34
	v_cmp_ngt_f32_e64 s1, 0xc2ce8ed0, v34
	v_fma_f32 v36, 0x3fb8aa3b, v34, -v35
	v_rndne_f32_e32 v37, v35
	s_delay_alu instid0(VALU_DEP_1) | instskip(NEXT) | instid1(VALU_DEP_1)
	v_dual_fmamk_f32 v36, v34, 0x32a5705f, v36 :: v_dual_sub_f32 v35, v35, v37
	v_add_f32_e32 v35, v35, v36
	v_cvt_i32_f32_e32 v36, v37
	s_delay_alu instid0(VALU_DEP_2) | instskip(NEXT) | instid1(TRANS32_DEP_1)
	v_exp_f32_e32 v35, v35
	v_ldexp_f32 v35, v35, v36
	s_wait_alu 0xf1ff
	s_delay_alu instid0(VALU_DEP_1) | instskip(SKIP_2) | instid1(VALU_DEP_1)
	v_cndmask_b32_e64 v35, 0, v35, s1
	v_cmp_nlt_f32_e64 s1, 0x42b17218, v34
	s_wait_alu 0xf1ff
	v_cndmask_b32_e64 v36, 0x7f800000, v35, s1
	s_delay_alu instid0(VALU_DEP_1) | instskip(NEXT) | instid1(VALU_DEP_1)
	v_add_f32_e32 v37, 1.0, v36
	v_cvt_f64_f32_e32 v[34:35], v37
	s_delay_alu instid0(VALU_DEP_1) | instskip(SKIP_1) | instid1(VALU_DEP_1)
	v_frexp_exp_i32_f64_e32 v34, v[34:35]
	v_frexp_mant_f32_e32 v35, v37
	v_cmp_gt_f32_e64 s1, 0x3f2aaaab, v35
	v_add_f32_e32 v35, -1.0, v37
	s_delay_alu instid0(VALU_DEP_1)
	v_sub_f32_e32 v39, v35, v37
	v_sub_f32_e32 v35, v36, v35
	s_wait_alu 0xf1ff
	v_subrev_co_ci_u32_e64 v34, null, 0, v34, s1
	s_mov_b32 s1, 0x3e9b6dac
	v_sub_nc_u32_e32 v38, 0, v34
	v_cvt_f32_i32_e32 v34, v34
	s_delay_alu instid0(VALU_DEP_2) | instskip(NEXT) | instid1(VALU_DEP_1)
	v_ldexp_f32 v37, v37, v38
	v_dual_add_f32 v40, 1.0, v37 :: v_dual_add_f32 v39, 1.0, v39
	s_delay_alu instid0(VALU_DEP_1) | instskip(NEXT) | instid1(VALU_DEP_2)
	v_add_f32_e32 v35, v35, v39
	v_add_f32_e32 v39, -1.0, v40
	s_delay_alu instid0(VALU_DEP_2) | instskip(NEXT) | instid1(VALU_DEP_2)
	v_ldexp_f32 v35, v35, v38
	v_dual_add_f32 v38, -1.0, v37 :: v_dual_sub_f32 v39, v37, v39
	s_delay_alu instid0(VALU_DEP_1) | instskip(NEXT) | instid1(VALU_DEP_2)
	v_add_f32_e32 v41, 1.0, v38
	v_add_f32_e32 v39, v35, v39
	s_delay_alu instid0(VALU_DEP_2) | instskip(NEXT) | instid1(VALU_DEP_2)
	v_sub_f32_e32 v37, v37, v41
	v_add_f32_e32 v41, v40, v39
	s_delay_alu instid0(VALU_DEP_2) | instskip(NEXT) | instid1(VALU_DEP_2)
	v_add_f32_e32 v35, v35, v37
	v_rcp_f32_e32 v37, v41
	v_sub_f32_e32 v40, v40, v41
	s_delay_alu instid0(VALU_DEP_1) | instskip(NEXT) | instid1(VALU_DEP_1)
	v_dual_add_f32 v42, v38, v35 :: v_dual_add_f32 v39, v39, v40
	v_sub_f32_e32 v38, v38, v42
	s_delay_alu instid0(TRANS32_DEP_1) | instskip(NEXT) | instid1(VALU_DEP_1)
	v_mul_f32_e32 v43, v42, v37
	v_dual_add_f32 v35, v35, v38 :: v_dual_mul_f32 v44, v41, v43
	s_delay_alu instid0(VALU_DEP_1) | instskip(NEXT) | instid1(VALU_DEP_1)
	v_fma_f32 v40, v43, v41, -v44
	v_fmac_f32_e32 v40, v43, v39
	s_delay_alu instid0(VALU_DEP_1) | instskip(NEXT) | instid1(VALU_DEP_1)
	v_add_f32_e32 v45, v44, v40
	v_sub_f32_e32 v46, v42, v45
	v_sub_f32_e32 v38, v45, v44
	s_delay_alu instid0(VALU_DEP_2) | instskip(NEXT) | instid1(VALU_DEP_2)
	v_sub_f32_e32 v42, v42, v46
	v_sub_f32_e32 v38, v38, v40
	s_delay_alu instid0(VALU_DEP_2) | instskip(NEXT) | instid1(VALU_DEP_1)
	v_sub_f32_e32 v42, v42, v45
	v_add_f32_e32 v35, v35, v42
	s_delay_alu instid0(VALU_DEP_1) | instskip(NEXT) | instid1(VALU_DEP_1)
	v_add_f32_e32 v35, v38, v35
	v_add_f32_e32 v38, v46, v35
	s_delay_alu instid0(VALU_DEP_1) | instskip(NEXT) | instid1(VALU_DEP_1)
	v_mul_f32_e32 v40, v37, v38
	v_dual_sub_f32 v45, v46, v38 :: v_dual_mul_f32 v42, v41, v40
	s_delay_alu instid0(VALU_DEP_1) | instskip(NEXT) | instid1(VALU_DEP_2)
	v_add_f32_e32 v35, v35, v45
	v_fma_f32 v41, v40, v41, -v42
	s_delay_alu instid0(VALU_DEP_1) | instskip(NEXT) | instid1(VALU_DEP_1)
	v_fmac_f32_e32 v41, v40, v39
	v_add_f32_e32 v39, v42, v41
	s_delay_alu instid0(VALU_DEP_1) | instskip(SKIP_1) | instid1(VALU_DEP_2)
	v_sub_f32_e32 v44, v38, v39
	v_sub_f32_e32 v42, v39, v42
	v_sub_f32_e32 v38, v38, v44
	s_delay_alu instid0(VALU_DEP_1) | instskip(NEXT) | instid1(VALU_DEP_3)
	v_sub_f32_e32 v38, v38, v39
	v_sub_f32_e32 v39, v42, v41
	s_delay_alu instid0(VALU_DEP_2) | instskip(SKIP_1) | instid1(VALU_DEP_2)
	v_add_f32_e32 v35, v35, v38
	v_add_f32_e32 v38, v43, v40
	v_add_f32_e32 v35, v39, v35
	s_delay_alu instid0(VALU_DEP_2) | instskip(NEXT) | instid1(VALU_DEP_2)
	v_sub_f32_e32 v39, v38, v43
	v_add_f32_e32 v35, v44, v35
	s_delay_alu instid0(VALU_DEP_2) | instskip(NEXT) | instid1(VALU_DEP_2)
	v_sub_f32_e32 v39, v40, v39
	v_mul_f32_e32 v35, v37, v35
	s_delay_alu instid0(VALU_DEP_1) | instskip(NEXT) | instid1(VALU_DEP_1)
	v_add_f32_e32 v35, v39, v35
	v_add_f32_e32 v37, v38, v35
	s_delay_alu instid0(VALU_DEP_1) | instskip(SKIP_1) | instid1(VALU_DEP_1)
	v_mul_f32_e32 v39, v37, v37
	s_wait_alu 0xfffe
	v_fmaak_f32 v40, s1, v39, 0x3ecc95a3
	v_mul_f32_e32 v41, v37, v39
	v_cmp_neq_f32_e64 s1, 0x7f800000, v36
	s_delay_alu instid0(VALU_DEP_3) | instskip(SKIP_2) | instid1(VALU_DEP_3)
	v_fmaak_f32 v39, v39, v40, 0x3f2aaada
	v_ldexp_f32 v40, v37, 1
	v_sub_f32_e32 v37, v37, v38
	v_mul_f32_e32 v39, v41, v39
	v_mul_f32_e32 v41, 0x3f317218, v34
	s_delay_alu instid0(VALU_DEP_2) | instskip(NEXT) | instid1(VALU_DEP_1)
	v_dual_sub_f32 v35, v35, v37 :: v_dual_add_f32 v38, v40, v39
	v_ldexp_f32 v35, v35, 1
	s_delay_alu instid0(VALU_DEP_2) | instskip(NEXT) | instid1(VALU_DEP_4)
	v_sub_f32_e32 v37, v38, v40
	v_fma_f32 v40, 0x3f317218, v34, -v41
	s_delay_alu instid0(VALU_DEP_1) | instskip(NEXT) | instid1(VALU_DEP_1)
	v_dual_sub_f32 v37, v39, v37 :: v_dual_fmamk_f32 v34, v34, 0xb102e308, v40
	v_add_f32_e32 v35, v35, v37
	s_delay_alu instid0(VALU_DEP_2) | instskip(NEXT) | instid1(VALU_DEP_2)
	v_add_f32_e32 v37, v41, v34
	v_add_f32_e32 v39, v38, v35
	s_delay_alu instid0(VALU_DEP_2) | instskip(NEXT) | instid1(VALU_DEP_2)
	v_sub_f32_e32 v41, v37, v41
	v_add_f32_e32 v40, v37, v39
	v_sub_f32_e32 v38, v39, v38
	s_delay_alu instid0(VALU_DEP_3) | instskip(NEXT) | instid1(VALU_DEP_2)
	v_sub_f32_e32 v34, v34, v41
	v_dual_sub_f32 v42, v40, v37 :: v_dual_sub_f32 v35, v35, v38
	s_delay_alu instid0(VALU_DEP_1) | instskip(NEXT) | instid1(VALU_DEP_2)
	v_sub_f32_e32 v43, v40, v42
	v_dual_sub_f32 v38, v39, v42 :: v_dual_add_f32 v39, v34, v35
	s_delay_alu instid0(VALU_DEP_2) | instskip(NEXT) | instid1(VALU_DEP_1)
	v_sub_f32_e32 v37, v37, v43
	v_dual_add_f32 v37, v38, v37 :: v_dual_sub_f32 v38, v39, v34
	s_delay_alu instid0(VALU_DEP_1) | instskip(NEXT) | instid1(VALU_DEP_2)
	v_add_f32_e32 v37, v39, v37
	v_sub_f32_e32 v39, v39, v38
	v_sub_f32_e32 v35, v35, v38
	s_delay_alu instid0(VALU_DEP_2) | instskip(NEXT) | instid1(VALU_DEP_1)
	v_dual_add_f32 v41, v40, v37 :: v_dual_sub_f32 v34, v34, v39
	v_sub_f32_e32 v38, v41, v40
	s_delay_alu instid0(VALU_DEP_2) | instskip(NEXT) | instid1(VALU_DEP_2)
	v_add_f32_e32 v34, v35, v34
	v_sub_f32_e32 v35, v37, v38
	s_delay_alu instid0(VALU_DEP_1) | instskip(NEXT) | instid1(VALU_DEP_1)
	v_add_f32_e32 v34, v34, v35
	v_add_f32_e32 v34, v41, v34
	s_wait_alu 0xf1ff
	s_delay_alu instid0(VALU_DEP_1) | instskip(SKIP_2) | instid1(VALU_DEP_1)
	v_cndmask_b32_e64 v34, 0x7f800000, v34, s1
	v_cmp_gt_f32_e64 s1, 0x33800000, |v36|
	s_wait_alu 0xf1ff
	v_cndmask_b32_e64 v34, v34, v36, s1
	s_delay_alu instid0(VALU_DEP_1)
	v_add_f32_e32 v34, v33, v34
.LBB498_61:
	s_or_b32 exec_lo, exec_lo, s28
	s_delay_alu instid0(VALU_DEP_1) | instskip(SKIP_3) | instid1(VALU_DEP_1)
	v_bfe_u32 v33, v34, 16, 1
	v_cmp_o_f32_e64 s1, v34, v34
	s_mov_b32 s28, exec_lo
	v_add3_u32 v33, v34, v33, 0x7fff
	v_lshrrev_b32_e32 v33, 16, v33
	s_wait_alu 0xf1ff
	s_delay_alu instid0(VALU_DEP_1) | instskip(SKIP_1) | instid1(VALU_DEP_2)
	v_cndmask_b32_e64 v35, 0x7fc0, v33, s1
	v_mbcnt_lo_u32_b32 v33, -1, 0
	v_and_b32_e32 v36, 0xffff, v35
	s_delay_alu instid0(VALU_DEP_2) | instskip(NEXT) | instid1(VALU_DEP_2)
	v_and_b32_e32 v34, 15, v33
	v_mov_b32_dpp v37, v36 row_shr:1 row_mask:0xf bank_mask:0xf
	s_delay_alu instid0(VALU_DEP_2)
	v_cmpx_ne_u32_e32 0, v34
	s_xor_b32 s28, exec_lo, s28
	s_cbranch_execz .LBB498_65
; %bb.62:
	v_lshlrev_b32_e32 v35, 16, v36
	s_delay_alu instid0(VALU_DEP_1) | instskip(NEXT) | instid1(VALU_DEP_1)
	v_dual_max_num_f32 v37, v35, v35 :: v_dual_lshlrev_b32 v36, 16, v37
	v_max_num_f32_e32 v38, v36, v36
	v_cmp_u_f32_e64 s1, v36, v36
	s_delay_alu instid0(VALU_DEP_2) | instskip(SKIP_2) | instid1(VALU_DEP_2)
	v_min_num_f32_e32 v39, v38, v37
	v_max_num_f32_e32 v37, v38, v37
	s_wait_alu 0xf1ff
	v_cndmask_b32_e64 v38, v39, v36, s1
	s_delay_alu instid0(VALU_DEP_2) | instskip(SKIP_2) | instid1(VALU_DEP_1)
	v_cndmask_b32_e64 v39, v37, v36, s1
	v_cmp_u_f32_e64 s1, v35, v35
	s_wait_alu 0xf1ff
	v_cndmask_b32_e64 v37, v38, v35, s1
	s_delay_alu instid0(VALU_DEP_3) | instskip(NEXT) | instid1(VALU_DEP_2)
	v_cndmask_b32_e64 v35, v39, v35, s1
	v_cmp_class_f32_e64 s29, v37, 0x1f8
	s_delay_alu instid0(VALU_DEP_2)
	v_cmp_neq_f32_e64 s1, v37, v35
	s_or_b32 s1, s1, s29
	s_wait_alu 0xfffe
	s_and_saveexec_b32 s29, s1
	s_cbranch_execz .LBB498_64
; %bb.63:
	v_sub_f32_e32 v36, v37, v35
	s_delay_alu instid0(VALU_DEP_1) | instskip(SKIP_1) | instid1(VALU_DEP_2)
	v_mul_f32_e32 v37, 0x3fb8aa3b, v36
	v_cmp_ngt_f32_e64 s1, 0xc2ce8ed0, v36
	v_fma_f32 v38, 0x3fb8aa3b, v36, -v37
	v_rndne_f32_e32 v39, v37
	s_delay_alu instid0(VALU_DEP_1) | instskip(NEXT) | instid1(VALU_DEP_1)
	v_dual_fmamk_f32 v38, v36, 0x32a5705f, v38 :: v_dual_sub_f32 v37, v37, v39
	v_add_f32_e32 v37, v37, v38
	v_cvt_i32_f32_e32 v38, v39
	s_delay_alu instid0(VALU_DEP_2) | instskip(NEXT) | instid1(TRANS32_DEP_1)
	v_exp_f32_e32 v37, v37
	v_ldexp_f32 v37, v37, v38
	s_wait_alu 0xf1ff
	s_delay_alu instid0(VALU_DEP_1) | instskip(SKIP_2) | instid1(VALU_DEP_1)
	v_cndmask_b32_e64 v37, 0, v37, s1
	v_cmp_nlt_f32_e64 s1, 0x42b17218, v36
	s_wait_alu 0xf1ff
	v_cndmask_b32_e64 v38, 0x7f800000, v37, s1
	s_delay_alu instid0(VALU_DEP_1) | instskip(NEXT) | instid1(VALU_DEP_1)
	v_add_f32_e32 v39, 1.0, v38
	v_cvt_f64_f32_e32 v[36:37], v39
	s_delay_alu instid0(VALU_DEP_1) | instskip(SKIP_1) | instid1(VALU_DEP_1)
	v_frexp_exp_i32_f64_e32 v36, v[36:37]
	v_frexp_mant_f32_e32 v37, v39
	v_cmp_gt_f32_e64 s1, 0x3f2aaaab, v37
	v_add_f32_e32 v37, -1.0, v39
	s_delay_alu instid0(VALU_DEP_1)
	v_sub_f32_e32 v41, v37, v39
	v_sub_f32_e32 v37, v38, v37
	s_wait_alu 0xf1ff
	v_subrev_co_ci_u32_e64 v36, null, 0, v36, s1
	s_mov_b32 s1, 0x3e9b6dac
	v_sub_nc_u32_e32 v40, 0, v36
	v_cvt_f32_i32_e32 v36, v36
	s_delay_alu instid0(VALU_DEP_2) | instskip(NEXT) | instid1(VALU_DEP_1)
	v_ldexp_f32 v39, v39, v40
	v_dual_add_f32 v42, 1.0, v39 :: v_dual_add_f32 v41, 1.0, v41
	s_delay_alu instid0(VALU_DEP_1) | instskip(NEXT) | instid1(VALU_DEP_2)
	v_add_f32_e32 v37, v37, v41
	v_add_f32_e32 v41, -1.0, v42
	s_delay_alu instid0(VALU_DEP_2) | instskip(NEXT) | instid1(VALU_DEP_2)
	v_ldexp_f32 v37, v37, v40
	v_dual_add_f32 v40, -1.0, v39 :: v_dual_sub_f32 v41, v39, v41
	s_delay_alu instid0(VALU_DEP_1) | instskip(NEXT) | instid1(VALU_DEP_2)
	v_add_f32_e32 v43, 1.0, v40
	v_add_f32_e32 v41, v37, v41
	s_delay_alu instid0(VALU_DEP_2) | instskip(NEXT) | instid1(VALU_DEP_2)
	v_sub_f32_e32 v39, v39, v43
	v_add_f32_e32 v43, v42, v41
	s_delay_alu instid0(VALU_DEP_2) | instskip(NEXT) | instid1(VALU_DEP_2)
	v_add_f32_e32 v37, v37, v39
	v_rcp_f32_e32 v39, v43
	v_sub_f32_e32 v42, v42, v43
	s_delay_alu instid0(VALU_DEP_1) | instskip(NEXT) | instid1(VALU_DEP_1)
	v_dual_add_f32 v44, v40, v37 :: v_dual_add_f32 v41, v41, v42
	v_sub_f32_e32 v40, v40, v44
	s_delay_alu instid0(TRANS32_DEP_1) | instskip(NEXT) | instid1(VALU_DEP_1)
	v_mul_f32_e32 v45, v44, v39
	v_dual_add_f32 v37, v37, v40 :: v_dual_mul_f32 v46, v43, v45
	s_delay_alu instid0(VALU_DEP_1) | instskip(NEXT) | instid1(VALU_DEP_1)
	v_fma_f32 v42, v45, v43, -v46
	v_fmac_f32_e32 v42, v45, v41
	s_delay_alu instid0(VALU_DEP_1) | instskip(NEXT) | instid1(VALU_DEP_1)
	v_add_f32_e32 v47, v46, v42
	v_sub_f32_e32 v48, v44, v47
	v_sub_f32_e32 v40, v47, v46
	s_delay_alu instid0(VALU_DEP_2) | instskip(NEXT) | instid1(VALU_DEP_2)
	v_sub_f32_e32 v44, v44, v48
	v_sub_f32_e32 v40, v40, v42
	s_delay_alu instid0(VALU_DEP_2) | instskip(NEXT) | instid1(VALU_DEP_1)
	v_sub_f32_e32 v44, v44, v47
	v_add_f32_e32 v37, v37, v44
	s_delay_alu instid0(VALU_DEP_1) | instskip(NEXT) | instid1(VALU_DEP_1)
	v_add_f32_e32 v37, v40, v37
	v_add_f32_e32 v40, v48, v37
	s_delay_alu instid0(VALU_DEP_1) | instskip(NEXT) | instid1(VALU_DEP_1)
	v_mul_f32_e32 v42, v39, v40
	v_dual_sub_f32 v47, v48, v40 :: v_dual_mul_f32 v44, v43, v42
	s_delay_alu instid0(VALU_DEP_1) | instskip(NEXT) | instid1(VALU_DEP_2)
	v_add_f32_e32 v37, v37, v47
	v_fma_f32 v43, v42, v43, -v44
	s_delay_alu instid0(VALU_DEP_1) | instskip(NEXT) | instid1(VALU_DEP_1)
	v_fmac_f32_e32 v43, v42, v41
	v_add_f32_e32 v41, v44, v43
	s_delay_alu instid0(VALU_DEP_1) | instskip(SKIP_1) | instid1(VALU_DEP_2)
	v_sub_f32_e32 v46, v40, v41
	v_sub_f32_e32 v44, v41, v44
	;; [unrolled: 1-line block ×3, first 2 shown]
	s_delay_alu instid0(VALU_DEP_1) | instskip(NEXT) | instid1(VALU_DEP_3)
	v_sub_f32_e32 v40, v40, v41
	v_sub_f32_e32 v41, v44, v43
	s_delay_alu instid0(VALU_DEP_2) | instskip(SKIP_1) | instid1(VALU_DEP_2)
	v_add_f32_e32 v37, v37, v40
	v_add_f32_e32 v40, v45, v42
	;; [unrolled: 1-line block ×3, first 2 shown]
	s_delay_alu instid0(VALU_DEP_2) | instskip(NEXT) | instid1(VALU_DEP_2)
	v_sub_f32_e32 v41, v40, v45
	v_add_f32_e32 v37, v46, v37
	s_delay_alu instid0(VALU_DEP_2) | instskip(NEXT) | instid1(VALU_DEP_2)
	v_sub_f32_e32 v41, v42, v41
	v_mul_f32_e32 v37, v39, v37
	s_delay_alu instid0(VALU_DEP_1) | instskip(NEXT) | instid1(VALU_DEP_1)
	v_add_f32_e32 v37, v41, v37
	v_add_f32_e32 v39, v40, v37
	s_delay_alu instid0(VALU_DEP_1) | instskip(SKIP_1) | instid1(VALU_DEP_1)
	v_mul_f32_e32 v41, v39, v39
	s_wait_alu 0xfffe
	v_fmaak_f32 v42, s1, v41, 0x3ecc95a3
	v_mul_f32_e32 v43, v39, v41
	v_cmp_neq_f32_e64 s1, 0x7f800000, v38
	s_delay_alu instid0(VALU_DEP_3) | instskip(SKIP_2) | instid1(VALU_DEP_3)
	v_fmaak_f32 v41, v41, v42, 0x3f2aaada
	v_ldexp_f32 v42, v39, 1
	v_sub_f32_e32 v39, v39, v40
	v_mul_f32_e32 v41, v43, v41
	v_mul_f32_e32 v43, 0x3f317218, v36
	s_delay_alu instid0(VALU_DEP_2) | instskip(NEXT) | instid1(VALU_DEP_1)
	v_dual_sub_f32 v37, v37, v39 :: v_dual_add_f32 v40, v42, v41
	v_ldexp_f32 v37, v37, 1
	s_delay_alu instid0(VALU_DEP_2) | instskip(NEXT) | instid1(VALU_DEP_4)
	v_sub_f32_e32 v39, v40, v42
	v_fma_f32 v42, 0x3f317218, v36, -v43
	s_delay_alu instid0(VALU_DEP_1) | instskip(NEXT) | instid1(VALU_DEP_1)
	v_dual_sub_f32 v39, v41, v39 :: v_dual_fmamk_f32 v36, v36, 0xb102e308, v42
	v_add_f32_e32 v37, v37, v39
	s_delay_alu instid0(VALU_DEP_2) | instskip(NEXT) | instid1(VALU_DEP_2)
	v_add_f32_e32 v39, v43, v36
	v_add_f32_e32 v41, v40, v37
	s_delay_alu instid0(VALU_DEP_2) | instskip(NEXT) | instid1(VALU_DEP_2)
	v_sub_f32_e32 v43, v39, v43
	v_add_f32_e32 v42, v39, v41
	v_sub_f32_e32 v40, v41, v40
	s_delay_alu instid0(VALU_DEP_3) | instskip(NEXT) | instid1(VALU_DEP_2)
	v_sub_f32_e32 v36, v36, v43
	v_dual_sub_f32 v44, v42, v39 :: v_dual_sub_f32 v37, v37, v40
	s_delay_alu instid0(VALU_DEP_1) | instskip(NEXT) | instid1(VALU_DEP_2)
	v_sub_f32_e32 v45, v42, v44
	v_dual_sub_f32 v40, v41, v44 :: v_dual_add_f32 v41, v36, v37
	s_delay_alu instid0(VALU_DEP_2) | instskip(NEXT) | instid1(VALU_DEP_1)
	v_sub_f32_e32 v39, v39, v45
	v_dual_add_f32 v39, v40, v39 :: v_dual_sub_f32 v40, v41, v36
	s_delay_alu instid0(VALU_DEP_1) | instskip(NEXT) | instid1(VALU_DEP_2)
	v_add_f32_e32 v39, v41, v39
	v_sub_f32_e32 v41, v41, v40
	v_sub_f32_e32 v37, v37, v40
	s_delay_alu instid0(VALU_DEP_2) | instskip(NEXT) | instid1(VALU_DEP_1)
	v_dual_add_f32 v43, v42, v39 :: v_dual_sub_f32 v36, v36, v41
	v_sub_f32_e32 v40, v43, v42
	s_delay_alu instid0(VALU_DEP_2) | instskip(NEXT) | instid1(VALU_DEP_2)
	v_add_f32_e32 v36, v37, v36
	v_sub_f32_e32 v37, v39, v40
	s_delay_alu instid0(VALU_DEP_1) | instskip(NEXT) | instid1(VALU_DEP_1)
	v_add_f32_e32 v36, v36, v37
	v_add_f32_e32 v36, v43, v36
	s_wait_alu 0xf1ff
	s_delay_alu instid0(VALU_DEP_1) | instskip(SKIP_2) | instid1(VALU_DEP_1)
	v_cndmask_b32_e64 v36, 0x7f800000, v36, s1
	v_cmp_gt_f32_e64 s1, 0x33800000, |v38|
	s_wait_alu 0xf1ff
	v_cndmask_b32_e64 v36, v36, v38, s1
	s_delay_alu instid0(VALU_DEP_1)
	v_add_f32_e32 v36, v35, v36
.LBB498_64:
	s_or_b32 exec_lo, exec_lo, s29
	s_delay_alu instid0(VALU_DEP_1) | instskip(SKIP_1) | instid1(VALU_DEP_2)
	v_bfe_u32 v35, v36, 16, 1
	v_cmp_o_f32_e64 s1, v36, v36
	v_add3_u32 v35, v36, v35, 0x7fff
	s_delay_alu instid0(VALU_DEP_1) | instskip(SKIP_1) | instid1(VALU_DEP_1)
	v_lshrrev_b32_e32 v35, 16, v35
	s_wait_alu 0xf1ff
	v_cndmask_b32_e64 v35, 0x7fc0, v35, s1
	s_delay_alu instid0(VALU_DEP_1)
	v_and_b32_e32 v36, 0xffff, v35
.LBB498_65:
	s_or_b32 exec_lo, exec_lo, s28
	s_delay_alu instid0(VALU_DEP_1)
	v_mov_b32_dpp v37, v36 row_shr:2 row_mask:0xf bank_mask:0xf
	s_mov_b32 s28, exec_lo
	v_cmpx_lt_u32_e32 1, v34
	s_cbranch_execz .LBB498_69
; %bb.66:
	v_lshlrev_b32_e32 v35, 16, v36
	s_delay_alu instid0(VALU_DEP_1) | instskip(NEXT) | instid1(VALU_DEP_1)
	v_dual_max_num_f32 v37, v35, v35 :: v_dual_lshlrev_b32 v36, 16, v37
	v_max_num_f32_e32 v38, v36, v36
	v_cmp_u_f32_e64 s1, v36, v36
	s_delay_alu instid0(VALU_DEP_2) | instskip(SKIP_2) | instid1(VALU_DEP_2)
	v_min_num_f32_e32 v39, v38, v37
	v_max_num_f32_e32 v37, v38, v37
	s_wait_alu 0xf1ff
	v_cndmask_b32_e64 v38, v39, v36, s1
	s_delay_alu instid0(VALU_DEP_2) | instskip(SKIP_2) | instid1(VALU_DEP_1)
	v_cndmask_b32_e64 v39, v37, v36, s1
	v_cmp_u_f32_e64 s1, v35, v35
	s_wait_alu 0xf1ff
	v_cndmask_b32_e64 v37, v38, v35, s1
	s_delay_alu instid0(VALU_DEP_3) | instskip(NEXT) | instid1(VALU_DEP_2)
	v_cndmask_b32_e64 v35, v39, v35, s1
	v_cmp_class_f32_e64 s29, v37, 0x1f8
	s_delay_alu instid0(VALU_DEP_2)
	v_cmp_neq_f32_e64 s1, v37, v35
	s_or_b32 s1, s1, s29
	s_wait_alu 0xfffe
	s_and_saveexec_b32 s29, s1
	s_cbranch_execz .LBB498_68
; %bb.67:
	v_sub_f32_e32 v36, v37, v35
	s_delay_alu instid0(VALU_DEP_1) | instskip(SKIP_1) | instid1(VALU_DEP_2)
	v_mul_f32_e32 v37, 0x3fb8aa3b, v36
	v_cmp_ngt_f32_e64 s1, 0xc2ce8ed0, v36
	v_fma_f32 v38, 0x3fb8aa3b, v36, -v37
	v_rndne_f32_e32 v39, v37
	s_delay_alu instid0(VALU_DEP_1) | instskip(NEXT) | instid1(VALU_DEP_1)
	v_dual_fmamk_f32 v38, v36, 0x32a5705f, v38 :: v_dual_sub_f32 v37, v37, v39
	v_add_f32_e32 v37, v37, v38
	v_cvt_i32_f32_e32 v38, v39
	s_delay_alu instid0(VALU_DEP_2) | instskip(NEXT) | instid1(TRANS32_DEP_1)
	v_exp_f32_e32 v37, v37
	v_ldexp_f32 v37, v37, v38
	s_wait_alu 0xf1ff
	s_delay_alu instid0(VALU_DEP_1) | instskip(SKIP_2) | instid1(VALU_DEP_1)
	v_cndmask_b32_e64 v37, 0, v37, s1
	v_cmp_nlt_f32_e64 s1, 0x42b17218, v36
	s_wait_alu 0xf1ff
	v_cndmask_b32_e64 v38, 0x7f800000, v37, s1
	s_delay_alu instid0(VALU_DEP_1) | instskip(NEXT) | instid1(VALU_DEP_1)
	v_add_f32_e32 v39, 1.0, v38
	v_cvt_f64_f32_e32 v[36:37], v39
	s_delay_alu instid0(VALU_DEP_1) | instskip(SKIP_1) | instid1(VALU_DEP_1)
	v_frexp_exp_i32_f64_e32 v36, v[36:37]
	v_frexp_mant_f32_e32 v37, v39
	v_cmp_gt_f32_e64 s1, 0x3f2aaaab, v37
	v_add_f32_e32 v37, -1.0, v39
	s_delay_alu instid0(VALU_DEP_1)
	v_sub_f32_e32 v41, v37, v39
	v_sub_f32_e32 v37, v38, v37
	s_wait_alu 0xf1ff
	v_subrev_co_ci_u32_e64 v36, null, 0, v36, s1
	s_mov_b32 s1, 0x3e9b6dac
	v_sub_nc_u32_e32 v40, 0, v36
	v_cvt_f32_i32_e32 v36, v36
	s_delay_alu instid0(VALU_DEP_2) | instskip(NEXT) | instid1(VALU_DEP_1)
	v_ldexp_f32 v39, v39, v40
	v_dual_add_f32 v42, 1.0, v39 :: v_dual_add_f32 v41, 1.0, v41
	s_delay_alu instid0(VALU_DEP_1) | instskip(NEXT) | instid1(VALU_DEP_2)
	v_add_f32_e32 v37, v37, v41
	v_add_f32_e32 v41, -1.0, v42
	s_delay_alu instid0(VALU_DEP_2) | instskip(NEXT) | instid1(VALU_DEP_2)
	v_ldexp_f32 v37, v37, v40
	v_dual_add_f32 v40, -1.0, v39 :: v_dual_sub_f32 v41, v39, v41
	s_delay_alu instid0(VALU_DEP_1) | instskip(NEXT) | instid1(VALU_DEP_2)
	v_add_f32_e32 v43, 1.0, v40
	v_add_f32_e32 v41, v37, v41
	s_delay_alu instid0(VALU_DEP_2) | instskip(NEXT) | instid1(VALU_DEP_2)
	v_sub_f32_e32 v39, v39, v43
	v_add_f32_e32 v43, v42, v41
	s_delay_alu instid0(VALU_DEP_2) | instskip(NEXT) | instid1(VALU_DEP_2)
	v_add_f32_e32 v37, v37, v39
	v_rcp_f32_e32 v39, v43
	v_sub_f32_e32 v42, v42, v43
	s_delay_alu instid0(VALU_DEP_1) | instskip(NEXT) | instid1(VALU_DEP_1)
	v_dual_add_f32 v44, v40, v37 :: v_dual_add_f32 v41, v41, v42
	v_sub_f32_e32 v40, v40, v44
	s_delay_alu instid0(TRANS32_DEP_1) | instskip(NEXT) | instid1(VALU_DEP_1)
	v_mul_f32_e32 v45, v44, v39
	v_dual_add_f32 v37, v37, v40 :: v_dual_mul_f32 v46, v43, v45
	s_delay_alu instid0(VALU_DEP_1) | instskip(NEXT) | instid1(VALU_DEP_1)
	v_fma_f32 v42, v45, v43, -v46
	v_fmac_f32_e32 v42, v45, v41
	s_delay_alu instid0(VALU_DEP_1) | instskip(NEXT) | instid1(VALU_DEP_1)
	v_add_f32_e32 v47, v46, v42
	v_sub_f32_e32 v48, v44, v47
	v_sub_f32_e32 v40, v47, v46
	s_delay_alu instid0(VALU_DEP_2) | instskip(NEXT) | instid1(VALU_DEP_2)
	v_sub_f32_e32 v44, v44, v48
	v_sub_f32_e32 v40, v40, v42
	s_delay_alu instid0(VALU_DEP_2) | instskip(NEXT) | instid1(VALU_DEP_1)
	v_sub_f32_e32 v44, v44, v47
	v_add_f32_e32 v37, v37, v44
	s_delay_alu instid0(VALU_DEP_1) | instskip(NEXT) | instid1(VALU_DEP_1)
	v_add_f32_e32 v37, v40, v37
	v_add_f32_e32 v40, v48, v37
	s_delay_alu instid0(VALU_DEP_1) | instskip(NEXT) | instid1(VALU_DEP_1)
	v_mul_f32_e32 v42, v39, v40
	v_dual_sub_f32 v47, v48, v40 :: v_dual_mul_f32 v44, v43, v42
	s_delay_alu instid0(VALU_DEP_1) | instskip(NEXT) | instid1(VALU_DEP_2)
	v_add_f32_e32 v37, v37, v47
	v_fma_f32 v43, v42, v43, -v44
	s_delay_alu instid0(VALU_DEP_1) | instskip(NEXT) | instid1(VALU_DEP_1)
	v_fmac_f32_e32 v43, v42, v41
	v_add_f32_e32 v41, v44, v43
	s_delay_alu instid0(VALU_DEP_1) | instskip(SKIP_1) | instid1(VALU_DEP_2)
	v_sub_f32_e32 v46, v40, v41
	v_sub_f32_e32 v44, v41, v44
	;; [unrolled: 1-line block ×3, first 2 shown]
	s_delay_alu instid0(VALU_DEP_1) | instskip(NEXT) | instid1(VALU_DEP_3)
	v_sub_f32_e32 v40, v40, v41
	v_sub_f32_e32 v41, v44, v43
	s_delay_alu instid0(VALU_DEP_2) | instskip(SKIP_1) | instid1(VALU_DEP_2)
	v_add_f32_e32 v37, v37, v40
	v_add_f32_e32 v40, v45, v42
	;; [unrolled: 1-line block ×3, first 2 shown]
	s_delay_alu instid0(VALU_DEP_2) | instskip(NEXT) | instid1(VALU_DEP_2)
	v_sub_f32_e32 v41, v40, v45
	v_add_f32_e32 v37, v46, v37
	s_delay_alu instid0(VALU_DEP_2) | instskip(NEXT) | instid1(VALU_DEP_2)
	v_sub_f32_e32 v41, v42, v41
	v_mul_f32_e32 v37, v39, v37
	s_delay_alu instid0(VALU_DEP_1) | instskip(NEXT) | instid1(VALU_DEP_1)
	v_add_f32_e32 v37, v41, v37
	v_add_f32_e32 v39, v40, v37
	s_delay_alu instid0(VALU_DEP_1) | instskip(SKIP_1) | instid1(VALU_DEP_1)
	v_mul_f32_e32 v41, v39, v39
	s_wait_alu 0xfffe
	v_fmaak_f32 v42, s1, v41, 0x3ecc95a3
	v_mul_f32_e32 v43, v39, v41
	v_cmp_neq_f32_e64 s1, 0x7f800000, v38
	s_delay_alu instid0(VALU_DEP_3) | instskip(SKIP_2) | instid1(VALU_DEP_3)
	v_fmaak_f32 v41, v41, v42, 0x3f2aaada
	v_ldexp_f32 v42, v39, 1
	v_sub_f32_e32 v39, v39, v40
	v_mul_f32_e32 v41, v43, v41
	v_mul_f32_e32 v43, 0x3f317218, v36
	s_delay_alu instid0(VALU_DEP_2) | instskip(NEXT) | instid1(VALU_DEP_1)
	v_dual_sub_f32 v37, v37, v39 :: v_dual_add_f32 v40, v42, v41
	v_ldexp_f32 v37, v37, 1
	s_delay_alu instid0(VALU_DEP_2) | instskip(NEXT) | instid1(VALU_DEP_4)
	v_sub_f32_e32 v39, v40, v42
	v_fma_f32 v42, 0x3f317218, v36, -v43
	s_delay_alu instid0(VALU_DEP_1) | instskip(NEXT) | instid1(VALU_DEP_1)
	v_dual_sub_f32 v39, v41, v39 :: v_dual_fmamk_f32 v36, v36, 0xb102e308, v42
	v_add_f32_e32 v37, v37, v39
	s_delay_alu instid0(VALU_DEP_2) | instskip(NEXT) | instid1(VALU_DEP_2)
	v_add_f32_e32 v39, v43, v36
	v_add_f32_e32 v41, v40, v37
	s_delay_alu instid0(VALU_DEP_2) | instskip(NEXT) | instid1(VALU_DEP_2)
	v_sub_f32_e32 v43, v39, v43
	v_add_f32_e32 v42, v39, v41
	v_sub_f32_e32 v40, v41, v40
	s_delay_alu instid0(VALU_DEP_3) | instskip(NEXT) | instid1(VALU_DEP_2)
	v_sub_f32_e32 v36, v36, v43
	v_dual_sub_f32 v44, v42, v39 :: v_dual_sub_f32 v37, v37, v40
	s_delay_alu instid0(VALU_DEP_1) | instskip(NEXT) | instid1(VALU_DEP_2)
	v_sub_f32_e32 v45, v42, v44
	v_dual_sub_f32 v40, v41, v44 :: v_dual_add_f32 v41, v36, v37
	s_delay_alu instid0(VALU_DEP_2) | instskip(NEXT) | instid1(VALU_DEP_1)
	v_sub_f32_e32 v39, v39, v45
	v_dual_add_f32 v39, v40, v39 :: v_dual_sub_f32 v40, v41, v36
	s_delay_alu instid0(VALU_DEP_1) | instskip(NEXT) | instid1(VALU_DEP_2)
	v_add_f32_e32 v39, v41, v39
	v_sub_f32_e32 v41, v41, v40
	v_sub_f32_e32 v37, v37, v40
	s_delay_alu instid0(VALU_DEP_2) | instskip(NEXT) | instid1(VALU_DEP_1)
	v_dual_add_f32 v43, v42, v39 :: v_dual_sub_f32 v36, v36, v41
	v_sub_f32_e32 v40, v43, v42
	s_delay_alu instid0(VALU_DEP_2) | instskip(NEXT) | instid1(VALU_DEP_2)
	v_add_f32_e32 v36, v37, v36
	v_sub_f32_e32 v37, v39, v40
	s_delay_alu instid0(VALU_DEP_1) | instskip(NEXT) | instid1(VALU_DEP_1)
	v_add_f32_e32 v36, v36, v37
	v_add_f32_e32 v36, v43, v36
	s_wait_alu 0xf1ff
	s_delay_alu instid0(VALU_DEP_1) | instskip(SKIP_2) | instid1(VALU_DEP_1)
	v_cndmask_b32_e64 v36, 0x7f800000, v36, s1
	v_cmp_gt_f32_e64 s1, 0x33800000, |v38|
	s_wait_alu 0xf1ff
	v_cndmask_b32_e64 v36, v36, v38, s1
	s_delay_alu instid0(VALU_DEP_1)
	v_add_f32_e32 v36, v35, v36
.LBB498_68:
	s_or_b32 exec_lo, exec_lo, s29
	s_delay_alu instid0(VALU_DEP_1) | instskip(SKIP_1) | instid1(VALU_DEP_2)
	v_bfe_u32 v35, v36, 16, 1
	v_cmp_o_f32_e64 s1, v36, v36
	v_add3_u32 v35, v36, v35, 0x7fff
	s_delay_alu instid0(VALU_DEP_1) | instskip(SKIP_1) | instid1(VALU_DEP_1)
	v_lshrrev_b32_e32 v35, 16, v35
	s_wait_alu 0xf1ff
	v_cndmask_b32_e64 v35, 0x7fc0, v35, s1
	s_delay_alu instid0(VALU_DEP_1)
	v_and_b32_e32 v36, 0xffff, v35
.LBB498_69:
	s_or_b32 exec_lo, exec_lo, s28
	s_delay_alu instid0(VALU_DEP_1)
	v_mov_b32_dpp v37, v36 row_shr:4 row_mask:0xf bank_mask:0xf
	s_mov_b32 s28, exec_lo
	v_cmpx_lt_u32_e32 3, v34
	s_cbranch_execz .LBB498_73
; %bb.70:
	v_lshlrev_b32_e32 v35, 16, v36
	s_delay_alu instid0(VALU_DEP_1) | instskip(NEXT) | instid1(VALU_DEP_1)
	v_dual_max_num_f32 v37, v35, v35 :: v_dual_lshlrev_b32 v36, 16, v37
	v_max_num_f32_e32 v38, v36, v36
	v_cmp_u_f32_e64 s1, v36, v36
	s_delay_alu instid0(VALU_DEP_2) | instskip(SKIP_2) | instid1(VALU_DEP_2)
	v_min_num_f32_e32 v39, v38, v37
	v_max_num_f32_e32 v37, v38, v37
	s_wait_alu 0xf1ff
	v_cndmask_b32_e64 v38, v39, v36, s1
	s_delay_alu instid0(VALU_DEP_2) | instskip(SKIP_2) | instid1(VALU_DEP_1)
	v_cndmask_b32_e64 v39, v37, v36, s1
	v_cmp_u_f32_e64 s1, v35, v35
	s_wait_alu 0xf1ff
	v_cndmask_b32_e64 v37, v38, v35, s1
	s_delay_alu instid0(VALU_DEP_3) | instskip(NEXT) | instid1(VALU_DEP_2)
	v_cndmask_b32_e64 v35, v39, v35, s1
	v_cmp_class_f32_e64 s29, v37, 0x1f8
	s_delay_alu instid0(VALU_DEP_2)
	v_cmp_neq_f32_e64 s1, v37, v35
	s_or_b32 s1, s1, s29
	s_wait_alu 0xfffe
	s_and_saveexec_b32 s29, s1
	s_cbranch_execz .LBB498_72
; %bb.71:
	v_sub_f32_e32 v36, v37, v35
	s_delay_alu instid0(VALU_DEP_1) | instskip(SKIP_1) | instid1(VALU_DEP_2)
	v_mul_f32_e32 v37, 0x3fb8aa3b, v36
	v_cmp_ngt_f32_e64 s1, 0xc2ce8ed0, v36
	v_fma_f32 v38, 0x3fb8aa3b, v36, -v37
	v_rndne_f32_e32 v39, v37
	s_delay_alu instid0(VALU_DEP_1) | instskip(NEXT) | instid1(VALU_DEP_1)
	v_dual_fmamk_f32 v38, v36, 0x32a5705f, v38 :: v_dual_sub_f32 v37, v37, v39
	v_add_f32_e32 v37, v37, v38
	v_cvt_i32_f32_e32 v38, v39
	s_delay_alu instid0(VALU_DEP_2) | instskip(NEXT) | instid1(TRANS32_DEP_1)
	v_exp_f32_e32 v37, v37
	v_ldexp_f32 v37, v37, v38
	s_wait_alu 0xf1ff
	s_delay_alu instid0(VALU_DEP_1) | instskip(SKIP_2) | instid1(VALU_DEP_1)
	v_cndmask_b32_e64 v37, 0, v37, s1
	v_cmp_nlt_f32_e64 s1, 0x42b17218, v36
	s_wait_alu 0xf1ff
	v_cndmask_b32_e64 v38, 0x7f800000, v37, s1
	s_delay_alu instid0(VALU_DEP_1) | instskip(NEXT) | instid1(VALU_DEP_1)
	v_add_f32_e32 v39, 1.0, v38
	v_cvt_f64_f32_e32 v[36:37], v39
	s_delay_alu instid0(VALU_DEP_1) | instskip(SKIP_1) | instid1(VALU_DEP_1)
	v_frexp_exp_i32_f64_e32 v36, v[36:37]
	v_frexp_mant_f32_e32 v37, v39
	v_cmp_gt_f32_e64 s1, 0x3f2aaaab, v37
	v_add_f32_e32 v37, -1.0, v39
	s_delay_alu instid0(VALU_DEP_1)
	v_sub_f32_e32 v41, v37, v39
	v_sub_f32_e32 v37, v38, v37
	s_wait_alu 0xf1ff
	v_subrev_co_ci_u32_e64 v36, null, 0, v36, s1
	s_mov_b32 s1, 0x3e9b6dac
	v_sub_nc_u32_e32 v40, 0, v36
	v_cvt_f32_i32_e32 v36, v36
	s_delay_alu instid0(VALU_DEP_2) | instskip(NEXT) | instid1(VALU_DEP_1)
	v_ldexp_f32 v39, v39, v40
	v_dual_add_f32 v42, 1.0, v39 :: v_dual_add_f32 v41, 1.0, v41
	s_delay_alu instid0(VALU_DEP_1) | instskip(NEXT) | instid1(VALU_DEP_2)
	v_add_f32_e32 v37, v37, v41
	v_add_f32_e32 v41, -1.0, v42
	s_delay_alu instid0(VALU_DEP_2) | instskip(NEXT) | instid1(VALU_DEP_2)
	v_ldexp_f32 v37, v37, v40
	v_dual_add_f32 v40, -1.0, v39 :: v_dual_sub_f32 v41, v39, v41
	s_delay_alu instid0(VALU_DEP_1) | instskip(NEXT) | instid1(VALU_DEP_2)
	v_add_f32_e32 v43, 1.0, v40
	v_add_f32_e32 v41, v37, v41
	s_delay_alu instid0(VALU_DEP_2) | instskip(NEXT) | instid1(VALU_DEP_2)
	v_sub_f32_e32 v39, v39, v43
	v_add_f32_e32 v43, v42, v41
	s_delay_alu instid0(VALU_DEP_2) | instskip(NEXT) | instid1(VALU_DEP_2)
	v_add_f32_e32 v37, v37, v39
	v_rcp_f32_e32 v39, v43
	v_sub_f32_e32 v42, v42, v43
	s_delay_alu instid0(VALU_DEP_1) | instskip(NEXT) | instid1(VALU_DEP_1)
	v_dual_add_f32 v44, v40, v37 :: v_dual_add_f32 v41, v41, v42
	v_sub_f32_e32 v40, v40, v44
	s_delay_alu instid0(TRANS32_DEP_1) | instskip(NEXT) | instid1(VALU_DEP_1)
	v_mul_f32_e32 v45, v44, v39
	v_dual_add_f32 v37, v37, v40 :: v_dual_mul_f32 v46, v43, v45
	s_delay_alu instid0(VALU_DEP_1) | instskip(NEXT) | instid1(VALU_DEP_1)
	v_fma_f32 v42, v45, v43, -v46
	v_fmac_f32_e32 v42, v45, v41
	s_delay_alu instid0(VALU_DEP_1) | instskip(NEXT) | instid1(VALU_DEP_1)
	v_add_f32_e32 v47, v46, v42
	v_sub_f32_e32 v48, v44, v47
	v_sub_f32_e32 v40, v47, v46
	s_delay_alu instid0(VALU_DEP_2) | instskip(NEXT) | instid1(VALU_DEP_2)
	v_sub_f32_e32 v44, v44, v48
	v_sub_f32_e32 v40, v40, v42
	s_delay_alu instid0(VALU_DEP_2) | instskip(NEXT) | instid1(VALU_DEP_1)
	v_sub_f32_e32 v44, v44, v47
	v_add_f32_e32 v37, v37, v44
	s_delay_alu instid0(VALU_DEP_1) | instskip(NEXT) | instid1(VALU_DEP_1)
	v_add_f32_e32 v37, v40, v37
	v_add_f32_e32 v40, v48, v37
	s_delay_alu instid0(VALU_DEP_1) | instskip(NEXT) | instid1(VALU_DEP_1)
	v_mul_f32_e32 v42, v39, v40
	v_dual_sub_f32 v47, v48, v40 :: v_dual_mul_f32 v44, v43, v42
	s_delay_alu instid0(VALU_DEP_1) | instskip(NEXT) | instid1(VALU_DEP_2)
	v_add_f32_e32 v37, v37, v47
	v_fma_f32 v43, v42, v43, -v44
	s_delay_alu instid0(VALU_DEP_1) | instskip(NEXT) | instid1(VALU_DEP_1)
	v_fmac_f32_e32 v43, v42, v41
	v_add_f32_e32 v41, v44, v43
	s_delay_alu instid0(VALU_DEP_1) | instskip(SKIP_1) | instid1(VALU_DEP_2)
	v_sub_f32_e32 v46, v40, v41
	v_sub_f32_e32 v44, v41, v44
	;; [unrolled: 1-line block ×3, first 2 shown]
	s_delay_alu instid0(VALU_DEP_1) | instskip(NEXT) | instid1(VALU_DEP_3)
	v_sub_f32_e32 v40, v40, v41
	v_sub_f32_e32 v41, v44, v43
	s_delay_alu instid0(VALU_DEP_2) | instskip(SKIP_1) | instid1(VALU_DEP_2)
	v_add_f32_e32 v37, v37, v40
	v_add_f32_e32 v40, v45, v42
	;; [unrolled: 1-line block ×3, first 2 shown]
	s_delay_alu instid0(VALU_DEP_2) | instskip(NEXT) | instid1(VALU_DEP_2)
	v_sub_f32_e32 v41, v40, v45
	v_add_f32_e32 v37, v46, v37
	s_delay_alu instid0(VALU_DEP_2) | instskip(NEXT) | instid1(VALU_DEP_2)
	v_sub_f32_e32 v41, v42, v41
	v_mul_f32_e32 v37, v39, v37
	s_delay_alu instid0(VALU_DEP_1) | instskip(NEXT) | instid1(VALU_DEP_1)
	v_add_f32_e32 v37, v41, v37
	v_add_f32_e32 v39, v40, v37
	s_delay_alu instid0(VALU_DEP_1) | instskip(SKIP_1) | instid1(VALU_DEP_1)
	v_mul_f32_e32 v41, v39, v39
	s_wait_alu 0xfffe
	v_fmaak_f32 v42, s1, v41, 0x3ecc95a3
	v_mul_f32_e32 v43, v39, v41
	v_cmp_neq_f32_e64 s1, 0x7f800000, v38
	s_delay_alu instid0(VALU_DEP_3) | instskip(SKIP_2) | instid1(VALU_DEP_3)
	v_fmaak_f32 v41, v41, v42, 0x3f2aaada
	v_ldexp_f32 v42, v39, 1
	v_sub_f32_e32 v39, v39, v40
	v_mul_f32_e32 v41, v43, v41
	v_mul_f32_e32 v43, 0x3f317218, v36
	s_delay_alu instid0(VALU_DEP_2) | instskip(NEXT) | instid1(VALU_DEP_1)
	v_dual_sub_f32 v37, v37, v39 :: v_dual_add_f32 v40, v42, v41
	v_ldexp_f32 v37, v37, 1
	s_delay_alu instid0(VALU_DEP_2) | instskip(NEXT) | instid1(VALU_DEP_4)
	v_sub_f32_e32 v39, v40, v42
	v_fma_f32 v42, 0x3f317218, v36, -v43
	s_delay_alu instid0(VALU_DEP_1) | instskip(NEXT) | instid1(VALU_DEP_1)
	v_dual_sub_f32 v39, v41, v39 :: v_dual_fmamk_f32 v36, v36, 0xb102e308, v42
	v_add_f32_e32 v37, v37, v39
	s_delay_alu instid0(VALU_DEP_2) | instskip(NEXT) | instid1(VALU_DEP_2)
	v_add_f32_e32 v39, v43, v36
	v_add_f32_e32 v41, v40, v37
	s_delay_alu instid0(VALU_DEP_2) | instskip(NEXT) | instid1(VALU_DEP_2)
	v_sub_f32_e32 v43, v39, v43
	v_add_f32_e32 v42, v39, v41
	v_sub_f32_e32 v40, v41, v40
	s_delay_alu instid0(VALU_DEP_3) | instskip(NEXT) | instid1(VALU_DEP_2)
	v_sub_f32_e32 v36, v36, v43
	v_dual_sub_f32 v44, v42, v39 :: v_dual_sub_f32 v37, v37, v40
	s_delay_alu instid0(VALU_DEP_1) | instskip(NEXT) | instid1(VALU_DEP_2)
	v_sub_f32_e32 v45, v42, v44
	v_dual_sub_f32 v40, v41, v44 :: v_dual_add_f32 v41, v36, v37
	s_delay_alu instid0(VALU_DEP_2) | instskip(NEXT) | instid1(VALU_DEP_1)
	v_sub_f32_e32 v39, v39, v45
	v_dual_add_f32 v39, v40, v39 :: v_dual_sub_f32 v40, v41, v36
	s_delay_alu instid0(VALU_DEP_1) | instskip(NEXT) | instid1(VALU_DEP_2)
	v_add_f32_e32 v39, v41, v39
	v_sub_f32_e32 v41, v41, v40
	v_sub_f32_e32 v37, v37, v40
	s_delay_alu instid0(VALU_DEP_2) | instskip(NEXT) | instid1(VALU_DEP_1)
	v_dual_add_f32 v43, v42, v39 :: v_dual_sub_f32 v36, v36, v41
	v_sub_f32_e32 v40, v43, v42
	s_delay_alu instid0(VALU_DEP_2) | instskip(NEXT) | instid1(VALU_DEP_2)
	v_add_f32_e32 v36, v37, v36
	v_sub_f32_e32 v37, v39, v40
	s_delay_alu instid0(VALU_DEP_1) | instskip(NEXT) | instid1(VALU_DEP_1)
	v_add_f32_e32 v36, v36, v37
	v_add_f32_e32 v36, v43, v36
	s_wait_alu 0xf1ff
	s_delay_alu instid0(VALU_DEP_1) | instskip(SKIP_2) | instid1(VALU_DEP_1)
	v_cndmask_b32_e64 v36, 0x7f800000, v36, s1
	v_cmp_gt_f32_e64 s1, 0x33800000, |v38|
	s_wait_alu 0xf1ff
	v_cndmask_b32_e64 v36, v36, v38, s1
	s_delay_alu instid0(VALU_DEP_1)
	v_add_f32_e32 v36, v35, v36
.LBB498_72:
	s_or_b32 exec_lo, exec_lo, s29
	s_delay_alu instid0(VALU_DEP_1) | instskip(SKIP_1) | instid1(VALU_DEP_2)
	v_bfe_u32 v35, v36, 16, 1
	v_cmp_o_f32_e64 s1, v36, v36
	v_add3_u32 v35, v36, v35, 0x7fff
	s_delay_alu instid0(VALU_DEP_1) | instskip(SKIP_1) | instid1(VALU_DEP_1)
	v_lshrrev_b32_e32 v35, 16, v35
	s_wait_alu 0xf1ff
	v_cndmask_b32_e64 v35, 0x7fc0, v35, s1
	s_delay_alu instid0(VALU_DEP_1)
	v_and_b32_e32 v36, 0xffff, v35
.LBB498_73:
	s_or_b32 exec_lo, exec_lo, s28
	s_delay_alu instid0(VALU_DEP_1)
	v_mov_b32_dpp v37, v36 row_shr:8 row_mask:0xf bank_mask:0xf
	s_mov_b32 s28, exec_lo
	v_cmpx_lt_u32_e32 7, v34
	s_cbranch_execz .LBB498_77
; %bb.74:
	s_delay_alu instid0(VALU_DEP_2) | instskip(NEXT) | instid1(VALU_DEP_1)
	v_lshlrev_b32_e32 v35, 16, v37
	v_dual_max_num_f32 v37, v35, v35 :: v_dual_lshlrev_b32 v34, 16, v36
	s_delay_alu instid0(VALU_DEP_1) | instskip(SKIP_1) | instid1(VALU_DEP_2)
	v_max_num_f32_e32 v36, v34, v34
	v_cmp_u_f32_e64 s1, v35, v35
	v_min_num_f32_e32 v38, v37, v36
	v_max_num_f32_e32 v36, v37, v36
	s_wait_alu 0xf1ff
	s_delay_alu instid0(VALU_DEP_2) | instskip(NEXT) | instid1(VALU_DEP_2)
	v_cndmask_b32_e64 v37, v38, v35, s1
	v_cndmask_b32_e64 v38, v36, v35, s1
	v_cmp_u_f32_e64 s1, v34, v34
	s_wait_alu 0xf1ff
	s_delay_alu instid0(VALU_DEP_1) | instskip(NEXT) | instid1(VALU_DEP_3)
	v_cndmask_b32_e64 v36, v37, v34, s1
	v_cndmask_b32_e64 v34, v38, v34, s1
	s_delay_alu instid0(VALU_DEP_2) | instskip(NEXT) | instid1(VALU_DEP_2)
	v_cmp_class_f32_e64 s29, v36, 0x1f8
	v_cmp_neq_f32_e64 s1, v36, v34
	s_or_b32 s1, s1, s29
	s_wait_alu 0xfffe
	s_and_saveexec_b32 s29, s1
	s_cbranch_execz .LBB498_76
; %bb.75:
	v_sub_f32_e32 v35, v36, v34
	s_delay_alu instid0(VALU_DEP_1) | instskip(SKIP_1) | instid1(VALU_DEP_2)
	v_mul_f32_e32 v36, 0x3fb8aa3b, v35
	v_cmp_ngt_f32_e64 s1, 0xc2ce8ed0, v35
	v_fma_f32 v37, 0x3fb8aa3b, v35, -v36
	v_rndne_f32_e32 v38, v36
	s_delay_alu instid0(VALU_DEP_1) | instskip(NEXT) | instid1(VALU_DEP_1)
	v_dual_fmamk_f32 v37, v35, 0x32a5705f, v37 :: v_dual_sub_f32 v36, v36, v38
	v_add_f32_e32 v36, v36, v37
	v_cvt_i32_f32_e32 v37, v38
	s_delay_alu instid0(VALU_DEP_2) | instskip(NEXT) | instid1(TRANS32_DEP_1)
	v_exp_f32_e32 v36, v36
	v_ldexp_f32 v36, v36, v37
	s_wait_alu 0xf1ff
	s_delay_alu instid0(VALU_DEP_1) | instskip(SKIP_2) | instid1(VALU_DEP_1)
	v_cndmask_b32_e64 v36, 0, v36, s1
	v_cmp_nlt_f32_e64 s1, 0x42b17218, v35
	s_wait_alu 0xf1ff
	v_cndmask_b32_e64 v37, 0x7f800000, v36, s1
	s_delay_alu instid0(VALU_DEP_1) | instskip(NEXT) | instid1(VALU_DEP_1)
	v_add_f32_e32 v38, 1.0, v37
	v_cvt_f64_f32_e32 v[35:36], v38
	s_delay_alu instid0(VALU_DEP_1) | instskip(SKIP_1) | instid1(VALU_DEP_1)
	v_frexp_exp_i32_f64_e32 v35, v[35:36]
	v_frexp_mant_f32_e32 v36, v38
	v_cmp_gt_f32_e64 s1, 0x3f2aaaab, v36
	v_add_f32_e32 v36, -1.0, v38
	s_delay_alu instid0(VALU_DEP_1)
	v_sub_f32_e32 v40, v36, v38
	v_sub_f32_e32 v36, v37, v36
	s_wait_alu 0xf1ff
	v_subrev_co_ci_u32_e64 v35, null, 0, v35, s1
	s_mov_b32 s1, 0x3e9b6dac
	v_sub_nc_u32_e32 v39, 0, v35
	v_cvt_f32_i32_e32 v35, v35
	s_delay_alu instid0(VALU_DEP_2) | instskip(NEXT) | instid1(VALU_DEP_1)
	v_ldexp_f32 v38, v38, v39
	v_dual_add_f32 v41, 1.0, v38 :: v_dual_add_f32 v40, 1.0, v40
	s_delay_alu instid0(VALU_DEP_1) | instskip(NEXT) | instid1(VALU_DEP_2)
	v_add_f32_e32 v36, v36, v40
	v_add_f32_e32 v40, -1.0, v41
	s_delay_alu instid0(VALU_DEP_2) | instskip(NEXT) | instid1(VALU_DEP_2)
	v_ldexp_f32 v36, v36, v39
	v_dual_add_f32 v39, -1.0, v38 :: v_dual_sub_f32 v40, v38, v40
	s_delay_alu instid0(VALU_DEP_1) | instskip(NEXT) | instid1(VALU_DEP_2)
	v_add_f32_e32 v42, 1.0, v39
	v_add_f32_e32 v40, v36, v40
	s_delay_alu instid0(VALU_DEP_2) | instskip(NEXT) | instid1(VALU_DEP_2)
	v_sub_f32_e32 v38, v38, v42
	v_add_f32_e32 v42, v41, v40
	s_delay_alu instid0(VALU_DEP_2) | instskip(NEXT) | instid1(VALU_DEP_2)
	v_add_f32_e32 v36, v36, v38
	v_rcp_f32_e32 v38, v42
	v_sub_f32_e32 v41, v41, v42
	s_delay_alu instid0(VALU_DEP_1) | instskip(NEXT) | instid1(VALU_DEP_1)
	v_dual_add_f32 v43, v39, v36 :: v_dual_add_f32 v40, v40, v41
	v_sub_f32_e32 v39, v39, v43
	s_delay_alu instid0(TRANS32_DEP_1) | instskip(NEXT) | instid1(VALU_DEP_1)
	v_mul_f32_e32 v44, v43, v38
	v_dual_add_f32 v36, v36, v39 :: v_dual_mul_f32 v45, v42, v44
	s_delay_alu instid0(VALU_DEP_1) | instskip(NEXT) | instid1(VALU_DEP_1)
	v_fma_f32 v41, v44, v42, -v45
	v_fmac_f32_e32 v41, v44, v40
	s_delay_alu instid0(VALU_DEP_1) | instskip(NEXT) | instid1(VALU_DEP_1)
	v_add_f32_e32 v46, v45, v41
	v_sub_f32_e32 v47, v43, v46
	v_sub_f32_e32 v39, v46, v45
	s_delay_alu instid0(VALU_DEP_2) | instskip(NEXT) | instid1(VALU_DEP_2)
	v_sub_f32_e32 v43, v43, v47
	v_sub_f32_e32 v39, v39, v41
	s_delay_alu instid0(VALU_DEP_2) | instskip(NEXT) | instid1(VALU_DEP_1)
	v_sub_f32_e32 v43, v43, v46
	v_add_f32_e32 v36, v36, v43
	s_delay_alu instid0(VALU_DEP_1) | instskip(NEXT) | instid1(VALU_DEP_1)
	v_add_f32_e32 v36, v39, v36
	v_add_f32_e32 v39, v47, v36
	s_delay_alu instid0(VALU_DEP_1) | instskip(NEXT) | instid1(VALU_DEP_1)
	v_mul_f32_e32 v41, v38, v39
	v_dual_sub_f32 v46, v47, v39 :: v_dual_mul_f32 v43, v42, v41
	s_delay_alu instid0(VALU_DEP_1) | instskip(NEXT) | instid1(VALU_DEP_2)
	v_add_f32_e32 v36, v36, v46
	v_fma_f32 v42, v41, v42, -v43
	s_delay_alu instid0(VALU_DEP_1) | instskip(NEXT) | instid1(VALU_DEP_1)
	v_fmac_f32_e32 v42, v41, v40
	v_add_f32_e32 v40, v43, v42
	s_delay_alu instid0(VALU_DEP_1) | instskip(SKIP_1) | instid1(VALU_DEP_2)
	v_sub_f32_e32 v45, v39, v40
	v_sub_f32_e32 v43, v40, v43
	;; [unrolled: 1-line block ×3, first 2 shown]
	s_delay_alu instid0(VALU_DEP_1) | instskip(NEXT) | instid1(VALU_DEP_3)
	v_sub_f32_e32 v39, v39, v40
	v_sub_f32_e32 v40, v43, v42
	s_delay_alu instid0(VALU_DEP_2) | instskip(SKIP_1) | instid1(VALU_DEP_2)
	v_add_f32_e32 v36, v36, v39
	v_add_f32_e32 v39, v44, v41
	;; [unrolled: 1-line block ×3, first 2 shown]
	s_delay_alu instid0(VALU_DEP_2) | instskip(NEXT) | instid1(VALU_DEP_2)
	v_sub_f32_e32 v40, v39, v44
	v_add_f32_e32 v36, v45, v36
	s_delay_alu instid0(VALU_DEP_2) | instskip(NEXT) | instid1(VALU_DEP_2)
	v_sub_f32_e32 v40, v41, v40
	v_mul_f32_e32 v36, v38, v36
	s_delay_alu instid0(VALU_DEP_1) | instskip(NEXT) | instid1(VALU_DEP_1)
	v_add_f32_e32 v36, v40, v36
	v_add_f32_e32 v38, v39, v36
	s_delay_alu instid0(VALU_DEP_1) | instskip(SKIP_1) | instid1(VALU_DEP_1)
	v_mul_f32_e32 v40, v38, v38
	s_wait_alu 0xfffe
	v_fmaak_f32 v41, s1, v40, 0x3ecc95a3
	v_mul_f32_e32 v42, v38, v40
	v_cmp_neq_f32_e64 s1, 0x7f800000, v37
	s_delay_alu instid0(VALU_DEP_3) | instskip(SKIP_2) | instid1(VALU_DEP_3)
	v_fmaak_f32 v40, v40, v41, 0x3f2aaada
	v_ldexp_f32 v41, v38, 1
	v_sub_f32_e32 v38, v38, v39
	v_mul_f32_e32 v40, v42, v40
	v_mul_f32_e32 v42, 0x3f317218, v35
	s_delay_alu instid0(VALU_DEP_2) | instskip(NEXT) | instid1(VALU_DEP_1)
	v_dual_sub_f32 v36, v36, v38 :: v_dual_add_f32 v39, v41, v40
	v_ldexp_f32 v36, v36, 1
	s_delay_alu instid0(VALU_DEP_2) | instskip(NEXT) | instid1(VALU_DEP_4)
	v_sub_f32_e32 v38, v39, v41
	v_fma_f32 v41, 0x3f317218, v35, -v42
	s_delay_alu instid0(VALU_DEP_1) | instskip(NEXT) | instid1(VALU_DEP_1)
	v_dual_sub_f32 v38, v40, v38 :: v_dual_fmamk_f32 v35, v35, 0xb102e308, v41
	v_add_f32_e32 v36, v36, v38
	s_delay_alu instid0(VALU_DEP_2) | instskip(NEXT) | instid1(VALU_DEP_2)
	v_add_f32_e32 v38, v42, v35
	v_add_f32_e32 v40, v39, v36
	s_delay_alu instid0(VALU_DEP_2) | instskip(NEXT) | instid1(VALU_DEP_2)
	v_sub_f32_e32 v42, v38, v42
	v_add_f32_e32 v41, v38, v40
	v_sub_f32_e32 v39, v40, v39
	s_delay_alu instid0(VALU_DEP_3) | instskip(NEXT) | instid1(VALU_DEP_2)
	v_sub_f32_e32 v35, v35, v42
	v_dual_sub_f32 v43, v41, v38 :: v_dual_sub_f32 v36, v36, v39
	s_delay_alu instid0(VALU_DEP_1) | instskip(NEXT) | instid1(VALU_DEP_2)
	v_sub_f32_e32 v44, v41, v43
	v_dual_sub_f32 v39, v40, v43 :: v_dual_add_f32 v40, v35, v36
	s_delay_alu instid0(VALU_DEP_2) | instskip(NEXT) | instid1(VALU_DEP_1)
	v_sub_f32_e32 v38, v38, v44
	v_dual_add_f32 v38, v39, v38 :: v_dual_sub_f32 v39, v40, v35
	s_delay_alu instid0(VALU_DEP_1) | instskip(NEXT) | instid1(VALU_DEP_2)
	v_add_f32_e32 v38, v40, v38
	v_sub_f32_e32 v40, v40, v39
	v_sub_f32_e32 v36, v36, v39
	s_delay_alu instid0(VALU_DEP_2) | instskip(NEXT) | instid1(VALU_DEP_1)
	v_dual_add_f32 v42, v41, v38 :: v_dual_sub_f32 v35, v35, v40
	v_sub_f32_e32 v39, v42, v41
	s_delay_alu instid0(VALU_DEP_2) | instskip(NEXT) | instid1(VALU_DEP_2)
	v_add_f32_e32 v35, v36, v35
	v_sub_f32_e32 v36, v38, v39
	s_delay_alu instid0(VALU_DEP_1) | instskip(NEXT) | instid1(VALU_DEP_1)
	v_add_f32_e32 v35, v35, v36
	v_add_f32_e32 v35, v42, v35
	s_wait_alu 0xf1ff
	s_delay_alu instid0(VALU_DEP_1) | instskip(SKIP_2) | instid1(VALU_DEP_1)
	v_cndmask_b32_e64 v35, 0x7f800000, v35, s1
	v_cmp_gt_f32_e64 s1, 0x33800000, |v37|
	s_wait_alu 0xf1ff
	v_cndmask_b32_e64 v35, v35, v37, s1
	s_delay_alu instid0(VALU_DEP_1)
	v_add_f32_e32 v35, v34, v35
.LBB498_76:
	s_or_b32 exec_lo, exec_lo, s29
	s_delay_alu instid0(VALU_DEP_1) | instskip(SKIP_1) | instid1(VALU_DEP_2)
	v_bfe_u32 v34, v35, 16, 1
	v_cmp_o_f32_e64 s1, v35, v35
	v_add3_u32 v34, v35, v34, 0x7fff
	s_delay_alu instid0(VALU_DEP_1) | instskip(SKIP_1) | instid1(VALU_DEP_1)
	v_lshrrev_b32_e32 v34, 16, v34
	s_wait_alu 0xf1ff
	v_cndmask_b32_e64 v35, 0x7fc0, v34, s1
	s_delay_alu instid0(VALU_DEP_1)
	v_and_b32_e32 v36, 0xffff, v35
.LBB498_77:
	s_or_b32 exec_lo, exec_lo, s28
	ds_swizzle_b32 v34, v36 offset:swizzle(BROADCAST,32,15)
	v_and_b32_e32 v37, 16, v33
	s_mov_b32 s28, exec_lo
	s_delay_alu instid0(VALU_DEP_1)
	v_cmpx_ne_u32_e32 0, v37
	s_cbranch_execz .LBB498_81
; %bb.78:
	s_wait_dscnt 0x0
	v_lshlrev_b32_e32 v35, 16, v34
	s_delay_alu instid0(VALU_DEP_1) | instskip(NEXT) | instid1(VALU_DEP_1)
	v_dual_max_num_f32 v36, v35, v35 :: v_dual_lshlrev_b32 v37, 16, v36
	v_max_num_f32_e32 v34, v37, v37
	v_cmp_u_f32_e64 s1, v35, v35
	s_delay_alu instid0(VALU_DEP_2) | instskip(SKIP_2) | instid1(VALU_DEP_2)
	v_min_num_f32_e32 v38, v36, v34
	v_max_num_f32_e32 v34, v36, v34
	s_wait_alu 0xf1ff
	v_cndmask_b32_e64 v36, v38, v35, s1
	s_delay_alu instid0(VALU_DEP_2) | instskip(SKIP_2) | instid1(VALU_DEP_1)
	v_cndmask_b32_e64 v34, v34, v35, s1
	v_cmp_u_f32_e64 s1, v37, v37
	s_wait_alu 0xf1ff
	v_cndmask_b32_e64 v36, v36, v37, s1
	s_delay_alu instid0(VALU_DEP_3) | instskip(NEXT) | instid1(VALU_DEP_2)
	v_cndmask_b32_e64 v34, v34, v37, s1
	v_cmp_class_f32_e64 s29, v36, 0x1f8
	s_delay_alu instid0(VALU_DEP_2)
	v_cmp_neq_f32_e64 s1, v36, v34
	s_or_b32 s1, s1, s29
	s_wait_alu 0xfffe
	s_and_saveexec_b32 s29, s1
	s_cbranch_execz .LBB498_80
; %bb.79:
	v_sub_f32_e32 v35, v36, v34
	s_delay_alu instid0(VALU_DEP_1) | instskip(SKIP_1) | instid1(VALU_DEP_2)
	v_mul_f32_e32 v36, 0x3fb8aa3b, v35
	v_cmp_ngt_f32_e64 s1, 0xc2ce8ed0, v35
	v_fma_f32 v37, 0x3fb8aa3b, v35, -v36
	v_rndne_f32_e32 v38, v36
	s_delay_alu instid0(VALU_DEP_1) | instskip(NEXT) | instid1(VALU_DEP_1)
	v_dual_fmamk_f32 v37, v35, 0x32a5705f, v37 :: v_dual_sub_f32 v36, v36, v38
	v_add_f32_e32 v36, v36, v37
	v_cvt_i32_f32_e32 v37, v38
	s_delay_alu instid0(VALU_DEP_2) | instskip(NEXT) | instid1(TRANS32_DEP_1)
	v_exp_f32_e32 v36, v36
	v_ldexp_f32 v36, v36, v37
	s_wait_alu 0xf1ff
	s_delay_alu instid0(VALU_DEP_1) | instskip(SKIP_2) | instid1(VALU_DEP_1)
	v_cndmask_b32_e64 v36, 0, v36, s1
	v_cmp_nlt_f32_e64 s1, 0x42b17218, v35
	s_wait_alu 0xf1ff
	v_cndmask_b32_e64 v37, 0x7f800000, v36, s1
	s_delay_alu instid0(VALU_DEP_1) | instskip(NEXT) | instid1(VALU_DEP_1)
	v_add_f32_e32 v38, 1.0, v37
	v_cvt_f64_f32_e32 v[35:36], v38
	s_delay_alu instid0(VALU_DEP_1) | instskip(SKIP_1) | instid1(VALU_DEP_1)
	v_frexp_exp_i32_f64_e32 v35, v[35:36]
	v_frexp_mant_f32_e32 v36, v38
	v_cmp_gt_f32_e64 s1, 0x3f2aaaab, v36
	v_add_f32_e32 v36, -1.0, v38
	s_delay_alu instid0(VALU_DEP_1)
	v_sub_f32_e32 v40, v36, v38
	v_sub_f32_e32 v36, v37, v36
	s_wait_alu 0xf1ff
	v_subrev_co_ci_u32_e64 v35, null, 0, v35, s1
	s_mov_b32 s1, 0x3e9b6dac
	v_sub_nc_u32_e32 v39, 0, v35
	v_cvt_f32_i32_e32 v35, v35
	s_delay_alu instid0(VALU_DEP_2) | instskip(NEXT) | instid1(VALU_DEP_1)
	v_ldexp_f32 v38, v38, v39
	v_dual_add_f32 v41, 1.0, v38 :: v_dual_add_f32 v40, 1.0, v40
	s_delay_alu instid0(VALU_DEP_1) | instskip(NEXT) | instid1(VALU_DEP_2)
	v_add_f32_e32 v36, v36, v40
	v_add_f32_e32 v40, -1.0, v41
	s_delay_alu instid0(VALU_DEP_2) | instskip(NEXT) | instid1(VALU_DEP_2)
	v_ldexp_f32 v36, v36, v39
	v_dual_add_f32 v39, -1.0, v38 :: v_dual_sub_f32 v40, v38, v40
	s_delay_alu instid0(VALU_DEP_1) | instskip(NEXT) | instid1(VALU_DEP_2)
	v_add_f32_e32 v42, 1.0, v39
	v_add_f32_e32 v40, v36, v40
	s_delay_alu instid0(VALU_DEP_2) | instskip(NEXT) | instid1(VALU_DEP_2)
	v_sub_f32_e32 v38, v38, v42
	v_add_f32_e32 v42, v41, v40
	s_delay_alu instid0(VALU_DEP_2) | instskip(NEXT) | instid1(VALU_DEP_2)
	v_add_f32_e32 v36, v36, v38
	v_rcp_f32_e32 v38, v42
	v_sub_f32_e32 v41, v41, v42
	s_delay_alu instid0(VALU_DEP_1) | instskip(NEXT) | instid1(VALU_DEP_1)
	v_dual_add_f32 v43, v39, v36 :: v_dual_add_f32 v40, v40, v41
	v_sub_f32_e32 v39, v39, v43
	s_delay_alu instid0(TRANS32_DEP_1) | instskip(NEXT) | instid1(VALU_DEP_1)
	v_mul_f32_e32 v44, v43, v38
	v_dual_add_f32 v36, v36, v39 :: v_dual_mul_f32 v45, v42, v44
	s_delay_alu instid0(VALU_DEP_1) | instskip(NEXT) | instid1(VALU_DEP_1)
	v_fma_f32 v41, v44, v42, -v45
	v_fmac_f32_e32 v41, v44, v40
	s_delay_alu instid0(VALU_DEP_1) | instskip(NEXT) | instid1(VALU_DEP_1)
	v_add_f32_e32 v46, v45, v41
	v_sub_f32_e32 v47, v43, v46
	v_sub_f32_e32 v39, v46, v45
	s_delay_alu instid0(VALU_DEP_2) | instskip(NEXT) | instid1(VALU_DEP_2)
	v_sub_f32_e32 v43, v43, v47
	v_sub_f32_e32 v39, v39, v41
	s_delay_alu instid0(VALU_DEP_2) | instskip(NEXT) | instid1(VALU_DEP_1)
	v_sub_f32_e32 v43, v43, v46
	v_add_f32_e32 v36, v36, v43
	s_delay_alu instid0(VALU_DEP_1) | instskip(NEXT) | instid1(VALU_DEP_1)
	v_add_f32_e32 v36, v39, v36
	v_add_f32_e32 v39, v47, v36
	s_delay_alu instid0(VALU_DEP_1) | instskip(NEXT) | instid1(VALU_DEP_1)
	v_mul_f32_e32 v41, v38, v39
	v_dual_sub_f32 v46, v47, v39 :: v_dual_mul_f32 v43, v42, v41
	s_delay_alu instid0(VALU_DEP_1) | instskip(NEXT) | instid1(VALU_DEP_2)
	v_add_f32_e32 v36, v36, v46
	v_fma_f32 v42, v41, v42, -v43
	s_delay_alu instid0(VALU_DEP_1) | instskip(NEXT) | instid1(VALU_DEP_1)
	v_fmac_f32_e32 v42, v41, v40
	v_add_f32_e32 v40, v43, v42
	s_delay_alu instid0(VALU_DEP_1) | instskip(SKIP_1) | instid1(VALU_DEP_2)
	v_sub_f32_e32 v45, v39, v40
	v_sub_f32_e32 v43, v40, v43
	;; [unrolled: 1-line block ×3, first 2 shown]
	s_delay_alu instid0(VALU_DEP_1) | instskip(NEXT) | instid1(VALU_DEP_3)
	v_sub_f32_e32 v39, v39, v40
	v_sub_f32_e32 v40, v43, v42
	s_delay_alu instid0(VALU_DEP_2) | instskip(SKIP_1) | instid1(VALU_DEP_2)
	v_add_f32_e32 v36, v36, v39
	v_add_f32_e32 v39, v44, v41
	;; [unrolled: 1-line block ×3, first 2 shown]
	s_delay_alu instid0(VALU_DEP_2) | instskip(NEXT) | instid1(VALU_DEP_2)
	v_sub_f32_e32 v40, v39, v44
	v_add_f32_e32 v36, v45, v36
	s_delay_alu instid0(VALU_DEP_2) | instskip(NEXT) | instid1(VALU_DEP_2)
	v_sub_f32_e32 v40, v41, v40
	v_mul_f32_e32 v36, v38, v36
	s_delay_alu instid0(VALU_DEP_1) | instskip(NEXT) | instid1(VALU_DEP_1)
	v_add_f32_e32 v36, v40, v36
	v_add_f32_e32 v38, v39, v36
	s_delay_alu instid0(VALU_DEP_1) | instskip(SKIP_1) | instid1(VALU_DEP_1)
	v_mul_f32_e32 v40, v38, v38
	s_wait_alu 0xfffe
	v_fmaak_f32 v41, s1, v40, 0x3ecc95a3
	v_mul_f32_e32 v42, v38, v40
	v_cmp_neq_f32_e64 s1, 0x7f800000, v37
	s_delay_alu instid0(VALU_DEP_3) | instskip(SKIP_2) | instid1(VALU_DEP_3)
	v_fmaak_f32 v40, v40, v41, 0x3f2aaada
	v_ldexp_f32 v41, v38, 1
	v_sub_f32_e32 v38, v38, v39
	v_mul_f32_e32 v40, v42, v40
	v_mul_f32_e32 v42, 0x3f317218, v35
	s_delay_alu instid0(VALU_DEP_2) | instskip(NEXT) | instid1(VALU_DEP_1)
	v_dual_sub_f32 v36, v36, v38 :: v_dual_add_f32 v39, v41, v40
	v_ldexp_f32 v36, v36, 1
	s_delay_alu instid0(VALU_DEP_2) | instskip(NEXT) | instid1(VALU_DEP_4)
	v_sub_f32_e32 v38, v39, v41
	v_fma_f32 v41, 0x3f317218, v35, -v42
	s_delay_alu instid0(VALU_DEP_1) | instskip(NEXT) | instid1(VALU_DEP_1)
	v_dual_sub_f32 v38, v40, v38 :: v_dual_fmamk_f32 v35, v35, 0xb102e308, v41
	v_add_f32_e32 v36, v36, v38
	s_delay_alu instid0(VALU_DEP_2) | instskip(NEXT) | instid1(VALU_DEP_2)
	v_add_f32_e32 v38, v42, v35
	v_add_f32_e32 v40, v39, v36
	s_delay_alu instid0(VALU_DEP_2) | instskip(NEXT) | instid1(VALU_DEP_2)
	v_sub_f32_e32 v42, v38, v42
	v_add_f32_e32 v41, v38, v40
	v_sub_f32_e32 v39, v40, v39
	s_delay_alu instid0(VALU_DEP_3) | instskip(NEXT) | instid1(VALU_DEP_2)
	v_sub_f32_e32 v35, v35, v42
	v_dual_sub_f32 v43, v41, v38 :: v_dual_sub_f32 v36, v36, v39
	s_delay_alu instid0(VALU_DEP_1) | instskip(NEXT) | instid1(VALU_DEP_2)
	v_sub_f32_e32 v44, v41, v43
	v_dual_sub_f32 v39, v40, v43 :: v_dual_add_f32 v40, v35, v36
	s_delay_alu instid0(VALU_DEP_2) | instskip(NEXT) | instid1(VALU_DEP_1)
	v_sub_f32_e32 v38, v38, v44
	v_dual_add_f32 v38, v39, v38 :: v_dual_sub_f32 v39, v40, v35
	s_delay_alu instid0(VALU_DEP_1) | instskip(NEXT) | instid1(VALU_DEP_2)
	v_add_f32_e32 v38, v40, v38
	v_sub_f32_e32 v40, v40, v39
	v_sub_f32_e32 v36, v36, v39
	s_delay_alu instid0(VALU_DEP_2) | instskip(NEXT) | instid1(VALU_DEP_1)
	v_dual_add_f32 v42, v41, v38 :: v_dual_sub_f32 v35, v35, v40
	v_sub_f32_e32 v39, v42, v41
	s_delay_alu instid0(VALU_DEP_2) | instskip(NEXT) | instid1(VALU_DEP_2)
	v_add_f32_e32 v35, v36, v35
	v_sub_f32_e32 v36, v38, v39
	s_delay_alu instid0(VALU_DEP_1) | instskip(NEXT) | instid1(VALU_DEP_1)
	v_add_f32_e32 v35, v35, v36
	v_add_f32_e32 v35, v42, v35
	s_wait_alu 0xf1ff
	s_delay_alu instid0(VALU_DEP_1) | instskip(SKIP_2) | instid1(VALU_DEP_1)
	v_cndmask_b32_e64 v35, 0x7f800000, v35, s1
	v_cmp_gt_f32_e64 s1, 0x33800000, |v37|
	s_wait_alu 0xf1ff
	v_cndmask_b32_e64 v35, v35, v37, s1
	s_delay_alu instid0(VALU_DEP_1)
	v_add_f32_e32 v35, v34, v35
.LBB498_80:
	s_or_b32 exec_lo, exec_lo, s29
	s_delay_alu instid0(VALU_DEP_1) | instskip(SKIP_1) | instid1(VALU_DEP_2)
	v_bfe_u32 v34, v35, 16, 1
	v_cmp_o_f32_e64 s1, v35, v35
	v_add3_u32 v34, v35, v34, 0x7fff
	s_delay_alu instid0(VALU_DEP_1) | instskip(SKIP_1) | instid1(VALU_DEP_1)
	v_lshrrev_b32_e32 v34, 16, v34
	s_wait_alu 0xf1ff
	v_cndmask_b32_e64 v35, 0x7fc0, v34, s1
.LBB498_81:
	s_or_b32 exec_lo, exec_lo, s28
	s_wait_dscnt 0x0
	v_add_nc_u32_e32 v34, -1, v33
	s_delay_alu instid0(VALU_DEP_1) | instskip(SKIP_1) | instid1(VALU_DEP_1)
	v_cmp_gt_i32_e64 s1, 0, v34
	s_wait_alu 0xf1ff
	v_cndmask_b32_e64 v33, v34, v33, s1
	v_and_b32_e32 v34, 0xffff, v35
	s_delay_alu instid0(VALU_DEP_2) | instskip(SKIP_3) | instid1(VALU_DEP_1)
	v_lshlrev_b32_e32 v33, 2, v33
	ds_bpermute_b32 v33, v33, v34
	s_wait_dscnt 0x0
	v_lshlrev_b32_e32 v33, 16, v33
	v_max_num_f32_e32 v34, v33, v33
	v_cmp_u_f32_e64 s1, v33, v33
	s_delay_alu instid0(VALU_DEP_2) | instskip(SKIP_2) | instid1(VALU_DEP_2)
	v_min_num_f32_e32 v35, v34, v32
	v_max_num_f32_e32 v32, v34, v32
	s_wait_alu 0xf1ff
	v_cndmask_b32_e64 v34, v35, v33, s1
	s_delay_alu instid0(VALU_DEP_2) | instskip(NEXT) | instid1(VALU_DEP_2)
	v_cndmask_b32_e64 v35, v32, v33, s1
	v_cndmask_b32_e64 v32, v34, v31, s0
	s_delay_alu instid0(VALU_DEP_2) | instskip(NEXT) | instid1(VALU_DEP_2)
	v_cndmask_b32_e64 v31, v35, v31, s0
	v_cmp_class_f32_e64 s1, v32, 0x1f8
	s_delay_alu instid0(VALU_DEP_2)
	v_cmp_neq_f32_e64 s0, v32, v31
	s_or_b32 s0, s0, s1
	s_wait_alu 0xfffe
	s_and_saveexec_b32 s1, s0
	s_cbranch_execz .LBB498_83
; %bb.82:
	v_sub_f32_e32 v32, v32, v31
	s_delay_alu instid0(VALU_DEP_1) | instskip(NEXT) | instid1(VALU_DEP_1)
	v_mul_f32_e32 v33, 0x3fb8aa3b, v32
	v_fma_f32 v34, 0x3fb8aa3b, v32, -v33
	v_rndne_f32_e32 v35, v33
	s_delay_alu instid0(VALU_DEP_1) | instskip(NEXT) | instid1(VALU_DEP_1)
	v_dual_fmamk_f32 v34, v32, 0x32a5705f, v34 :: v_dual_sub_f32 v33, v33, v35
	v_add_f32_e32 v33, v33, v34
	v_cvt_i32_f32_e32 v34, v35
	v_cmp_ngt_f32_e64 s0, 0xc2ce8ed0, v32
	s_delay_alu instid0(VALU_DEP_3) | instskip(NEXT) | instid1(TRANS32_DEP_1)
	v_exp_f32_e32 v33, v33
	v_ldexp_f32 v33, v33, v34
	s_wait_alu 0xf1ff
	s_delay_alu instid0(VALU_DEP_1) | instskip(SKIP_2) | instid1(VALU_DEP_1)
	v_cndmask_b32_e64 v33, 0, v33, s0
	v_cmp_nlt_f32_e64 s0, 0x42b17218, v32
	s_wait_alu 0xf1ff
	v_cndmask_b32_e64 v34, 0x7f800000, v33, s0
	s_delay_alu instid0(VALU_DEP_1) | instskip(NEXT) | instid1(VALU_DEP_1)
	v_add_f32_e32 v35, 1.0, v34
	v_cvt_f64_f32_e32 v[32:33], v35
	s_delay_alu instid0(VALU_DEP_1) | instskip(SKIP_1) | instid1(VALU_DEP_1)
	v_frexp_exp_i32_f64_e32 v32, v[32:33]
	v_frexp_mant_f32_e32 v33, v35
	v_cmp_gt_f32_e64 s0, 0x3f2aaaab, v33
	v_add_f32_e32 v33, -1.0, v35
	s_delay_alu instid0(VALU_DEP_1) | instskip(SKIP_1) | instid1(VALU_DEP_3)
	v_sub_f32_e32 v37, v33, v35
	s_wait_alu 0xf1ff
	v_subrev_co_ci_u32_e64 v32, null, 0, v32, s0
	s_mov_b32 s0, 0x3e9b6dac
	v_sub_nc_u32_e32 v36, 0, v32
	v_cvt_f32_i32_e32 v32, v32
	s_delay_alu instid0(VALU_DEP_2) | instskip(NEXT) | instid1(VALU_DEP_1)
	v_ldexp_f32 v35, v35, v36
	v_dual_sub_f32 v33, v34, v33 :: v_dual_add_f32 v38, 1.0, v35
	v_add_f32_e32 v37, 1.0, v37
	s_delay_alu instid0(VALU_DEP_1) | instskip(NEXT) | instid1(VALU_DEP_3)
	v_add_f32_e32 v33, v33, v37
	v_add_f32_e32 v37, -1.0, v38
	s_delay_alu instid0(VALU_DEP_2) | instskip(NEXT) | instid1(VALU_DEP_2)
	v_ldexp_f32 v33, v33, v36
	v_dual_add_f32 v36, -1.0, v35 :: v_dual_sub_f32 v37, v35, v37
	s_delay_alu instid0(VALU_DEP_1) | instskip(NEXT) | instid1(VALU_DEP_2)
	v_add_f32_e32 v39, 1.0, v36
	v_add_f32_e32 v37, v33, v37
	s_delay_alu instid0(VALU_DEP_2) | instskip(NEXT) | instid1(VALU_DEP_2)
	v_sub_f32_e32 v35, v35, v39
	v_add_f32_e32 v39, v38, v37
	s_delay_alu instid0(VALU_DEP_2) | instskip(NEXT) | instid1(VALU_DEP_2)
	v_add_f32_e32 v33, v33, v35
	v_rcp_f32_e32 v35, v39
	v_sub_f32_e32 v38, v38, v39
	s_delay_alu instid0(VALU_DEP_1) | instskip(NEXT) | instid1(VALU_DEP_1)
	v_dual_add_f32 v40, v36, v33 :: v_dual_add_f32 v37, v37, v38
	v_sub_f32_e32 v36, v36, v40
	s_delay_alu instid0(TRANS32_DEP_1) | instskip(NEXT) | instid1(VALU_DEP_1)
	v_mul_f32_e32 v41, v40, v35
	v_dual_add_f32 v33, v33, v36 :: v_dual_mul_f32 v42, v39, v41
	s_delay_alu instid0(VALU_DEP_1) | instskip(NEXT) | instid1(VALU_DEP_1)
	v_fma_f32 v38, v41, v39, -v42
	v_fmac_f32_e32 v38, v41, v37
	s_delay_alu instid0(VALU_DEP_1) | instskip(NEXT) | instid1(VALU_DEP_1)
	v_add_f32_e32 v43, v42, v38
	v_sub_f32_e32 v44, v40, v43
	v_sub_f32_e32 v36, v43, v42
	s_delay_alu instid0(VALU_DEP_2) | instskip(NEXT) | instid1(VALU_DEP_2)
	v_sub_f32_e32 v40, v40, v44
	v_sub_f32_e32 v36, v36, v38
	s_delay_alu instid0(VALU_DEP_2) | instskip(NEXT) | instid1(VALU_DEP_1)
	v_sub_f32_e32 v40, v40, v43
	v_add_f32_e32 v33, v33, v40
	s_delay_alu instid0(VALU_DEP_1) | instskip(NEXT) | instid1(VALU_DEP_1)
	v_add_f32_e32 v33, v36, v33
	v_add_f32_e32 v36, v44, v33
	s_delay_alu instid0(VALU_DEP_1) | instskip(NEXT) | instid1(VALU_DEP_1)
	v_mul_f32_e32 v38, v35, v36
	v_dual_sub_f32 v43, v44, v36 :: v_dual_mul_f32 v40, v39, v38
	s_delay_alu instid0(VALU_DEP_1) | instskip(NEXT) | instid1(VALU_DEP_2)
	v_add_f32_e32 v33, v33, v43
	v_fma_f32 v39, v38, v39, -v40
	s_delay_alu instid0(VALU_DEP_1) | instskip(NEXT) | instid1(VALU_DEP_1)
	v_fmac_f32_e32 v39, v38, v37
	v_add_f32_e32 v37, v40, v39
	s_delay_alu instid0(VALU_DEP_1) | instskip(SKIP_1) | instid1(VALU_DEP_2)
	v_sub_f32_e32 v42, v36, v37
	v_sub_f32_e32 v40, v37, v40
	;; [unrolled: 1-line block ×3, first 2 shown]
	s_delay_alu instid0(VALU_DEP_1) | instskip(NEXT) | instid1(VALU_DEP_3)
	v_sub_f32_e32 v36, v36, v37
	v_sub_f32_e32 v37, v40, v39
	s_delay_alu instid0(VALU_DEP_2) | instskip(SKIP_1) | instid1(VALU_DEP_2)
	v_add_f32_e32 v33, v33, v36
	v_add_f32_e32 v36, v41, v38
	;; [unrolled: 1-line block ×3, first 2 shown]
	s_delay_alu instid0(VALU_DEP_2) | instskip(NEXT) | instid1(VALU_DEP_2)
	v_sub_f32_e32 v37, v36, v41
	v_add_f32_e32 v33, v42, v33
	s_delay_alu instid0(VALU_DEP_2) | instskip(NEXT) | instid1(VALU_DEP_2)
	v_sub_f32_e32 v37, v38, v37
	v_mul_f32_e32 v33, v35, v33
	s_delay_alu instid0(VALU_DEP_1) | instskip(NEXT) | instid1(VALU_DEP_1)
	v_add_f32_e32 v33, v37, v33
	v_add_f32_e32 v35, v36, v33
	s_delay_alu instid0(VALU_DEP_1) | instskip(SKIP_1) | instid1(VALU_DEP_1)
	v_mul_f32_e32 v37, v35, v35
	s_wait_alu 0xfffe
	v_fmaak_f32 v38, s0, v37, 0x3ecc95a3
	v_mul_f32_e32 v39, v35, v37
	v_cmp_neq_f32_e64 s0, 0x7f800000, v34
	s_delay_alu instid0(VALU_DEP_3) | instskip(SKIP_2) | instid1(VALU_DEP_3)
	v_fmaak_f32 v37, v37, v38, 0x3f2aaada
	v_ldexp_f32 v38, v35, 1
	v_sub_f32_e32 v35, v35, v36
	v_mul_f32_e32 v37, v39, v37
	v_mul_f32_e32 v39, 0x3f317218, v32
	s_delay_alu instid0(VALU_DEP_2) | instskip(NEXT) | instid1(VALU_DEP_1)
	v_dual_sub_f32 v33, v33, v35 :: v_dual_add_f32 v36, v38, v37
	v_ldexp_f32 v33, v33, 1
	s_delay_alu instid0(VALU_DEP_2) | instskip(NEXT) | instid1(VALU_DEP_4)
	v_sub_f32_e32 v35, v36, v38
	v_fma_f32 v38, 0x3f317218, v32, -v39
	s_delay_alu instid0(VALU_DEP_1) | instskip(NEXT) | instid1(VALU_DEP_1)
	v_dual_sub_f32 v35, v37, v35 :: v_dual_fmamk_f32 v32, v32, 0xb102e308, v38
	v_add_f32_e32 v33, v33, v35
	s_delay_alu instid0(VALU_DEP_2) | instskip(NEXT) | instid1(VALU_DEP_2)
	v_add_f32_e32 v35, v39, v32
	v_add_f32_e32 v37, v36, v33
	s_delay_alu instid0(VALU_DEP_2) | instskip(NEXT) | instid1(VALU_DEP_2)
	v_sub_f32_e32 v39, v35, v39
	v_add_f32_e32 v38, v35, v37
	v_sub_f32_e32 v36, v37, v36
	s_delay_alu instid0(VALU_DEP_3) | instskip(NEXT) | instid1(VALU_DEP_2)
	v_sub_f32_e32 v32, v32, v39
	v_dual_sub_f32 v40, v38, v35 :: v_dual_sub_f32 v33, v33, v36
	s_delay_alu instid0(VALU_DEP_1) | instskip(NEXT) | instid1(VALU_DEP_2)
	v_sub_f32_e32 v41, v38, v40
	v_dual_sub_f32 v36, v37, v40 :: v_dual_add_f32 v37, v32, v33
	s_delay_alu instid0(VALU_DEP_2) | instskip(NEXT) | instid1(VALU_DEP_1)
	v_sub_f32_e32 v35, v35, v41
	v_dual_add_f32 v35, v36, v35 :: v_dual_sub_f32 v36, v37, v32
	s_delay_alu instid0(VALU_DEP_1) | instskip(NEXT) | instid1(VALU_DEP_2)
	v_add_f32_e32 v35, v37, v35
	v_sub_f32_e32 v37, v37, v36
	v_sub_f32_e32 v33, v33, v36
	s_delay_alu instid0(VALU_DEP_2) | instskip(NEXT) | instid1(VALU_DEP_1)
	v_dual_add_f32 v39, v38, v35 :: v_dual_sub_f32 v32, v32, v37
	v_sub_f32_e32 v36, v39, v38
	s_delay_alu instid0(VALU_DEP_2) | instskip(NEXT) | instid1(VALU_DEP_2)
	v_add_f32_e32 v32, v33, v32
	v_sub_f32_e32 v33, v35, v36
	s_delay_alu instid0(VALU_DEP_1) | instskip(NEXT) | instid1(VALU_DEP_1)
	v_add_f32_e32 v32, v32, v33
	v_add_f32_e32 v32, v39, v32
	s_wait_alu 0xf1ff
	s_delay_alu instid0(VALU_DEP_1) | instskip(SKIP_2) | instid1(VALU_DEP_1)
	v_cndmask_b32_e64 v32, 0x7f800000, v32, s0
	v_cmp_gt_f32_e64 s0, 0x33800000, |v34|
	s_wait_alu 0xf1ff
	v_cndmask_b32_e64 v32, v32, v34, s0
	s_delay_alu instid0(VALU_DEP_1)
	v_add_f32_e32 v33, v31, v32
.LBB498_83:
	s_wait_alu 0xfffe
	s_or_b32 exec_lo, exec_lo, s1
	s_delay_alu instid0(VALU_DEP_1) | instskip(SKIP_1) | instid1(VALU_DEP_2)
	v_bfe_u32 v31, v33, 16, 1
	v_cmp_o_f32_e64 s0, v33, v33
	; wave barrier
	v_add3_u32 v31, v33, v31, 0x7fff
	s_delay_alu instid0(VALU_DEP_1) | instskip(SKIP_1) | instid1(VALU_DEP_1)
	v_lshrrev_b32_e32 v31, 16, v31
	s_wait_alu 0xf1ff
	v_cndmask_b32_e64 v31, 0x7fc0, v31, s0
	v_cmp_eq_u32_e64 s0, 0, v0
	s_wait_alu 0xf1ff
	s_delay_alu instid0(VALU_DEP_1)
	v_cndmask_b32_e64 v30, v31, v30, s0
	ds_store_b16 v29, v30
	; wave barrier
	ds_load_u16 v32, v29 offset:2
	v_lshlrev_b32_e32 v31, 16, v30
	s_wait_dscnt 0x0
	v_lshlrev_b32_e32 v30, 16, v32
	s_delay_alu instid0(VALU_DEP_1) | instskip(NEXT) | instid1(VALU_DEP_1)
	v_dual_max_num_f32 v32, v31, v31 :: v_dual_max_num_f32 v33, v30, v30
	v_min_num_f32_e32 v34, v32, v33
	v_max_num_f32_e32 v32, v32, v33
	v_cmp_u_f32_e64 s0, v31, v31
	s_wait_alu 0xf1ff
	s_delay_alu instid0(VALU_DEP_1) | instskip(NEXT) | instid1(VALU_DEP_3)
	v_cndmask_b32_e64 v33, v34, v31, s0
	v_cndmask_b32_e64 v34, v32, v31, s0
	v_cmp_u_f32_e64 s0, v30, v30
	s_wait_alu 0xf1ff
	s_delay_alu instid0(VALU_DEP_1) | instskip(NEXT) | instid1(VALU_DEP_3)
	v_cndmask_b32_e64 v32, v33, v30, s0
	v_cndmask_b32_e64 v30, v34, v30, s0
	s_delay_alu instid0(VALU_DEP_2) | instskip(NEXT) | instid1(VALU_DEP_2)
	v_cmp_class_f32_e64 s1, v32, 0x1f8
	v_cmp_neq_f32_e64 s0, v32, v30
	s_or_b32 s0, s0, s1
	s_wait_alu 0xfffe
	s_and_saveexec_b32 s1, s0
	s_cbranch_execz .LBB498_85
; %bb.84:
	v_sub_f32_e32 v31, v32, v30
	s_delay_alu instid0(VALU_DEP_1) | instskip(SKIP_1) | instid1(VALU_DEP_2)
	v_mul_f32_e32 v32, 0x3fb8aa3b, v31
	v_cmp_ngt_f32_e64 s0, 0xc2ce8ed0, v31
	v_fma_f32 v33, 0x3fb8aa3b, v31, -v32
	v_rndne_f32_e32 v34, v32
	s_delay_alu instid0(VALU_DEP_1) | instskip(NEXT) | instid1(VALU_DEP_1)
	v_dual_fmamk_f32 v33, v31, 0x32a5705f, v33 :: v_dual_sub_f32 v32, v32, v34
	v_add_f32_e32 v32, v32, v33
	v_cvt_i32_f32_e32 v33, v34
	s_delay_alu instid0(VALU_DEP_2) | instskip(NEXT) | instid1(TRANS32_DEP_1)
	v_exp_f32_e32 v32, v32
	v_ldexp_f32 v32, v32, v33
	s_wait_alu 0xf1ff
	s_delay_alu instid0(VALU_DEP_1) | instskip(SKIP_2) | instid1(VALU_DEP_1)
	v_cndmask_b32_e64 v32, 0, v32, s0
	v_cmp_nlt_f32_e64 s0, 0x42b17218, v31
	s_wait_alu 0xf1ff
	v_cndmask_b32_e64 v33, 0x7f800000, v32, s0
	s_delay_alu instid0(VALU_DEP_1) | instskip(NEXT) | instid1(VALU_DEP_1)
	v_add_f32_e32 v34, 1.0, v33
	v_cvt_f64_f32_e32 v[31:32], v34
	s_delay_alu instid0(VALU_DEP_1) | instskip(SKIP_1) | instid1(VALU_DEP_1)
	v_frexp_exp_i32_f64_e32 v31, v[31:32]
	v_frexp_mant_f32_e32 v32, v34
	v_cmp_gt_f32_e64 s0, 0x3f2aaaab, v32
	v_add_f32_e32 v32, -1.0, v34
	s_delay_alu instid0(VALU_DEP_1)
	v_sub_f32_e32 v36, v32, v34
	v_sub_f32_e32 v32, v33, v32
	s_wait_alu 0xf1ff
	v_subrev_co_ci_u32_e64 v31, null, 0, v31, s0
	s_mov_b32 s0, 0x3e9b6dac
	v_sub_nc_u32_e32 v35, 0, v31
	v_cvt_f32_i32_e32 v31, v31
	s_delay_alu instid0(VALU_DEP_2) | instskip(NEXT) | instid1(VALU_DEP_1)
	v_ldexp_f32 v34, v34, v35
	v_dual_add_f32 v37, 1.0, v34 :: v_dual_add_f32 v36, 1.0, v36
	s_delay_alu instid0(VALU_DEP_1) | instskip(NEXT) | instid1(VALU_DEP_2)
	v_add_f32_e32 v32, v32, v36
	v_add_f32_e32 v36, -1.0, v37
	s_delay_alu instid0(VALU_DEP_2) | instskip(NEXT) | instid1(VALU_DEP_2)
	v_ldexp_f32 v32, v32, v35
	v_dual_add_f32 v35, -1.0, v34 :: v_dual_sub_f32 v36, v34, v36
	s_delay_alu instid0(VALU_DEP_1) | instskip(NEXT) | instid1(VALU_DEP_2)
	v_add_f32_e32 v38, 1.0, v35
	v_add_f32_e32 v36, v32, v36
	s_delay_alu instid0(VALU_DEP_2) | instskip(NEXT) | instid1(VALU_DEP_2)
	v_sub_f32_e32 v34, v34, v38
	v_add_f32_e32 v38, v37, v36
	s_delay_alu instid0(VALU_DEP_2) | instskip(NEXT) | instid1(VALU_DEP_2)
	v_add_f32_e32 v32, v32, v34
	v_rcp_f32_e32 v34, v38
	v_sub_f32_e32 v37, v37, v38
	s_delay_alu instid0(VALU_DEP_1) | instskip(NEXT) | instid1(VALU_DEP_1)
	v_dual_add_f32 v39, v35, v32 :: v_dual_add_f32 v36, v36, v37
	v_sub_f32_e32 v35, v35, v39
	s_delay_alu instid0(TRANS32_DEP_1) | instskip(NEXT) | instid1(VALU_DEP_1)
	v_mul_f32_e32 v40, v39, v34
	v_dual_add_f32 v32, v32, v35 :: v_dual_mul_f32 v41, v38, v40
	s_delay_alu instid0(VALU_DEP_1) | instskip(NEXT) | instid1(VALU_DEP_1)
	v_fma_f32 v37, v40, v38, -v41
	v_fmac_f32_e32 v37, v40, v36
	s_delay_alu instid0(VALU_DEP_1) | instskip(NEXT) | instid1(VALU_DEP_1)
	v_add_f32_e32 v42, v41, v37
	v_sub_f32_e32 v43, v39, v42
	v_sub_f32_e32 v35, v42, v41
	s_delay_alu instid0(VALU_DEP_2) | instskip(NEXT) | instid1(VALU_DEP_2)
	v_sub_f32_e32 v39, v39, v43
	v_sub_f32_e32 v35, v35, v37
	s_delay_alu instid0(VALU_DEP_2) | instskip(NEXT) | instid1(VALU_DEP_1)
	v_sub_f32_e32 v39, v39, v42
	v_add_f32_e32 v32, v32, v39
	s_delay_alu instid0(VALU_DEP_1) | instskip(NEXT) | instid1(VALU_DEP_1)
	v_add_f32_e32 v32, v35, v32
	v_add_f32_e32 v35, v43, v32
	s_delay_alu instid0(VALU_DEP_1) | instskip(NEXT) | instid1(VALU_DEP_1)
	v_mul_f32_e32 v37, v34, v35
	v_dual_sub_f32 v42, v43, v35 :: v_dual_mul_f32 v39, v38, v37
	s_delay_alu instid0(VALU_DEP_1) | instskip(NEXT) | instid1(VALU_DEP_2)
	v_add_f32_e32 v32, v32, v42
	v_fma_f32 v38, v37, v38, -v39
	s_delay_alu instid0(VALU_DEP_1) | instskip(NEXT) | instid1(VALU_DEP_1)
	v_fmac_f32_e32 v38, v37, v36
	v_add_f32_e32 v36, v39, v38
	s_delay_alu instid0(VALU_DEP_1) | instskip(SKIP_1) | instid1(VALU_DEP_2)
	v_sub_f32_e32 v41, v35, v36
	v_sub_f32_e32 v39, v36, v39
	;; [unrolled: 1-line block ×3, first 2 shown]
	s_delay_alu instid0(VALU_DEP_1) | instskip(NEXT) | instid1(VALU_DEP_3)
	v_sub_f32_e32 v35, v35, v36
	v_sub_f32_e32 v36, v39, v38
	s_delay_alu instid0(VALU_DEP_2) | instskip(SKIP_1) | instid1(VALU_DEP_2)
	v_add_f32_e32 v32, v32, v35
	v_add_f32_e32 v35, v40, v37
	;; [unrolled: 1-line block ×3, first 2 shown]
	s_delay_alu instid0(VALU_DEP_2) | instskip(NEXT) | instid1(VALU_DEP_2)
	v_sub_f32_e32 v36, v35, v40
	v_add_f32_e32 v32, v41, v32
	s_delay_alu instid0(VALU_DEP_2) | instskip(NEXT) | instid1(VALU_DEP_2)
	v_sub_f32_e32 v36, v37, v36
	v_mul_f32_e32 v32, v34, v32
	s_delay_alu instid0(VALU_DEP_1) | instskip(NEXT) | instid1(VALU_DEP_1)
	v_add_f32_e32 v32, v36, v32
	v_add_f32_e32 v34, v35, v32
	s_delay_alu instid0(VALU_DEP_1) | instskip(SKIP_1) | instid1(VALU_DEP_1)
	v_mul_f32_e32 v36, v34, v34
	s_wait_alu 0xfffe
	v_fmaak_f32 v37, s0, v36, 0x3ecc95a3
	v_mul_f32_e32 v38, v34, v36
	v_cmp_neq_f32_e64 s0, 0x7f800000, v33
	s_delay_alu instid0(VALU_DEP_3) | instskip(SKIP_2) | instid1(VALU_DEP_3)
	v_fmaak_f32 v36, v36, v37, 0x3f2aaada
	v_ldexp_f32 v37, v34, 1
	v_sub_f32_e32 v34, v34, v35
	v_mul_f32_e32 v36, v38, v36
	v_mul_f32_e32 v38, 0x3f317218, v31
	s_delay_alu instid0(VALU_DEP_2) | instskip(NEXT) | instid1(VALU_DEP_1)
	v_dual_sub_f32 v32, v32, v34 :: v_dual_add_f32 v35, v37, v36
	v_ldexp_f32 v32, v32, 1
	s_delay_alu instid0(VALU_DEP_2) | instskip(NEXT) | instid1(VALU_DEP_4)
	v_sub_f32_e32 v34, v35, v37
	v_fma_f32 v37, 0x3f317218, v31, -v38
	s_delay_alu instid0(VALU_DEP_1) | instskip(NEXT) | instid1(VALU_DEP_1)
	v_dual_sub_f32 v34, v36, v34 :: v_dual_fmamk_f32 v31, v31, 0xb102e308, v37
	v_add_f32_e32 v32, v32, v34
	s_delay_alu instid0(VALU_DEP_2) | instskip(NEXT) | instid1(VALU_DEP_2)
	v_add_f32_e32 v34, v38, v31
	v_add_f32_e32 v36, v35, v32
	s_delay_alu instid0(VALU_DEP_2) | instskip(NEXT) | instid1(VALU_DEP_2)
	v_sub_f32_e32 v38, v34, v38
	v_add_f32_e32 v37, v34, v36
	v_sub_f32_e32 v35, v36, v35
	s_delay_alu instid0(VALU_DEP_3) | instskip(NEXT) | instid1(VALU_DEP_2)
	v_sub_f32_e32 v31, v31, v38
	v_dual_sub_f32 v39, v37, v34 :: v_dual_sub_f32 v32, v32, v35
	s_delay_alu instid0(VALU_DEP_1) | instskip(NEXT) | instid1(VALU_DEP_2)
	v_sub_f32_e32 v40, v37, v39
	v_dual_sub_f32 v35, v36, v39 :: v_dual_add_f32 v36, v31, v32
	s_delay_alu instid0(VALU_DEP_2) | instskip(NEXT) | instid1(VALU_DEP_1)
	v_sub_f32_e32 v34, v34, v40
	v_dual_add_f32 v34, v35, v34 :: v_dual_sub_f32 v35, v36, v31
	s_delay_alu instid0(VALU_DEP_1) | instskip(NEXT) | instid1(VALU_DEP_2)
	v_add_f32_e32 v34, v36, v34
	v_sub_f32_e32 v36, v36, v35
	v_sub_f32_e32 v32, v32, v35
	s_delay_alu instid0(VALU_DEP_2) | instskip(NEXT) | instid1(VALU_DEP_1)
	v_dual_add_f32 v38, v37, v34 :: v_dual_sub_f32 v31, v31, v36
	v_sub_f32_e32 v35, v38, v37
	s_delay_alu instid0(VALU_DEP_2) | instskip(NEXT) | instid1(VALU_DEP_2)
	v_add_f32_e32 v31, v32, v31
	v_sub_f32_e32 v32, v34, v35
	s_delay_alu instid0(VALU_DEP_1) | instskip(NEXT) | instid1(VALU_DEP_1)
	v_add_f32_e32 v31, v31, v32
	v_add_f32_e32 v31, v38, v31
	s_wait_alu 0xf1ff
	s_delay_alu instid0(VALU_DEP_1) | instskip(SKIP_2) | instid1(VALU_DEP_1)
	v_cndmask_b32_e64 v31, 0x7f800000, v31, s0
	v_cmp_gt_f32_e64 s0, 0x33800000, |v33|
	s_wait_alu 0xf1ff
	v_cndmask_b32_e64 v31, v31, v33, s0
	s_delay_alu instid0(VALU_DEP_1)
	v_add_f32_e32 v31, v30, v31
.LBB498_85:
	s_wait_alu 0xfffe
	s_or_b32 exec_lo, exec_lo, s1
	s_delay_alu instid0(VALU_DEP_1) | instskip(SKIP_3) | instid1(VALU_DEP_1)
	v_bfe_u32 v30, v31, 16, 1
	ds_load_u16 v32, v29 offset:4
	v_cmp_o_f32_e64 s0, v31, v31
	v_add3_u32 v30, v31, v30, 0x7fff
	v_lshrrev_b32_e32 v30, 16, v30
	s_wait_alu 0xf1ff
	s_delay_alu instid0(VALU_DEP_1) | instskip(SKIP_3) | instid1(VALU_DEP_1)
	v_cndmask_b32_e64 v33, 0x7fc0, v30, s0
	ds_store_b16 v29, v33 offset:2
	s_wait_dscnt 0x1
	v_lshlrev_b32_e32 v30, 16, v32
	v_dual_max_num_f32 v34, v30, v30 :: v_dual_lshlrev_b32 v31, 16, v33
	s_delay_alu instid0(VALU_DEP_1) | instskip(SKIP_1) | instid1(VALU_DEP_2)
	v_max_num_f32_e32 v32, v31, v31
	v_cmp_u_f32_e64 s0, v31, v31
	v_min_num_f32_e32 v35, v32, v34
	v_max_num_f32_e32 v32, v32, v34
	s_wait_alu 0xf1ff
	s_delay_alu instid0(VALU_DEP_2) | instskip(NEXT) | instid1(VALU_DEP_2)
	v_cndmask_b32_e64 v34, v35, v31, s0
	v_cndmask_b32_e64 v35, v32, v31, s0
	v_cmp_u_f32_e64 s0, v30, v30
	s_wait_alu 0xf1ff
	s_delay_alu instid0(VALU_DEP_1) | instskip(NEXT) | instid1(VALU_DEP_3)
	v_cndmask_b32_e64 v32, v34, v30, s0
	v_cndmask_b32_e64 v30, v35, v30, s0
	s_delay_alu instid0(VALU_DEP_2) | instskip(NEXT) | instid1(VALU_DEP_2)
	v_cmp_class_f32_e64 s1, v32, 0x1f8
	v_cmp_neq_f32_e64 s0, v32, v30
	s_or_b32 s0, s0, s1
	s_wait_alu 0xfffe
	s_and_saveexec_b32 s1, s0
	s_cbranch_execz .LBB498_87
; %bb.86:
	v_sub_f32_e32 v31, v32, v30
	s_delay_alu instid0(VALU_DEP_1) | instskip(SKIP_1) | instid1(VALU_DEP_2)
	v_mul_f32_e32 v32, 0x3fb8aa3b, v31
	v_cmp_ngt_f32_e64 s0, 0xc2ce8ed0, v31
	v_fma_f32 v33, 0x3fb8aa3b, v31, -v32
	v_rndne_f32_e32 v34, v32
	s_delay_alu instid0(VALU_DEP_1) | instskip(NEXT) | instid1(VALU_DEP_1)
	v_dual_fmamk_f32 v33, v31, 0x32a5705f, v33 :: v_dual_sub_f32 v32, v32, v34
	v_add_f32_e32 v32, v32, v33
	v_cvt_i32_f32_e32 v33, v34
	s_delay_alu instid0(VALU_DEP_2) | instskip(NEXT) | instid1(TRANS32_DEP_1)
	v_exp_f32_e32 v32, v32
	v_ldexp_f32 v32, v32, v33
	s_wait_alu 0xf1ff
	s_delay_alu instid0(VALU_DEP_1) | instskip(SKIP_2) | instid1(VALU_DEP_1)
	v_cndmask_b32_e64 v32, 0, v32, s0
	v_cmp_nlt_f32_e64 s0, 0x42b17218, v31
	s_wait_alu 0xf1ff
	v_cndmask_b32_e64 v33, 0x7f800000, v32, s0
	s_delay_alu instid0(VALU_DEP_1) | instskip(NEXT) | instid1(VALU_DEP_1)
	v_add_f32_e32 v34, 1.0, v33
	v_cvt_f64_f32_e32 v[31:32], v34
	s_delay_alu instid0(VALU_DEP_1) | instskip(SKIP_1) | instid1(VALU_DEP_1)
	v_frexp_exp_i32_f64_e32 v31, v[31:32]
	v_frexp_mant_f32_e32 v32, v34
	v_cmp_gt_f32_e64 s0, 0x3f2aaaab, v32
	v_add_f32_e32 v32, -1.0, v34
	s_delay_alu instid0(VALU_DEP_1)
	v_sub_f32_e32 v36, v32, v34
	v_sub_f32_e32 v32, v33, v32
	s_wait_alu 0xf1ff
	v_subrev_co_ci_u32_e64 v31, null, 0, v31, s0
	s_mov_b32 s0, 0x3e9b6dac
	v_sub_nc_u32_e32 v35, 0, v31
	v_cvt_f32_i32_e32 v31, v31
	s_delay_alu instid0(VALU_DEP_2) | instskip(NEXT) | instid1(VALU_DEP_1)
	v_ldexp_f32 v34, v34, v35
	v_dual_add_f32 v37, 1.0, v34 :: v_dual_add_f32 v36, 1.0, v36
	s_delay_alu instid0(VALU_DEP_1) | instskip(NEXT) | instid1(VALU_DEP_2)
	v_add_f32_e32 v32, v32, v36
	v_add_f32_e32 v36, -1.0, v37
	s_delay_alu instid0(VALU_DEP_2) | instskip(NEXT) | instid1(VALU_DEP_2)
	v_ldexp_f32 v32, v32, v35
	v_dual_add_f32 v35, -1.0, v34 :: v_dual_sub_f32 v36, v34, v36
	s_delay_alu instid0(VALU_DEP_1) | instskip(NEXT) | instid1(VALU_DEP_2)
	v_add_f32_e32 v38, 1.0, v35
	v_add_f32_e32 v36, v32, v36
	s_delay_alu instid0(VALU_DEP_2) | instskip(NEXT) | instid1(VALU_DEP_2)
	v_sub_f32_e32 v34, v34, v38
	v_add_f32_e32 v38, v37, v36
	s_delay_alu instid0(VALU_DEP_2) | instskip(NEXT) | instid1(VALU_DEP_2)
	v_add_f32_e32 v32, v32, v34
	v_rcp_f32_e32 v34, v38
	v_sub_f32_e32 v37, v37, v38
	s_delay_alu instid0(VALU_DEP_1) | instskip(NEXT) | instid1(VALU_DEP_1)
	v_dual_add_f32 v39, v35, v32 :: v_dual_add_f32 v36, v36, v37
	v_sub_f32_e32 v35, v35, v39
	s_delay_alu instid0(TRANS32_DEP_1) | instskip(NEXT) | instid1(VALU_DEP_1)
	v_mul_f32_e32 v40, v39, v34
	v_dual_add_f32 v32, v32, v35 :: v_dual_mul_f32 v41, v38, v40
	s_delay_alu instid0(VALU_DEP_1) | instskip(NEXT) | instid1(VALU_DEP_1)
	v_fma_f32 v37, v40, v38, -v41
	v_fmac_f32_e32 v37, v40, v36
	s_delay_alu instid0(VALU_DEP_1) | instskip(NEXT) | instid1(VALU_DEP_1)
	v_add_f32_e32 v42, v41, v37
	v_sub_f32_e32 v43, v39, v42
	v_sub_f32_e32 v35, v42, v41
	s_delay_alu instid0(VALU_DEP_2) | instskip(NEXT) | instid1(VALU_DEP_2)
	v_sub_f32_e32 v39, v39, v43
	v_sub_f32_e32 v35, v35, v37
	s_delay_alu instid0(VALU_DEP_2) | instskip(NEXT) | instid1(VALU_DEP_1)
	v_sub_f32_e32 v39, v39, v42
	v_add_f32_e32 v32, v32, v39
	s_delay_alu instid0(VALU_DEP_1) | instskip(NEXT) | instid1(VALU_DEP_1)
	v_add_f32_e32 v32, v35, v32
	v_add_f32_e32 v35, v43, v32
	s_delay_alu instid0(VALU_DEP_1) | instskip(NEXT) | instid1(VALU_DEP_1)
	v_mul_f32_e32 v37, v34, v35
	v_dual_sub_f32 v42, v43, v35 :: v_dual_mul_f32 v39, v38, v37
	s_delay_alu instid0(VALU_DEP_1) | instskip(NEXT) | instid1(VALU_DEP_2)
	v_add_f32_e32 v32, v32, v42
	v_fma_f32 v38, v37, v38, -v39
	s_delay_alu instid0(VALU_DEP_1) | instskip(NEXT) | instid1(VALU_DEP_1)
	v_fmac_f32_e32 v38, v37, v36
	v_add_f32_e32 v36, v39, v38
	s_delay_alu instid0(VALU_DEP_1) | instskip(SKIP_1) | instid1(VALU_DEP_2)
	v_sub_f32_e32 v41, v35, v36
	v_sub_f32_e32 v39, v36, v39
	;; [unrolled: 1-line block ×3, first 2 shown]
	s_delay_alu instid0(VALU_DEP_1) | instskip(NEXT) | instid1(VALU_DEP_3)
	v_sub_f32_e32 v35, v35, v36
	v_sub_f32_e32 v36, v39, v38
	s_delay_alu instid0(VALU_DEP_2) | instskip(SKIP_1) | instid1(VALU_DEP_2)
	v_add_f32_e32 v32, v32, v35
	v_add_f32_e32 v35, v40, v37
	;; [unrolled: 1-line block ×3, first 2 shown]
	s_delay_alu instid0(VALU_DEP_2) | instskip(NEXT) | instid1(VALU_DEP_2)
	v_sub_f32_e32 v36, v35, v40
	v_add_f32_e32 v32, v41, v32
	s_delay_alu instid0(VALU_DEP_2) | instskip(NEXT) | instid1(VALU_DEP_2)
	v_sub_f32_e32 v36, v37, v36
	v_mul_f32_e32 v32, v34, v32
	s_delay_alu instid0(VALU_DEP_1) | instskip(NEXT) | instid1(VALU_DEP_1)
	v_add_f32_e32 v32, v36, v32
	v_add_f32_e32 v34, v35, v32
	s_delay_alu instid0(VALU_DEP_1) | instskip(SKIP_1) | instid1(VALU_DEP_1)
	v_mul_f32_e32 v36, v34, v34
	s_wait_alu 0xfffe
	v_fmaak_f32 v37, s0, v36, 0x3ecc95a3
	v_mul_f32_e32 v38, v34, v36
	v_cmp_neq_f32_e64 s0, 0x7f800000, v33
	s_delay_alu instid0(VALU_DEP_3) | instskip(SKIP_2) | instid1(VALU_DEP_3)
	v_fmaak_f32 v36, v36, v37, 0x3f2aaada
	v_ldexp_f32 v37, v34, 1
	v_sub_f32_e32 v34, v34, v35
	v_mul_f32_e32 v36, v38, v36
	v_mul_f32_e32 v38, 0x3f317218, v31
	s_delay_alu instid0(VALU_DEP_2) | instskip(NEXT) | instid1(VALU_DEP_1)
	v_dual_sub_f32 v32, v32, v34 :: v_dual_add_f32 v35, v37, v36
	v_ldexp_f32 v32, v32, 1
	s_delay_alu instid0(VALU_DEP_2) | instskip(NEXT) | instid1(VALU_DEP_4)
	v_sub_f32_e32 v34, v35, v37
	v_fma_f32 v37, 0x3f317218, v31, -v38
	s_delay_alu instid0(VALU_DEP_1) | instskip(NEXT) | instid1(VALU_DEP_1)
	v_dual_sub_f32 v34, v36, v34 :: v_dual_fmamk_f32 v31, v31, 0xb102e308, v37
	v_add_f32_e32 v32, v32, v34
	s_delay_alu instid0(VALU_DEP_2) | instskip(NEXT) | instid1(VALU_DEP_2)
	v_add_f32_e32 v34, v38, v31
	v_add_f32_e32 v36, v35, v32
	s_delay_alu instid0(VALU_DEP_2) | instskip(NEXT) | instid1(VALU_DEP_2)
	v_sub_f32_e32 v38, v34, v38
	v_add_f32_e32 v37, v34, v36
	v_sub_f32_e32 v35, v36, v35
	s_delay_alu instid0(VALU_DEP_3) | instskip(NEXT) | instid1(VALU_DEP_2)
	v_sub_f32_e32 v31, v31, v38
	v_dual_sub_f32 v39, v37, v34 :: v_dual_sub_f32 v32, v32, v35
	s_delay_alu instid0(VALU_DEP_1) | instskip(NEXT) | instid1(VALU_DEP_2)
	v_sub_f32_e32 v40, v37, v39
	v_dual_sub_f32 v35, v36, v39 :: v_dual_add_f32 v36, v31, v32
	s_delay_alu instid0(VALU_DEP_2) | instskip(NEXT) | instid1(VALU_DEP_1)
	v_sub_f32_e32 v34, v34, v40
	v_dual_add_f32 v34, v35, v34 :: v_dual_sub_f32 v35, v36, v31
	s_delay_alu instid0(VALU_DEP_1) | instskip(NEXT) | instid1(VALU_DEP_2)
	v_add_f32_e32 v34, v36, v34
	v_sub_f32_e32 v36, v36, v35
	v_sub_f32_e32 v32, v32, v35
	s_delay_alu instid0(VALU_DEP_2) | instskip(NEXT) | instid1(VALU_DEP_1)
	v_dual_add_f32 v38, v37, v34 :: v_dual_sub_f32 v31, v31, v36
	v_sub_f32_e32 v35, v38, v37
	s_delay_alu instid0(VALU_DEP_2) | instskip(NEXT) | instid1(VALU_DEP_2)
	v_add_f32_e32 v31, v32, v31
	v_sub_f32_e32 v32, v34, v35
	s_delay_alu instid0(VALU_DEP_1) | instskip(NEXT) | instid1(VALU_DEP_1)
	v_add_f32_e32 v31, v31, v32
	v_add_f32_e32 v31, v38, v31
	s_wait_alu 0xf1ff
	s_delay_alu instid0(VALU_DEP_1) | instskip(SKIP_2) | instid1(VALU_DEP_1)
	v_cndmask_b32_e64 v31, 0x7f800000, v31, s0
	v_cmp_gt_f32_e64 s0, 0x33800000, |v33|
	s_wait_alu 0xf1ff
	v_cndmask_b32_e64 v31, v31, v33, s0
	s_delay_alu instid0(VALU_DEP_1)
	v_add_f32_e32 v31, v30, v31
.LBB498_87:
	s_wait_alu 0xfffe
	s_or_b32 exec_lo, exec_lo, s1
	s_delay_alu instid0(VALU_DEP_1) | instskip(SKIP_3) | instid1(VALU_DEP_1)
	v_bfe_u32 v30, v31, 16, 1
	ds_load_u16 v32, v29 offset:6
	v_cmp_o_f32_e64 s0, v31, v31
	v_add3_u32 v30, v31, v30, 0x7fff
	v_lshrrev_b32_e32 v30, 16, v30
	s_wait_alu 0xf1ff
	s_delay_alu instid0(VALU_DEP_1) | instskip(SKIP_3) | instid1(VALU_DEP_1)
	v_cndmask_b32_e64 v33, 0x7fc0, v30, s0
	ds_store_b16 v29, v33 offset:4
	s_wait_dscnt 0x1
	v_lshlrev_b32_e32 v30, 16, v32
	v_dual_max_num_f32 v34, v30, v30 :: v_dual_lshlrev_b32 v31, 16, v33
	s_delay_alu instid0(VALU_DEP_1) | instskip(SKIP_1) | instid1(VALU_DEP_2)
	v_max_num_f32_e32 v32, v31, v31
	v_cmp_u_f32_e64 s0, v31, v31
	v_min_num_f32_e32 v35, v32, v34
	v_max_num_f32_e32 v32, v32, v34
	s_wait_alu 0xf1ff
	s_delay_alu instid0(VALU_DEP_2) | instskip(NEXT) | instid1(VALU_DEP_2)
	v_cndmask_b32_e64 v34, v35, v31, s0
	v_cndmask_b32_e64 v35, v32, v31, s0
	v_cmp_u_f32_e64 s0, v30, v30
	s_wait_alu 0xf1ff
	s_delay_alu instid0(VALU_DEP_1) | instskip(NEXT) | instid1(VALU_DEP_3)
	v_cndmask_b32_e64 v32, v34, v30, s0
	v_cndmask_b32_e64 v30, v35, v30, s0
	s_delay_alu instid0(VALU_DEP_2) | instskip(NEXT) | instid1(VALU_DEP_2)
	v_cmp_class_f32_e64 s1, v32, 0x1f8
	v_cmp_neq_f32_e64 s0, v32, v30
	s_or_b32 s0, s0, s1
	s_wait_alu 0xfffe
	s_and_saveexec_b32 s1, s0
	s_cbranch_execz .LBB498_89
; %bb.88:
	v_sub_f32_e32 v31, v32, v30
	s_delay_alu instid0(VALU_DEP_1) | instskip(SKIP_1) | instid1(VALU_DEP_2)
	v_mul_f32_e32 v32, 0x3fb8aa3b, v31
	v_cmp_ngt_f32_e64 s0, 0xc2ce8ed0, v31
	v_fma_f32 v33, 0x3fb8aa3b, v31, -v32
	v_rndne_f32_e32 v34, v32
	s_delay_alu instid0(VALU_DEP_1) | instskip(NEXT) | instid1(VALU_DEP_1)
	v_dual_fmamk_f32 v33, v31, 0x32a5705f, v33 :: v_dual_sub_f32 v32, v32, v34
	v_add_f32_e32 v32, v32, v33
	v_cvt_i32_f32_e32 v33, v34
	s_delay_alu instid0(VALU_DEP_2) | instskip(NEXT) | instid1(TRANS32_DEP_1)
	v_exp_f32_e32 v32, v32
	v_ldexp_f32 v32, v32, v33
	s_wait_alu 0xf1ff
	s_delay_alu instid0(VALU_DEP_1) | instskip(SKIP_2) | instid1(VALU_DEP_1)
	v_cndmask_b32_e64 v32, 0, v32, s0
	v_cmp_nlt_f32_e64 s0, 0x42b17218, v31
	s_wait_alu 0xf1ff
	v_cndmask_b32_e64 v33, 0x7f800000, v32, s0
	s_delay_alu instid0(VALU_DEP_1) | instskip(NEXT) | instid1(VALU_DEP_1)
	v_add_f32_e32 v34, 1.0, v33
	v_cvt_f64_f32_e32 v[31:32], v34
	s_delay_alu instid0(VALU_DEP_1) | instskip(SKIP_1) | instid1(VALU_DEP_1)
	v_frexp_exp_i32_f64_e32 v31, v[31:32]
	v_frexp_mant_f32_e32 v32, v34
	v_cmp_gt_f32_e64 s0, 0x3f2aaaab, v32
	v_add_f32_e32 v32, -1.0, v34
	s_delay_alu instid0(VALU_DEP_1)
	v_sub_f32_e32 v36, v32, v34
	v_sub_f32_e32 v32, v33, v32
	s_wait_alu 0xf1ff
	v_subrev_co_ci_u32_e64 v31, null, 0, v31, s0
	s_mov_b32 s0, 0x3e9b6dac
	v_sub_nc_u32_e32 v35, 0, v31
	v_cvt_f32_i32_e32 v31, v31
	s_delay_alu instid0(VALU_DEP_2) | instskip(NEXT) | instid1(VALU_DEP_1)
	v_ldexp_f32 v34, v34, v35
	v_dual_add_f32 v37, 1.0, v34 :: v_dual_add_f32 v36, 1.0, v36
	s_delay_alu instid0(VALU_DEP_1) | instskip(NEXT) | instid1(VALU_DEP_2)
	v_add_f32_e32 v32, v32, v36
	v_add_f32_e32 v36, -1.0, v37
	s_delay_alu instid0(VALU_DEP_2) | instskip(NEXT) | instid1(VALU_DEP_2)
	v_ldexp_f32 v32, v32, v35
	v_dual_add_f32 v35, -1.0, v34 :: v_dual_sub_f32 v36, v34, v36
	s_delay_alu instid0(VALU_DEP_1) | instskip(NEXT) | instid1(VALU_DEP_2)
	v_add_f32_e32 v38, 1.0, v35
	v_add_f32_e32 v36, v32, v36
	s_delay_alu instid0(VALU_DEP_2) | instskip(NEXT) | instid1(VALU_DEP_2)
	v_sub_f32_e32 v34, v34, v38
	v_add_f32_e32 v38, v37, v36
	s_delay_alu instid0(VALU_DEP_2) | instskip(NEXT) | instid1(VALU_DEP_2)
	v_add_f32_e32 v32, v32, v34
	v_rcp_f32_e32 v34, v38
	v_sub_f32_e32 v37, v37, v38
	s_delay_alu instid0(VALU_DEP_1) | instskip(NEXT) | instid1(VALU_DEP_1)
	v_dual_add_f32 v39, v35, v32 :: v_dual_add_f32 v36, v36, v37
	v_sub_f32_e32 v35, v35, v39
	s_delay_alu instid0(TRANS32_DEP_1) | instskip(NEXT) | instid1(VALU_DEP_1)
	v_mul_f32_e32 v40, v39, v34
	v_dual_add_f32 v32, v32, v35 :: v_dual_mul_f32 v41, v38, v40
	s_delay_alu instid0(VALU_DEP_1) | instskip(NEXT) | instid1(VALU_DEP_1)
	v_fma_f32 v37, v40, v38, -v41
	v_fmac_f32_e32 v37, v40, v36
	s_delay_alu instid0(VALU_DEP_1) | instskip(NEXT) | instid1(VALU_DEP_1)
	v_add_f32_e32 v42, v41, v37
	v_sub_f32_e32 v43, v39, v42
	v_sub_f32_e32 v35, v42, v41
	s_delay_alu instid0(VALU_DEP_2) | instskip(NEXT) | instid1(VALU_DEP_2)
	v_sub_f32_e32 v39, v39, v43
	v_sub_f32_e32 v35, v35, v37
	s_delay_alu instid0(VALU_DEP_2) | instskip(NEXT) | instid1(VALU_DEP_1)
	v_sub_f32_e32 v39, v39, v42
	v_add_f32_e32 v32, v32, v39
	s_delay_alu instid0(VALU_DEP_1) | instskip(NEXT) | instid1(VALU_DEP_1)
	v_add_f32_e32 v32, v35, v32
	v_add_f32_e32 v35, v43, v32
	s_delay_alu instid0(VALU_DEP_1) | instskip(NEXT) | instid1(VALU_DEP_1)
	v_mul_f32_e32 v37, v34, v35
	v_dual_sub_f32 v42, v43, v35 :: v_dual_mul_f32 v39, v38, v37
	s_delay_alu instid0(VALU_DEP_1) | instskip(NEXT) | instid1(VALU_DEP_2)
	v_add_f32_e32 v32, v32, v42
	v_fma_f32 v38, v37, v38, -v39
	s_delay_alu instid0(VALU_DEP_1) | instskip(NEXT) | instid1(VALU_DEP_1)
	v_fmac_f32_e32 v38, v37, v36
	v_add_f32_e32 v36, v39, v38
	s_delay_alu instid0(VALU_DEP_1) | instskip(SKIP_1) | instid1(VALU_DEP_2)
	v_sub_f32_e32 v41, v35, v36
	v_sub_f32_e32 v39, v36, v39
	;; [unrolled: 1-line block ×3, first 2 shown]
	s_delay_alu instid0(VALU_DEP_1) | instskip(NEXT) | instid1(VALU_DEP_3)
	v_sub_f32_e32 v35, v35, v36
	v_sub_f32_e32 v36, v39, v38
	s_delay_alu instid0(VALU_DEP_2) | instskip(SKIP_1) | instid1(VALU_DEP_2)
	v_add_f32_e32 v32, v32, v35
	v_add_f32_e32 v35, v40, v37
	;; [unrolled: 1-line block ×3, first 2 shown]
	s_delay_alu instid0(VALU_DEP_2) | instskip(NEXT) | instid1(VALU_DEP_2)
	v_sub_f32_e32 v36, v35, v40
	v_add_f32_e32 v32, v41, v32
	s_delay_alu instid0(VALU_DEP_2) | instskip(NEXT) | instid1(VALU_DEP_2)
	v_sub_f32_e32 v36, v37, v36
	v_mul_f32_e32 v32, v34, v32
	s_delay_alu instid0(VALU_DEP_1) | instskip(NEXT) | instid1(VALU_DEP_1)
	v_add_f32_e32 v32, v36, v32
	v_add_f32_e32 v34, v35, v32
	s_delay_alu instid0(VALU_DEP_1) | instskip(SKIP_1) | instid1(VALU_DEP_1)
	v_mul_f32_e32 v36, v34, v34
	s_wait_alu 0xfffe
	v_fmaak_f32 v37, s0, v36, 0x3ecc95a3
	v_mul_f32_e32 v38, v34, v36
	v_cmp_neq_f32_e64 s0, 0x7f800000, v33
	s_delay_alu instid0(VALU_DEP_3) | instskip(SKIP_2) | instid1(VALU_DEP_3)
	v_fmaak_f32 v36, v36, v37, 0x3f2aaada
	v_ldexp_f32 v37, v34, 1
	v_sub_f32_e32 v34, v34, v35
	v_mul_f32_e32 v36, v38, v36
	v_mul_f32_e32 v38, 0x3f317218, v31
	s_delay_alu instid0(VALU_DEP_2) | instskip(NEXT) | instid1(VALU_DEP_1)
	v_dual_sub_f32 v32, v32, v34 :: v_dual_add_f32 v35, v37, v36
	v_ldexp_f32 v32, v32, 1
	s_delay_alu instid0(VALU_DEP_2) | instskip(NEXT) | instid1(VALU_DEP_4)
	v_sub_f32_e32 v34, v35, v37
	v_fma_f32 v37, 0x3f317218, v31, -v38
	s_delay_alu instid0(VALU_DEP_1) | instskip(NEXT) | instid1(VALU_DEP_1)
	v_dual_sub_f32 v34, v36, v34 :: v_dual_fmamk_f32 v31, v31, 0xb102e308, v37
	v_add_f32_e32 v32, v32, v34
	s_delay_alu instid0(VALU_DEP_2) | instskip(NEXT) | instid1(VALU_DEP_2)
	v_add_f32_e32 v34, v38, v31
	v_add_f32_e32 v36, v35, v32
	s_delay_alu instid0(VALU_DEP_2) | instskip(NEXT) | instid1(VALU_DEP_2)
	v_sub_f32_e32 v38, v34, v38
	v_add_f32_e32 v37, v34, v36
	v_sub_f32_e32 v35, v36, v35
	s_delay_alu instid0(VALU_DEP_3) | instskip(NEXT) | instid1(VALU_DEP_2)
	v_sub_f32_e32 v31, v31, v38
	v_dual_sub_f32 v39, v37, v34 :: v_dual_sub_f32 v32, v32, v35
	s_delay_alu instid0(VALU_DEP_1) | instskip(NEXT) | instid1(VALU_DEP_2)
	v_sub_f32_e32 v40, v37, v39
	v_dual_sub_f32 v35, v36, v39 :: v_dual_add_f32 v36, v31, v32
	s_delay_alu instid0(VALU_DEP_2) | instskip(NEXT) | instid1(VALU_DEP_1)
	v_sub_f32_e32 v34, v34, v40
	v_dual_add_f32 v34, v35, v34 :: v_dual_sub_f32 v35, v36, v31
	s_delay_alu instid0(VALU_DEP_1) | instskip(NEXT) | instid1(VALU_DEP_2)
	v_add_f32_e32 v34, v36, v34
	v_sub_f32_e32 v36, v36, v35
	v_sub_f32_e32 v32, v32, v35
	s_delay_alu instid0(VALU_DEP_2) | instskip(NEXT) | instid1(VALU_DEP_1)
	v_dual_add_f32 v38, v37, v34 :: v_dual_sub_f32 v31, v31, v36
	v_sub_f32_e32 v35, v38, v37
	s_delay_alu instid0(VALU_DEP_2) | instskip(NEXT) | instid1(VALU_DEP_2)
	v_add_f32_e32 v31, v32, v31
	v_sub_f32_e32 v32, v34, v35
	s_delay_alu instid0(VALU_DEP_1) | instskip(NEXT) | instid1(VALU_DEP_1)
	v_add_f32_e32 v31, v31, v32
	v_add_f32_e32 v31, v38, v31
	s_wait_alu 0xf1ff
	s_delay_alu instid0(VALU_DEP_1) | instskip(SKIP_2) | instid1(VALU_DEP_1)
	v_cndmask_b32_e64 v31, 0x7f800000, v31, s0
	v_cmp_gt_f32_e64 s0, 0x33800000, |v33|
	s_wait_alu 0xf1ff
	v_cndmask_b32_e64 v31, v31, v33, s0
	s_delay_alu instid0(VALU_DEP_1)
	v_add_f32_e32 v31, v30, v31
.LBB498_89:
	s_wait_alu 0xfffe
	s_or_b32 exec_lo, exec_lo, s1
	s_delay_alu instid0(VALU_DEP_1) | instskip(SKIP_3) | instid1(VALU_DEP_1)
	v_bfe_u32 v30, v31, 16, 1
	ds_load_u16 v32, v29 offset:8
	v_cmp_o_f32_e64 s0, v31, v31
	v_add3_u32 v30, v31, v30, 0x7fff
	v_lshrrev_b32_e32 v30, 16, v30
	s_wait_alu 0xf1ff
	s_delay_alu instid0(VALU_DEP_1) | instskip(SKIP_3) | instid1(VALU_DEP_1)
	v_cndmask_b32_e64 v33, 0x7fc0, v30, s0
	ds_store_b16 v29, v33 offset:6
	s_wait_dscnt 0x1
	v_lshlrev_b32_e32 v30, 16, v32
	v_dual_max_num_f32 v34, v30, v30 :: v_dual_lshlrev_b32 v31, 16, v33
	s_delay_alu instid0(VALU_DEP_1) | instskip(SKIP_1) | instid1(VALU_DEP_2)
	v_max_num_f32_e32 v32, v31, v31
	v_cmp_u_f32_e64 s0, v31, v31
	v_min_num_f32_e32 v35, v32, v34
	v_max_num_f32_e32 v32, v32, v34
	s_wait_alu 0xf1ff
	s_delay_alu instid0(VALU_DEP_2) | instskip(NEXT) | instid1(VALU_DEP_2)
	v_cndmask_b32_e64 v34, v35, v31, s0
	v_cndmask_b32_e64 v35, v32, v31, s0
	v_cmp_u_f32_e64 s0, v30, v30
	s_wait_alu 0xf1ff
	s_delay_alu instid0(VALU_DEP_1) | instskip(NEXT) | instid1(VALU_DEP_3)
	v_cndmask_b32_e64 v32, v34, v30, s0
	v_cndmask_b32_e64 v30, v35, v30, s0
	s_delay_alu instid0(VALU_DEP_2) | instskip(NEXT) | instid1(VALU_DEP_2)
	v_cmp_class_f32_e64 s1, v32, 0x1f8
	v_cmp_neq_f32_e64 s0, v32, v30
	s_or_b32 s0, s0, s1
	s_wait_alu 0xfffe
	s_and_saveexec_b32 s1, s0
	s_cbranch_execz .LBB498_91
; %bb.90:
	v_sub_f32_e32 v31, v32, v30
	s_delay_alu instid0(VALU_DEP_1) | instskip(SKIP_1) | instid1(VALU_DEP_2)
	v_mul_f32_e32 v32, 0x3fb8aa3b, v31
	v_cmp_ngt_f32_e64 s0, 0xc2ce8ed0, v31
	v_fma_f32 v33, 0x3fb8aa3b, v31, -v32
	v_rndne_f32_e32 v34, v32
	s_delay_alu instid0(VALU_DEP_1) | instskip(NEXT) | instid1(VALU_DEP_1)
	v_dual_fmamk_f32 v33, v31, 0x32a5705f, v33 :: v_dual_sub_f32 v32, v32, v34
	v_add_f32_e32 v32, v32, v33
	v_cvt_i32_f32_e32 v33, v34
	s_delay_alu instid0(VALU_DEP_2) | instskip(NEXT) | instid1(TRANS32_DEP_1)
	v_exp_f32_e32 v32, v32
	v_ldexp_f32 v32, v32, v33
	s_wait_alu 0xf1ff
	s_delay_alu instid0(VALU_DEP_1) | instskip(SKIP_2) | instid1(VALU_DEP_1)
	v_cndmask_b32_e64 v32, 0, v32, s0
	v_cmp_nlt_f32_e64 s0, 0x42b17218, v31
	s_wait_alu 0xf1ff
	v_cndmask_b32_e64 v33, 0x7f800000, v32, s0
	s_delay_alu instid0(VALU_DEP_1) | instskip(NEXT) | instid1(VALU_DEP_1)
	v_add_f32_e32 v34, 1.0, v33
	v_cvt_f64_f32_e32 v[31:32], v34
	s_delay_alu instid0(VALU_DEP_1) | instskip(SKIP_1) | instid1(VALU_DEP_1)
	v_frexp_exp_i32_f64_e32 v31, v[31:32]
	v_frexp_mant_f32_e32 v32, v34
	v_cmp_gt_f32_e64 s0, 0x3f2aaaab, v32
	v_add_f32_e32 v32, -1.0, v34
	s_delay_alu instid0(VALU_DEP_1)
	v_sub_f32_e32 v36, v32, v34
	v_sub_f32_e32 v32, v33, v32
	s_wait_alu 0xf1ff
	v_subrev_co_ci_u32_e64 v31, null, 0, v31, s0
	s_mov_b32 s0, 0x3e9b6dac
	v_sub_nc_u32_e32 v35, 0, v31
	v_cvt_f32_i32_e32 v31, v31
	s_delay_alu instid0(VALU_DEP_2) | instskip(NEXT) | instid1(VALU_DEP_1)
	v_ldexp_f32 v34, v34, v35
	v_dual_add_f32 v37, 1.0, v34 :: v_dual_add_f32 v36, 1.0, v36
	s_delay_alu instid0(VALU_DEP_1) | instskip(NEXT) | instid1(VALU_DEP_2)
	v_add_f32_e32 v32, v32, v36
	v_add_f32_e32 v36, -1.0, v37
	s_delay_alu instid0(VALU_DEP_2) | instskip(NEXT) | instid1(VALU_DEP_2)
	v_ldexp_f32 v32, v32, v35
	v_dual_add_f32 v35, -1.0, v34 :: v_dual_sub_f32 v36, v34, v36
	s_delay_alu instid0(VALU_DEP_1) | instskip(NEXT) | instid1(VALU_DEP_2)
	v_add_f32_e32 v38, 1.0, v35
	v_add_f32_e32 v36, v32, v36
	s_delay_alu instid0(VALU_DEP_2) | instskip(NEXT) | instid1(VALU_DEP_2)
	v_sub_f32_e32 v34, v34, v38
	v_add_f32_e32 v38, v37, v36
	s_delay_alu instid0(VALU_DEP_2) | instskip(NEXT) | instid1(VALU_DEP_2)
	v_add_f32_e32 v32, v32, v34
	v_rcp_f32_e32 v34, v38
	v_sub_f32_e32 v37, v37, v38
	s_delay_alu instid0(VALU_DEP_1) | instskip(NEXT) | instid1(VALU_DEP_1)
	v_dual_add_f32 v39, v35, v32 :: v_dual_add_f32 v36, v36, v37
	v_sub_f32_e32 v35, v35, v39
	s_delay_alu instid0(TRANS32_DEP_1) | instskip(NEXT) | instid1(VALU_DEP_1)
	v_mul_f32_e32 v40, v39, v34
	v_dual_add_f32 v32, v32, v35 :: v_dual_mul_f32 v41, v38, v40
	s_delay_alu instid0(VALU_DEP_1) | instskip(NEXT) | instid1(VALU_DEP_1)
	v_fma_f32 v37, v40, v38, -v41
	v_fmac_f32_e32 v37, v40, v36
	s_delay_alu instid0(VALU_DEP_1) | instskip(NEXT) | instid1(VALU_DEP_1)
	v_add_f32_e32 v42, v41, v37
	v_sub_f32_e32 v43, v39, v42
	v_sub_f32_e32 v35, v42, v41
	s_delay_alu instid0(VALU_DEP_2) | instskip(NEXT) | instid1(VALU_DEP_2)
	v_sub_f32_e32 v39, v39, v43
	v_sub_f32_e32 v35, v35, v37
	s_delay_alu instid0(VALU_DEP_2) | instskip(NEXT) | instid1(VALU_DEP_1)
	v_sub_f32_e32 v39, v39, v42
	v_add_f32_e32 v32, v32, v39
	s_delay_alu instid0(VALU_DEP_1) | instskip(NEXT) | instid1(VALU_DEP_1)
	v_add_f32_e32 v32, v35, v32
	v_add_f32_e32 v35, v43, v32
	s_delay_alu instid0(VALU_DEP_1) | instskip(NEXT) | instid1(VALU_DEP_1)
	v_mul_f32_e32 v37, v34, v35
	v_dual_sub_f32 v42, v43, v35 :: v_dual_mul_f32 v39, v38, v37
	s_delay_alu instid0(VALU_DEP_1) | instskip(NEXT) | instid1(VALU_DEP_2)
	v_add_f32_e32 v32, v32, v42
	v_fma_f32 v38, v37, v38, -v39
	s_delay_alu instid0(VALU_DEP_1) | instskip(NEXT) | instid1(VALU_DEP_1)
	v_fmac_f32_e32 v38, v37, v36
	v_add_f32_e32 v36, v39, v38
	s_delay_alu instid0(VALU_DEP_1) | instskip(SKIP_1) | instid1(VALU_DEP_2)
	v_sub_f32_e32 v41, v35, v36
	v_sub_f32_e32 v39, v36, v39
	;; [unrolled: 1-line block ×3, first 2 shown]
	s_delay_alu instid0(VALU_DEP_1) | instskip(NEXT) | instid1(VALU_DEP_3)
	v_sub_f32_e32 v35, v35, v36
	v_sub_f32_e32 v36, v39, v38
	s_delay_alu instid0(VALU_DEP_2) | instskip(SKIP_1) | instid1(VALU_DEP_2)
	v_add_f32_e32 v32, v32, v35
	v_add_f32_e32 v35, v40, v37
	;; [unrolled: 1-line block ×3, first 2 shown]
	s_delay_alu instid0(VALU_DEP_2) | instskip(NEXT) | instid1(VALU_DEP_2)
	v_sub_f32_e32 v36, v35, v40
	v_add_f32_e32 v32, v41, v32
	s_delay_alu instid0(VALU_DEP_2) | instskip(NEXT) | instid1(VALU_DEP_2)
	v_sub_f32_e32 v36, v37, v36
	v_mul_f32_e32 v32, v34, v32
	s_delay_alu instid0(VALU_DEP_1) | instskip(NEXT) | instid1(VALU_DEP_1)
	v_add_f32_e32 v32, v36, v32
	v_add_f32_e32 v34, v35, v32
	s_delay_alu instid0(VALU_DEP_1) | instskip(SKIP_1) | instid1(VALU_DEP_1)
	v_mul_f32_e32 v36, v34, v34
	s_wait_alu 0xfffe
	v_fmaak_f32 v37, s0, v36, 0x3ecc95a3
	v_mul_f32_e32 v38, v34, v36
	v_cmp_neq_f32_e64 s0, 0x7f800000, v33
	s_delay_alu instid0(VALU_DEP_3) | instskip(SKIP_2) | instid1(VALU_DEP_3)
	v_fmaak_f32 v36, v36, v37, 0x3f2aaada
	v_ldexp_f32 v37, v34, 1
	v_sub_f32_e32 v34, v34, v35
	v_mul_f32_e32 v36, v38, v36
	v_mul_f32_e32 v38, 0x3f317218, v31
	s_delay_alu instid0(VALU_DEP_2) | instskip(NEXT) | instid1(VALU_DEP_1)
	v_dual_sub_f32 v32, v32, v34 :: v_dual_add_f32 v35, v37, v36
	v_ldexp_f32 v32, v32, 1
	s_delay_alu instid0(VALU_DEP_2) | instskip(NEXT) | instid1(VALU_DEP_4)
	v_sub_f32_e32 v34, v35, v37
	v_fma_f32 v37, 0x3f317218, v31, -v38
	s_delay_alu instid0(VALU_DEP_1) | instskip(NEXT) | instid1(VALU_DEP_1)
	v_dual_sub_f32 v34, v36, v34 :: v_dual_fmamk_f32 v31, v31, 0xb102e308, v37
	v_add_f32_e32 v32, v32, v34
	s_delay_alu instid0(VALU_DEP_2) | instskip(NEXT) | instid1(VALU_DEP_2)
	v_add_f32_e32 v34, v38, v31
	v_add_f32_e32 v36, v35, v32
	s_delay_alu instid0(VALU_DEP_2) | instskip(NEXT) | instid1(VALU_DEP_2)
	v_sub_f32_e32 v38, v34, v38
	v_add_f32_e32 v37, v34, v36
	v_sub_f32_e32 v35, v36, v35
	s_delay_alu instid0(VALU_DEP_3) | instskip(NEXT) | instid1(VALU_DEP_2)
	v_sub_f32_e32 v31, v31, v38
	v_dual_sub_f32 v39, v37, v34 :: v_dual_sub_f32 v32, v32, v35
	s_delay_alu instid0(VALU_DEP_1) | instskip(NEXT) | instid1(VALU_DEP_2)
	v_sub_f32_e32 v40, v37, v39
	v_dual_sub_f32 v35, v36, v39 :: v_dual_add_f32 v36, v31, v32
	s_delay_alu instid0(VALU_DEP_2) | instskip(NEXT) | instid1(VALU_DEP_1)
	v_sub_f32_e32 v34, v34, v40
	v_dual_add_f32 v34, v35, v34 :: v_dual_sub_f32 v35, v36, v31
	s_delay_alu instid0(VALU_DEP_1) | instskip(NEXT) | instid1(VALU_DEP_2)
	v_add_f32_e32 v34, v36, v34
	v_sub_f32_e32 v36, v36, v35
	v_sub_f32_e32 v32, v32, v35
	s_delay_alu instid0(VALU_DEP_2) | instskip(NEXT) | instid1(VALU_DEP_1)
	v_dual_add_f32 v38, v37, v34 :: v_dual_sub_f32 v31, v31, v36
	v_sub_f32_e32 v35, v38, v37
	s_delay_alu instid0(VALU_DEP_2) | instskip(NEXT) | instid1(VALU_DEP_2)
	v_add_f32_e32 v31, v32, v31
	v_sub_f32_e32 v32, v34, v35
	s_delay_alu instid0(VALU_DEP_1) | instskip(NEXT) | instid1(VALU_DEP_1)
	v_add_f32_e32 v31, v31, v32
	v_add_f32_e32 v31, v38, v31
	s_wait_alu 0xf1ff
	s_delay_alu instid0(VALU_DEP_1) | instskip(SKIP_2) | instid1(VALU_DEP_1)
	v_cndmask_b32_e64 v31, 0x7f800000, v31, s0
	v_cmp_gt_f32_e64 s0, 0x33800000, |v33|
	s_wait_alu 0xf1ff
	v_cndmask_b32_e64 v31, v31, v33, s0
	s_delay_alu instid0(VALU_DEP_1)
	v_add_f32_e32 v31, v30, v31
.LBB498_91:
	s_wait_alu 0xfffe
	s_or_b32 exec_lo, exec_lo, s1
	s_delay_alu instid0(VALU_DEP_1) | instskip(SKIP_3) | instid1(VALU_DEP_1)
	v_bfe_u32 v30, v31, 16, 1
	ds_load_u16 v32, v29 offset:10
	v_cmp_o_f32_e64 s0, v31, v31
	v_add3_u32 v30, v31, v30, 0x7fff
	v_lshrrev_b32_e32 v30, 16, v30
	s_wait_alu 0xf1ff
	s_delay_alu instid0(VALU_DEP_1) | instskip(SKIP_3) | instid1(VALU_DEP_1)
	v_cndmask_b32_e64 v33, 0x7fc0, v30, s0
	ds_store_b16 v29, v33 offset:8
	s_wait_dscnt 0x1
	v_lshlrev_b32_e32 v30, 16, v32
	v_dual_max_num_f32 v34, v30, v30 :: v_dual_lshlrev_b32 v31, 16, v33
	s_delay_alu instid0(VALU_DEP_1) | instskip(SKIP_1) | instid1(VALU_DEP_2)
	v_max_num_f32_e32 v32, v31, v31
	v_cmp_u_f32_e64 s0, v31, v31
	v_min_num_f32_e32 v35, v32, v34
	v_max_num_f32_e32 v32, v32, v34
	s_wait_alu 0xf1ff
	s_delay_alu instid0(VALU_DEP_2) | instskip(NEXT) | instid1(VALU_DEP_2)
	v_cndmask_b32_e64 v34, v35, v31, s0
	v_cndmask_b32_e64 v35, v32, v31, s0
	v_cmp_u_f32_e64 s0, v30, v30
	s_wait_alu 0xf1ff
	s_delay_alu instid0(VALU_DEP_1) | instskip(NEXT) | instid1(VALU_DEP_3)
	v_cndmask_b32_e64 v32, v34, v30, s0
	v_cndmask_b32_e64 v30, v35, v30, s0
	s_delay_alu instid0(VALU_DEP_2) | instskip(NEXT) | instid1(VALU_DEP_2)
	v_cmp_class_f32_e64 s1, v32, 0x1f8
	v_cmp_neq_f32_e64 s0, v32, v30
	s_or_b32 s0, s0, s1
	s_wait_alu 0xfffe
	s_and_saveexec_b32 s1, s0
	s_cbranch_execz .LBB498_93
; %bb.92:
	v_sub_f32_e32 v31, v32, v30
	s_delay_alu instid0(VALU_DEP_1) | instskip(SKIP_1) | instid1(VALU_DEP_2)
	v_mul_f32_e32 v32, 0x3fb8aa3b, v31
	v_cmp_ngt_f32_e64 s0, 0xc2ce8ed0, v31
	v_fma_f32 v33, 0x3fb8aa3b, v31, -v32
	v_rndne_f32_e32 v34, v32
	s_delay_alu instid0(VALU_DEP_1) | instskip(NEXT) | instid1(VALU_DEP_1)
	v_dual_fmamk_f32 v33, v31, 0x32a5705f, v33 :: v_dual_sub_f32 v32, v32, v34
	v_add_f32_e32 v32, v32, v33
	v_cvt_i32_f32_e32 v33, v34
	s_delay_alu instid0(VALU_DEP_2) | instskip(NEXT) | instid1(TRANS32_DEP_1)
	v_exp_f32_e32 v32, v32
	v_ldexp_f32 v32, v32, v33
	s_wait_alu 0xf1ff
	s_delay_alu instid0(VALU_DEP_1) | instskip(SKIP_2) | instid1(VALU_DEP_1)
	v_cndmask_b32_e64 v32, 0, v32, s0
	v_cmp_nlt_f32_e64 s0, 0x42b17218, v31
	s_wait_alu 0xf1ff
	v_cndmask_b32_e64 v33, 0x7f800000, v32, s0
	s_delay_alu instid0(VALU_DEP_1) | instskip(NEXT) | instid1(VALU_DEP_1)
	v_add_f32_e32 v34, 1.0, v33
	v_cvt_f64_f32_e32 v[31:32], v34
	s_delay_alu instid0(VALU_DEP_1) | instskip(SKIP_1) | instid1(VALU_DEP_1)
	v_frexp_exp_i32_f64_e32 v31, v[31:32]
	v_frexp_mant_f32_e32 v32, v34
	v_cmp_gt_f32_e64 s0, 0x3f2aaaab, v32
	v_add_f32_e32 v32, -1.0, v34
	s_delay_alu instid0(VALU_DEP_1)
	v_sub_f32_e32 v36, v32, v34
	v_sub_f32_e32 v32, v33, v32
	s_wait_alu 0xf1ff
	v_subrev_co_ci_u32_e64 v31, null, 0, v31, s0
	s_mov_b32 s0, 0x3e9b6dac
	v_sub_nc_u32_e32 v35, 0, v31
	v_cvt_f32_i32_e32 v31, v31
	s_delay_alu instid0(VALU_DEP_2) | instskip(NEXT) | instid1(VALU_DEP_1)
	v_ldexp_f32 v34, v34, v35
	v_dual_add_f32 v37, 1.0, v34 :: v_dual_add_f32 v36, 1.0, v36
	s_delay_alu instid0(VALU_DEP_1) | instskip(NEXT) | instid1(VALU_DEP_2)
	v_add_f32_e32 v32, v32, v36
	v_add_f32_e32 v36, -1.0, v37
	s_delay_alu instid0(VALU_DEP_2) | instskip(NEXT) | instid1(VALU_DEP_2)
	v_ldexp_f32 v32, v32, v35
	v_dual_add_f32 v35, -1.0, v34 :: v_dual_sub_f32 v36, v34, v36
	s_delay_alu instid0(VALU_DEP_1) | instskip(NEXT) | instid1(VALU_DEP_2)
	v_add_f32_e32 v38, 1.0, v35
	v_add_f32_e32 v36, v32, v36
	s_delay_alu instid0(VALU_DEP_2) | instskip(NEXT) | instid1(VALU_DEP_2)
	v_sub_f32_e32 v34, v34, v38
	v_add_f32_e32 v38, v37, v36
	s_delay_alu instid0(VALU_DEP_2) | instskip(NEXT) | instid1(VALU_DEP_2)
	v_add_f32_e32 v32, v32, v34
	v_rcp_f32_e32 v34, v38
	v_sub_f32_e32 v37, v37, v38
	s_delay_alu instid0(VALU_DEP_1) | instskip(NEXT) | instid1(VALU_DEP_1)
	v_dual_add_f32 v39, v35, v32 :: v_dual_add_f32 v36, v36, v37
	v_sub_f32_e32 v35, v35, v39
	s_delay_alu instid0(TRANS32_DEP_1) | instskip(NEXT) | instid1(VALU_DEP_1)
	v_mul_f32_e32 v40, v39, v34
	v_dual_add_f32 v32, v32, v35 :: v_dual_mul_f32 v41, v38, v40
	s_delay_alu instid0(VALU_DEP_1) | instskip(NEXT) | instid1(VALU_DEP_1)
	v_fma_f32 v37, v40, v38, -v41
	v_fmac_f32_e32 v37, v40, v36
	s_delay_alu instid0(VALU_DEP_1) | instskip(NEXT) | instid1(VALU_DEP_1)
	v_add_f32_e32 v42, v41, v37
	v_sub_f32_e32 v43, v39, v42
	v_sub_f32_e32 v35, v42, v41
	s_delay_alu instid0(VALU_DEP_2) | instskip(NEXT) | instid1(VALU_DEP_2)
	v_sub_f32_e32 v39, v39, v43
	v_sub_f32_e32 v35, v35, v37
	s_delay_alu instid0(VALU_DEP_2) | instskip(NEXT) | instid1(VALU_DEP_1)
	v_sub_f32_e32 v39, v39, v42
	v_add_f32_e32 v32, v32, v39
	s_delay_alu instid0(VALU_DEP_1) | instskip(NEXT) | instid1(VALU_DEP_1)
	v_add_f32_e32 v32, v35, v32
	v_add_f32_e32 v35, v43, v32
	s_delay_alu instid0(VALU_DEP_1) | instskip(NEXT) | instid1(VALU_DEP_1)
	v_mul_f32_e32 v37, v34, v35
	v_dual_sub_f32 v42, v43, v35 :: v_dual_mul_f32 v39, v38, v37
	s_delay_alu instid0(VALU_DEP_1) | instskip(NEXT) | instid1(VALU_DEP_2)
	v_add_f32_e32 v32, v32, v42
	v_fma_f32 v38, v37, v38, -v39
	s_delay_alu instid0(VALU_DEP_1) | instskip(NEXT) | instid1(VALU_DEP_1)
	v_fmac_f32_e32 v38, v37, v36
	v_add_f32_e32 v36, v39, v38
	s_delay_alu instid0(VALU_DEP_1) | instskip(SKIP_1) | instid1(VALU_DEP_2)
	v_sub_f32_e32 v41, v35, v36
	v_sub_f32_e32 v39, v36, v39
	v_sub_f32_e32 v35, v35, v41
	s_delay_alu instid0(VALU_DEP_1) | instskip(NEXT) | instid1(VALU_DEP_3)
	v_sub_f32_e32 v35, v35, v36
	v_sub_f32_e32 v36, v39, v38
	s_delay_alu instid0(VALU_DEP_2) | instskip(SKIP_1) | instid1(VALU_DEP_2)
	v_add_f32_e32 v32, v32, v35
	v_add_f32_e32 v35, v40, v37
	;; [unrolled: 1-line block ×3, first 2 shown]
	s_delay_alu instid0(VALU_DEP_2) | instskip(NEXT) | instid1(VALU_DEP_2)
	v_sub_f32_e32 v36, v35, v40
	v_add_f32_e32 v32, v41, v32
	s_delay_alu instid0(VALU_DEP_2) | instskip(NEXT) | instid1(VALU_DEP_2)
	v_sub_f32_e32 v36, v37, v36
	v_mul_f32_e32 v32, v34, v32
	s_delay_alu instid0(VALU_DEP_1) | instskip(NEXT) | instid1(VALU_DEP_1)
	v_add_f32_e32 v32, v36, v32
	v_add_f32_e32 v34, v35, v32
	s_delay_alu instid0(VALU_DEP_1) | instskip(SKIP_1) | instid1(VALU_DEP_1)
	v_mul_f32_e32 v36, v34, v34
	s_wait_alu 0xfffe
	v_fmaak_f32 v37, s0, v36, 0x3ecc95a3
	v_mul_f32_e32 v38, v34, v36
	v_cmp_neq_f32_e64 s0, 0x7f800000, v33
	s_delay_alu instid0(VALU_DEP_3) | instskip(SKIP_2) | instid1(VALU_DEP_3)
	v_fmaak_f32 v36, v36, v37, 0x3f2aaada
	v_ldexp_f32 v37, v34, 1
	v_sub_f32_e32 v34, v34, v35
	v_mul_f32_e32 v36, v38, v36
	v_mul_f32_e32 v38, 0x3f317218, v31
	s_delay_alu instid0(VALU_DEP_2) | instskip(NEXT) | instid1(VALU_DEP_1)
	v_dual_sub_f32 v32, v32, v34 :: v_dual_add_f32 v35, v37, v36
	v_ldexp_f32 v32, v32, 1
	s_delay_alu instid0(VALU_DEP_2) | instskip(NEXT) | instid1(VALU_DEP_4)
	v_sub_f32_e32 v34, v35, v37
	v_fma_f32 v37, 0x3f317218, v31, -v38
	s_delay_alu instid0(VALU_DEP_1) | instskip(NEXT) | instid1(VALU_DEP_1)
	v_dual_sub_f32 v34, v36, v34 :: v_dual_fmamk_f32 v31, v31, 0xb102e308, v37
	v_add_f32_e32 v32, v32, v34
	s_delay_alu instid0(VALU_DEP_2) | instskip(NEXT) | instid1(VALU_DEP_2)
	v_add_f32_e32 v34, v38, v31
	v_add_f32_e32 v36, v35, v32
	s_delay_alu instid0(VALU_DEP_2) | instskip(NEXT) | instid1(VALU_DEP_2)
	v_sub_f32_e32 v38, v34, v38
	v_add_f32_e32 v37, v34, v36
	v_sub_f32_e32 v35, v36, v35
	s_delay_alu instid0(VALU_DEP_3) | instskip(NEXT) | instid1(VALU_DEP_2)
	v_sub_f32_e32 v31, v31, v38
	v_dual_sub_f32 v39, v37, v34 :: v_dual_sub_f32 v32, v32, v35
	s_delay_alu instid0(VALU_DEP_1) | instskip(NEXT) | instid1(VALU_DEP_2)
	v_sub_f32_e32 v40, v37, v39
	v_dual_sub_f32 v35, v36, v39 :: v_dual_add_f32 v36, v31, v32
	s_delay_alu instid0(VALU_DEP_2) | instskip(NEXT) | instid1(VALU_DEP_1)
	v_sub_f32_e32 v34, v34, v40
	v_dual_add_f32 v34, v35, v34 :: v_dual_sub_f32 v35, v36, v31
	s_delay_alu instid0(VALU_DEP_1) | instskip(NEXT) | instid1(VALU_DEP_2)
	v_add_f32_e32 v34, v36, v34
	v_sub_f32_e32 v36, v36, v35
	v_sub_f32_e32 v32, v32, v35
	s_delay_alu instid0(VALU_DEP_2) | instskip(NEXT) | instid1(VALU_DEP_1)
	v_dual_add_f32 v38, v37, v34 :: v_dual_sub_f32 v31, v31, v36
	v_sub_f32_e32 v35, v38, v37
	s_delay_alu instid0(VALU_DEP_2) | instskip(NEXT) | instid1(VALU_DEP_2)
	v_add_f32_e32 v31, v32, v31
	v_sub_f32_e32 v32, v34, v35
	s_delay_alu instid0(VALU_DEP_1) | instskip(NEXT) | instid1(VALU_DEP_1)
	v_add_f32_e32 v31, v31, v32
	v_add_f32_e32 v31, v38, v31
	s_wait_alu 0xf1ff
	s_delay_alu instid0(VALU_DEP_1) | instskip(SKIP_2) | instid1(VALU_DEP_1)
	v_cndmask_b32_e64 v31, 0x7f800000, v31, s0
	v_cmp_gt_f32_e64 s0, 0x33800000, |v33|
	s_wait_alu 0xf1ff
	v_cndmask_b32_e64 v31, v31, v33, s0
	s_delay_alu instid0(VALU_DEP_1)
	v_add_f32_e32 v31, v30, v31
.LBB498_93:
	s_wait_alu 0xfffe
	s_or_b32 exec_lo, exec_lo, s1
	s_delay_alu instid0(VALU_DEP_1) | instskip(SKIP_3) | instid1(VALU_DEP_1)
	v_bfe_u32 v30, v31, 16, 1
	ds_load_u16 v32, v29 offset:12
	v_cmp_o_f32_e64 s0, v31, v31
	v_add3_u32 v30, v31, v30, 0x7fff
	v_lshrrev_b32_e32 v30, 16, v30
	s_wait_alu 0xf1ff
	s_delay_alu instid0(VALU_DEP_1) | instskip(SKIP_3) | instid1(VALU_DEP_1)
	v_cndmask_b32_e64 v33, 0x7fc0, v30, s0
	ds_store_b16 v29, v33 offset:10
	s_wait_dscnt 0x1
	v_lshlrev_b32_e32 v30, 16, v32
	v_dual_max_num_f32 v34, v30, v30 :: v_dual_lshlrev_b32 v31, 16, v33
	s_delay_alu instid0(VALU_DEP_1) | instskip(SKIP_1) | instid1(VALU_DEP_2)
	v_max_num_f32_e32 v32, v31, v31
	v_cmp_u_f32_e64 s0, v31, v31
	v_min_num_f32_e32 v35, v32, v34
	v_max_num_f32_e32 v32, v32, v34
	s_wait_alu 0xf1ff
	s_delay_alu instid0(VALU_DEP_2) | instskip(NEXT) | instid1(VALU_DEP_2)
	v_cndmask_b32_e64 v34, v35, v31, s0
	v_cndmask_b32_e64 v35, v32, v31, s0
	v_cmp_u_f32_e64 s0, v30, v30
	s_wait_alu 0xf1ff
	s_delay_alu instid0(VALU_DEP_1) | instskip(NEXT) | instid1(VALU_DEP_3)
	v_cndmask_b32_e64 v32, v34, v30, s0
	v_cndmask_b32_e64 v30, v35, v30, s0
	s_delay_alu instid0(VALU_DEP_2) | instskip(NEXT) | instid1(VALU_DEP_2)
	v_cmp_class_f32_e64 s1, v32, 0x1f8
	v_cmp_neq_f32_e64 s0, v32, v30
	s_or_b32 s0, s0, s1
	s_wait_alu 0xfffe
	s_and_saveexec_b32 s1, s0
	s_cbranch_execz .LBB498_95
; %bb.94:
	v_sub_f32_e32 v31, v32, v30
	s_delay_alu instid0(VALU_DEP_1) | instskip(SKIP_1) | instid1(VALU_DEP_2)
	v_mul_f32_e32 v32, 0x3fb8aa3b, v31
	v_cmp_ngt_f32_e64 s0, 0xc2ce8ed0, v31
	v_fma_f32 v33, 0x3fb8aa3b, v31, -v32
	v_rndne_f32_e32 v34, v32
	s_delay_alu instid0(VALU_DEP_1) | instskip(NEXT) | instid1(VALU_DEP_1)
	v_dual_fmamk_f32 v33, v31, 0x32a5705f, v33 :: v_dual_sub_f32 v32, v32, v34
	v_add_f32_e32 v32, v32, v33
	v_cvt_i32_f32_e32 v33, v34
	s_delay_alu instid0(VALU_DEP_2) | instskip(NEXT) | instid1(TRANS32_DEP_1)
	v_exp_f32_e32 v32, v32
	v_ldexp_f32 v32, v32, v33
	s_wait_alu 0xf1ff
	s_delay_alu instid0(VALU_DEP_1) | instskip(SKIP_2) | instid1(VALU_DEP_1)
	v_cndmask_b32_e64 v32, 0, v32, s0
	v_cmp_nlt_f32_e64 s0, 0x42b17218, v31
	s_wait_alu 0xf1ff
	v_cndmask_b32_e64 v33, 0x7f800000, v32, s0
	s_delay_alu instid0(VALU_DEP_1) | instskip(NEXT) | instid1(VALU_DEP_1)
	v_add_f32_e32 v34, 1.0, v33
	v_cvt_f64_f32_e32 v[31:32], v34
	s_delay_alu instid0(VALU_DEP_1) | instskip(SKIP_1) | instid1(VALU_DEP_1)
	v_frexp_exp_i32_f64_e32 v31, v[31:32]
	v_frexp_mant_f32_e32 v32, v34
	v_cmp_gt_f32_e64 s0, 0x3f2aaaab, v32
	v_add_f32_e32 v32, -1.0, v34
	s_delay_alu instid0(VALU_DEP_1)
	v_sub_f32_e32 v36, v32, v34
	v_sub_f32_e32 v32, v33, v32
	s_wait_alu 0xf1ff
	v_subrev_co_ci_u32_e64 v31, null, 0, v31, s0
	s_mov_b32 s0, 0x3e9b6dac
	v_sub_nc_u32_e32 v35, 0, v31
	v_cvt_f32_i32_e32 v31, v31
	s_delay_alu instid0(VALU_DEP_2) | instskip(NEXT) | instid1(VALU_DEP_1)
	v_ldexp_f32 v34, v34, v35
	v_dual_add_f32 v37, 1.0, v34 :: v_dual_add_f32 v36, 1.0, v36
	s_delay_alu instid0(VALU_DEP_1) | instskip(NEXT) | instid1(VALU_DEP_2)
	v_add_f32_e32 v32, v32, v36
	v_add_f32_e32 v36, -1.0, v37
	s_delay_alu instid0(VALU_DEP_2) | instskip(NEXT) | instid1(VALU_DEP_2)
	v_ldexp_f32 v32, v32, v35
	v_dual_add_f32 v35, -1.0, v34 :: v_dual_sub_f32 v36, v34, v36
	s_delay_alu instid0(VALU_DEP_1) | instskip(NEXT) | instid1(VALU_DEP_2)
	v_add_f32_e32 v38, 1.0, v35
	v_add_f32_e32 v36, v32, v36
	s_delay_alu instid0(VALU_DEP_2) | instskip(NEXT) | instid1(VALU_DEP_2)
	v_sub_f32_e32 v34, v34, v38
	v_add_f32_e32 v38, v37, v36
	s_delay_alu instid0(VALU_DEP_2) | instskip(NEXT) | instid1(VALU_DEP_2)
	v_add_f32_e32 v32, v32, v34
	v_rcp_f32_e32 v34, v38
	v_sub_f32_e32 v37, v37, v38
	s_delay_alu instid0(VALU_DEP_1) | instskip(NEXT) | instid1(VALU_DEP_1)
	v_dual_add_f32 v39, v35, v32 :: v_dual_add_f32 v36, v36, v37
	v_sub_f32_e32 v35, v35, v39
	s_delay_alu instid0(TRANS32_DEP_1) | instskip(NEXT) | instid1(VALU_DEP_1)
	v_mul_f32_e32 v40, v39, v34
	v_dual_add_f32 v32, v32, v35 :: v_dual_mul_f32 v41, v38, v40
	s_delay_alu instid0(VALU_DEP_1) | instskip(NEXT) | instid1(VALU_DEP_1)
	v_fma_f32 v37, v40, v38, -v41
	v_fmac_f32_e32 v37, v40, v36
	s_delay_alu instid0(VALU_DEP_1) | instskip(NEXT) | instid1(VALU_DEP_1)
	v_add_f32_e32 v42, v41, v37
	v_sub_f32_e32 v43, v39, v42
	v_sub_f32_e32 v35, v42, v41
	s_delay_alu instid0(VALU_DEP_2) | instskip(NEXT) | instid1(VALU_DEP_2)
	v_sub_f32_e32 v39, v39, v43
	v_sub_f32_e32 v35, v35, v37
	s_delay_alu instid0(VALU_DEP_2) | instskip(NEXT) | instid1(VALU_DEP_1)
	v_sub_f32_e32 v39, v39, v42
	v_add_f32_e32 v32, v32, v39
	s_delay_alu instid0(VALU_DEP_1) | instskip(NEXT) | instid1(VALU_DEP_1)
	v_add_f32_e32 v32, v35, v32
	v_add_f32_e32 v35, v43, v32
	s_delay_alu instid0(VALU_DEP_1) | instskip(NEXT) | instid1(VALU_DEP_1)
	v_mul_f32_e32 v37, v34, v35
	v_dual_sub_f32 v42, v43, v35 :: v_dual_mul_f32 v39, v38, v37
	s_delay_alu instid0(VALU_DEP_1) | instskip(NEXT) | instid1(VALU_DEP_2)
	v_add_f32_e32 v32, v32, v42
	v_fma_f32 v38, v37, v38, -v39
	s_delay_alu instid0(VALU_DEP_1) | instskip(NEXT) | instid1(VALU_DEP_1)
	v_fmac_f32_e32 v38, v37, v36
	v_add_f32_e32 v36, v39, v38
	s_delay_alu instid0(VALU_DEP_1) | instskip(SKIP_1) | instid1(VALU_DEP_2)
	v_sub_f32_e32 v41, v35, v36
	v_sub_f32_e32 v39, v36, v39
	;; [unrolled: 1-line block ×3, first 2 shown]
	s_delay_alu instid0(VALU_DEP_1) | instskip(NEXT) | instid1(VALU_DEP_3)
	v_sub_f32_e32 v35, v35, v36
	v_sub_f32_e32 v36, v39, v38
	s_delay_alu instid0(VALU_DEP_2) | instskip(SKIP_1) | instid1(VALU_DEP_2)
	v_add_f32_e32 v32, v32, v35
	v_add_f32_e32 v35, v40, v37
	;; [unrolled: 1-line block ×3, first 2 shown]
	s_delay_alu instid0(VALU_DEP_2) | instskip(NEXT) | instid1(VALU_DEP_2)
	v_sub_f32_e32 v36, v35, v40
	v_add_f32_e32 v32, v41, v32
	s_delay_alu instid0(VALU_DEP_2) | instskip(NEXT) | instid1(VALU_DEP_2)
	v_sub_f32_e32 v36, v37, v36
	v_mul_f32_e32 v32, v34, v32
	s_delay_alu instid0(VALU_DEP_1) | instskip(NEXT) | instid1(VALU_DEP_1)
	v_add_f32_e32 v32, v36, v32
	v_add_f32_e32 v34, v35, v32
	s_delay_alu instid0(VALU_DEP_1) | instskip(SKIP_1) | instid1(VALU_DEP_1)
	v_mul_f32_e32 v36, v34, v34
	s_wait_alu 0xfffe
	v_fmaak_f32 v37, s0, v36, 0x3ecc95a3
	v_mul_f32_e32 v38, v34, v36
	v_cmp_neq_f32_e64 s0, 0x7f800000, v33
	s_delay_alu instid0(VALU_DEP_3) | instskip(SKIP_2) | instid1(VALU_DEP_3)
	v_fmaak_f32 v36, v36, v37, 0x3f2aaada
	v_ldexp_f32 v37, v34, 1
	v_sub_f32_e32 v34, v34, v35
	v_mul_f32_e32 v36, v38, v36
	v_mul_f32_e32 v38, 0x3f317218, v31
	s_delay_alu instid0(VALU_DEP_2) | instskip(NEXT) | instid1(VALU_DEP_1)
	v_dual_sub_f32 v32, v32, v34 :: v_dual_add_f32 v35, v37, v36
	v_ldexp_f32 v32, v32, 1
	s_delay_alu instid0(VALU_DEP_2) | instskip(NEXT) | instid1(VALU_DEP_4)
	v_sub_f32_e32 v34, v35, v37
	v_fma_f32 v37, 0x3f317218, v31, -v38
	s_delay_alu instid0(VALU_DEP_1) | instskip(NEXT) | instid1(VALU_DEP_1)
	v_dual_sub_f32 v34, v36, v34 :: v_dual_fmamk_f32 v31, v31, 0xb102e308, v37
	v_add_f32_e32 v32, v32, v34
	s_delay_alu instid0(VALU_DEP_2) | instskip(NEXT) | instid1(VALU_DEP_2)
	v_add_f32_e32 v34, v38, v31
	v_add_f32_e32 v36, v35, v32
	s_delay_alu instid0(VALU_DEP_2) | instskip(NEXT) | instid1(VALU_DEP_2)
	v_sub_f32_e32 v38, v34, v38
	v_add_f32_e32 v37, v34, v36
	v_sub_f32_e32 v35, v36, v35
	s_delay_alu instid0(VALU_DEP_3) | instskip(NEXT) | instid1(VALU_DEP_2)
	v_sub_f32_e32 v31, v31, v38
	v_dual_sub_f32 v39, v37, v34 :: v_dual_sub_f32 v32, v32, v35
	s_delay_alu instid0(VALU_DEP_1) | instskip(NEXT) | instid1(VALU_DEP_2)
	v_sub_f32_e32 v40, v37, v39
	v_dual_sub_f32 v35, v36, v39 :: v_dual_add_f32 v36, v31, v32
	s_delay_alu instid0(VALU_DEP_2) | instskip(NEXT) | instid1(VALU_DEP_1)
	v_sub_f32_e32 v34, v34, v40
	v_dual_add_f32 v34, v35, v34 :: v_dual_sub_f32 v35, v36, v31
	s_delay_alu instid0(VALU_DEP_1) | instskip(NEXT) | instid1(VALU_DEP_2)
	v_add_f32_e32 v34, v36, v34
	v_sub_f32_e32 v36, v36, v35
	v_sub_f32_e32 v32, v32, v35
	s_delay_alu instid0(VALU_DEP_2) | instskip(NEXT) | instid1(VALU_DEP_1)
	v_dual_add_f32 v38, v37, v34 :: v_dual_sub_f32 v31, v31, v36
	v_sub_f32_e32 v35, v38, v37
	s_delay_alu instid0(VALU_DEP_2) | instskip(NEXT) | instid1(VALU_DEP_2)
	v_add_f32_e32 v31, v32, v31
	v_sub_f32_e32 v32, v34, v35
	s_delay_alu instid0(VALU_DEP_1) | instskip(NEXT) | instid1(VALU_DEP_1)
	v_add_f32_e32 v31, v31, v32
	v_add_f32_e32 v31, v38, v31
	s_wait_alu 0xf1ff
	s_delay_alu instid0(VALU_DEP_1) | instskip(SKIP_2) | instid1(VALU_DEP_1)
	v_cndmask_b32_e64 v31, 0x7f800000, v31, s0
	v_cmp_gt_f32_e64 s0, 0x33800000, |v33|
	s_wait_alu 0xf1ff
	v_cndmask_b32_e64 v31, v31, v33, s0
	s_delay_alu instid0(VALU_DEP_1)
	v_add_f32_e32 v31, v30, v31
.LBB498_95:
	s_wait_alu 0xfffe
	s_or_b32 exec_lo, exec_lo, s1
	s_delay_alu instid0(VALU_DEP_1) | instskip(SKIP_3) | instid1(VALU_DEP_1)
	v_bfe_u32 v30, v31, 16, 1
	ds_load_u16 v32, v29 offset:14
	v_cmp_o_f32_e64 s0, v31, v31
	v_add3_u32 v30, v31, v30, 0x7fff
	v_lshrrev_b32_e32 v30, 16, v30
	s_wait_alu 0xf1ff
	s_delay_alu instid0(VALU_DEP_1) | instskip(SKIP_3) | instid1(VALU_DEP_1)
	v_cndmask_b32_e64 v33, 0x7fc0, v30, s0
	ds_store_b16 v29, v33 offset:12
	s_wait_dscnt 0x1
	v_lshlrev_b32_e32 v30, 16, v32
	v_dual_max_num_f32 v34, v30, v30 :: v_dual_lshlrev_b32 v31, 16, v33
	s_delay_alu instid0(VALU_DEP_1) | instskip(SKIP_1) | instid1(VALU_DEP_2)
	v_max_num_f32_e32 v32, v31, v31
	v_cmp_u_f32_e64 s0, v31, v31
	v_min_num_f32_e32 v35, v32, v34
	v_max_num_f32_e32 v32, v32, v34
	s_wait_alu 0xf1ff
	s_delay_alu instid0(VALU_DEP_2) | instskip(NEXT) | instid1(VALU_DEP_2)
	v_cndmask_b32_e64 v34, v35, v31, s0
	v_cndmask_b32_e64 v35, v32, v31, s0
	v_cmp_u_f32_e64 s0, v30, v30
	s_wait_alu 0xf1ff
	s_delay_alu instid0(VALU_DEP_1) | instskip(NEXT) | instid1(VALU_DEP_3)
	v_cndmask_b32_e64 v32, v34, v30, s0
	v_cndmask_b32_e64 v30, v35, v30, s0
	s_delay_alu instid0(VALU_DEP_2) | instskip(NEXT) | instid1(VALU_DEP_2)
	v_cmp_class_f32_e64 s1, v32, 0x1f8
	v_cmp_neq_f32_e64 s0, v32, v30
	s_or_b32 s0, s0, s1
	s_wait_alu 0xfffe
	s_and_saveexec_b32 s1, s0
	s_cbranch_execz .LBB498_97
; %bb.96:
	v_sub_f32_e32 v31, v32, v30
	s_delay_alu instid0(VALU_DEP_1) | instskip(SKIP_1) | instid1(VALU_DEP_2)
	v_mul_f32_e32 v32, 0x3fb8aa3b, v31
	v_cmp_ngt_f32_e64 s0, 0xc2ce8ed0, v31
	v_fma_f32 v33, 0x3fb8aa3b, v31, -v32
	v_rndne_f32_e32 v34, v32
	s_delay_alu instid0(VALU_DEP_1) | instskip(NEXT) | instid1(VALU_DEP_1)
	v_dual_fmamk_f32 v33, v31, 0x32a5705f, v33 :: v_dual_sub_f32 v32, v32, v34
	v_add_f32_e32 v32, v32, v33
	v_cvt_i32_f32_e32 v33, v34
	s_delay_alu instid0(VALU_DEP_2) | instskip(NEXT) | instid1(TRANS32_DEP_1)
	v_exp_f32_e32 v32, v32
	v_ldexp_f32 v32, v32, v33
	s_wait_alu 0xf1ff
	s_delay_alu instid0(VALU_DEP_1) | instskip(SKIP_2) | instid1(VALU_DEP_1)
	v_cndmask_b32_e64 v32, 0, v32, s0
	v_cmp_nlt_f32_e64 s0, 0x42b17218, v31
	s_wait_alu 0xf1ff
	v_cndmask_b32_e64 v33, 0x7f800000, v32, s0
	s_delay_alu instid0(VALU_DEP_1) | instskip(NEXT) | instid1(VALU_DEP_1)
	v_add_f32_e32 v34, 1.0, v33
	v_cvt_f64_f32_e32 v[31:32], v34
	s_delay_alu instid0(VALU_DEP_1) | instskip(SKIP_1) | instid1(VALU_DEP_1)
	v_frexp_exp_i32_f64_e32 v31, v[31:32]
	v_frexp_mant_f32_e32 v32, v34
	v_cmp_gt_f32_e64 s0, 0x3f2aaaab, v32
	v_add_f32_e32 v32, -1.0, v34
	s_delay_alu instid0(VALU_DEP_1)
	v_sub_f32_e32 v36, v32, v34
	v_sub_f32_e32 v32, v33, v32
	s_wait_alu 0xf1ff
	v_subrev_co_ci_u32_e64 v31, null, 0, v31, s0
	s_mov_b32 s0, 0x3e9b6dac
	v_sub_nc_u32_e32 v35, 0, v31
	v_cvt_f32_i32_e32 v31, v31
	s_delay_alu instid0(VALU_DEP_2) | instskip(NEXT) | instid1(VALU_DEP_1)
	v_ldexp_f32 v34, v34, v35
	v_dual_add_f32 v37, 1.0, v34 :: v_dual_add_f32 v36, 1.0, v36
	s_delay_alu instid0(VALU_DEP_1) | instskip(NEXT) | instid1(VALU_DEP_2)
	v_add_f32_e32 v32, v32, v36
	v_add_f32_e32 v36, -1.0, v37
	s_delay_alu instid0(VALU_DEP_2) | instskip(NEXT) | instid1(VALU_DEP_2)
	v_ldexp_f32 v32, v32, v35
	v_dual_add_f32 v35, -1.0, v34 :: v_dual_sub_f32 v36, v34, v36
	s_delay_alu instid0(VALU_DEP_1) | instskip(NEXT) | instid1(VALU_DEP_2)
	v_add_f32_e32 v38, 1.0, v35
	v_add_f32_e32 v36, v32, v36
	s_delay_alu instid0(VALU_DEP_2) | instskip(NEXT) | instid1(VALU_DEP_2)
	v_sub_f32_e32 v34, v34, v38
	v_add_f32_e32 v38, v37, v36
	s_delay_alu instid0(VALU_DEP_2) | instskip(NEXT) | instid1(VALU_DEP_2)
	v_add_f32_e32 v32, v32, v34
	v_rcp_f32_e32 v34, v38
	v_sub_f32_e32 v37, v37, v38
	s_delay_alu instid0(VALU_DEP_1) | instskip(NEXT) | instid1(VALU_DEP_1)
	v_dual_add_f32 v39, v35, v32 :: v_dual_add_f32 v36, v36, v37
	v_sub_f32_e32 v35, v35, v39
	s_delay_alu instid0(TRANS32_DEP_1) | instskip(NEXT) | instid1(VALU_DEP_1)
	v_mul_f32_e32 v40, v39, v34
	v_dual_add_f32 v32, v32, v35 :: v_dual_mul_f32 v41, v38, v40
	s_delay_alu instid0(VALU_DEP_1) | instskip(NEXT) | instid1(VALU_DEP_1)
	v_fma_f32 v37, v40, v38, -v41
	v_fmac_f32_e32 v37, v40, v36
	s_delay_alu instid0(VALU_DEP_1) | instskip(NEXT) | instid1(VALU_DEP_1)
	v_add_f32_e32 v42, v41, v37
	v_sub_f32_e32 v43, v39, v42
	v_sub_f32_e32 v35, v42, v41
	s_delay_alu instid0(VALU_DEP_2) | instskip(NEXT) | instid1(VALU_DEP_2)
	v_sub_f32_e32 v39, v39, v43
	v_sub_f32_e32 v35, v35, v37
	s_delay_alu instid0(VALU_DEP_2) | instskip(NEXT) | instid1(VALU_DEP_1)
	v_sub_f32_e32 v39, v39, v42
	v_add_f32_e32 v32, v32, v39
	s_delay_alu instid0(VALU_DEP_1) | instskip(NEXT) | instid1(VALU_DEP_1)
	v_add_f32_e32 v32, v35, v32
	v_add_f32_e32 v35, v43, v32
	s_delay_alu instid0(VALU_DEP_1) | instskip(NEXT) | instid1(VALU_DEP_1)
	v_mul_f32_e32 v37, v34, v35
	v_dual_sub_f32 v42, v43, v35 :: v_dual_mul_f32 v39, v38, v37
	s_delay_alu instid0(VALU_DEP_1) | instskip(NEXT) | instid1(VALU_DEP_2)
	v_add_f32_e32 v32, v32, v42
	v_fma_f32 v38, v37, v38, -v39
	s_delay_alu instid0(VALU_DEP_1) | instskip(NEXT) | instid1(VALU_DEP_1)
	v_fmac_f32_e32 v38, v37, v36
	v_add_f32_e32 v36, v39, v38
	s_delay_alu instid0(VALU_DEP_1) | instskip(SKIP_1) | instid1(VALU_DEP_2)
	v_sub_f32_e32 v41, v35, v36
	v_sub_f32_e32 v39, v36, v39
	v_sub_f32_e32 v35, v35, v41
	s_delay_alu instid0(VALU_DEP_1) | instskip(NEXT) | instid1(VALU_DEP_3)
	v_sub_f32_e32 v35, v35, v36
	v_sub_f32_e32 v36, v39, v38
	s_delay_alu instid0(VALU_DEP_2) | instskip(SKIP_1) | instid1(VALU_DEP_2)
	v_add_f32_e32 v32, v32, v35
	v_add_f32_e32 v35, v40, v37
	;; [unrolled: 1-line block ×3, first 2 shown]
	s_delay_alu instid0(VALU_DEP_2) | instskip(NEXT) | instid1(VALU_DEP_2)
	v_sub_f32_e32 v36, v35, v40
	v_add_f32_e32 v32, v41, v32
	s_delay_alu instid0(VALU_DEP_2) | instskip(NEXT) | instid1(VALU_DEP_2)
	v_sub_f32_e32 v36, v37, v36
	v_mul_f32_e32 v32, v34, v32
	s_delay_alu instid0(VALU_DEP_1) | instskip(NEXT) | instid1(VALU_DEP_1)
	v_add_f32_e32 v32, v36, v32
	v_add_f32_e32 v34, v35, v32
	s_delay_alu instid0(VALU_DEP_1) | instskip(SKIP_1) | instid1(VALU_DEP_1)
	v_mul_f32_e32 v36, v34, v34
	s_wait_alu 0xfffe
	v_fmaak_f32 v37, s0, v36, 0x3ecc95a3
	v_mul_f32_e32 v38, v34, v36
	v_cmp_neq_f32_e64 s0, 0x7f800000, v33
	s_delay_alu instid0(VALU_DEP_3) | instskip(SKIP_2) | instid1(VALU_DEP_3)
	v_fmaak_f32 v36, v36, v37, 0x3f2aaada
	v_ldexp_f32 v37, v34, 1
	v_sub_f32_e32 v34, v34, v35
	v_mul_f32_e32 v36, v38, v36
	v_mul_f32_e32 v38, 0x3f317218, v31
	s_delay_alu instid0(VALU_DEP_2) | instskip(NEXT) | instid1(VALU_DEP_1)
	v_dual_sub_f32 v32, v32, v34 :: v_dual_add_f32 v35, v37, v36
	v_ldexp_f32 v32, v32, 1
	s_delay_alu instid0(VALU_DEP_2) | instskip(NEXT) | instid1(VALU_DEP_4)
	v_sub_f32_e32 v34, v35, v37
	v_fma_f32 v37, 0x3f317218, v31, -v38
	s_delay_alu instid0(VALU_DEP_1) | instskip(NEXT) | instid1(VALU_DEP_1)
	v_dual_sub_f32 v34, v36, v34 :: v_dual_fmamk_f32 v31, v31, 0xb102e308, v37
	v_add_f32_e32 v32, v32, v34
	s_delay_alu instid0(VALU_DEP_2) | instskip(NEXT) | instid1(VALU_DEP_2)
	v_add_f32_e32 v34, v38, v31
	v_add_f32_e32 v36, v35, v32
	s_delay_alu instid0(VALU_DEP_2) | instskip(NEXT) | instid1(VALU_DEP_2)
	v_sub_f32_e32 v38, v34, v38
	v_add_f32_e32 v37, v34, v36
	v_sub_f32_e32 v35, v36, v35
	s_delay_alu instid0(VALU_DEP_3) | instskip(NEXT) | instid1(VALU_DEP_2)
	v_sub_f32_e32 v31, v31, v38
	v_dual_sub_f32 v39, v37, v34 :: v_dual_sub_f32 v32, v32, v35
	s_delay_alu instid0(VALU_DEP_1) | instskip(NEXT) | instid1(VALU_DEP_2)
	v_sub_f32_e32 v40, v37, v39
	v_dual_sub_f32 v35, v36, v39 :: v_dual_add_f32 v36, v31, v32
	s_delay_alu instid0(VALU_DEP_2) | instskip(NEXT) | instid1(VALU_DEP_1)
	v_sub_f32_e32 v34, v34, v40
	v_dual_add_f32 v34, v35, v34 :: v_dual_sub_f32 v35, v36, v31
	s_delay_alu instid0(VALU_DEP_1) | instskip(NEXT) | instid1(VALU_DEP_2)
	v_add_f32_e32 v34, v36, v34
	v_sub_f32_e32 v36, v36, v35
	v_sub_f32_e32 v32, v32, v35
	s_delay_alu instid0(VALU_DEP_2) | instskip(NEXT) | instid1(VALU_DEP_1)
	v_dual_add_f32 v38, v37, v34 :: v_dual_sub_f32 v31, v31, v36
	v_sub_f32_e32 v35, v38, v37
	s_delay_alu instid0(VALU_DEP_2) | instskip(NEXT) | instid1(VALU_DEP_2)
	v_add_f32_e32 v31, v32, v31
	v_sub_f32_e32 v32, v34, v35
	s_delay_alu instid0(VALU_DEP_1) | instskip(NEXT) | instid1(VALU_DEP_1)
	v_add_f32_e32 v31, v31, v32
	v_add_f32_e32 v31, v38, v31
	s_wait_alu 0xf1ff
	s_delay_alu instid0(VALU_DEP_1) | instskip(SKIP_2) | instid1(VALU_DEP_1)
	v_cndmask_b32_e64 v31, 0x7f800000, v31, s0
	v_cmp_gt_f32_e64 s0, 0x33800000, |v33|
	s_wait_alu 0xf1ff
	v_cndmask_b32_e64 v31, v31, v33, s0
	s_delay_alu instid0(VALU_DEP_1)
	v_add_f32_e32 v31, v30, v31
.LBB498_97:
	s_wait_alu 0xfffe
	s_or_b32 exec_lo, exec_lo, s1
	s_delay_alu instid0(VALU_DEP_1) | instskip(SKIP_1) | instid1(VALU_DEP_2)
	v_bfe_u32 v30, v31, 16, 1
	v_cmp_o_f32_e64 s0, v31, v31
	v_add3_u32 v30, v31, v30, 0x7fff
	s_delay_alu instid0(VALU_DEP_1) | instskip(SKIP_1) | instid1(VALU_DEP_1)
	v_lshrrev_b32_e32 v30, 16, v30
	s_wait_alu 0xf1ff
	v_cndmask_b32_e64 v30, 0x7fc0, v30, s0
	ds_store_b16 v29, v30 offset:14
.LBB498_98:
	s_wait_alu 0xfffe
	s_or_b32 exec_lo, exec_lo, s25
	v_mul_u32_u24_e32 v29, 22, v0
	s_mov_b32 s1, exec_lo
	s_wait_loadcnt_dscnt 0x0
	s_barrier_signal -1
	s_barrier_wait -1
	global_inv scope:SCOPE_SE
	v_cmpx_ne_u32_e32 0, v0
	s_cbranch_execz .LBB498_102
; %bb.99:
	v_add_nc_u32_e32 v1, -1, v0
	s_delay_alu instid0(VALU_DEP_1) | instskip(NEXT) | instid1(VALU_DEP_1)
	v_lshrrev_b32_e32 v26, 4, v1
	v_and_b32_e32 v26, 0xffffffe, v26
	s_delay_alu instid0(VALU_DEP_1) | instskip(SKIP_3) | instid1(VALU_DEP_1)
	v_lshl_add_u32 v1, v1, 1, v26
	ds_load_u16 v1, v1
	s_wait_dscnt 0x0
	v_lshlrev_b32_e32 v26, 16, v1
	v_max_num_f32_e32 v1, v26, v26
	s_delay_alu instid0(VALU_DEP_1) | instskip(SKIP_3) | instid1(VALU_DEP_1)
	v_min_num_f32_e32 v27, v1, v28
	v_max_num_f32_e32 v1, v1, v28
	v_cmp_u_f32_e64 s0, v26, v26
	s_wait_alu 0xf1ff
	v_cndmask_b32_e64 v27, v27, v26, s0
	s_delay_alu instid0(VALU_DEP_3) | instskip(NEXT) | instid1(VALU_DEP_2)
	v_cndmask_b32_e64 v1, v1, v26, s0
	v_cndmask_b32_e64 v27, v27, v25, s24
	s_delay_alu instid0(VALU_DEP_2) | instskip(NEXT) | instid1(VALU_DEP_2)
	v_cndmask_b32_e64 v1, v1, v25, s24
	v_cmp_class_f32_e64 s24, v27, 0x1f8
	s_delay_alu instid0(VALU_DEP_2)
	v_cmp_neq_f32_e64 s0, v27, v1
	s_or_b32 s0, s0, s24
	s_wait_alu 0xfffe
	s_and_saveexec_b32 s24, s0
	s_cbranch_execz .LBB498_101
; %bb.100:
	v_sub_f32_e32 v25, v27, v1
	s_delay_alu instid0(VALU_DEP_1) | instskip(NEXT) | instid1(VALU_DEP_1)
	v_mul_f32_e32 v26, 0x3fb8aa3b, v25
	v_fma_f32 v27, 0x3fb8aa3b, v25, -v26
	v_rndne_f32_e32 v28, v26
	s_delay_alu instid0(VALU_DEP_1) | instskip(SKIP_1) | instid1(VALU_DEP_2)
	v_dual_sub_f32 v26, v26, v28 :: v_dual_fmamk_f32 v27, v25, 0x32a5705f, v27
	v_cmp_ngt_f32_e64 s0, 0xc2ce8ed0, v25
	v_add_f32_e32 v26, v26, v27
	v_cvt_i32_f32_e32 v27, v28
	s_delay_alu instid0(VALU_DEP_2) | instskip(NEXT) | instid1(TRANS32_DEP_1)
	v_exp_f32_e32 v26, v26
	v_ldexp_f32 v26, v26, v27
	s_wait_alu 0xf1ff
	s_delay_alu instid0(VALU_DEP_1) | instskip(SKIP_2) | instid1(VALU_DEP_1)
	v_cndmask_b32_e64 v26, 0, v26, s0
	v_cmp_nlt_f32_e64 s0, 0x42b17218, v25
	s_wait_alu 0xf1ff
	v_cndmask_b32_e64 v27, 0x7f800000, v26, s0
	s_delay_alu instid0(VALU_DEP_1) | instskip(NEXT) | instid1(VALU_DEP_1)
	v_add_f32_e32 v28, 1.0, v27
	v_cvt_f64_f32_e32 v[25:26], v28
	s_delay_alu instid0(VALU_DEP_1) | instskip(SKIP_1) | instid1(VALU_DEP_1)
	v_frexp_exp_i32_f64_e32 v25, v[25:26]
	v_frexp_mant_f32_e32 v26, v28
	v_cmp_gt_f32_e64 s0, 0x3f2aaaab, v26
	v_add_f32_e32 v26, -1.0, v28
	s_delay_alu instid0(VALU_DEP_1) | instskip(NEXT) | instid1(VALU_DEP_1)
	v_dual_sub_f32 v31, v26, v28 :: v_dual_sub_f32 v26, v27, v26
	v_add_f32_e32 v31, 1.0, v31
	s_delay_alu instid0(VALU_DEP_1)
	v_add_f32_e32 v26, v26, v31
	s_wait_alu 0xf1ff
	v_subrev_co_ci_u32_e64 v25, null, 0, v25, s0
	s_mov_b32 s0, 0x3e9b6dac
	v_sub_nc_u32_e32 v30, 0, v25
	v_cvt_f32_i32_e32 v25, v25
	s_delay_alu instid0(VALU_DEP_2) | instskip(SKIP_1) | instid1(VALU_DEP_2)
	v_ldexp_f32 v28, v28, v30
	v_ldexp_f32 v26, v26, v30
	v_add_f32_e32 v32, 1.0, v28
	s_delay_alu instid0(VALU_DEP_1) | instskip(NEXT) | instid1(VALU_DEP_1)
	v_add_f32_e32 v31, -1.0, v32
	v_dual_sub_f32 v31, v28, v31 :: v_dual_add_f32 v30, -1.0, v28
	s_delay_alu instid0(VALU_DEP_1) | instskip(NEXT) | instid1(VALU_DEP_2)
	v_add_f32_e32 v31, v26, v31
	v_add_f32_e32 v33, 1.0, v30
	s_delay_alu instid0(VALU_DEP_1) | instskip(NEXT) | instid1(VALU_DEP_1)
	v_sub_f32_e32 v28, v28, v33
	v_dual_add_f32 v33, v32, v31 :: v_dual_add_f32 v26, v26, v28
	s_delay_alu instid0(VALU_DEP_1) | instskip(SKIP_1) | instid1(VALU_DEP_1)
	v_rcp_f32_e32 v28, v33
	v_sub_f32_e32 v32, v32, v33
	v_dual_add_f32 v34, v30, v26 :: v_dual_add_f32 v31, v31, v32
	s_delay_alu instid0(TRANS32_DEP_1) | instid1(VALU_DEP_1)
	v_mul_f32_e32 v35, v34, v28
	s_delay_alu instid0(VALU_DEP_1) | instskip(NEXT) | instid1(VALU_DEP_1)
	v_mul_f32_e32 v36, v33, v35
	v_fma_f32 v32, v35, v33, -v36
	s_delay_alu instid0(VALU_DEP_1) | instskip(NEXT) | instid1(VALU_DEP_1)
	v_fmac_f32_e32 v32, v35, v31
	v_dual_add_f32 v37, v36, v32 :: v_dual_sub_f32 v30, v30, v34
	s_delay_alu instid0(VALU_DEP_1) | instskip(NEXT) | instid1(VALU_DEP_2)
	v_sub_f32_e32 v38, v34, v37
	v_add_f32_e32 v26, v26, v30
	v_sub_f32_e32 v30, v37, v36
	s_delay_alu instid0(VALU_DEP_3) | instskip(NEXT) | instid1(VALU_DEP_2)
	v_sub_f32_e32 v34, v34, v38
	v_sub_f32_e32 v30, v30, v32
	s_delay_alu instid0(VALU_DEP_2) | instskip(NEXT) | instid1(VALU_DEP_1)
	v_sub_f32_e32 v34, v34, v37
	v_add_f32_e32 v26, v26, v34
	s_delay_alu instid0(VALU_DEP_1) | instskip(NEXT) | instid1(VALU_DEP_1)
	v_add_f32_e32 v26, v30, v26
	v_add_f32_e32 v30, v38, v26
	s_delay_alu instid0(VALU_DEP_1) | instskip(NEXT) | instid1(VALU_DEP_1)
	v_mul_f32_e32 v32, v28, v30
	v_mul_f32_e32 v34, v33, v32
	s_delay_alu instid0(VALU_DEP_1) | instskip(NEXT) | instid1(VALU_DEP_1)
	v_fma_f32 v33, v32, v33, -v34
	v_fmac_f32_e32 v33, v32, v31
	v_sub_f32_e32 v37, v38, v30
	s_delay_alu instid0(VALU_DEP_2) | instskip(NEXT) | instid1(VALU_DEP_2)
	v_add_f32_e32 v31, v34, v33
	v_add_f32_e32 v26, v26, v37
	s_delay_alu instid0(VALU_DEP_2) | instskip(SKIP_1) | instid1(VALU_DEP_2)
	v_sub_f32_e32 v36, v30, v31
	v_sub_f32_e32 v34, v31, v34
	;; [unrolled: 1-line block ×3, first 2 shown]
	s_delay_alu instid0(VALU_DEP_1) | instskip(NEXT) | instid1(VALU_DEP_3)
	v_sub_f32_e32 v30, v30, v31
	v_sub_f32_e32 v31, v34, v33
	s_delay_alu instid0(VALU_DEP_2) | instskip(SKIP_1) | instid1(VALU_DEP_1)
	v_add_f32_e32 v26, v26, v30
	v_add_f32_e32 v30, v35, v32
	v_dual_add_f32 v26, v31, v26 :: v_dual_sub_f32 v31, v30, v35
	s_delay_alu instid0(VALU_DEP_1) | instskip(NEXT) | instid1(VALU_DEP_2)
	v_add_f32_e32 v26, v36, v26
	v_sub_f32_e32 v31, v32, v31
	s_delay_alu instid0(VALU_DEP_2) | instskip(NEXT) | instid1(VALU_DEP_1)
	v_mul_f32_e32 v26, v28, v26
	v_add_f32_e32 v26, v31, v26
	s_delay_alu instid0(VALU_DEP_1) | instskip(NEXT) | instid1(VALU_DEP_1)
	v_add_f32_e32 v28, v30, v26
	v_mul_f32_e32 v31, v28, v28
	s_wait_alu 0xfffe
	s_delay_alu instid0(VALU_DEP_1) | instskip(SKIP_2) | instid1(VALU_DEP_3)
	v_fmaak_f32 v32, s0, v31, 0x3ecc95a3
	v_mul_f32_e32 v33, v28, v31
	v_cmp_neq_f32_e64 s0, 0x7f800000, v27
	v_fmaak_f32 v31, v31, v32, 0x3f2aaada
	v_ldexp_f32 v32, v28, 1
	s_delay_alu instid0(VALU_DEP_2) | instskip(NEXT) | instid1(VALU_DEP_1)
	v_dual_sub_f32 v28, v28, v30 :: v_dual_mul_f32 v31, v33, v31
	v_dual_mul_f32 v33, 0x3f317218, v25 :: v_dual_sub_f32 v26, v26, v28
	s_delay_alu instid0(VALU_DEP_2) | instskip(NEXT) | instid1(VALU_DEP_2)
	v_add_f32_e32 v30, v32, v31
	v_ldexp_f32 v26, v26, 1
	s_delay_alu instid0(VALU_DEP_2) | instskip(NEXT) | instid1(VALU_DEP_4)
	v_sub_f32_e32 v28, v30, v32
	v_fma_f32 v32, 0x3f317218, v25, -v33
	s_delay_alu instid0(VALU_DEP_1) | instskip(NEXT) | instid1(VALU_DEP_1)
	v_dual_sub_f32 v28, v31, v28 :: v_dual_fmamk_f32 v25, v25, 0xb102e308, v32
	v_add_f32_e32 v26, v26, v28
	s_delay_alu instid0(VALU_DEP_1) | instskip(NEXT) | instid1(VALU_DEP_1)
	v_dual_add_f32 v28, v33, v25 :: v_dual_add_f32 v31, v30, v26
	v_sub_f32_e32 v33, v28, v33
	s_delay_alu instid0(VALU_DEP_2) | instskip(NEXT) | instid1(VALU_DEP_2)
	v_add_f32_e32 v32, v28, v31
	v_dual_sub_f32 v30, v31, v30 :: v_dual_sub_f32 v25, v25, v33
	s_delay_alu instid0(VALU_DEP_2) | instskip(NEXT) | instid1(VALU_DEP_2)
	v_sub_f32_e32 v34, v32, v28
	v_sub_f32_e32 v26, v26, v30
	s_delay_alu instid0(VALU_DEP_2) | instskip(SKIP_1) | instid1(VALU_DEP_2)
	v_sub_f32_e32 v35, v32, v34
	v_sub_f32_e32 v30, v31, v34
	v_dual_add_f32 v31, v25, v26 :: v_dual_sub_f32 v28, v28, v35
	s_delay_alu instid0(VALU_DEP_1) | instskip(NEXT) | instid1(VALU_DEP_2)
	v_add_f32_e32 v28, v30, v28
	v_sub_f32_e32 v30, v31, v25
	s_delay_alu instid0(VALU_DEP_2) | instskip(NEXT) | instid1(VALU_DEP_2)
	v_add_f32_e32 v28, v31, v28
	v_sub_f32_e32 v31, v31, v30
	s_delay_alu instid0(VALU_DEP_2) | instskip(NEXT) | instid1(VALU_DEP_2)
	v_dual_sub_f32 v26, v26, v30 :: v_dual_add_f32 v33, v32, v28
	v_sub_f32_e32 v25, v25, v31
	s_delay_alu instid0(VALU_DEP_1) | instskip(NEXT) | instid1(VALU_DEP_1)
	v_dual_sub_f32 v30, v33, v32 :: v_dual_add_f32 v25, v26, v25
	v_sub_f32_e32 v26, v28, v30
	s_delay_alu instid0(VALU_DEP_1) | instskip(NEXT) | instid1(VALU_DEP_1)
	v_add_f32_e32 v25, v25, v26
	v_add_f32_e32 v25, v33, v25
	s_wait_alu 0xf1ff
	s_delay_alu instid0(VALU_DEP_1) | instskip(SKIP_2) | instid1(VALU_DEP_1)
	v_cndmask_b32_e64 v25, 0x7f800000, v25, s0
	v_cmp_gt_f32_e64 s0, 0x33800000, |v27|
	s_wait_alu 0xf1ff
	v_cndmask_b32_e64 v25, v25, v27, s0
	s_delay_alu instid0(VALU_DEP_1)
	v_add_f32_e32 v26, v1, v25
.LBB498_101:
	s_wait_alu 0xfffe
	s_or_b32 exec_lo, exec_lo, s24
	s_delay_alu instid0(VALU_DEP_1) | instskip(SKIP_2) | instid1(VALU_DEP_2)
	v_bfe_u32 v1, v26, 16, 1
	v_cmp_o_f32_e64 s0, v26, v26
	;;#ASMSTART
	;;#ASMEND
	v_add3_u32 v1, v26, v1, 0x7fff
	s_delay_alu instid0(VALU_DEP_1) | instskip(SKIP_1) | instid1(VALU_DEP_1)
	v_lshrrev_b32_e32 v1, 16, v1
	s_wait_alu 0xf1ff
	v_cndmask_b32_e64 v1, 0x7fc0, v1, s0
	s_delay_alu instid0(VALU_DEP_1) | instskip(NEXT) | instid1(VALU_DEP_1)
	v_lshlrev_b32_e32 v25, 16, v1
	v_max_num_f32_e32 v27, v25, v25
	s_delay_alu instid0(VALU_DEP_1)
	v_min_num_f32_e32 v26, v27, v12
	v_max_num_f32_e32 v27, v27, v12
.LBB498_102:
	s_wait_alu 0xfffe
	s_or_b32 exec_lo, exec_lo, s1
	v_cmp_u_f32_e64 s0, v25, v25
	s_wait_alu 0xf1ff
	s_delay_alu instid0(VALU_DEP_1) | instskip(SKIP_1) | instid1(VALU_DEP_2)
	v_cndmask_b32_e64 v12, v26, v25, s0
	v_cndmask_b32_e64 v26, v27, v25, s0
	;; [unrolled: 1-line block ×3, first 2 shown]
	s_delay_alu instid0(VALU_DEP_2) | instskip(NEXT) | instid1(VALU_DEP_2)
	v_cndmask_b32_e64 v8, v26, v8, s13
	v_cmp_class_f32_e64 s1, v12, 0x1f8
	s_delay_alu instid0(VALU_DEP_2)
	v_cmp_neq_f32_e64 s0, v12, v8
	s_or_b32 s0, s0, s1
	s_wait_alu 0xfffe
	s_and_saveexec_b32 s1, s0
	s_cbranch_execz .LBB498_104
; %bb.103:
	v_sub_f32_e32 v12, v12, v8
	s_delay_alu instid0(VALU_DEP_1) | instskip(NEXT) | instid1(VALU_DEP_1)
	v_mul_f32_e32 v25, 0x3fb8aa3b, v12
	v_fma_f32 v26, 0x3fb8aa3b, v12, -v25
	v_rndne_f32_e32 v27, v25
	s_delay_alu instid0(VALU_DEP_1) | instskip(SKIP_1) | instid1(VALU_DEP_2)
	v_dual_sub_f32 v25, v25, v27 :: v_dual_fmamk_f32 v26, v12, 0x32a5705f, v26
	v_cmp_ngt_f32_e64 s0, 0xc2ce8ed0, v12
	v_add_f32_e32 v25, v25, v26
	v_cvt_i32_f32_e32 v26, v27
	s_delay_alu instid0(VALU_DEP_2) | instskip(NEXT) | instid1(TRANS32_DEP_1)
	v_exp_f32_e32 v25, v25
	v_ldexp_f32 v25, v25, v26
	s_wait_alu 0xf1ff
	s_delay_alu instid0(VALU_DEP_1) | instskip(SKIP_2) | instid1(VALU_DEP_1)
	v_cndmask_b32_e64 v25, 0, v25, s0
	v_cmp_nlt_f32_e64 s0, 0x42b17218, v12
	s_wait_alu 0xf1ff
	v_cndmask_b32_e64 v12, 0x7f800000, v25, s0
	s_delay_alu instid0(VALU_DEP_1) | instskip(NEXT) | instid1(VALU_DEP_1)
	v_add_f32_e32 v27, 1.0, v12
	v_cvt_f64_f32_e32 v[25:26], v27
	s_delay_alu instid0(VALU_DEP_1) | instskip(SKIP_1) | instid1(VALU_DEP_1)
	v_frexp_exp_i32_f64_e32 v25, v[25:26]
	v_frexp_mant_f32_e32 v26, v27
	v_cmp_gt_f32_e64 s0, 0x3f2aaaab, v26
	v_add_f32_e32 v26, -1.0, v27
	s_delay_alu instid0(VALU_DEP_1) | instskip(SKIP_1) | instid1(VALU_DEP_3)
	v_sub_f32_e32 v30, v26, v27
	s_wait_alu 0xf1ff
	v_subrev_co_ci_u32_e64 v25, null, 0, v25, s0
	s_mov_b32 s0, 0x3e9b6dac
	v_sub_nc_u32_e32 v28, 0, v25
	v_cvt_f32_i32_e32 v25, v25
	s_delay_alu instid0(VALU_DEP_2) | instskip(SKIP_1) | instid1(VALU_DEP_2)
	v_ldexp_f32 v27, v27, v28
	v_sub_f32_e32 v26, v12, v26
	v_dual_add_f32 v30, 1.0, v30 :: v_dual_add_f32 v31, 1.0, v27
	s_delay_alu instid0(VALU_DEP_1) | instskip(NEXT) | instid1(VALU_DEP_1)
	v_add_f32_e32 v26, v26, v30
	v_ldexp_f32 v26, v26, v28
	v_add_f32_e32 v28, -1.0, v27
	s_delay_alu instid0(VALU_DEP_4) | instskip(NEXT) | instid1(VALU_DEP_2)
	v_add_f32_e32 v30, -1.0, v31
	v_add_f32_e32 v32, 1.0, v28
	s_delay_alu instid0(VALU_DEP_2) | instskip(NEXT) | instid1(VALU_DEP_1)
	v_sub_f32_e32 v30, v27, v30
	v_dual_sub_f32 v27, v27, v32 :: v_dual_add_f32 v30, v26, v30
	s_delay_alu instid0(VALU_DEP_1) | instskip(NEXT) | instid1(VALU_DEP_2)
	v_add_f32_e32 v26, v26, v27
	v_add_f32_e32 v32, v31, v30
	s_delay_alu instid0(VALU_DEP_2) | instskip(NEXT) | instid1(VALU_DEP_2)
	v_add_f32_e32 v33, v28, v26
	v_rcp_f32_e32 v27, v32
	v_sub_f32_e32 v31, v31, v32
	s_delay_alu instid0(VALU_DEP_1) | instskip(NEXT) | instid1(TRANS32_DEP_1)
	v_add_f32_e32 v30, v30, v31
	v_mul_f32_e32 v34, v33, v27
	s_delay_alu instid0(VALU_DEP_1) | instskip(SKIP_1) | instid1(VALU_DEP_2)
	v_mul_f32_e32 v35, v32, v34
	v_sub_f32_e32 v28, v28, v33
	v_fma_f32 v31, v34, v32, -v35
	s_delay_alu instid0(VALU_DEP_2) | instskip(NEXT) | instid1(VALU_DEP_2)
	v_add_f32_e32 v26, v26, v28
	v_fmac_f32_e32 v31, v34, v30
	s_delay_alu instid0(VALU_DEP_1) | instskip(NEXT) | instid1(VALU_DEP_1)
	v_add_f32_e32 v36, v35, v31
	v_dual_sub_f32 v37, v33, v36 :: v_dual_sub_f32 v28, v36, v35
	s_delay_alu instid0(VALU_DEP_1) | instskip(NEXT) | instid1(VALU_DEP_1)
	v_dual_sub_f32 v33, v33, v37 :: v_dual_sub_f32 v28, v28, v31
	v_sub_f32_e32 v33, v33, v36
	s_delay_alu instid0(VALU_DEP_1) | instskip(NEXT) | instid1(VALU_DEP_1)
	v_add_f32_e32 v26, v26, v33
	v_add_f32_e32 v26, v28, v26
	s_delay_alu instid0(VALU_DEP_1) | instskip(NEXT) | instid1(VALU_DEP_1)
	v_add_f32_e32 v28, v37, v26
	v_mul_f32_e32 v31, v27, v28
	s_delay_alu instid0(VALU_DEP_1) | instskip(NEXT) | instid1(VALU_DEP_1)
	v_dual_sub_f32 v36, v37, v28 :: v_dual_mul_f32 v33, v32, v31
	v_add_f32_e32 v26, v26, v36
	s_delay_alu instid0(VALU_DEP_2) | instskip(NEXT) | instid1(VALU_DEP_1)
	v_fma_f32 v32, v31, v32, -v33
	v_fmac_f32_e32 v32, v31, v30
	s_delay_alu instid0(VALU_DEP_1) | instskip(NEXT) | instid1(VALU_DEP_1)
	v_add_f32_e32 v30, v33, v32
	v_sub_f32_e32 v35, v28, v30
	s_delay_alu instid0(VALU_DEP_1) | instskip(NEXT) | instid1(VALU_DEP_1)
	v_dual_sub_f32 v33, v30, v33 :: v_dual_sub_f32 v28, v28, v35
	v_sub_f32_e32 v28, v28, v30
	s_delay_alu instid0(VALU_DEP_2) | instskip(NEXT) | instid1(VALU_DEP_2)
	v_sub_f32_e32 v30, v33, v32
	v_add_f32_e32 v26, v26, v28
	v_add_f32_e32 v28, v34, v31
	s_delay_alu instid0(VALU_DEP_2) | instskip(NEXT) | instid1(VALU_DEP_2)
	v_add_f32_e32 v26, v30, v26
	v_sub_f32_e32 v30, v28, v34
	s_delay_alu instid0(VALU_DEP_2) | instskip(NEXT) | instid1(VALU_DEP_2)
	v_add_f32_e32 v26, v35, v26
	v_sub_f32_e32 v30, v31, v30
	s_delay_alu instid0(VALU_DEP_2) | instskip(NEXT) | instid1(VALU_DEP_1)
	v_mul_f32_e32 v26, v27, v26
	v_add_f32_e32 v26, v30, v26
	s_delay_alu instid0(VALU_DEP_1) | instskip(NEXT) | instid1(VALU_DEP_1)
	v_add_f32_e32 v27, v28, v26
	v_mul_f32_e32 v30, v27, v27
	s_wait_alu 0xfffe
	s_delay_alu instid0(VALU_DEP_1) | instskip(SKIP_2) | instid1(VALU_DEP_3)
	v_fmaak_f32 v31, s0, v30, 0x3ecc95a3
	v_mul_f32_e32 v32, v27, v30
	v_cmp_neq_f32_e64 s0, 0x7f800000, v12
	v_fmaak_f32 v30, v30, v31, 0x3f2aaada
	v_ldexp_f32 v31, v27, 1
	s_delay_alu instid0(VALU_DEP_2) | instskip(SKIP_1) | instid1(VALU_DEP_2)
	v_dual_sub_f32 v27, v27, v28 :: v_dual_mul_f32 v30, v32, v30
	v_mul_f32_e32 v32, 0x3f317218, v25
	v_sub_f32_e32 v26, v26, v27
	s_delay_alu instid0(VALU_DEP_3) | instskip(NEXT) | instid1(VALU_DEP_2)
	v_add_f32_e32 v28, v31, v30
	v_ldexp_f32 v26, v26, 1
	s_delay_alu instid0(VALU_DEP_2) | instskip(SKIP_1) | instid1(VALU_DEP_2)
	v_sub_f32_e32 v27, v28, v31
	v_fma_f32 v31, 0x3f317218, v25, -v32
	v_sub_f32_e32 v27, v30, v27
	s_delay_alu instid0(VALU_DEP_1) | instskip(NEXT) | instid1(VALU_DEP_1)
	v_dual_fmamk_f32 v25, v25, 0xb102e308, v31 :: v_dual_add_f32 v26, v26, v27
	v_add_f32_e32 v27, v32, v25
	s_delay_alu instid0(VALU_DEP_2) | instskip(NEXT) | instid1(VALU_DEP_2)
	v_add_f32_e32 v30, v28, v26
	v_sub_f32_e32 v32, v27, v32
	s_delay_alu instid0(VALU_DEP_2) | instskip(NEXT) | instid1(VALU_DEP_2)
	v_dual_add_f32 v31, v27, v30 :: v_dual_sub_f32 v28, v30, v28
	v_sub_f32_e32 v25, v25, v32
	s_delay_alu instid0(VALU_DEP_2) | instskip(NEXT) | instid1(VALU_DEP_1)
	v_dual_sub_f32 v33, v31, v27 :: v_dual_sub_f32 v26, v26, v28
	v_sub_f32_e32 v34, v31, v33
	v_sub_f32_e32 v28, v30, v33
	s_delay_alu instid0(VALU_DEP_3) | instskip(NEXT) | instid1(VALU_DEP_3)
	v_add_f32_e32 v30, v25, v26
	v_sub_f32_e32 v27, v27, v34
	s_delay_alu instid0(VALU_DEP_1) | instskip(NEXT) | instid1(VALU_DEP_1)
	v_dual_add_f32 v27, v28, v27 :: v_dual_sub_f32 v28, v30, v25
	v_add_f32_e32 v27, v30, v27
	s_delay_alu instid0(VALU_DEP_2) | instskip(SKIP_1) | instid1(VALU_DEP_2)
	v_sub_f32_e32 v30, v30, v28
	v_sub_f32_e32 v26, v26, v28
	v_dual_add_f32 v32, v31, v27 :: v_dual_sub_f32 v25, v25, v30
	s_delay_alu instid0(VALU_DEP_1) | instskip(NEXT) | instid1(VALU_DEP_1)
	v_dual_sub_f32 v28, v32, v31 :: v_dual_add_f32 v25, v26, v25
	v_sub_f32_e32 v26, v27, v28
	s_delay_alu instid0(VALU_DEP_1) | instskip(NEXT) | instid1(VALU_DEP_1)
	v_add_f32_e32 v25, v25, v26
	v_add_f32_e32 v25, v32, v25
	s_wait_alu 0xf1ff
	s_delay_alu instid0(VALU_DEP_1) | instskip(SKIP_2) | instid1(VALU_DEP_1)
	v_cndmask_b32_e64 v25, 0x7f800000, v25, s0
	v_cmp_gt_f32_e64 s0, 0x33800000, |v12|
	s_wait_alu 0xf1ff
	v_cndmask_b32_e64 v12, v25, v12, s0
	s_delay_alu instid0(VALU_DEP_1)
	v_add_f32_e32 v25, v8, v12
.LBB498_104:
	s_wait_alu 0xfffe
	s_or_b32 exec_lo, exec_lo, s1
	s_delay_alu instid0(VALU_DEP_1) | instskip(SKIP_1) | instid1(VALU_DEP_2)
	v_bfe_u32 v8, v25, 16, 1
	v_cmp_o_f32_e64 s0, v25, v25
	v_add3_u32 v8, v25, v8, 0x7fff
	s_delay_alu instid0(VALU_DEP_1) | instskip(SKIP_1) | instid1(VALU_DEP_1)
	v_lshrrev_b32_e32 v8, 16, v8
	s_wait_alu 0xf1ff
	v_cndmask_b32_e64 v8, 0x7fc0, v8, s0
	s_delay_alu instid0(VALU_DEP_1) | instskip(NEXT) | instid1(VALU_DEP_1)
	v_lshlrev_b32_e32 v12, 16, v8
	v_max_num_f32_e32 v25, v12, v12
	s_delay_alu instid0(VALU_DEP_1) | instskip(SKIP_3) | instid1(VALU_DEP_1)
	v_min_num_f32_e32 v26, v25, v11
	v_max_num_f32_e32 v11, v25, v11
	v_cmp_u_f32_e64 s0, v12, v12
	s_wait_alu 0xf1ff
	v_cndmask_b32_e64 v25, v26, v12, s0
	s_delay_alu instid0(VALU_DEP_3) | instskip(NEXT) | instid1(VALU_DEP_2)
	v_cndmask_b32_e64 v26, v11, v12, s0
	v_cndmask_b32_e64 v11, v25, v9, s14
	s_delay_alu instid0(VALU_DEP_2) | instskip(NEXT) | instid1(VALU_DEP_2)
	v_cndmask_b32_e64 v9, v26, v9, s14
	v_cmp_class_f32_e64 s1, v11, 0x1f8
	s_delay_alu instid0(VALU_DEP_2)
	v_cmp_neq_f32_e64 s0, v11, v9
	s_or_b32 s0, s0, s1
	s_wait_alu 0xfffe
	s_and_saveexec_b32 s1, s0
	s_cbranch_execz .LBB498_106
; %bb.105:
	v_sub_f32_e32 v11, v11, v9
	s_delay_alu instid0(VALU_DEP_1) | instskip(NEXT) | instid1(VALU_DEP_1)
	v_mul_f32_e32 v12, 0x3fb8aa3b, v11
	v_fma_f32 v25, 0x3fb8aa3b, v11, -v12
	v_rndne_f32_e32 v26, v12
	s_delay_alu instid0(VALU_DEP_1) | instskip(SKIP_1) | instid1(VALU_DEP_2)
	v_dual_sub_f32 v12, v12, v26 :: v_dual_fmamk_f32 v25, v11, 0x32a5705f, v25
	v_cmp_ngt_f32_e64 s0, 0xc2ce8ed0, v11
	v_add_f32_e32 v12, v12, v25
	v_cvt_i32_f32_e32 v25, v26
	s_delay_alu instid0(VALU_DEP_2) | instskip(NEXT) | instid1(TRANS32_DEP_1)
	v_exp_f32_e32 v12, v12
	v_ldexp_f32 v12, v12, v25
	s_wait_alu 0xf1ff
	s_delay_alu instid0(VALU_DEP_1) | instskip(SKIP_2) | instid1(VALU_DEP_1)
	v_cndmask_b32_e64 v12, 0, v12, s0
	v_cmp_nlt_f32_e64 s0, 0x42b17218, v11
	s_wait_alu 0xf1ff
	v_cndmask_b32_e64 v25, 0x7f800000, v12, s0
	s_delay_alu instid0(VALU_DEP_1) | instskip(NEXT) | instid1(VALU_DEP_1)
	v_add_f32_e32 v26, 1.0, v25
	v_cvt_f64_f32_e32 v[11:12], v26
	s_delay_alu instid0(VALU_DEP_1) | instskip(SKIP_1) | instid1(VALU_DEP_1)
	v_frexp_exp_i32_f64_e32 v11, v[11:12]
	v_frexp_mant_f32_e32 v12, v26
	v_cmp_gt_f32_e64 s0, 0x3f2aaaab, v12
	v_add_f32_e32 v12, -1.0, v26
	s_delay_alu instid0(VALU_DEP_1) | instskip(SKIP_1) | instid1(VALU_DEP_2)
	v_sub_f32_e32 v28, v12, v26
	v_sub_f32_e32 v12, v25, v12
	v_add_f32_e32 v28, 1.0, v28
	s_delay_alu instid0(VALU_DEP_1)
	v_add_f32_e32 v12, v12, v28
	s_wait_alu 0xf1ff
	v_subrev_co_ci_u32_e64 v11, null, 0, v11, s0
	s_mov_b32 s0, 0x3e9b6dac
	v_sub_nc_u32_e32 v27, 0, v11
	v_cvt_f32_i32_e32 v11, v11
	s_delay_alu instid0(VALU_DEP_2) | instskip(SKIP_1) | instid1(VALU_DEP_2)
	v_ldexp_f32 v26, v26, v27
	v_ldexp_f32 v12, v12, v27
	v_add_f32_e32 v30, 1.0, v26
	v_add_f32_e32 v27, -1.0, v26
	s_delay_alu instid0(VALU_DEP_1) | instskip(NEXT) | instid1(VALU_DEP_1)
	v_dual_add_f32 v28, -1.0, v30 :: v_dual_add_f32 v31, 1.0, v27
	v_sub_f32_e32 v28, v26, v28
	s_delay_alu instid0(VALU_DEP_2) | instskip(NEXT) | instid1(VALU_DEP_2)
	v_sub_f32_e32 v26, v26, v31
	v_add_f32_e32 v28, v12, v28
	s_delay_alu instid0(VALU_DEP_1) | instskip(NEXT) | instid1(VALU_DEP_1)
	v_add_f32_e32 v31, v30, v28
	v_sub_f32_e32 v30, v30, v31
	s_delay_alu instid0(VALU_DEP_1) | instskip(SKIP_2) | instid1(VALU_DEP_1)
	v_add_f32_e32 v28, v28, v30
	v_add_f32_e32 v12, v12, v26
	v_rcp_f32_e32 v26, v31
	v_add_f32_e32 v32, v27, v12
	s_delay_alu instid0(VALU_DEP_1) | instskip(NEXT) | instid1(TRANS32_DEP_1)
	v_sub_f32_e32 v27, v27, v32
	v_mul_f32_e32 v33, v32, v26
	s_delay_alu instid0(VALU_DEP_2) | instskip(NEXT) | instid1(VALU_DEP_2)
	v_add_f32_e32 v12, v12, v27
	v_mul_f32_e32 v34, v31, v33
	s_delay_alu instid0(VALU_DEP_1) | instskip(NEXT) | instid1(VALU_DEP_1)
	v_fma_f32 v30, v33, v31, -v34
	v_fmac_f32_e32 v30, v33, v28
	s_delay_alu instid0(VALU_DEP_1) | instskip(NEXT) | instid1(VALU_DEP_1)
	v_add_f32_e32 v35, v34, v30
	v_dual_sub_f32 v36, v32, v35 :: v_dual_sub_f32 v27, v35, v34
	s_delay_alu instid0(VALU_DEP_1) | instskip(NEXT) | instid1(VALU_DEP_1)
	v_dual_sub_f32 v32, v32, v36 :: v_dual_sub_f32 v27, v27, v30
	v_sub_f32_e32 v32, v32, v35
	s_delay_alu instid0(VALU_DEP_1) | instskip(NEXT) | instid1(VALU_DEP_1)
	v_add_f32_e32 v12, v12, v32
	v_add_f32_e32 v12, v27, v12
	s_delay_alu instid0(VALU_DEP_1) | instskip(NEXT) | instid1(VALU_DEP_1)
	v_add_f32_e32 v27, v36, v12
	v_mul_f32_e32 v30, v26, v27
	s_delay_alu instid0(VALU_DEP_1) | instskip(NEXT) | instid1(VALU_DEP_1)
	v_dual_sub_f32 v35, v36, v27 :: v_dual_mul_f32 v32, v31, v30
	v_add_f32_e32 v12, v12, v35
	s_delay_alu instid0(VALU_DEP_2) | instskip(NEXT) | instid1(VALU_DEP_1)
	v_fma_f32 v31, v30, v31, -v32
	v_fmac_f32_e32 v31, v30, v28
	s_delay_alu instid0(VALU_DEP_1) | instskip(NEXT) | instid1(VALU_DEP_1)
	v_add_f32_e32 v28, v32, v31
	v_sub_f32_e32 v34, v27, v28
	s_delay_alu instid0(VALU_DEP_1) | instskip(NEXT) | instid1(VALU_DEP_1)
	v_dual_sub_f32 v32, v28, v32 :: v_dual_sub_f32 v27, v27, v34
	v_dual_sub_f32 v27, v27, v28 :: v_dual_sub_f32 v28, v32, v31
	s_delay_alu instid0(VALU_DEP_1) | instskip(NEXT) | instid1(VALU_DEP_1)
	v_dual_add_f32 v12, v12, v27 :: v_dual_add_f32 v27, v33, v30
	v_add_f32_e32 v12, v28, v12
	s_delay_alu instid0(VALU_DEP_2) | instskip(NEXT) | instid1(VALU_DEP_2)
	v_sub_f32_e32 v28, v27, v33
	v_add_f32_e32 v12, v34, v12
	s_delay_alu instid0(VALU_DEP_2) | instskip(NEXT) | instid1(VALU_DEP_2)
	v_sub_f32_e32 v28, v30, v28
	v_mul_f32_e32 v12, v26, v12
	s_delay_alu instid0(VALU_DEP_1) | instskip(NEXT) | instid1(VALU_DEP_1)
	v_add_f32_e32 v12, v28, v12
	v_add_f32_e32 v26, v27, v12
	s_delay_alu instid0(VALU_DEP_1) | instskip(SKIP_1) | instid1(VALU_DEP_1)
	v_mul_f32_e32 v28, v26, v26
	s_wait_alu 0xfffe
	v_fmaak_f32 v30, s0, v28, 0x3ecc95a3
	v_mul_f32_e32 v31, v26, v28
	v_cmp_neq_f32_e64 s0, 0x7f800000, v25
	s_delay_alu instid0(VALU_DEP_3) | instskip(SKIP_2) | instid1(VALU_DEP_3)
	v_fmaak_f32 v28, v28, v30, 0x3f2aaada
	v_ldexp_f32 v30, v26, 1
	v_sub_f32_e32 v26, v26, v27
	v_dual_mul_f32 v28, v31, v28 :: v_dual_mul_f32 v31, 0x3f317218, v11
	s_delay_alu instid0(VALU_DEP_1) | instskip(NEXT) | instid1(VALU_DEP_1)
	v_dual_sub_f32 v12, v12, v26 :: v_dual_add_f32 v27, v30, v28
	v_ldexp_f32 v12, v12, 1
	s_delay_alu instid0(VALU_DEP_2) | instskip(NEXT) | instid1(VALU_DEP_4)
	v_sub_f32_e32 v26, v27, v30
	v_fma_f32 v30, 0x3f317218, v11, -v31
	s_delay_alu instid0(VALU_DEP_1) | instskip(NEXT) | instid1(VALU_DEP_1)
	v_dual_sub_f32 v26, v28, v26 :: v_dual_fmamk_f32 v11, v11, 0xb102e308, v30
	v_add_f32_e32 v12, v12, v26
	s_delay_alu instid0(VALU_DEP_2) | instskip(NEXT) | instid1(VALU_DEP_1)
	v_add_f32_e32 v26, v31, v11
	v_dual_add_f32 v28, v27, v12 :: v_dual_sub_f32 v31, v26, v31
	s_delay_alu instid0(VALU_DEP_1) | instskip(NEXT) | instid1(VALU_DEP_1)
	v_dual_add_f32 v30, v26, v28 :: v_dual_sub_f32 v27, v28, v27
	v_dual_sub_f32 v11, v11, v31 :: v_dual_sub_f32 v32, v30, v26
	s_delay_alu instid0(VALU_DEP_1) | instskip(SKIP_1) | instid1(VALU_DEP_2)
	v_dual_sub_f32 v12, v12, v27 :: v_dual_sub_f32 v33, v30, v32
	v_sub_f32_e32 v27, v28, v32
	v_add_f32_e32 v28, v11, v12
	s_delay_alu instid0(VALU_DEP_3) | instskip(NEXT) | instid1(VALU_DEP_1)
	v_sub_f32_e32 v26, v26, v33
	v_dual_add_f32 v26, v27, v26 :: v_dual_sub_f32 v27, v28, v11
	s_delay_alu instid0(VALU_DEP_1) | instskip(NEXT) | instid1(VALU_DEP_2)
	v_add_f32_e32 v26, v28, v26
	v_sub_f32_e32 v28, v28, v27
	s_delay_alu instid0(VALU_DEP_2) | instskip(NEXT) | instid1(VALU_DEP_2)
	v_dual_sub_f32 v12, v12, v27 :: v_dual_add_f32 v31, v30, v26
	v_sub_f32_e32 v11, v11, v28
	s_delay_alu instid0(VALU_DEP_2) | instskip(NEXT) | instid1(VALU_DEP_2)
	v_sub_f32_e32 v27, v31, v30
	v_add_f32_e32 v11, v12, v11
	s_delay_alu instid0(VALU_DEP_2) | instskip(NEXT) | instid1(VALU_DEP_1)
	v_sub_f32_e32 v12, v26, v27
	v_add_f32_e32 v11, v11, v12
	s_delay_alu instid0(VALU_DEP_1) | instskip(SKIP_1) | instid1(VALU_DEP_1)
	v_add_f32_e32 v11, v31, v11
	s_wait_alu 0xf1ff
	v_cndmask_b32_e64 v11, 0x7f800000, v11, s0
	v_cmp_gt_f32_e64 s0, 0x33800000, |v25|
	s_wait_alu 0xf1ff
	s_delay_alu instid0(VALU_DEP_1) | instskip(NEXT) | instid1(VALU_DEP_1)
	v_cndmask_b32_e64 v11, v11, v25, s0
	v_add_f32_e32 v12, v9, v11
.LBB498_106:
	s_wait_alu 0xfffe
	s_or_b32 exec_lo, exec_lo, s1
	s_delay_alu instid0(VALU_DEP_1) | instskip(SKIP_1) | instid1(VALU_DEP_2)
	v_bfe_u32 v9, v12, 16, 1
	v_cmp_o_f32_e64 s0, v12, v12
	v_add3_u32 v9, v12, v9, 0x7fff
	s_delay_alu instid0(VALU_DEP_1) | instskip(SKIP_1) | instid1(VALU_DEP_1)
	v_lshrrev_b32_e32 v9, 16, v9
	s_wait_alu 0xf1ff
	v_cndmask_b32_e64 v9, 0x7fc0, v9, s0
	s_delay_alu instid0(VALU_DEP_1) | instskip(NEXT) | instid1(VALU_DEP_1)
	v_lshlrev_b32_e32 v11, 16, v9
	v_max_num_f32_e32 v12, v11, v11
	v_cmp_u_f32_e64 s0, v11, v11
	s_delay_alu instid0(VALU_DEP_2) | instskip(SKIP_2) | instid1(VALU_DEP_2)
	v_min_num_f32_e32 v25, v12, v13
	v_max_num_f32_e32 v12, v12, v13
	s_wait_alu 0xf1ff
	v_cndmask_b32_e64 v13, v25, v11, s0
	s_delay_alu instid0(VALU_DEP_2) | instskip(NEXT) | instid1(VALU_DEP_2)
	v_cndmask_b32_e64 v25, v12, v11, s0
	v_cndmask_b32_e64 v12, v13, v2, s15
	s_delay_alu instid0(VALU_DEP_2) | instskip(NEXT) | instid1(VALU_DEP_2)
	v_cndmask_b32_e64 v2, v25, v2, s15
	v_cmp_class_f32_e64 s1, v12, 0x1f8
	s_delay_alu instid0(VALU_DEP_2)
	v_cmp_neq_f32_e64 s0, v12, v2
	s_or_b32 s0, s0, s1
	s_wait_alu 0xfffe
	s_and_saveexec_b32 s1, s0
	s_cbranch_execz .LBB498_108
; %bb.107:
	v_sub_f32_e32 v11, v12, v2
	s_delay_alu instid0(VALU_DEP_1) | instskip(SKIP_1) | instid1(VALU_DEP_2)
	v_mul_f32_e32 v12, 0x3fb8aa3b, v11
	v_cmp_ngt_f32_e64 s0, 0xc2ce8ed0, v11
	v_fma_f32 v13, 0x3fb8aa3b, v11, -v12
	v_rndne_f32_e32 v25, v12
	s_delay_alu instid0(VALU_DEP_1) | instskip(NEXT) | instid1(VALU_DEP_1)
	v_dual_fmamk_f32 v13, v11, 0x32a5705f, v13 :: v_dual_sub_f32 v12, v12, v25
	v_add_f32_e32 v12, v12, v13
	v_cvt_i32_f32_e32 v13, v25
	s_delay_alu instid0(VALU_DEP_2) | instskip(NEXT) | instid1(TRANS32_DEP_1)
	v_exp_f32_e32 v12, v12
	v_ldexp_f32 v12, v12, v13
	s_wait_alu 0xf1ff
	s_delay_alu instid0(VALU_DEP_1) | instskip(SKIP_2) | instid1(VALU_DEP_1)
	v_cndmask_b32_e64 v12, 0, v12, s0
	v_cmp_nlt_f32_e64 s0, 0x42b17218, v11
	s_wait_alu 0xf1ff
	v_cndmask_b32_e64 v13, 0x7f800000, v12, s0
	s_delay_alu instid0(VALU_DEP_1) | instskip(NEXT) | instid1(VALU_DEP_1)
	v_add_f32_e32 v25, 1.0, v13
	v_cvt_f64_f32_e32 v[11:12], v25
	s_delay_alu instid0(VALU_DEP_1) | instskip(SKIP_1) | instid1(VALU_DEP_1)
	v_frexp_exp_i32_f64_e32 v11, v[11:12]
	v_frexp_mant_f32_e32 v12, v25
	v_cmp_gt_f32_e64 s0, 0x3f2aaaab, v12
	v_add_f32_e32 v12, -1.0, v25
	s_delay_alu instid0(VALU_DEP_1) | instskip(NEXT) | instid1(VALU_DEP_1)
	v_dual_sub_f32 v27, v12, v25 :: v_dual_sub_f32 v12, v13, v12
	v_add_f32_e32 v27, 1.0, v27
	s_wait_alu 0xf1ff
	v_subrev_co_ci_u32_e64 v11, null, 0, v11, s0
	s_mov_b32 s0, 0x3e9b6dac
	v_sub_nc_u32_e32 v26, 0, v11
	v_cvt_f32_i32_e32 v11, v11
	s_delay_alu instid0(VALU_DEP_2) | instskip(NEXT) | instid1(VALU_DEP_1)
	v_ldexp_f32 v25, v25, v26
	v_add_f32_e32 v28, 1.0, v25
	s_delay_alu instid0(VALU_DEP_1) | instskip(NEXT) | instid1(VALU_DEP_1)
	v_dual_add_f32 v12, v12, v27 :: v_dual_add_f32 v27, -1.0, v28
	v_ldexp_f32 v12, v12, v26
	s_delay_alu instid0(VALU_DEP_2) | instskip(NEXT) | instid1(VALU_DEP_1)
	v_dual_sub_f32 v27, v25, v27 :: v_dual_add_f32 v26, -1.0, v25
	v_dual_add_f32 v27, v12, v27 :: v_dual_add_f32 v30, 1.0, v26
	s_delay_alu instid0(VALU_DEP_1) | instskip(NEXT) | instid1(VALU_DEP_1)
	v_dual_sub_f32 v25, v25, v30 :: v_dual_add_f32 v30, v28, v27
	v_add_f32_e32 v12, v12, v25
	s_delay_alu instid0(VALU_DEP_2) | instskip(NEXT) | instid1(VALU_DEP_1)
	v_rcp_f32_e32 v25, v30
	v_dual_add_f32 v31, v26, v12 :: v_dual_sub_f32 v28, v28, v30
	s_delay_alu instid0(VALU_DEP_1) | instskip(NEXT) | instid1(TRANS32_DEP_1)
	v_dual_sub_f32 v26, v26, v31 :: v_dual_add_f32 v27, v27, v28
	v_mul_f32_e32 v32, v31, v25
	s_delay_alu instid0(VALU_DEP_1) | instskip(NEXT) | instid1(VALU_DEP_1)
	v_dual_mul_f32 v33, v30, v32 :: v_dual_add_f32 v12, v12, v26
	v_fma_f32 v28, v32, v30, -v33
	s_delay_alu instid0(VALU_DEP_1) | instskip(NEXT) | instid1(VALU_DEP_1)
	v_fmac_f32_e32 v28, v32, v27
	v_add_f32_e32 v34, v33, v28
	s_delay_alu instid0(VALU_DEP_1) | instskip(NEXT) | instid1(VALU_DEP_1)
	v_sub_f32_e32 v35, v31, v34
	v_dual_sub_f32 v31, v31, v35 :: v_dual_sub_f32 v26, v34, v33
	s_delay_alu instid0(VALU_DEP_1) | instskip(NEXT) | instid1(VALU_DEP_1)
	v_dual_sub_f32 v31, v31, v34 :: v_dual_sub_f32 v26, v26, v28
	v_add_f32_e32 v12, v12, v31
	s_delay_alu instid0(VALU_DEP_1) | instskip(NEXT) | instid1(VALU_DEP_1)
	v_add_f32_e32 v12, v26, v12
	v_add_f32_e32 v26, v35, v12
	s_delay_alu instid0(VALU_DEP_1) | instskip(NEXT) | instid1(VALU_DEP_1)
	v_mul_f32_e32 v28, v25, v26
	v_dual_sub_f32 v34, v35, v26 :: v_dual_mul_f32 v31, v30, v28
	s_delay_alu instid0(VALU_DEP_1) | instskip(NEXT) | instid1(VALU_DEP_2)
	v_add_f32_e32 v12, v12, v34
	v_fma_f32 v30, v28, v30, -v31
	s_delay_alu instid0(VALU_DEP_1) | instskip(NEXT) | instid1(VALU_DEP_1)
	v_fmac_f32_e32 v30, v28, v27
	v_add_f32_e32 v27, v31, v30
	s_delay_alu instid0(VALU_DEP_1) | instskip(NEXT) | instid1(VALU_DEP_1)
	v_sub_f32_e32 v33, v26, v27
	v_dual_sub_f32 v31, v27, v31 :: v_dual_sub_f32 v26, v26, v33
	s_delay_alu instid0(VALU_DEP_1) | instskip(NEXT) | instid1(VALU_DEP_1)
	v_dual_sub_f32 v26, v26, v27 :: v_dual_sub_f32 v27, v31, v30
	v_add_f32_e32 v12, v12, v26
	v_add_f32_e32 v26, v32, v28
	s_delay_alu instid0(VALU_DEP_2) | instskip(NEXT) | instid1(VALU_DEP_2)
	v_add_f32_e32 v12, v27, v12
	v_sub_f32_e32 v27, v26, v32
	s_delay_alu instid0(VALU_DEP_1) | instskip(NEXT) | instid1(VALU_DEP_1)
	v_dual_add_f32 v12, v33, v12 :: v_dual_sub_f32 v27, v28, v27
	v_mul_f32_e32 v12, v25, v12
	s_delay_alu instid0(VALU_DEP_1) | instskip(NEXT) | instid1(VALU_DEP_1)
	v_add_f32_e32 v12, v27, v12
	v_add_f32_e32 v25, v26, v12
	s_delay_alu instid0(VALU_DEP_1) | instskip(SKIP_1) | instid1(VALU_DEP_1)
	v_mul_f32_e32 v27, v25, v25
	s_wait_alu 0xfffe
	v_fmaak_f32 v28, s0, v27, 0x3ecc95a3
	v_mul_f32_e32 v30, v25, v27
	v_cmp_neq_f32_e64 s0, 0x7f800000, v13
	s_delay_alu instid0(VALU_DEP_3) | instskip(SKIP_2) | instid1(VALU_DEP_3)
	v_fmaak_f32 v27, v27, v28, 0x3f2aaada
	v_ldexp_f32 v28, v25, 1
	v_sub_f32_e32 v25, v25, v26
	v_mul_f32_e32 v27, v30, v27
	v_mul_f32_e32 v30, 0x3f317218, v11
	s_delay_alu instid0(VALU_DEP_3) | instskip(NEXT) | instid1(VALU_DEP_3)
	v_sub_f32_e32 v12, v12, v25
	v_add_f32_e32 v26, v28, v27
	s_delay_alu instid0(VALU_DEP_2) | instskip(NEXT) | instid1(VALU_DEP_2)
	v_ldexp_f32 v12, v12, 1
	v_sub_f32_e32 v25, v26, v28
	v_fma_f32 v28, 0x3f317218, v11, -v30
	s_delay_alu instid0(VALU_DEP_2) | instskip(NEXT) | instid1(VALU_DEP_1)
	v_sub_f32_e32 v25, v27, v25
	v_dual_fmamk_f32 v11, v11, 0xb102e308, v28 :: v_dual_add_f32 v12, v12, v25
	s_delay_alu instid0(VALU_DEP_1) | instskip(NEXT) | instid1(VALU_DEP_1)
	v_add_f32_e32 v25, v30, v11
	v_dual_add_f32 v27, v26, v12 :: v_dual_sub_f32 v30, v25, v30
	s_delay_alu instid0(VALU_DEP_1) | instskip(NEXT) | instid1(VALU_DEP_1)
	v_dual_add_f32 v28, v25, v27 :: v_dual_sub_f32 v11, v11, v30
	v_sub_f32_e32 v31, v28, v25
	s_delay_alu instid0(VALU_DEP_1) | instskip(NEXT) | instid1(VALU_DEP_1)
	v_sub_f32_e32 v32, v28, v31
	v_dual_sub_f32 v25, v25, v32 :: v_dual_sub_f32 v26, v27, v26
	s_delay_alu instid0(VALU_DEP_1) | instskip(SKIP_1) | instid1(VALU_DEP_2)
	v_sub_f32_e32 v12, v12, v26
	v_sub_f32_e32 v26, v27, v31
	v_add_f32_e32 v27, v11, v12
	s_delay_alu instid0(VALU_DEP_1) | instskip(NEXT) | instid1(VALU_DEP_1)
	v_dual_add_f32 v25, v26, v25 :: v_dual_sub_f32 v26, v27, v11
	v_add_f32_e32 v25, v27, v25
	s_delay_alu instid0(VALU_DEP_1) | instskip(NEXT) | instid1(VALU_DEP_1)
	v_dual_sub_f32 v27, v27, v26 :: v_dual_add_f32 v30, v28, v25
	v_dual_sub_f32 v12, v12, v26 :: v_dual_sub_f32 v11, v11, v27
	s_delay_alu instid0(VALU_DEP_1) | instskip(NEXT) | instid1(VALU_DEP_1)
	v_dual_sub_f32 v26, v30, v28 :: v_dual_add_f32 v11, v12, v11
	v_sub_f32_e32 v12, v25, v26
	s_delay_alu instid0(VALU_DEP_1) | instskip(NEXT) | instid1(VALU_DEP_1)
	v_add_f32_e32 v11, v11, v12
	v_add_f32_e32 v11, v30, v11
	s_wait_alu 0xf1ff
	s_delay_alu instid0(VALU_DEP_1) | instskip(SKIP_2) | instid1(VALU_DEP_1)
	v_cndmask_b32_e64 v11, 0x7f800000, v11, s0
	v_cmp_gt_f32_e64 s0, 0x33800000, |v13|
	s_wait_alu 0xf1ff
	v_cndmask_b32_e64 v11, v11, v13, s0
	s_delay_alu instid0(VALU_DEP_1)
	v_add_f32_e32 v11, v2, v11
.LBB498_108:
	s_wait_alu 0xfffe
	s_or_b32 exec_lo, exec_lo, s1
	s_delay_alu instid0(VALU_DEP_1) | instskip(SKIP_1) | instid1(VALU_DEP_2)
	v_bfe_u32 v2, v11, 16, 1
	v_cmp_o_f32_e64 s0, v11, v11
	v_add3_u32 v2, v11, v2, 0x7fff
	s_delay_alu instid0(VALU_DEP_1) | instskip(SKIP_1) | instid1(VALU_DEP_1)
	v_lshrrev_b32_e32 v2, 16, v2
	s_wait_alu 0xf1ff
	v_cndmask_b32_e64 v2, 0x7fc0, v2, s0
	s_delay_alu instid0(VALU_DEP_1) | instskip(NEXT) | instid1(VALU_DEP_1)
	v_lshlrev_b32_e32 v11, 16, v2
	v_max_num_f32_e32 v12, v11, v11
	s_delay_alu instid0(VALU_DEP_1) | instskip(SKIP_3) | instid1(VALU_DEP_1)
	v_min_num_f32_e32 v13, v12, v15
	v_max_num_f32_e32 v12, v12, v15
	v_cmp_u_f32_e64 s0, v11, v11
	s_wait_alu 0xf1ff
	v_cndmask_b32_e64 v13, v13, v11, s0
	s_delay_alu instid0(VALU_DEP_3) | instskip(NEXT) | instid1(VALU_DEP_2)
	v_cndmask_b32_e64 v15, v12, v11, s0
	v_cndmask_b32_e64 v12, v13, v10, s16
	s_delay_alu instid0(VALU_DEP_2) | instskip(NEXT) | instid1(VALU_DEP_2)
	v_cndmask_b32_e64 v10, v15, v10, s16
	v_cmp_class_f32_e64 s1, v12, 0x1f8
	s_delay_alu instid0(VALU_DEP_2)
	v_cmp_neq_f32_e64 s0, v12, v10
	s_or_b32 s0, s0, s1
	s_wait_alu 0xfffe
	s_and_saveexec_b32 s1, s0
	s_cbranch_execz .LBB498_110
; %bb.109:
	v_sub_f32_e32 v11, v12, v10
	s_delay_alu instid0(VALU_DEP_1) | instskip(SKIP_1) | instid1(VALU_DEP_2)
	v_mul_f32_e32 v12, 0x3fb8aa3b, v11
	v_cmp_ngt_f32_e64 s0, 0xc2ce8ed0, v11
	v_fma_f32 v13, 0x3fb8aa3b, v11, -v12
	v_rndne_f32_e32 v15, v12
	s_delay_alu instid0(VALU_DEP_1) | instskip(NEXT) | instid1(VALU_DEP_1)
	v_dual_fmamk_f32 v13, v11, 0x32a5705f, v13 :: v_dual_sub_f32 v12, v12, v15
	v_add_f32_e32 v12, v12, v13
	v_cvt_i32_f32_e32 v13, v15
	s_delay_alu instid0(VALU_DEP_2) | instskip(NEXT) | instid1(TRANS32_DEP_1)
	v_exp_f32_e32 v12, v12
	v_ldexp_f32 v12, v12, v13
	s_wait_alu 0xf1ff
	s_delay_alu instid0(VALU_DEP_1) | instskip(SKIP_2) | instid1(VALU_DEP_1)
	v_cndmask_b32_e64 v12, 0, v12, s0
	v_cmp_nlt_f32_e64 s0, 0x42b17218, v11
	s_wait_alu 0xf1ff
	v_cndmask_b32_e64 v13, 0x7f800000, v12, s0
	s_delay_alu instid0(VALU_DEP_1) | instskip(NEXT) | instid1(VALU_DEP_1)
	v_add_f32_e32 v15, 1.0, v13
	v_cvt_f64_f32_e32 v[11:12], v15
	s_delay_alu instid0(VALU_DEP_1) | instskip(SKIP_1) | instid1(VALU_DEP_1)
	v_frexp_exp_i32_f64_e32 v11, v[11:12]
	v_frexp_mant_f32_e32 v12, v15
	v_cmp_gt_f32_e64 s0, 0x3f2aaaab, v12
	v_add_f32_e32 v12, -1.0, v15
	s_delay_alu instid0(VALU_DEP_1) | instskip(NEXT) | instid1(VALU_DEP_1)
	v_sub_f32_e32 v26, v12, v15
	v_add_f32_e32 v26, 1.0, v26
	s_wait_alu 0xf1ff
	v_subrev_co_ci_u32_e64 v11, null, 0, v11, s0
	s_mov_b32 s0, 0x3e9b6dac
	v_sub_nc_u32_e32 v25, 0, v11
	v_cvt_f32_i32_e32 v11, v11
	s_delay_alu instid0(VALU_DEP_2) | instskip(NEXT) | instid1(VALU_DEP_1)
	v_ldexp_f32 v15, v15, v25
	v_dual_sub_f32 v12, v13, v12 :: v_dual_add_f32 v27, 1.0, v15
	s_delay_alu instid0(VALU_DEP_1) | instskip(NEXT) | instid1(VALU_DEP_1)
	v_add_f32_e32 v12, v12, v26
	v_ldexp_f32 v12, v12, v25
	v_add_f32_e32 v25, -1.0, v15
	s_delay_alu instid0(VALU_DEP_4) | instskip(NEXT) | instid1(VALU_DEP_2)
	v_add_f32_e32 v26, -1.0, v27
	v_add_f32_e32 v28, 1.0, v25
	s_delay_alu instid0(VALU_DEP_2) | instskip(NEXT) | instid1(VALU_DEP_1)
	v_sub_f32_e32 v26, v15, v26
	v_dual_sub_f32 v15, v15, v28 :: v_dual_add_f32 v26, v12, v26
	s_delay_alu instid0(VALU_DEP_1) | instskip(NEXT) | instid1(VALU_DEP_2)
	v_add_f32_e32 v12, v12, v15
	v_add_f32_e32 v28, v27, v26
	s_delay_alu instid0(VALU_DEP_2) | instskip(NEXT) | instid1(VALU_DEP_2)
	v_add_f32_e32 v30, v25, v12
	v_rcp_f32_e32 v15, v28
	v_sub_f32_e32 v27, v27, v28
	s_delay_alu instid0(VALU_DEP_1)
	v_dual_sub_f32 v25, v25, v30 :: v_dual_add_f32 v26, v26, v27
	s_delay_alu instid0(TRANS32_DEP_1) | instid1(VALU_DEP_1)
	v_dual_add_f32 v12, v12, v25 :: v_dual_mul_f32 v31, v30, v15
	s_delay_alu instid0(VALU_DEP_1) | instskip(NEXT) | instid1(VALU_DEP_1)
	v_mul_f32_e32 v32, v28, v31
	v_fma_f32 v27, v31, v28, -v32
	s_delay_alu instid0(VALU_DEP_1) | instskip(NEXT) | instid1(VALU_DEP_1)
	v_fmac_f32_e32 v27, v31, v26
	v_add_f32_e32 v33, v32, v27
	s_delay_alu instid0(VALU_DEP_1) | instskip(NEXT) | instid1(VALU_DEP_1)
	v_dual_sub_f32 v34, v30, v33 :: v_dual_sub_f32 v25, v33, v32
	v_dual_sub_f32 v30, v30, v34 :: v_dual_sub_f32 v25, v25, v27
	s_delay_alu instid0(VALU_DEP_1) | instskip(NEXT) | instid1(VALU_DEP_1)
	v_sub_f32_e32 v30, v30, v33
	v_add_f32_e32 v12, v12, v30
	s_delay_alu instid0(VALU_DEP_1) | instskip(NEXT) | instid1(VALU_DEP_1)
	v_add_f32_e32 v12, v25, v12
	v_add_f32_e32 v25, v34, v12
	s_delay_alu instid0(VALU_DEP_1) | instskip(NEXT) | instid1(VALU_DEP_1)
	v_mul_f32_e32 v27, v15, v25
	v_dual_sub_f32 v33, v34, v25 :: v_dual_mul_f32 v30, v28, v27
	s_delay_alu instid0(VALU_DEP_1) | instskip(NEXT) | instid1(VALU_DEP_2)
	v_add_f32_e32 v12, v12, v33
	v_fma_f32 v28, v27, v28, -v30
	s_delay_alu instid0(VALU_DEP_1) | instskip(NEXT) | instid1(VALU_DEP_1)
	v_fmac_f32_e32 v28, v27, v26
	v_add_f32_e32 v26, v30, v28
	s_delay_alu instid0(VALU_DEP_1) | instskip(NEXT) | instid1(VALU_DEP_1)
	v_sub_f32_e32 v32, v25, v26
	v_dual_sub_f32 v30, v26, v30 :: v_dual_sub_f32 v25, v25, v32
	s_delay_alu instid0(VALU_DEP_1) | instskip(NEXT) | instid1(VALU_DEP_1)
	v_dual_sub_f32 v25, v25, v26 :: v_dual_sub_f32 v26, v30, v28
	v_dual_add_f32 v12, v12, v25 :: v_dual_add_f32 v25, v31, v27
	s_delay_alu instid0(VALU_DEP_1) | instskip(NEXT) | instid1(VALU_DEP_2)
	v_add_f32_e32 v12, v26, v12
	v_sub_f32_e32 v26, v25, v31
	s_delay_alu instid0(VALU_DEP_2) | instskip(NEXT) | instid1(VALU_DEP_2)
	v_add_f32_e32 v12, v32, v12
	v_sub_f32_e32 v26, v27, v26
	s_delay_alu instid0(VALU_DEP_2) | instskip(NEXT) | instid1(VALU_DEP_1)
	v_mul_f32_e32 v12, v15, v12
	v_add_f32_e32 v12, v26, v12
	s_delay_alu instid0(VALU_DEP_1) | instskip(NEXT) | instid1(VALU_DEP_1)
	v_add_f32_e32 v15, v25, v12
	v_mul_f32_e32 v26, v15, v15
	s_wait_alu 0xfffe
	s_delay_alu instid0(VALU_DEP_1) | instskip(SKIP_2) | instid1(VALU_DEP_3)
	v_fmaak_f32 v27, s0, v26, 0x3ecc95a3
	v_mul_f32_e32 v28, v15, v26
	v_cmp_neq_f32_e64 s0, 0x7f800000, v13
	v_fmaak_f32 v26, v26, v27, 0x3f2aaada
	v_ldexp_f32 v27, v15, 1
	s_delay_alu instid0(VALU_DEP_2) | instskip(SKIP_1) | instid1(VALU_DEP_2)
	v_dual_sub_f32 v15, v15, v25 :: v_dual_mul_f32 v26, v28, v26
	v_mul_f32_e32 v28, 0x3f317218, v11
	v_dual_sub_f32 v12, v12, v15 :: v_dual_add_f32 v25, v27, v26
	s_delay_alu instid0(VALU_DEP_1) | instskip(NEXT) | instid1(VALU_DEP_2)
	v_ldexp_f32 v12, v12, 1
	v_sub_f32_e32 v15, v25, v27
	s_delay_alu instid0(VALU_DEP_4) | instskip(NEXT) | instid1(VALU_DEP_2)
	v_fma_f32 v27, 0x3f317218, v11, -v28
	v_sub_f32_e32 v15, v26, v15
	s_delay_alu instid0(VALU_DEP_1) | instskip(NEXT) | instid1(VALU_DEP_1)
	v_dual_fmamk_f32 v11, v11, 0xb102e308, v27 :: v_dual_add_f32 v12, v12, v15
	v_dual_add_f32 v15, v28, v11 :: v_dual_add_f32 v26, v25, v12
	s_delay_alu instid0(VALU_DEP_1) | instskip(NEXT) | instid1(VALU_DEP_2)
	v_sub_f32_e32 v28, v15, v28
	v_add_f32_e32 v27, v15, v26
	v_sub_f32_e32 v25, v26, v25
	s_delay_alu instid0(VALU_DEP_3) | instskip(NEXT) | instid1(VALU_DEP_3)
	v_sub_f32_e32 v11, v11, v28
	v_sub_f32_e32 v30, v27, v15
	s_delay_alu instid0(VALU_DEP_1) | instskip(NEXT) | instid1(VALU_DEP_1)
	v_dual_sub_f32 v12, v12, v25 :: v_dual_sub_f32 v31, v27, v30
	v_dual_sub_f32 v25, v26, v30 :: v_dual_add_f32 v26, v11, v12
	s_delay_alu instid0(VALU_DEP_2) | instskip(NEXT) | instid1(VALU_DEP_1)
	v_sub_f32_e32 v15, v15, v31
	v_add_f32_e32 v15, v25, v15
	s_delay_alu instid0(VALU_DEP_3) | instskip(NEXT) | instid1(VALU_DEP_2)
	v_sub_f32_e32 v25, v26, v11
	v_add_f32_e32 v15, v26, v15
	s_delay_alu instid0(VALU_DEP_2) | instskip(SKIP_1) | instid1(VALU_DEP_3)
	v_sub_f32_e32 v26, v26, v25
	v_sub_f32_e32 v12, v12, v25
	v_add_f32_e32 v28, v27, v15
	s_delay_alu instid0(VALU_DEP_3) | instskip(NEXT) | instid1(VALU_DEP_2)
	v_sub_f32_e32 v11, v11, v26
	v_sub_f32_e32 v25, v28, v27
	s_delay_alu instid0(VALU_DEP_1) | instskip(NEXT) | instid1(VALU_DEP_1)
	v_dual_add_f32 v11, v12, v11 :: v_dual_sub_f32 v12, v15, v25
	v_add_f32_e32 v11, v11, v12
	s_delay_alu instid0(VALU_DEP_1) | instskip(SKIP_1) | instid1(VALU_DEP_1)
	v_add_f32_e32 v11, v28, v11
	s_wait_alu 0xf1ff
	v_cndmask_b32_e64 v11, 0x7f800000, v11, s0
	v_cmp_gt_f32_e64 s0, 0x33800000, |v13|
	s_wait_alu 0xf1ff
	s_delay_alu instid0(VALU_DEP_1) | instskip(NEXT) | instid1(VALU_DEP_1)
	v_cndmask_b32_e64 v11, v11, v13, s0
	v_add_f32_e32 v11, v10, v11
.LBB498_110:
	s_wait_alu 0xfffe
	s_or_b32 exec_lo, exec_lo, s1
	s_delay_alu instid0(VALU_DEP_1) | instskip(SKIP_1) | instid1(VALU_DEP_2)
	v_bfe_u32 v10, v11, 16, 1
	v_cmp_o_f32_e64 s0, v11, v11
	v_add3_u32 v10, v11, v10, 0x7fff
	s_delay_alu instid0(VALU_DEP_1) | instskip(SKIP_1) | instid1(VALU_DEP_1)
	v_lshrrev_b32_e32 v10, 16, v10
	s_wait_alu 0xf1ff
	v_cndmask_b32_e64 v10, 0x7fc0, v10, s0
	s_delay_alu instid0(VALU_DEP_1) | instskip(NEXT) | instid1(VALU_DEP_1)
	v_lshlrev_b32_e32 v11, 16, v10
	v_max_num_f32_e32 v12, v11, v11
	s_delay_alu instid0(VALU_DEP_1) | instskip(SKIP_3) | instid1(VALU_DEP_1)
	v_min_num_f32_e32 v13, v12, v16
	v_max_num_f32_e32 v12, v12, v16
	v_cmp_u_f32_e64 s0, v11, v11
	s_wait_alu 0xf1ff
	v_cndmask_b32_e64 v13, v13, v11, s0
	s_delay_alu instid0(VALU_DEP_3) | instskip(NEXT) | instid1(VALU_DEP_2)
	v_cndmask_b32_e64 v15, v12, v11, s0
	v_cndmask_b32_e64 v12, v13, v3, s17
	s_delay_alu instid0(VALU_DEP_2) | instskip(NEXT) | instid1(VALU_DEP_2)
	v_cndmask_b32_e64 v3, v15, v3, s17
	v_cmp_class_f32_e64 s1, v12, 0x1f8
	s_delay_alu instid0(VALU_DEP_2)
	v_cmp_neq_f32_e64 s0, v12, v3
	s_or_b32 s0, s0, s1
	s_wait_alu 0xfffe
	s_and_saveexec_b32 s1, s0
	s_cbranch_execz .LBB498_112
; %bb.111:
	v_sub_f32_e32 v11, v12, v3
	s_delay_alu instid0(VALU_DEP_1) | instskip(SKIP_1) | instid1(VALU_DEP_2)
	v_mul_f32_e32 v12, 0x3fb8aa3b, v11
	v_cmp_ngt_f32_e64 s0, 0xc2ce8ed0, v11
	v_fma_f32 v13, 0x3fb8aa3b, v11, -v12
	v_rndne_f32_e32 v15, v12
	s_delay_alu instid0(VALU_DEP_1) | instskip(NEXT) | instid1(VALU_DEP_1)
	v_dual_fmamk_f32 v13, v11, 0x32a5705f, v13 :: v_dual_sub_f32 v12, v12, v15
	v_add_f32_e32 v12, v12, v13
	v_cvt_i32_f32_e32 v13, v15
	s_delay_alu instid0(VALU_DEP_2) | instskip(NEXT) | instid1(TRANS32_DEP_1)
	v_exp_f32_e32 v12, v12
	v_ldexp_f32 v12, v12, v13
	s_wait_alu 0xf1ff
	s_delay_alu instid0(VALU_DEP_1) | instskip(SKIP_2) | instid1(VALU_DEP_1)
	v_cndmask_b32_e64 v12, 0, v12, s0
	v_cmp_nlt_f32_e64 s0, 0x42b17218, v11
	s_wait_alu 0xf1ff
	v_cndmask_b32_e64 v13, 0x7f800000, v12, s0
	s_delay_alu instid0(VALU_DEP_1) | instskip(NEXT) | instid1(VALU_DEP_1)
	v_add_f32_e32 v15, 1.0, v13
	v_cvt_f64_f32_e32 v[11:12], v15
	s_delay_alu instid0(VALU_DEP_1) | instskip(SKIP_1) | instid1(VALU_DEP_1)
	v_frexp_exp_i32_f64_e32 v11, v[11:12]
	v_frexp_mant_f32_e32 v12, v15
	v_cmp_gt_f32_e64 s0, 0x3f2aaaab, v12
	v_add_f32_e32 v12, -1.0, v15
	s_delay_alu instid0(VALU_DEP_1) | instskip(NEXT) | instid1(VALU_DEP_1)
	v_sub_f32_e32 v25, v12, v15
	v_dual_add_f32 v25, 1.0, v25 :: v_dual_sub_f32 v12, v13, v12
	s_delay_alu instid0(VALU_DEP_1)
	v_add_f32_e32 v12, v12, v25
	s_wait_alu 0xf1ff
	v_subrev_co_ci_u32_e64 v11, null, 0, v11, s0
	s_mov_b32 s0, 0x3e9b6dac
	v_sub_nc_u32_e32 v16, 0, v11
	v_cvt_f32_i32_e32 v11, v11
	s_delay_alu instid0(VALU_DEP_2) | instskip(SKIP_1) | instid1(VALU_DEP_2)
	v_ldexp_f32 v15, v15, v16
	v_ldexp_f32 v12, v12, v16
	v_add_f32_e32 v26, 1.0, v15
	s_delay_alu instid0(VALU_DEP_1) | instskip(NEXT) | instid1(VALU_DEP_1)
	v_add_f32_e32 v25, -1.0, v26
	v_dual_sub_f32 v25, v15, v25 :: v_dual_add_f32 v16, -1.0, v15
	s_delay_alu instid0(VALU_DEP_1) | instskip(NEXT) | instid1(VALU_DEP_2)
	v_add_f32_e32 v25, v12, v25
	v_add_f32_e32 v27, 1.0, v16
	s_delay_alu instid0(VALU_DEP_1) | instskip(NEXT) | instid1(VALU_DEP_1)
	v_sub_f32_e32 v15, v15, v27
	v_dual_add_f32 v27, v26, v25 :: v_dual_add_f32 v12, v12, v15
	s_delay_alu instid0(VALU_DEP_1) | instskip(SKIP_1) | instid1(VALU_DEP_1)
	v_rcp_f32_e32 v15, v27
	v_sub_f32_e32 v26, v26, v27
	v_dual_add_f32 v28, v16, v12 :: v_dual_add_f32 v25, v25, v26
	s_delay_alu instid0(VALU_DEP_1) | instskip(NEXT) | instid1(TRANS32_DEP_1)
	v_sub_f32_e32 v16, v16, v28
	v_mul_f32_e32 v30, v28, v15
	s_delay_alu instid0(VALU_DEP_1) | instskip(NEXT) | instid1(VALU_DEP_1)
	v_dual_add_f32 v12, v12, v16 :: v_dual_mul_f32 v31, v27, v30
	v_fma_f32 v26, v30, v27, -v31
	s_delay_alu instid0(VALU_DEP_1) | instskip(NEXT) | instid1(VALU_DEP_1)
	v_fmac_f32_e32 v26, v30, v25
	v_add_f32_e32 v32, v31, v26
	s_delay_alu instid0(VALU_DEP_1) | instskip(SKIP_1) | instid1(VALU_DEP_2)
	v_sub_f32_e32 v33, v28, v32
	v_sub_f32_e32 v16, v32, v31
	;; [unrolled: 1-line block ×3, first 2 shown]
	s_delay_alu instid0(VALU_DEP_2) | instskip(NEXT) | instid1(VALU_DEP_2)
	v_sub_f32_e32 v16, v16, v26
	v_sub_f32_e32 v28, v28, v32
	s_delay_alu instid0(VALU_DEP_1) | instskip(NEXT) | instid1(VALU_DEP_1)
	v_add_f32_e32 v12, v12, v28
	v_add_f32_e32 v12, v16, v12
	s_delay_alu instid0(VALU_DEP_1) | instskip(NEXT) | instid1(VALU_DEP_1)
	v_add_f32_e32 v16, v33, v12
	v_mul_f32_e32 v26, v15, v16
	s_delay_alu instid0(VALU_DEP_1) | instskip(NEXT) | instid1(VALU_DEP_1)
	v_mul_f32_e32 v28, v27, v26
	v_fma_f32 v27, v26, v27, -v28
	s_delay_alu instid0(VALU_DEP_1) | instskip(NEXT) | instid1(VALU_DEP_1)
	v_fmac_f32_e32 v27, v26, v25
	v_add_f32_e32 v25, v28, v27
	s_delay_alu instid0(VALU_DEP_1) | instskip(SKIP_1) | instid1(VALU_DEP_2)
	v_dual_sub_f32 v31, v16, v25 :: v_dual_sub_f32 v28, v25, v28
	v_sub_f32_e32 v32, v33, v16
	v_sub_f32_e32 v16, v16, v31
	s_delay_alu instid0(VALU_DEP_1) | instskip(NEXT) | instid1(VALU_DEP_4)
	v_sub_f32_e32 v16, v16, v25
	v_sub_f32_e32 v25, v28, v27
	s_delay_alu instid0(VALU_DEP_4) | instskip(NEXT) | instid1(VALU_DEP_1)
	v_add_f32_e32 v12, v12, v32
	v_add_f32_e32 v12, v12, v16
	;; [unrolled: 1-line block ×3, first 2 shown]
	s_delay_alu instid0(VALU_DEP_1) | instskip(NEXT) | instid1(VALU_DEP_1)
	v_dual_add_f32 v12, v25, v12 :: v_dual_sub_f32 v25, v16, v30
	v_dual_add_f32 v12, v31, v12 :: v_dual_sub_f32 v25, v26, v25
	s_delay_alu instid0(VALU_DEP_1) | instskip(NEXT) | instid1(VALU_DEP_1)
	v_mul_f32_e32 v12, v15, v12
	v_add_f32_e32 v12, v25, v12
	s_delay_alu instid0(VALU_DEP_1) | instskip(NEXT) | instid1(VALU_DEP_1)
	v_add_f32_e32 v15, v16, v12
	v_mul_f32_e32 v25, v15, v15
	s_wait_alu 0xfffe
	s_delay_alu instid0(VALU_DEP_1) | instskip(SKIP_2) | instid1(VALU_DEP_3)
	v_fmaak_f32 v26, s0, v25, 0x3ecc95a3
	v_mul_f32_e32 v27, v15, v25
	v_cmp_neq_f32_e64 s0, 0x7f800000, v13
	v_fmaak_f32 v25, v25, v26, 0x3f2aaada
	v_ldexp_f32 v26, v15, 1
	v_sub_f32_e32 v15, v15, v16
	s_delay_alu instid0(VALU_DEP_3) | instskip(SKIP_1) | instid1(VALU_DEP_3)
	v_mul_f32_e32 v25, v27, v25
	v_mul_f32_e32 v27, 0x3f317218, v11
	v_sub_f32_e32 v12, v12, v15
	s_delay_alu instid0(VALU_DEP_3) | instskip(NEXT) | instid1(VALU_DEP_2)
	v_add_f32_e32 v16, v26, v25
	v_ldexp_f32 v12, v12, 1
	s_delay_alu instid0(VALU_DEP_2) | instskip(SKIP_1) | instid1(VALU_DEP_2)
	v_sub_f32_e32 v15, v16, v26
	v_fma_f32 v26, 0x3f317218, v11, -v27
	v_sub_f32_e32 v15, v25, v15
	s_delay_alu instid0(VALU_DEP_1) | instskip(NEXT) | instid1(VALU_DEP_1)
	v_dual_fmamk_f32 v11, v11, 0xb102e308, v26 :: v_dual_add_f32 v12, v12, v15
	v_add_f32_e32 v15, v27, v11
	s_delay_alu instid0(VALU_DEP_2) | instskip(NEXT) | instid1(VALU_DEP_2)
	v_add_f32_e32 v25, v16, v12
	v_sub_f32_e32 v27, v15, v27
	s_delay_alu instid0(VALU_DEP_2) | instskip(NEXT) | instid1(VALU_DEP_2)
	v_add_f32_e32 v26, v15, v25
	v_sub_f32_e32 v11, v11, v27
	s_delay_alu instid0(VALU_DEP_2) | instskip(SKIP_1) | instid1(VALU_DEP_2)
	v_sub_f32_e32 v28, v26, v15
	v_sub_f32_e32 v16, v25, v16
	;; [unrolled: 1-line block ×3, first 2 shown]
	s_delay_alu instid0(VALU_DEP_2) | instskip(NEXT) | instid1(VALU_DEP_2)
	v_sub_f32_e32 v12, v12, v16
	v_dual_sub_f32 v16, v25, v28 :: v_dual_sub_f32 v15, v15, v30
	s_delay_alu instid0(VALU_DEP_2) | instskip(NEXT) | instid1(VALU_DEP_2)
	v_add_f32_e32 v25, v11, v12
	v_add_f32_e32 v15, v16, v15
	s_delay_alu instid0(VALU_DEP_2) | instskip(NEXT) | instid1(VALU_DEP_2)
	v_sub_f32_e32 v16, v25, v11
	v_add_f32_e32 v15, v25, v15
	s_delay_alu instid0(VALU_DEP_2) | instskip(NEXT) | instid1(VALU_DEP_2)
	v_sub_f32_e32 v25, v25, v16
	v_dual_sub_f32 v12, v12, v16 :: v_dual_add_f32 v27, v26, v15
	s_delay_alu instid0(VALU_DEP_2) | instskip(NEXT) | instid1(VALU_DEP_1)
	v_sub_f32_e32 v11, v11, v25
	v_dual_sub_f32 v16, v27, v26 :: v_dual_add_f32 v11, v12, v11
	s_delay_alu instid0(VALU_DEP_1) | instskip(NEXT) | instid1(VALU_DEP_1)
	v_sub_f32_e32 v12, v15, v16
	v_add_f32_e32 v11, v11, v12
	s_delay_alu instid0(VALU_DEP_1) | instskip(SKIP_1) | instid1(VALU_DEP_1)
	v_add_f32_e32 v11, v27, v11
	s_wait_alu 0xf1ff
	v_cndmask_b32_e64 v11, 0x7f800000, v11, s0
	v_cmp_gt_f32_e64 s0, 0x33800000, |v13|
	s_wait_alu 0xf1ff
	s_delay_alu instid0(VALU_DEP_1) | instskip(NEXT) | instid1(VALU_DEP_1)
	v_cndmask_b32_e64 v11, v11, v13, s0
	v_add_f32_e32 v11, v3, v11
.LBB498_112:
	s_wait_alu 0xfffe
	s_or_b32 exec_lo, exec_lo, s1
	s_delay_alu instid0(VALU_DEP_1) | instskip(SKIP_1) | instid1(VALU_DEP_2)
	v_bfe_u32 v3, v11, 16, 1
	v_cmp_o_f32_e64 s0, v11, v11
	v_add3_u32 v3, v11, v3, 0x7fff
	s_delay_alu instid0(VALU_DEP_1) | instskip(SKIP_1) | instid1(VALU_DEP_1)
	v_lshrrev_b32_e32 v3, 16, v3
	s_wait_alu 0xf1ff
	v_cndmask_b32_e64 v3, 0x7fc0, v3, s0
	s_delay_alu instid0(VALU_DEP_1) | instskip(NEXT) | instid1(VALU_DEP_1)
	v_lshlrev_b32_e32 v12, 16, v3
	v_max_num_f32_e32 v11, v12, v12
	s_delay_alu instid0(VALU_DEP_1) | instskip(SKIP_3) | instid1(VALU_DEP_1)
	v_min_num_f32_e32 v13, v11, v18
	v_max_num_f32_e32 v11, v11, v18
	v_cmp_u_f32_e64 s0, v12, v12
	s_wait_alu 0xf1ff
	v_cndmask_b32_e64 v13, v13, v12, s0
	s_delay_alu instid0(VALU_DEP_3) | instskip(NEXT) | instid1(VALU_DEP_2)
	v_cndmask_b32_e64 v11, v11, v12, s0
	v_cndmask_b32_e64 v13, v13, v14, s18
	s_delay_alu instid0(VALU_DEP_2) | instskip(NEXT) | instid1(VALU_DEP_2)
	v_cndmask_b32_e64 v11, v11, v14, s18
	v_cmp_class_f32_e64 s1, v13, 0x1f8
	s_delay_alu instid0(VALU_DEP_2)
	v_cmp_neq_f32_e64 s0, v13, v11
	s_or_b32 s0, s0, s1
	s_wait_alu 0xfffe
	s_and_saveexec_b32 s1, s0
	s_cbranch_execz .LBB498_114
; %bb.113:
	v_sub_f32_e32 v12, v13, v11
	s_delay_alu instid0(VALU_DEP_1) | instskip(SKIP_1) | instid1(VALU_DEP_2)
	v_mul_f32_e32 v13, 0x3fb8aa3b, v12
	v_cmp_ngt_f32_e64 s0, 0xc2ce8ed0, v12
	v_fma_f32 v14, 0x3fb8aa3b, v12, -v13
	v_rndne_f32_e32 v15, v13
	s_delay_alu instid0(VALU_DEP_1) | instskip(NEXT) | instid1(VALU_DEP_1)
	v_dual_fmamk_f32 v14, v12, 0x32a5705f, v14 :: v_dual_sub_f32 v13, v13, v15
	v_add_f32_e32 v13, v13, v14
	v_cvt_i32_f32_e32 v14, v15
	s_delay_alu instid0(VALU_DEP_2) | instskip(NEXT) | instid1(TRANS32_DEP_1)
	v_exp_f32_e32 v13, v13
	v_ldexp_f32 v13, v13, v14
	s_wait_alu 0xf1ff
	s_delay_alu instid0(VALU_DEP_1) | instskip(SKIP_2) | instid1(VALU_DEP_1)
	v_cndmask_b32_e64 v13, 0, v13, s0
	v_cmp_nlt_f32_e64 s0, 0x42b17218, v12
	s_wait_alu 0xf1ff
	v_cndmask_b32_e64 v14, 0x7f800000, v13, s0
	s_delay_alu instid0(VALU_DEP_1) | instskip(NEXT) | instid1(VALU_DEP_1)
	v_add_f32_e32 v15, 1.0, v14
	v_cvt_f64_f32_e32 v[12:13], v15
	s_delay_alu instid0(VALU_DEP_1) | instskip(SKIP_1) | instid1(VALU_DEP_1)
	v_frexp_exp_i32_f64_e32 v12, v[12:13]
	v_frexp_mant_f32_e32 v13, v15
	v_cmp_gt_f32_e64 s0, 0x3f2aaaab, v13
	v_add_f32_e32 v13, -1.0, v15
	s_delay_alu instid0(VALU_DEP_1) | instskip(NEXT) | instid1(VALU_DEP_1)
	v_dual_sub_f32 v18, v13, v15 :: v_dual_sub_f32 v13, v14, v13
	v_add_f32_e32 v18, 1.0, v18
	s_wait_alu 0xf1ff
	v_subrev_co_ci_u32_e64 v12, null, 0, v12, s0
	s_mov_b32 s0, 0x3e9b6dac
	v_sub_nc_u32_e32 v16, 0, v12
	v_cvt_f32_i32_e32 v12, v12
	s_delay_alu instid0(VALU_DEP_2) | instskip(SKIP_1) | instid1(VALU_DEP_1)
	v_ldexp_f32 v15, v15, v16
	v_add_f32_e32 v13, v13, v18
	v_ldexp_f32 v13, v13, v16
	s_delay_alu instid0(VALU_DEP_3) | instskip(NEXT) | instid1(VALU_DEP_1)
	v_add_f32_e32 v16, -1.0, v15
	v_dual_add_f32 v25, 1.0, v15 :: v_dual_add_f32 v26, 1.0, v16
	s_delay_alu instid0(VALU_DEP_1) | instskip(NEXT) | instid1(VALU_DEP_1)
	v_add_f32_e32 v18, -1.0, v25
	v_sub_f32_e32 v18, v15, v18
	s_delay_alu instid0(VALU_DEP_3) | instskip(NEXT) | instid1(VALU_DEP_2)
	v_sub_f32_e32 v15, v15, v26
	v_add_f32_e32 v18, v13, v18
	s_delay_alu instid0(VALU_DEP_2) | instskip(NEXT) | instid1(VALU_DEP_1)
	v_add_f32_e32 v13, v13, v15
	v_dual_add_f32 v27, v16, v13 :: v_dual_add_f32 v26, v25, v18
	s_delay_alu instid0(VALU_DEP_1) | instskip(SKIP_1) | instid1(VALU_DEP_1)
	v_rcp_f32_e32 v15, v26
	v_sub_f32_e32 v25, v25, v26
	v_add_f32_e32 v18, v18, v25
	s_delay_alu instid0(TRANS32_DEP_1) | instskip(NEXT) | instid1(VALU_DEP_1)
	v_mul_f32_e32 v28, v27, v15
	v_mul_f32_e32 v30, v26, v28
	s_delay_alu instid0(VALU_DEP_1) | instskip(NEXT) | instid1(VALU_DEP_1)
	v_fma_f32 v25, v28, v26, -v30
	v_fmac_f32_e32 v25, v28, v18
	s_delay_alu instid0(VALU_DEP_1) | instskip(NEXT) | instid1(VALU_DEP_1)
	v_add_f32_e32 v31, v30, v25
	v_sub_f32_e32 v32, v27, v31
	s_delay_alu instid0(VALU_DEP_1) | instskip(NEXT) | instid1(VALU_DEP_1)
	v_dual_sub_f32 v16, v16, v27 :: v_dual_sub_f32 v27, v27, v32
	v_dual_add_f32 v13, v13, v16 :: v_dual_sub_f32 v16, v31, v30
	s_delay_alu instid0(VALU_DEP_1) | instskip(NEXT) | instid1(VALU_DEP_1)
	v_dual_sub_f32 v27, v27, v31 :: v_dual_sub_f32 v16, v16, v25
	v_add_f32_e32 v13, v13, v27
	s_delay_alu instid0(VALU_DEP_1) | instskip(NEXT) | instid1(VALU_DEP_1)
	v_add_f32_e32 v13, v16, v13
	v_add_f32_e32 v16, v32, v13
	s_delay_alu instid0(VALU_DEP_1) | instskip(NEXT) | instid1(VALU_DEP_1)
	v_mul_f32_e32 v25, v15, v16
	v_mul_f32_e32 v27, v26, v25
	s_delay_alu instid0(VALU_DEP_1) | instskip(NEXT) | instid1(VALU_DEP_1)
	v_fma_f32 v26, v25, v26, -v27
	v_dual_fmac_f32 v26, v25, v18 :: v_dual_sub_f32 v31, v32, v16
	s_delay_alu instid0(VALU_DEP_1) | instskip(NEXT) | instid1(VALU_DEP_1)
	v_dual_add_f32 v18, v27, v26 :: v_dual_add_f32 v13, v13, v31
	v_sub_f32_e32 v30, v16, v18
	s_delay_alu instid0(VALU_DEP_1) | instskip(NEXT) | instid1(VALU_DEP_1)
	v_dual_sub_f32 v16, v16, v30 :: v_dual_sub_f32 v27, v18, v27
	v_sub_f32_e32 v16, v16, v18
	s_delay_alu instid0(VALU_DEP_1) | instskip(SKIP_1) | instid1(VALU_DEP_1)
	v_dual_sub_f32 v18, v27, v26 :: v_dual_add_f32 v13, v13, v16
	v_add_f32_e32 v16, v28, v25
	v_dual_add_f32 v13, v18, v13 :: v_dual_sub_f32 v18, v16, v28
	s_delay_alu instid0(VALU_DEP_1) | instskip(NEXT) | instid1(VALU_DEP_1)
	v_dual_add_f32 v13, v30, v13 :: v_dual_sub_f32 v18, v25, v18
	v_mul_f32_e32 v13, v15, v13
	s_delay_alu instid0(VALU_DEP_1) | instskip(NEXT) | instid1(VALU_DEP_1)
	v_add_f32_e32 v13, v18, v13
	v_add_f32_e32 v15, v16, v13
	s_delay_alu instid0(VALU_DEP_1) | instskip(SKIP_1) | instid1(VALU_DEP_1)
	v_mul_f32_e32 v18, v15, v15
	s_wait_alu 0xfffe
	v_fmaak_f32 v25, s0, v18, 0x3ecc95a3
	v_mul_f32_e32 v26, v15, v18
	v_cmp_neq_f32_e64 s0, 0x7f800000, v14
	s_delay_alu instid0(VALU_DEP_3) | instskip(SKIP_2) | instid1(VALU_DEP_1)
	v_fmaak_f32 v18, v18, v25, 0x3f2aaada
	v_ldexp_f32 v25, v15, 1
	v_sub_f32_e32 v15, v15, v16
	v_dual_sub_f32 v13, v13, v15 :: v_dual_mul_f32 v18, v26, v18
	s_delay_alu instid0(VALU_DEP_1) | instskip(NEXT) | instid1(VALU_DEP_2)
	v_ldexp_f32 v13, v13, 1
	v_add_f32_e32 v16, v25, v18
	s_delay_alu instid0(VALU_DEP_1) | instskip(NEXT) | instid1(VALU_DEP_1)
	v_dual_mul_f32 v26, 0x3f317218, v12 :: v_dual_sub_f32 v15, v16, v25
	v_fma_f32 v25, 0x3f317218, v12, -v26
	s_delay_alu instid0(VALU_DEP_1) | instskip(NEXT) | instid1(VALU_DEP_1)
	v_dual_sub_f32 v15, v18, v15 :: v_dual_fmamk_f32 v12, v12, 0xb102e308, v25
	v_add_f32_e32 v13, v13, v15
	s_delay_alu instid0(VALU_DEP_2) | instskip(NEXT) | instid1(VALU_DEP_1)
	v_add_f32_e32 v15, v26, v12
	v_sub_f32_e32 v26, v15, v26
	s_delay_alu instid0(VALU_DEP_3) | instskip(NEXT) | instid1(VALU_DEP_2)
	v_add_f32_e32 v18, v16, v13
	v_sub_f32_e32 v12, v12, v26
	s_delay_alu instid0(VALU_DEP_2) | instskip(NEXT) | instid1(VALU_DEP_1)
	v_dual_add_f32 v25, v15, v18 :: v_dual_sub_f32 v16, v18, v16
	v_sub_f32_e32 v27, v25, v15
	s_delay_alu instid0(VALU_DEP_1) | instskip(SKIP_1) | instid1(VALU_DEP_1)
	v_dual_sub_f32 v13, v13, v16 :: v_dual_sub_f32 v16, v18, v27
	v_sub_f32_e32 v28, v25, v27
	v_dual_add_f32 v18, v12, v13 :: v_dual_sub_f32 v15, v15, v28
	s_delay_alu instid0(VALU_DEP_1) | instskip(NEXT) | instid1(VALU_DEP_1)
	v_dual_add_f32 v15, v16, v15 :: v_dual_sub_f32 v16, v18, v12
	v_add_f32_e32 v15, v18, v15
	s_delay_alu instid0(VALU_DEP_2) | instskip(NEXT) | instid1(VALU_DEP_1)
	v_sub_f32_e32 v18, v18, v16
	v_sub_f32_e32 v12, v12, v18
	s_delay_alu instid0(VALU_DEP_3) | instskip(NEXT) | instid1(VALU_DEP_1)
	v_add_f32_e32 v26, v25, v15
	v_dual_sub_f32 v13, v13, v16 :: v_dual_sub_f32 v16, v26, v25
	s_delay_alu instid0(VALU_DEP_1) | instskip(NEXT) | instid1(VALU_DEP_2)
	v_add_f32_e32 v12, v13, v12
	v_sub_f32_e32 v13, v15, v16
	s_delay_alu instid0(VALU_DEP_1) | instskip(NEXT) | instid1(VALU_DEP_1)
	v_add_f32_e32 v12, v12, v13
	v_add_f32_e32 v12, v26, v12
	s_wait_alu 0xf1ff
	s_delay_alu instid0(VALU_DEP_1) | instskip(SKIP_2) | instid1(VALU_DEP_1)
	v_cndmask_b32_e64 v12, 0x7f800000, v12, s0
	v_cmp_gt_f32_e64 s0, 0x33800000, |v14|
	s_wait_alu 0xf1ff
	v_cndmask_b32_e64 v12, v12, v14, s0
	s_delay_alu instid0(VALU_DEP_1)
	v_add_f32_e32 v12, v11, v12
.LBB498_114:
	s_wait_alu 0xfffe
	s_or_b32 exec_lo, exec_lo, s1
	s_delay_alu instid0(VALU_DEP_1) | instskip(SKIP_1) | instid1(VALU_DEP_2)
	v_bfe_u32 v11, v12, 16, 1
	v_cmp_o_f32_e64 s0, v12, v12
	v_add3_u32 v11, v12, v11, 0x7fff
	s_delay_alu instid0(VALU_DEP_1) | instskip(SKIP_1) | instid1(VALU_DEP_1)
	v_lshrrev_b32_e32 v11, 16, v11
	s_wait_alu 0xf1ff
	v_cndmask_b32_e64 v11, 0x7fc0, v11, s0
	s_delay_alu instid0(VALU_DEP_1) | instskip(NEXT) | instid1(VALU_DEP_1)
	v_lshlrev_b32_e32 v12, 16, v11
	v_max_num_f32_e32 v13, v12, v12
	v_cmp_u_f32_e64 s0, v12, v12
	s_delay_alu instid0(VALU_DEP_2) | instskip(SKIP_2) | instid1(VALU_DEP_2)
	v_min_num_f32_e32 v14, v13, v19
	v_max_num_f32_e32 v13, v13, v19
	s_wait_alu 0xf1ff
	v_cndmask_b32_e64 v14, v14, v12, s0
	s_delay_alu instid0(VALU_DEP_2) | instskip(NEXT) | instid1(VALU_DEP_2)
	v_cndmask_b32_e64 v15, v13, v12, s0
	v_cndmask_b32_e64 v13, v14, v4, s19
	s_delay_alu instid0(VALU_DEP_2) | instskip(NEXT) | instid1(VALU_DEP_2)
	v_cndmask_b32_e64 v4, v15, v4, s19
	v_cmp_class_f32_e64 s1, v13, 0x1f8
	s_delay_alu instid0(VALU_DEP_2)
	v_cmp_neq_f32_e64 s0, v13, v4
	s_or_b32 s0, s0, s1
	s_wait_alu 0xfffe
	s_and_saveexec_b32 s1, s0
	s_cbranch_execz .LBB498_116
; %bb.115:
	v_sub_f32_e32 v12, v13, v4
	s_delay_alu instid0(VALU_DEP_1) | instskip(SKIP_1) | instid1(VALU_DEP_2)
	v_mul_f32_e32 v13, 0x3fb8aa3b, v12
	v_cmp_ngt_f32_e64 s0, 0xc2ce8ed0, v12
	v_fma_f32 v14, 0x3fb8aa3b, v12, -v13
	v_rndne_f32_e32 v15, v13
	s_delay_alu instid0(VALU_DEP_1) | instskip(NEXT) | instid1(VALU_DEP_1)
	v_dual_fmamk_f32 v14, v12, 0x32a5705f, v14 :: v_dual_sub_f32 v13, v13, v15
	v_add_f32_e32 v13, v13, v14
	v_cvt_i32_f32_e32 v14, v15
	s_delay_alu instid0(VALU_DEP_2) | instskip(NEXT) | instid1(TRANS32_DEP_1)
	v_exp_f32_e32 v13, v13
	v_ldexp_f32 v13, v13, v14
	s_wait_alu 0xf1ff
	s_delay_alu instid0(VALU_DEP_1) | instskip(SKIP_2) | instid1(VALU_DEP_1)
	v_cndmask_b32_e64 v13, 0, v13, s0
	v_cmp_nlt_f32_e64 s0, 0x42b17218, v12
	s_wait_alu 0xf1ff
	v_cndmask_b32_e64 v14, 0x7f800000, v13, s0
	s_delay_alu instid0(VALU_DEP_1) | instskip(NEXT) | instid1(VALU_DEP_1)
	v_add_f32_e32 v15, 1.0, v14
	v_cvt_f64_f32_e32 v[12:13], v15
	s_delay_alu instid0(VALU_DEP_1) | instskip(SKIP_1) | instid1(VALU_DEP_1)
	v_frexp_exp_i32_f64_e32 v12, v[12:13]
	v_frexp_mant_f32_e32 v13, v15
	v_cmp_gt_f32_e64 s0, 0x3f2aaaab, v13
	v_add_f32_e32 v13, -1.0, v15
	s_delay_alu instid0(VALU_DEP_1) | instskip(NEXT) | instid1(VALU_DEP_1)
	v_dual_sub_f32 v18, v13, v15 :: v_dual_sub_f32 v13, v14, v13
	v_add_f32_e32 v18, 1.0, v18
	s_wait_alu 0xf1ff
	v_subrev_co_ci_u32_e64 v12, null, 0, v12, s0
	s_mov_b32 s0, 0x3e9b6dac
	v_sub_nc_u32_e32 v16, 0, v12
	v_cvt_f32_i32_e32 v12, v12
	s_delay_alu instid0(VALU_DEP_2) | instskip(SKIP_1) | instid1(VALU_DEP_1)
	v_ldexp_f32 v15, v15, v16
	v_add_f32_e32 v13, v13, v18
	v_ldexp_f32 v13, v13, v16
	s_delay_alu instid0(VALU_DEP_3) | instskip(SKIP_1) | instid1(VALU_DEP_1)
	v_add_f32_e32 v19, 1.0, v15
	v_add_f32_e32 v16, -1.0, v15
	v_dual_add_f32 v18, -1.0, v19 :: v_dual_add_f32 v25, 1.0, v16
	s_delay_alu instid0(VALU_DEP_1) | instskip(NEXT) | instid1(VALU_DEP_1)
	v_sub_f32_e32 v18, v15, v18
	v_dual_sub_f32 v15, v15, v25 :: v_dual_add_f32 v18, v13, v18
	s_delay_alu instid0(VALU_DEP_1) | instskip(NEXT) | instid1(VALU_DEP_1)
	v_add_f32_e32 v13, v13, v15
	v_dual_add_f32 v25, v19, v18 :: v_dual_add_f32 v26, v16, v13
	s_delay_alu instid0(VALU_DEP_1) | instskip(NEXT) | instid1(VALU_DEP_1)
	v_dual_sub_f32 v19, v19, v25 :: v_dual_sub_f32 v16, v16, v26
	v_add_f32_e32 v18, v18, v19
	v_rcp_f32_e32 v15, v25
	s_delay_alu instid0(VALU_DEP_2) | instskip(NEXT) | instid1(TRANS32_DEP_1)
	v_add_f32_e32 v13, v13, v16
	v_mul_f32_e32 v27, v26, v15
	s_delay_alu instid0(VALU_DEP_1) | instskip(NEXT) | instid1(VALU_DEP_1)
	v_mul_f32_e32 v28, v25, v27
	v_fma_f32 v19, v27, v25, -v28
	s_delay_alu instid0(VALU_DEP_1) | instskip(NEXT) | instid1(VALU_DEP_1)
	v_fmac_f32_e32 v19, v27, v18
	v_add_f32_e32 v30, v28, v19
	s_delay_alu instid0(VALU_DEP_1) | instskip(NEXT) | instid1(VALU_DEP_1)
	v_sub_f32_e32 v16, v30, v28
	v_dual_sub_f32 v31, v26, v30 :: v_dual_sub_f32 v16, v16, v19
	s_delay_alu instid0(VALU_DEP_1) | instskip(NEXT) | instid1(VALU_DEP_1)
	v_sub_f32_e32 v26, v26, v31
	v_sub_f32_e32 v26, v26, v30
	s_delay_alu instid0(VALU_DEP_1) | instskip(NEXT) | instid1(VALU_DEP_1)
	v_add_f32_e32 v13, v13, v26
	v_add_f32_e32 v13, v16, v13
	s_delay_alu instid0(VALU_DEP_1) | instskip(NEXT) | instid1(VALU_DEP_1)
	v_add_f32_e32 v16, v31, v13
	v_mul_f32_e32 v19, v15, v16
	v_sub_f32_e32 v30, v31, v16
	s_delay_alu instid0(VALU_DEP_2) | instskip(NEXT) | instid1(VALU_DEP_2)
	v_mul_f32_e32 v26, v25, v19
	v_add_f32_e32 v13, v13, v30
	s_delay_alu instid0(VALU_DEP_2) | instskip(NEXT) | instid1(VALU_DEP_1)
	v_fma_f32 v25, v19, v25, -v26
	v_fmac_f32_e32 v25, v19, v18
	s_delay_alu instid0(VALU_DEP_1) | instskip(NEXT) | instid1(VALU_DEP_1)
	v_add_f32_e32 v18, v26, v25
	v_sub_f32_e32 v28, v16, v18
	s_delay_alu instid0(VALU_DEP_1) | instskip(NEXT) | instid1(VALU_DEP_1)
	v_sub_f32_e32 v16, v16, v28
	v_sub_f32_e32 v16, v16, v18
	s_delay_alu instid0(VALU_DEP_1) | instskip(SKIP_1) | instid1(VALU_DEP_2)
	v_dual_sub_f32 v26, v18, v26 :: v_dual_add_f32 v13, v13, v16
	v_add_f32_e32 v16, v27, v19
	v_sub_f32_e32 v18, v26, v25
	s_delay_alu instid0(VALU_DEP_1) | instskip(NEXT) | instid1(VALU_DEP_1)
	v_add_f32_e32 v13, v18, v13
	v_add_f32_e32 v13, v28, v13
	s_delay_alu instid0(VALU_DEP_1) | instskip(NEXT) | instid1(VALU_DEP_1)
	v_dual_sub_f32 v18, v16, v27 :: v_dual_mul_f32 v13, v15, v13
	v_sub_f32_e32 v18, v19, v18
	s_delay_alu instid0(VALU_DEP_1) | instskip(NEXT) | instid1(VALU_DEP_1)
	v_add_f32_e32 v13, v18, v13
	v_add_f32_e32 v15, v16, v13
	s_delay_alu instid0(VALU_DEP_1) | instskip(SKIP_1) | instid1(VALU_DEP_1)
	v_mul_f32_e32 v18, v15, v15
	s_wait_alu 0xfffe
	v_fmaak_f32 v19, s0, v18, 0x3ecc95a3
	v_mul_f32_e32 v25, v15, v18
	v_cmp_neq_f32_e64 s0, 0x7f800000, v14
	s_delay_alu instid0(VALU_DEP_3) | instskip(SKIP_1) | instid1(VALU_DEP_2)
	v_fmaak_f32 v18, v18, v19, 0x3f2aaada
	v_ldexp_f32 v19, v15, 1
	v_dual_sub_f32 v15, v15, v16 :: v_dual_mul_f32 v18, v25, v18
	v_mul_f32_e32 v25, 0x3f317218, v12
	s_delay_alu instid0(VALU_DEP_2) | instskip(NEXT) | instid1(VALU_DEP_1)
	v_dual_sub_f32 v13, v13, v15 :: v_dual_add_f32 v16, v19, v18
	v_ldexp_f32 v13, v13, 1
	s_delay_alu instid0(VALU_DEP_2) | instskip(NEXT) | instid1(VALU_DEP_4)
	v_sub_f32_e32 v15, v16, v19
	v_fma_f32 v19, 0x3f317218, v12, -v25
	s_delay_alu instid0(VALU_DEP_1) | instskip(NEXT) | instid1(VALU_DEP_1)
	v_dual_sub_f32 v15, v18, v15 :: v_dual_fmamk_f32 v12, v12, 0xb102e308, v19
	v_add_f32_e32 v13, v13, v15
	s_delay_alu instid0(VALU_DEP_1) | instskip(NEXT) | instid1(VALU_DEP_1)
	v_dual_add_f32 v15, v25, v12 :: v_dual_add_f32 v18, v16, v13
	v_dual_sub_f32 v25, v15, v25 :: v_dual_sub_f32 v16, v18, v16
	s_delay_alu instid0(VALU_DEP_1) | instskip(SKIP_1) | instid1(VALU_DEP_1)
	v_dual_sub_f32 v12, v12, v25 :: v_dual_sub_f32 v13, v13, v16
	v_add_f32_e32 v19, v15, v18
	v_sub_f32_e32 v26, v19, v15
	s_delay_alu instid0(VALU_DEP_1) | instskip(NEXT) | instid1(VALU_DEP_4)
	v_sub_f32_e32 v16, v18, v26
	v_dual_add_f32 v18, v12, v13 :: v_dual_sub_f32 v27, v19, v26
	s_delay_alu instid0(VALU_DEP_1) | instskip(NEXT) | instid1(VALU_DEP_1)
	v_sub_f32_e32 v15, v15, v27
	v_dual_add_f32 v15, v16, v15 :: v_dual_sub_f32 v16, v18, v12
	s_delay_alu instid0(VALU_DEP_1) | instskip(NEXT) | instid1(VALU_DEP_1)
	v_add_f32_e32 v15, v18, v15
	v_dual_sub_f32 v18, v18, v16 :: v_dual_add_f32 v25, v19, v15
	s_delay_alu instid0(VALU_DEP_1) | instskip(NEXT) | instid1(VALU_DEP_2)
	v_dual_sub_f32 v12, v12, v18 :: v_dual_sub_f32 v13, v13, v16
	v_sub_f32_e32 v16, v25, v19
	s_delay_alu instid0(VALU_DEP_2) | instskip(NEXT) | instid1(VALU_DEP_2)
	v_add_f32_e32 v12, v13, v12
	v_sub_f32_e32 v13, v15, v16
	s_delay_alu instid0(VALU_DEP_1) | instskip(NEXT) | instid1(VALU_DEP_1)
	v_add_f32_e32 v12, v12, v13
	v_add_f32_e32 v12, v25, v12
	s_wait_alu 0xf1ff
	s_delay_alu instid0(VALU_DEP_1) | instskip(SKIP_2) | instid1(VALU_DEP_1)
	v_cndmask_b32_e64 v12, 0x7f800000, v12, s0
	v_cmp_gt_f32_e64 s0, 0x33800000, |v14|
	s_wait_alu 0xf1ff
	v_cndmask_b32_e64 v12, v12, v14, s0
	s_delay_alu instid0(VALU_DEP_1)
	v_add_f32_e32 v12, v4, v12
.LBB498_116:
	s_wait_alu 0xfffe
	s_or_b32 exec_lo, exec_lo, s1
	s_delay_alu instid0(VALU_DEP_1) | instskip(SKIP_1) | instid1(VALU_DEP_2)
	v_bfe_u32 v4, v12, 16, 1
	v_cmp_o_f32_e64 s0, v12, v12
	v_add3_u32 v4, v12, v4, 0x7fff
	s_delay_alu instid0(VALU_DEP_1) | instskip(SKIP_1) | instid1(VALU_DEP_1)
	v_lshrrev_b32_e32 v4, 16, v4
	s_wait_alu 0xf1ff
	v_cndmask_b32_e64 v4, 0x7fc0, v4, s0
	s_delay_alu instid0(VALU_DEP_1) | instskip(NEXT) | instid1(VALU_DEP_1)
	v_lshlrev_b32_e32 v13, 16, v4
	v_max_num_f32_e32 v12, v13, v13
	s_delay_alu instid0(VALU_DEP_1) | instskip(SKIP_3) | instid1(VALU_DEP_1)
	v_min_num_f32_e32 v14, v12, v21
	v_max_num_f32_e32 v12, v12, v21
	v_cmp_u_f32_e64 s0, v13, v13
	s_wait_alu 0xf1ff
	v_cndmask_b32_e64 v14, v14, v13, s0
	s_delay_alu instid0(VALU_DEP_3) | instskip(NEXT) | instid1(VALU_DEP_2)
	v_cndmask_b32_e64 v12, v12, v13, s0
	v_cndmask_b32_e64 v14, v14, v17, s20
	s_delay_alu instid0(VALU_DEP_2) | instskip(NEXT) | instid1(VALU_DEP_2)
	v_cndmask_b32_e64 v12, v12, v17, s20
	v_cmp_class_f32_e64 s1, v14, 0x1f8
	s_delay_alu instid0(VALU_DEP_2)
	v_cmp_neq_f32_e64 s0, v14, v12
	s_or_b32 s0, s0, s1
	s_wait_alu 0xfffe
	s_and_saveexec_b32 s1, s0
	s_cbranch_execz .LBB498_118
; %bb.117:
	v_sub_f32_e32 v13, v14, v12
	s_delay_alu instid0(VALU_DEP_1) | instskip(SKIP_1) | instid1(VALU_DEP_2)
	v_mul_f32_e32 v14, 0x3fb8aa3b, v13
	v_cmp_ngt_f32_e64 s0, 0xc2ce8ed0, v13
	v_fma_f32 v15, 0x3fb8aa3b, v13, -v14
	v_rndne_f32_e32 v16, v14
	s_delay_alu instid0(VALU_DEP_1) | instskip(NEXT) | instid1(VALU_DEP_1)
	v_dual_fmamk_f32 v15, v13, 0x32a5705f, v15 :: v_dual_sub_f32 v14, v14, v16
	v_add_f32_e32 v14, v14, v15
	v_cvt_i32_f32_e32 v15, v16
	s_delay_alu instid0(VALU_DEP_2) | instskip(NEXT) | instid1(TRANS32_DEP_1)
	v_exp_f32_e32 v14, v14
	v_ldexp_f32 v14, v14, v15
	s_wait_alu 0xf1ff
	s_delay_alu instid0(VALU_DEP_1) | instskip(SKIP_2) | instid1(VALU_DEP_1)
	v_cndmask_b32_e64 v14, 0, v14, s0
	v_cmp_nlt_f32_e64 s0, 0x42b17218, v13
	s_wait_alu 0xf1ff
	v_cndmask_b32_e64 v15, 0x7f800000, v14, s0
	s_delay_alu instid0(VALU_DEP_1) | instskip(NEXT) | instid1(VALU_DEP_1)
	v_add_f32_e32 v16, 1.0, v15
	v_cvt_f64_f32_e32 v[13:14], v16
	s_delay_alu instid0(VALU_DEP_1) | instskip(SKIP_1) | instid1(VALU_DEP_1)
	v_frexp_exp_i32_f64_e32 v13, v[13:14]
	v_frexp_mant_f32_e32 v14, v16
	v_cmp_gt_f32_e64 s0, 0x3f2aaaab, v14
	v_add_f32_e32 v14, -1.0, v16
	s_delay_alu instid0(VALU_DEP_1)
	v_sub_f32_e32 v18, v14, v16
	v_sub_f32_e32 v14, v15, v14
	s_wait_alu 0xf1ff
	v_subrev_co_ci_u32_e64 v13, null, 0, v13, s0
	s_mov_b32 s0, 0x3e9b6dac
	v_sub_nc_u32_e32 v17, 0, v13
	v_cvt_f32_i32_e32 v13, v13
	s_delay_alu instid0(VALU_DEP_2) | instskip(NEXT) | instid1(VALU_DEP_1)
	v_ldexp_f32 v16, v16, v17
	v_dual_add_f32 v19, 1.0, v16 :: v_dual_add_f32 v18, 1.0, v18
	s_delay_alu instid0(VALU_DEP_1) | instskip(NEXT) | instid1(VALU_DEP_2)
	v_add_f32_e32 v14, v14, v18
	v_add_f32_e32 v18, -1.0, v19
	s_delay_alu instid0(VALU_DEP_2) | instskip(NEXT) | instid1(VALU_DEP_2)
	v_ldexp_f32 v14, v14, v17
	v_dual_add_f32 v17, -1.0, v16 :: v_dual_sub_f32 v18, v16, v18
	s_delay_alu instid0(VALU_DEP_1) | instskip(NEXT) | instid1(VALU_DEP_1)
	v_dual_add_f32 v21, 1.0, v17 :: v_dual_add_f32 v18, v14, v18
	v_dual_sub_f32 v16, v16, v21 :: v_dual_add_f32 v21, v19, v18
	s_delay_alu instid0(VALU_DEP_1) | instskip(NEXT) | instid1(VALU_DEP_2)
	v_add_f32_e32 v14, v14, v16
	v_rcp_f32_e32 v16, v21
	v_sub_f32_e32 v19, v19, v21
	s_delay_alu instid0(VALU_DEP_1) | instskip(NEXT) | instid1(VALU_DEP_1)
	v_dual_add_f32 v25, v17, v14 :: v_dual_add_f32 v18, v18, v19
	v_sub_f32_e32 v17, v17, v25
	s_delay_alu instid0(TRANS32_DEP_1) | instskip(NEXT) | instid1(VALU_DEP_1)
	v_mul_f32_e32 v26, v25, v16
	v_mul_f32_e32 v27, v21, v26
	s_delay_alu instid0(VALU_DEP_1) | instskip(NEXT) | instid1(VALU_DEP_1)
	v_fma_f32 v19, v26, v21, -v27
	v_fmac_f32_e32 v19, v26, v18
	s_delay_alu instid0(VALU_DEP_1) | instskip(NEXT) | instid1(VALU_DEP_1)
	v_add_f32_e32 v28, v27, v19
	v_sub_f32_e32 v30, v25, v28
	s_delay_alu instid0(VALU_DEP_1) | instskip(SKIP_1) | instid1(VALU_DEP_2)
	v_dual_sub_f32 v25, v25, v30 :: v_dual_add_f32 v14, v14, v17
	v_sub_f32_e32 v17, v28, v27
	v_sub_f32_e32 v25, v25, v28
	s_delay_alu instid0(VALU_DEP_1) | instskip(NEXT) | instid1(VALU_DEP_1)
	v_dual_sub_f32 v17, v17, v19 :: v_dual_add_f32 v14, v14, v25
	v_add_f32_e32 v14, v17, v14
	s_delay_alu instid0(VALU_DEP_1) | instskip(NEXT) | instid1(VALU_DEP_1)
	v_add_f32_e32 v17, v30, v14
	v_mul_f32_e32 v19, v16, v17
	s_delay_alu instid0(VALU_DEP_1) | instskip(NEXT) | instid1(VALU_DEP_1)
	v_mul_f32_e32 v25, v21, v19
	v_fma_f32 v21, v19, v21, -v25
	s_delay_alu instid0(VALU_DEP_1) | instskip(NEXT) | instid1(VALU_DEP_1)
	v_fmac_f32_e32 v21, v19, v18
	v_add_f32_e32 v18, v25, v21
	s_delay_alu instid0(VALU_DEP_1) | instskip(SKIP_1) | instid1(VALU_DEP_2)
	v_dual_sub_f32 v27, v17, v18 :: v_dual_sub_f32 v28, v30, v17
	v_sub_f32_e32 v25, v18, v25
	v_dual_sub_f32 v17, v17, v27 :: v_dual_add_f32 v14, v14, v28
	s_delay_alu instid0(VALU_DEP_1) | instskip(NEXT) | instid1(VALU_DEP_3)
	v_sub_f32_e32 v17, v17, v18
	v_sub_f32_e32 v18, v25, v21
	s_delay_alu instid0(VALU_DEP_2) | instskip(SKIP_1) | instid1(VALU_DEP_2)
	v_add_f32_e32 v14, v14, v17
	v_add_f32_e32 v17, v26, v19
	;; [unrolled: 1-line block ×3, first 2 shown]
	s_delay_alu instid0(VALU_DEP_2) | instskip(NEXT) | instid1(VALU_DEP_2)
	v_sub_f32_e32 v18, v17, v26
	v_add_f32_e32 v14, v27, v14
	s_delay_alu instid0(VALU_DEP_2) | instskip(NEXT) | instid1(VALU_DEP_2)
	v_sub_f32_e32 v18, v19, v18
	v_mul_f32_e32 v14, v16, v14
	s_delay_alu instid0(VALU_DEP_1) | instskip(NEXT) | instid1(VALU_DEP_1)
	v_add_f32_e32 v14, v18, v14
	v_add_f32_e32 v16, v17, v14
	s_delay_alu instid0(VALU_DEP_1) | instskip(SKIP_1) | instid1(VALU_DEP_1)
	v_mul_f32_e32 v18, v16, v16
	s_wait_alu 0xfffe
	v_fmaak_f32 v19, s0, v18, 0x3ecc95a3
	v_mul_f32_e32 v21, v16, v18
	v_cmp_neq_f32_e64 s0, 0x7f800000, v15
	s_delay_alu instid0(VALU_DEP_3) | instskip(SKIP_1) | instid1(VALU_DEP_2)
	v_fmaak_f32 v18, v18, v19, 0x3f2aaada
	v_ldexp_f32 v19, v16, 1
	v_mul_f32_e32 v18, v21, v18
	v_sub_f32_e32 v16, v16, v17
	v_mul_f32_e32 v21, 0x3f317218, v13
	s_delay_alu instid0(VALU_DEP_2) | instskip(NEXT) | instid1(VALU_DEP_1)
	v_dual_add_f32 v17, v19, v18 :: v_dual_sub_f32 v14, v14, v16
	v_sub_f32_e32 v16, v17, v19
	s_delay_alu instid0(VALU_DEP_3) | instskip(NEXT) | instid1(VALU_DEP_3)
	v_fma_f32 v19, 0x3f317218, v13, -v21
	v_ldexp_f32 v14, v14, 1
	s_delay_alu instid0(VALU_DEP_2) | instskip(NEXT) | instid1(VALU_DEP_1)
	v_dual_sub_f32 v16, v18, v16 :: v_dual_fmamk_f32 v13, v13, 0xb102e308, v19
	v_add_f32_e32 v14, v14, v16
	s_delay_alu instid0(VALU_DEP_2) | instskip(NEXT) | instid1(VALU_DEP_1)
	v_add_f32_e32 v16, v21, v13
	v_dual_add_f32 v18, v17, v14 :: v_dual_sub_f32 v21, v16, v21
	s_delay_alu instid0(VALU_DEP_1) | instskip(SKIP_1) | instid1(VALU_DEP_3)
	v_add_f32_e32 v19, v16, v18
	v_sub_f32_e32 v17, v18, v17
	v_sub_f32_e32 v13, v13, v21
	s_delay_alu instid0(VALU_DEP_2) | instskip(NEXT) | instid1(VALU_DEP_1)
	v_dual_sub_f32 v25, v19, v16 :: v_dual_sub_f32 v14, v14, v17
	v_sub_f32_e32 v26, v19, v25
	s_delay_alu instid0(VALU_DEP_2) | instskip(NEXT) | instid1(VALU_DEP_2)
	v_dual_sub_f32 v17, v18, v25 :: v_dual_add_f32 v18, v13, v14
	v_sub_f32_e32 v16, v16, v26
	s_delay_alu instid0(VALU_DEP_1) | instskip(NEXT) | instid1(VALU_DEP_1)
	v_dual_add_f32 v16, v17, v16 :: v_dual_sub_f32 v17, v18, v13
	v_add_f32_e32 v16, v18, v16
	s_delay_alu instid0(VALU_DEP_2) | instskip(NEXT) | instid1(VALU_DEP_2)
	v_sub_f32_e32 v18, v18, v17
	v_dual_sub_f32 v14, v14, v17 :: v_dual_add_f32 v21, v19, v16
	s_delay_alu instid0(VALU_DEP_2) | instskip(NEXT) | instid1(VALU_DEP_2)
	v_sub_f32_e32 v13, v13, v18
	v_sub_f32_e32 v17, v21, v19
	s_delay_alu instid0(VALU_DEP_2) | instskip(NEXT) | instid1(VALU_DEP_2)
	v_add_f32_e32 v13, v14, v13
	v_sub_f32_e32 v14, v16, v17
	s_delay_alu instid0(VALU_DEP_1) | instskip(NEXT) | instid1(VALU_DEP_1)
	v_add_f32_e32 v13, v13, v14
	v_add_f32_e32 v13, v21, v13
	s_wait_alu 0xf1ff
	s_delay_alu instid0(VALU_DEP_1) | instskip(SKIP_2) | instid1(VALU_DEP_1)
	v_cndmask_b32_e64 v13, 0x7f800000, v13, s0
	v_cmp_gt_f32_e64 s0, 0x33800000, |v15|
	s_wait_alu 0xf1ff
	v_cndmask_b32_e64 v13, v13, v15, s0
	s_delay_alu instid0(VALU_DEP_1)
	v_add_f32_e32 v13, v12, v13
.LBB498_118:
	s_wait_alu 0xfffe
	s_or_b32 exec_lo, exec_lo, s1
	s_delay_alu instid0(VALU_DEP_1) | instskip(SKIP_1) | instid1(VALU_DEP_2)
	v_bfe_u32 v12, v13, 16, 1
	v_cmp_o_f32_e64 s0, v13, v13
	v_add3_u32 v12, v13, v12, 0x7fff
	s_delay_alu instid0(VALU_DEP_1) | instskip(SKIP_1) | instid1(VALU_DEP_1)
	v_lshrrev_b32_e32 v12, 16, v12
	s_wait_alu 0xf1ff
	v_cndmask_b32_e64 v12, 0x7fc0, v12, s0
	s_delay_alu instid0(VALU_DEP_1) | instskip(NEXT) | instid1(VALU_DEP_1)
	v_lshlrev_b32_e32 v13, 16, v12
	v_max_num_f32_e32 v14, v13, v13
	s_delay_alu instid0(VALU_DEP_1) | instskip(SKIP_3) | instid1(VALU_DEP_1)
	v_min_num_f32_e32 v15, v14, v22
	v_max_num_f32_e32 v14, v14, v22
	v_cmp_u_f32_e64 s0, v13, v13
	s_wait_alu 0xf1ff
	v_cndmask_b32_e64 v15, v15, v13, s0
	s_delay_alu instid0(VALU_DEP_3) | instskip(NEXT) | instid1(VALU_DEP_2)
	v_cndmask_b32_e64 v16, v14, v13, s0
	v_cndmask_b32_e64 v14, v15, v5, s21
	s_delay_alu instid0(VALU_DEP_2) | instskip(NEXT) | instid1(VALU_DEP_2)
	v_cndmask_b32_e64 v5, v16, v5, s21
	v_cmp_class_f32_e64 s1, v14, 0x1f8
	s_delay_alu instid0(VALU_DEP_2)
	v_cmp_neq_f32_e64 s0, v14, v5
	s_or_b32 s0, s0, s1
	s_wait_alu 0xfffe
	s_and_saveexec_b32 s1, s0
	s_cbranch_execz .LBB498_120
; %bb.119:
	v_sub_f32_e32 v13, v14, v5
	s_delay_alu instid0(VALU_DEP_1) | instskip(SKIP_1) | instid1(VALU_DEP_2)
	v_mul_f32_e32 v14, 0x3fb8aa3b, v13
	v_cmp_ngt_f32_e64 s0, 0xc2ce8ed0, v13
	v_fma_f32 v15, 0x3fb8aa3b, v13, -v14
	v_rndne_f32_e32 v16, v14
	s_delay_alu instid0(VALU_DEP_1) | instskip(NEXT) | instid1(VALU_DEP_1)
	v_dual_fmamk_f32 v15, v13, 0x32a5705f, v15 :: v_dual_sub_f32 v14, v14, v16
	v_add_f32_e32 v14, v14, v15
	v_cvt_i32_f32_e32 v15, v16
	s_delay_alu instid0(VALU_DEP_2) | instskip(NEXT) | instid1(TRANS32_DEP_1)
	v_exp_f32_e32 v14, v14
	v_ldexp_f32 v14, v14, v15
	s_wait_alu 0xf1ff
	s_delay_alu instid0(VALU_DEP_1) | instskip(SKIP_2) | instid1(VALU_DEP_1)
	v_cndmask_b32_e64 v14, 0, v14, s0
	v_cmp_nlt_f32_e64 s0, 0x42b17218, v13
	s_wait_alu 0xf1ff
	v_cndmask_b32_e64 v15, 0x7f800000, v14, s0
	s_delay_alu instid0(VALU_DEP_1) | instskip(NEXT) | instid1(VALU_DEP_1)
	v_add_f32_e32 v16, 1.0, v15
	v_cvt_f64_f32_e32 v[13:14], v16
	s_delay_alu instid0(VALU_DEP_1) | instskip(SKIP_1) | instid1(VALU_DEP_1)
	v_frexp_exp_i32_f64_e32 v13, v[13:14]
	v_frexp_mant_f32_e32 v14, v16
	v_cmp_gt_f32_e64 s0, 0x3f2aaaab, v14
	v_add_f32_e32 v14, -1.0, v16
	s_delay_alu instid0(VALU_DEP_1) | instskip(SKIP_1) | instid1(VALU_DEP_2)
	v_sub_f32_e32 v18, v14, v16
	v_sub_f32_e32 v14, v15, v14
	v_add_f32_e32 v18, 1.0, v18
	s_delay_alu instid0(VALU_DEP_1)
	v_add_f32_e32 v14, v14, v18
	s_wait_alu 0xf1ff
	v_subrev_co_ci_u32_e64 v13, null, 0, v13, s0
	s_mov_b32 s0, 0x3e9b6dac
	v_sub_nc_u32_e32 v17, 0, v13
	v_cvt_f32_i32_e32 v13, v13
	s_delay_alu instid0(VALU_DEP_2) | instskip(SKIP_1) | instid1(VALU_DEP_2)
	v_ldexp_f32 v16, v16, v17
	v_ldexp_f32 v14, v14, v17
	v_add_f32_e32 v19, 1.0, v16
	s_delay_alu instid0(VALU_DEP_1) | instskip(NEXT) | instid1(VALU_DEP_1)
	v_dual_add_f32 v17, -1.0, v16 :: v_dual_add_f32 v18, -1.0, v19
	v_dual_add_f32 v21, 1.0, v17 :: v_dual_sub_f32 v18, v16, v18
	s_delay_alu instid0(VALU_DEP_1) | instskip(NEXT) | instid1(VALU_DEP_1)
	v_add_f32_e32 v18, v14, v18
	v_dual_sub_f32 v16, v16, v21 :: v_dual_add_f32 v21, v19, v18
	s_delay_alu instid0(VALU_DEP_1) | instskip(NEXT) | instid1(VALU_DEP_1)
	v_sub_f32_e32 v19, v19, v21
	v_add_f32_e32 v18, v18, v19
	s_delay_alu instid0(VALU_DEP_3) | instskip(SKIP_1) | instid1(VALU_DEP_1)
	v_add_f32_e32 v14, v14, v16
	v_rcp_f32_e32 v16, v21
	v_add_f32_e32 v22, v17, v14
	s_delay_alu instid0(VALU_DEP_1) | instskip(NEXT) | instid1(TRANS32_DEP_1)
	v_sub_f32_e32 v17, v17, v22
	v_mul_f32_e32 v25, v22, v16
	s_delay_alu instid0(VALU_DEP_1) | instskip(NEXT) | instid1(VALU_DEP_1)
	v_mul_f32_e32 v26, v21, v25
	v_fma_f32 v19, v25, v21, -v26
	s_delay_alu instid0(VALU_DEP_1) | instskip(NEXT) | instid1(VALU_DEP_1)
	v_dual_fmac_f32 v19, v25, v18 :: v_dual_add_f32 v14, v14, v17
	v_add_f32_e32 v27, v26, v19
	s_delay_alu instid0(VALU_DEP_1) | instskip(NEXT) | instid1(VALU_DEP_1)
	v_dual_sub_f32 v17, v27, v26 :: v_dual_sub_f32 v28, v22, v27
	v_dual_sub_f32 v17, v17, v19 :: v_dual_sub_f32 v22, v22, v28
	s_delay_alu instid0(VALU_DEP_1) | instskip(NEXT) | instid1(VALU_DEP_1)
	v_sub_f32_e32 v22, v22, v27
	v_add_f32_e32 v14, v14, v22
	s_delay_alu instid0(VALU_DEP_1) | instskip(NEXT) | instid1(VALU_DEP_1)
	v_add_f32_e32 v14, v17, v14
	v_add_f32_e32 v17, v28, v14
	s_delay_alu instid0(VALU_DEP_1) | instskip(NEXT) | instid1(VALU_DEP_1)
	v_mul_f32_e32 v19, v16, v17
	v_mul_f32_e32 v22, v21, v19
	s_delay_alu instid0(VALU_DEP_1) | instskip(NEXT) | instid1(VALU_DEP_1)
	v_fma_f32 v21, v19, v21, -v22
	v_fmac_f32_e32 v21, v19, v18
	v_sub_f32_e32 v27, v28, v17
	s_delay_alu instid0(VALU_DEP_2) | instskip(NEXT) | instid1(VALU_DEP_2)
	v_add_f32_e32 v18, v22, v21
	v_add_f32_e32 v14, v14, v27
	s_delay_alu instid0(VALU_DEP_2) | instskip(SKIP_1) | instid1(VALU_DEP_2)
	v_sub_f32_e32 v26, v17, v18
	v_sub_f32_e32 v22, v18, v22
	;; [unrolled: 1-line block ×3, first 2 shown]
	s_delay_alu instid0(VALU_DEP_1) | instskip(NEXT) | instid1(VALU_DEP_1)
	v_dual_sub_f32 v17, v17, v18 :: v_dual_sub_f32 v18, v22, v21
	v_dual_add_f32 v14, v14, v17 :: v_dual_add_f32 v17, v25, v19
	s_delay_alu instid0(VALU_DEP_1) | instskip(NEXT) | instid1(VALU_DEP_2)
	v_add_f32_e32 v14, v18, v14
	v_sub_f32_e32 v18, v17, v25
	s_delay_alu instid0(VALU_DEP_2) | instskip(NEXT) | instid1(VALU_DEP_2)
	v_add_f32_e32 v14, v26, v14
	v_sub_f32_e32 v18, v19, v18
	s_delay_alu instid0(VALU_DEP_2) | instskip(NEXT) | instid1(VALU_DEP_1)
	v_mul_f32_e32 v14, v16, v14
	v_add_f32_e32 v14, v18, v14
	s_delay_alu instid0(VALU_DEP_1) | instskip(NEXT) | instid1(VALU_DEP_1)
	v_add_f32_e32 v16, v17, v14
	v_mul_f32_e32 v18, v16, v16
	s_wait_alu 0xfffe
	s_delay_alu instid0(VALU_DEP_1) | instskip(SKIP_2) | instid1(VALU_DEP_3)
	v_fmaak_f32 v19, s0, v18, 0x3ecc95a3
	v_mul_f32_e32 v21, v16, v18
	v_cmp_neq_f32_e64 s0, 0x7f800000, v15
	v_fmaak_f32 v18, v18, v19, 0x3f2aaada
	v_ldexp_f32 v19, v16, 1
	v_sub_f32_e32 v16, v16, v17
	s_delay_alu instid0(VALU_DEP_3) | instskip(NEXT) | instid1(VALU_DEP_1)
	v_dual_mul_f32 v18, v21, v18 :: v_dual_mul_f32 v21, 0x3f317218, v13
	v_dual_sub_f32 v14, v14, v16 :: v_dual_add_f32 v17, v19, v18
	s_delay_alu instid0(VALU_DEP_1) | instskip(NEXT) | instid1(VALU_DEP_2)
	v_ldexp_f32 v14, v14, 1
	v_sub_f32_e32 v16, v17, v19
	s_delay_alu instid0(VALU_DEP_4) | instskip(NEXT) | instid1(VALU_DEP_1)
	v_fma_f32 v19, 0x3f317218, v13, -v21
	v_dual_sub_f32 v16, v18, v16 :: v_dual_fmamk_f32 v13, v13, 0xb102e308, v19
	s_delay_alu instid0(VALU_DEP_1) | instskip(NEXT) | instid1(VALU_DEP_2)
	v_add_f32_e32 v14, v14, v16
	v_add_f32_e32 v16, v21, v13
	s_delay_alu instid0(VALU_DEP_1) | instskip(NEXT) | instid1(VALU_DEP_1)
	v_dual_add_f32 v18, v17, v14 :: v_dual_sub_f32 v21, v16, v21
	v_add_f32_e32 v19, v16, v18
	v_sub_f32_e32 v17, v18, v17
	s_delay_alu instid0(VALU_DEP_2) | instskip(NEXT) | instid1(VALU_DEP_1)
	v_dual_sub_f32 v13, v13, v21 :: v_dual_sub_f32 v22, v19, v16
	v_dual_sub_f32 v14, v14, v17 :: v_dual_sub_f32 v25, v19, v22
	v_sub_f32_e32 v17, v18, v22
	s_delay_alu instid0(VALU_DEP_2) | instskip(NEXT) | instid1(VALU_DEP_3)
	v_add_f32_e32 v18, v13, v14
	v_sub_f32_e32 v16, v16, v25
	s_delay_alu instid0(VALU_DEP_1) | instskip(NEXT) | instid1(VALU_DEP_1)
	v_dual_add_f32 v16, v17, v16 :: v_dual_sub_f32 v17, v18, v13
	v_add_f32_e32 v16, v18, v16
	s_delay_alu instid0(VALU_DEP_2) | instskip(NEXT) | instid1(VALU_DEP_2)
	v_sub_f32_e32 v18, v18, v17
	v_dual_sub_f32 v14, v14, v17 :: v_dual_add_f32 v21, v19, v16
	s_delay_alu instid0(VALU_DEP_2) | instskip(NEXT) | instid1(VALU_DEP_2)
	v_sub_f32_e32 v13, v13, v18
	v_sub_f32_e32 v17, v21, v19
	s_delay_alu instid0(VALU_DEP_2) | instskip(NEXT) | instid1(VALU_DEP_2)
	v_add_f32_e32 v13, v14, v13
	v_sub_f32_e32 v14, v16, v17
	s_delay_alu instid0(VALU_DEP_1) | instskip(NEXT) | instid1(VALU_DEP_1)
	v_add_f32_e32 v13, v13, v14
	v_add_f32_e32 v13, v21, v13
	s_wait_alu 0xf1ff
	s_delay_alu instid0(VALU_DEP_1) | instskip(SKIP_2) | instid1(VALU_DEP_1)
	v_cndmask_b32_e64 v13, 0x7f800000, v13, s0
	v_cmp_gt_f32_e64 s0, 0x33800000, |v15|
	s_wait_alu 0xf1ff
	v_cndmask_b32_e64 v13, v13, v15, s0
	s_delay_alu instid0(VALU_DEP_1)
	v_add_f32_e32 v13, v5, v13
.LBB498_120:
	s_wait_alu 0xfffe
	s_or_b32 exec_lo, exec_lo, s1
	s_delay_alu instid0(VALU_DEP_1) | instskip(SKIP_1) | instid1(VALU_DEP_2)
	v_bfe_u32 v5, v13, 16, 1
	v_cmp_o_f32_e64 s0, v13, v13
	v_add3_u32 v5, v13, v5, 0x7fff
	s_delay_alu instid0(VALU_DEP_1) | instskip(SKIP_1) | instid1(VALU_DEP_1)
	v_lshrrev_b32_e32 v5, 16, v5
	s_wait_alu 0xf1ff
	v_cndmask_b32_e64 v5, 0x7fc0, v5, s0
	s_delay_alu instid0(VALU_DEP_1) | instskip(NEXT) | instid1(VALU_DEP_1)
	v_lshlrev_b32_e32 v14, 16, v5
	v_max_num_f32_e32 v13, v14, v14
	s_delay_alu instid0(VALU_DEP_1) | instskip(SKIP_3) | instid1(VALU_DEP_1)
	v_min_num_f32_e32 v15, v13, v23
	v_max_num_f32_e32 v13, v13, v23
	v_cmp_u_f32_e64 s0, v14, v14
	s_wait_alu 0xf1ff
	v_cndmask_b32_e64 v15, v15, v14, s0
	s_delay_alu instid0(VALU_DEP_3) | instskip(NEXT) | instid1(VALU_DEP_2)
	v_cndmask_b32_e64 v13, v13, v14, s0
	v_cndmask_b32_e64 v15, v15, v20, s22
	s_delay_alu instid0(VALU_DEP_2) | instskip(NEXT) | instid1(VALU_DEP_2)
	v_cndmask_b32_e64 v13, v13, v20, s22
	v_cmp_class_f32_e64 s1, v15, 0x1f8
	s_delay_alu instid0(VALU_DEP_2)
	v_cmp_neq_f32_e64 s0, v15, v13
	s_or_b32 s0, s0, s1
	s_wait_alu 0xfffe
	s_and_saveexec_b32 s1, s0
	s_cbranch_execz .LBB498_122
; %bb.121:
	v_sub_f32_e32 v14, v15, v13
	s_delay_alu instid0(VALU_DEP_1) | instskip(SKIP_1) | instid1(VALU_DEP_2)
	v_mul_f32_e32 v15, 0x3fb8aa3b, v14
	v_cmp_ngt_f32_e64 s0, 0xc2ce8ed0, v14
	v_fma_f32 v16, 0x3fb8aa3b, v14, -v15
	v_rndne_f32_e32 v17, v15
	s_delay_alu instid0(VALU_DEP_1) | instskip(NEXT) | instid1(VALU_DEP_1)
	v_dual_fmamk_f32 v16, v14, 0x32a5705f, v16 :: v_dual_sub_f32 v15, v15, v17
	v_add_f32_e32 v15, v15, v16
	v_cvt_i32_f32_e32 v16, v17
	s_delay_alu instid0(VALU_DEP_2) | instskip(NEXT) | instid1(TRANS32_DEP_1)
	v_exp_f32_e32 v15, v15
	v_ldexp_f32 v15, v15, v16
	s_wait_alu 0xf1ff
	s_delay_alu instid0(VALU_DEP_1) | instskip(SKIP_2) | instid1(VALU_DEP_1)
	v_cndmask_b32_e64 v15, 0, v15, s0
	v_cmp_nlt_f32_e64 s0, 0x42b17218, v14
	s_wait_alu 0xf1ff
	v_cndmask_b32_e64 v16, 0x7f800000, v15, s0
	s_delay_alu instid0(VALU_DEP_1) | instskip(NEXT) | instid1(VALU_DEP_1)
	v_add_f32_e32 v17, 1.0, v16
	v_cvt_f64_f32_e32 v[14:15], v17
	s_delay_alu instid0(VALU_DEP_1) | instskip(SKIP_1) | instid1(VALU_DEP_1)
	v_frexp_exp_i32_f64_e32 v14, v[14:15]
	v_frexp_mant_f32_e32 v15, v17
	v_cmp_gt_f32_e64 s0, 0x3f2aaaab, v15
	v_add_f32_e32 v15, -1.0, v17
	s_delay_alu instid0(VALU_DEP_1)
	v_sub_f32_e32 v19, v15, v17
	v_sub_f32_e32 v15, v16, v15
	s_wait_alu 0xf1ff
	v_subrev_co_ci_u32_e64 v14, null, 0, v14, s0
	s_mov_b32 s0, 0x3e9b6dac
	v_sub_nc_u32_e32 v18, 0, v14
	v_cvt_f32_i32_e32 v14, v14
	s_delay_alu instid0(VALU_DEP_2) | instskip(NEXT) | instid1(VALU_DEP_1)
	v_ldexp_f32 v17, v17, v18
	v_dual_add_f32 v20, 1.0, v17 :: v_dual_add_f32 v19, 1.0, v19
	s_delay_alu instid0(VALU_DEP_1) | instskip(NEXT) | instid1(VALU_DEP_2)
	v_add_f32_e32 v15, v15, v19
	v_add_f32_e32 v19, -1.0, v20
	s_delay_alu instid0(VALU_DEP_2) | instskip(NEXT) | instid1(VALU_DEP_2)
	v_ldexp_f32 v15, v15, v18
	v_dual_add_f32 v18, -1.0, v17 :: v_dual_sub_f32 v19, v17, v19
	s_delay_alu instid0(VALU_DEP_1) | instskip(NEXT) | instid1(VALU_DEP_2)
	v_add_f32_e32 v21, 1.0, v18
	v_add_f32_e32 v19, v15, v19
	s_delay_alu instid0(VALU_DEP_2) | instskip(NEXT) | instid1(VALU_DEP_2)
	v_sub_f32_e32 v17, v17, v21
	v_add_f32_e32 v21, v20, v19
	s_delay_alu instid0(VALU_DEP_2) | instskip(NEXT) | instid1(VALU_DEP_2)
	v_add_f32_e32 v15, v15, v17
	v_rcp_f32_e32 v17, v21
	v_sub_f32_e32 v20, v20, v21
	s_delay_alu instid0(VALU_DEP_1) | instskip(NEXT) | instid1(VALU_DEP_1)
	v_dual_add_f32 v22, v18, v15 :: v_dual_add_f32 v19, v19, v20
	v_sub_f32_e32 v18, v18, v22
	s_delay_alu instid0(TRANS32_DEP_1) | instskip(NEXT) | instid1(VALU_DEP_2)
	v_mul_f32_e32 v23, v22, v17
	v_add_f32_e32 v15, v15, v18
	s_delay_alu instid0(VALU_DEP_2) | instskip(NEXT) | instid1(VALU_DEP_1)
	v_mul_f32_e32 v25, v21, v23
	v_fma_f32 v20, v23, v21, -v25
	s_delay_alu instid0(VALU_DEP_1) | instskip(NEXT) | instid1(VALU_DEP_1)
	v_fmac_f32_e32 v20, v23, v19
	v_add_f32_e32 v26, v25, v20
	s_delay_alu instid0(VALU_DEP_1) | instskip(SKIP_1) | instid1(VALU_DEP_2)
	v_sub_f32_e32 v27, v22, v26
	v_sub_f32_e32 v18, v26, v25
	;; [unrolled: 1-line block ×3, first 2 shown]
	s_delay_alu instid0(VALU_DEP_2) | instskip(NEXT) | instid1(VALU_DEP_2)
	v_sub_f32_e32 v18, v18, v20
	v_sub_f32_e32 v22, v22, v26
	s_delay_alu instid0(VALU_DEP_1) | instskip(NEXT) | instid1(VALU_DEP_1)
	v_add_f32_e32 v15, v15, v22
	v_add_f32_e32 v15, v18, v15
	s_delay_alu instid0(VALU_DEP_1) | instskip(NEXT) | instid1(VALU_DEP_1)
	v_add_f32_e32 v18, v27, v15
	v_mul_f32_e32 v20, v17, v18
	v_sub_f32_e32 v26, v27, v18
	s_delay_alu instid0(VALU_DEP_1) | instskip(NEXT) | instid1(VALU_DEP_1)
	v_dual_mul_f32 v22, v21, v20 :: v_dual_add_f32 v15, v15, v26
	v_fma_f32 v21, v20, v21, -v22
	s_delay_alu instid0(VALU_DEP_1) | instskip(NEXT) | instid1(VALU_DEP_1)
	v_fmac_f32_e32 v21, v20, v19
	v_add_f32_e32 v19, v22, v21
	s_delay_alu instid0(VALU_DEP_1) | instskip(NEXT) | instid1(VALU_DEP_1)
	v_dual_sub_f32 v25, v18, v19 :: v_dual_sub_f32 v22, v19, v22
	v_sub_f32_e32 v18, v18, v25
	s_delay_alu instid0(VALU_DEP_1) | instskip(NEXT) | instid1(VALU_DEP_3)
	v_sub_f32_e32 v18, v18, v19
	v_sub_f32_e32 v19, v22, v21
	s_delay_alu instid0(VALU_DEP_2) | instskip(SKIP_1) | instid1(VALU_DEP_2)
	v_add_f32_e32 v15, v15, v18
	v_add_f32_e32 v18, v23, v20
	;; [unrolled: 1-line block ×3, first 2 shown]
	s_delay_alu instid0(VALU_DEP_2) | instskip(NEXT) | instid1(VALU_DEP_2)
	v_sub_f32_e32 v19, v18, v23
	v_add_f32_e32 v15, v25, v15
	s_delay_alu instid0(VALU_DEP_2) | instskip(NEXT) | instid1(VALU_DEP_2)
	v_sub_f32_e32 v19, v20, v19
	v_mul_f32_e32 v15, v17, v15
	s_delay_alu instid0(VALU_DEP_1) | instskip(NEXT) | instid1(VALU_DEP_1)
	v_add_f32_e32 v15, v19, v15
	v_add_f32_e32 v17, v18, v15
	s_delay_alu instid0(VALU_DEP_1) | instskip(SKIP_1) | instid1(VALU_DEP_1)
	v_mul_f32_e32 v19, v17, v17
	s_wait_alu 0xfffe
	v_fmaak_f32 v20, s0, v19, 0x3ecc95a3
	v_mul_f32_e32 v21, v17, v19
	v_cmp_neq_f32_e64 s0, 0x7f800000, v16
	s_delay_alu instid0(VALU_DEP_3) | instskip(SKIP_2) | instid1(VALU_DEP_3)
	v_fmaak_f32 v19, v19, v20, 0x3f2aaada
	v_ldexp_f32 v20, v17, 1
	v_sub_f32_e32 v17, v17, v18
	v_mul_f32_e32 v19, v21, v19
	v_mul_f32_e32 v21, 0x3f317218, v14
	s_delay_alu instid0(VALU_DEP_2) | instskip(NEXT) | instid1(VALU_DEP_1)
	v_dual_sub_f32 v15, v15, v17 :: v_dual_add_f32 v18, v20, v19
	v_ldexp_f32 v15, v15, 1
	s_delay_alu instid0(VALU_DEP_2) | instskip(NEXT) | instid1(VALU_DEP_4)
	v_sub_f32_e32 v17, v18, v20
	v_fma_f32 v20, 0x3f317218, v14, -v21
	s_delay_alu instid0(VALU_DEP_1) | instskip(NEXT) | instid1(VALU_DEP_1)
	v_dual_sub_f32 v17, v19, v17 :: v_dual_fmamk_f32 v14, v14, 0xb102e308, v20
	v_add_f32_e32 v15, v15, v17
	s_delay_alu instid0(VALU_DEP_2) | instskip(NEXT) | instid1(VALU_DEP_2)
	v_add_f32_e32 v17, v21, v14
	v_add_f32_e32 v19, v18, v15
	s_delay_alu instid0(VALU_DEP_2) | instskip(NEXT) | instid1(VALU_DEP_2)
	v_sub_f32_e32 v21, v17, v21
	v_add_f32_e32 v20, v17, v19
	v_sub_f32_e32 v18, v19, v18
	s_delay_alu instid0(VALU_DEP_3) | instskip(NEXT) | instid1(VALU_DEP_2)
	v_sub_f32_e32 v14, v14, v21
	v_dual_sub_f32 v22, v20, v17 :: v_dual_sub_f32 v15, v15, v18
	s_delay_alu instid0(VALU_DEP_1) | instskip(NEXT) | instid1(VALU_DEP_2)
	v_sub_f32_e32 v23, v20, v22
	v_dual_sub_f32 v18, v19, v22 :: v_dual_add_f32 v19, v14, v15
	s_delay_alu instid0(VALU_DEP_2) | instskip(NEXT) | instid1(VALU_DEP_1)
	v_sub_f32_e32 v17, v17, v23
	v_dual_add_f32 v17, v18, v17 :: v_dual_sub_f32 v18, v19, v14
	s_delay_alu instid0(VALU_DEP_1) | instskip(NEXT) | instid1(VALU_DEP_2)
	v_add_f32_e32 v17, v19, v17
	v_sub_f32_e32 v19, v19, v18
	v_sub_f32_e32 v15, v15, v18
	s_delay_alu instid0(VALU_DEP_2) | instskip(NEXT) | instid1(VALU_DEP_1)
	v_dual_add_f32 v21, v20, v17 :: v_dual_sub_f32 v14, v14, v19
	v_sub_f32_e32 v18, v21, v20
	s_delay_alu instid0(VALU_DEP_2) | instskip(NEXT) | instid1(VALU_DEP_2)
	v_add_f32_e32 v14, v15, v14
	v_sub_f32_e32 v15, v17, v18
	s_delay_alu instid0(VALU_DEP_1) | instskip(NEXT) | instid1(VALU_DEP_1)
	v_add_f32_e32 v14, v14, v15
	v_add_f32_e32 v14, v21, v14
	s_wait_alu 0xf1ff
	s_delay_alu instid0(VALU_DEP_1) | instskip(SKIP_2) | instid1(VALU_DEP_1)
	v_cndmask_b32_e64 v14, 0x7f800000, v14, s0
	v_cmp_gt_f32_e64 s0, 0x33800000, |v16|
	s_wait_alu 0xf1ff
	v_cndmask_b32_e64 v14, v14, v16, s0
	s_delay_alu instid0(VALU_DEP_1)
	v_add_f32_e32 v14, v13, v14
.LBB498_122:
	s_wait_alu 0xfffe
	s_or_b32 exec_lo, exec_lo, s1
	s_delay_alu instid0(VALU_DEP_1) | instskip(SKIP_1) | instid1(VALU_DEP_2)
	v_bfe_u32 v13, v14, 16, 1
	v_cmp_o_f32_e64 s0, v14, v14
	v_add3_u32 v13, v14, v13, 0x7fff
	s_delay_alu instid0(VALU_DEP_1) | instskip(SKIP_1) | instid1(VALU_DEP_1)
	v_lshrrev_b32_e32 v13, 16, v13
	s_wait_alu 0xf1ff
	v_cndmask_b32_e64 v13, 0x7fc0, v13, s0
	s_delay_alu instid0(VALU_DEP_1) | instskip(NEXT) | instid1(VALU_DEP_1)
	v_lshlrev_b32_e32 v14, 16, v13
	v_max_num_f32_e32 v15, v14, v14
	s_delay_alu instid0(VALU_DEP_1) | instskip(SKIP_3) | instid1(VALU_DEP_1)
	v_min_num_f32_e32 v16, v15, v24
	v_max_num_f32_e32 v15, v15, v24
	v_cmp_u_f32_e64 s0, v14, v14
	s_wait_alu 0xf1ff
	v_cndmask_b32_e64 v16, v16, v14, s0
	s_delay_alu instid0(VALU_DEP_3) | instskip(NEXT) | instid1(VALU_DEP_2)
	v_cndmask_b32_e64 v17, v15, v14, s0
	v_cndmask_b32_e64 v15, v16, v6, s23
	s_delay_alu instid0(VALU_DEP_2) | instskip(NEXT) | instid1(VALU_DEP_2)
	v_cndmask_b32_e64 v6, v17, v6, s23
	v_cmp_class_f32_e64 s1, v15, 0x1f8
	s_delay_alu instid0(VALU_DEP_2)
	v_cmp_neq_f32_e64 s0, v15, v6
	s_or_b32 s0, s0, s1
	s_wait_alu 0xfffe
	s_and_saveexec_b32 s1, s0
	s_cbranch_execz .LBB498_124
; %bb.123:
	v_sub_f32_e32 v14, v15, v6
	s_delay_alu instid0(VALU_DEP_1) | instskip(SKIP_1) | instid1(VALU_DEP_2)
	v_mul_f32_e32 v15, 0x3fb8aa3b, v14
	v_cmp_ngt_f32_e64 s0, 0xc2ce8ed0, v14
	v_fma_f32 v16, 0x3fb8aa3b, v14, -v15
	v_rndne_f32_e32 v17, v15
	s_delay_alu instid0(VALU_DEP_1) | instskip(NEXT) | instid1(VALU_DEP_1)
	v_dual_fmamk_f32 v16, v14, 0x32a5705f, v16 :: v_dual_sub_f32 v15, v15, v17
	v_add_f32_e32 v15, v15, v16
	v_cvt_i32_f32_e32 v16, v17
	s_delay_alu instid0(VALU_DEP_2) | instskip(NEXT) | instid1(TRANS32_DEP_1)
	v_exp_f32_e32 v15, v15
	v_ldexp_f32 v15, v15, v16
	s_wait_alu 0xf1ff
	s_delay_alu instid0(VALU_DEP_1) | instskip(SKIP_2) | instid1(VALU_DEP_1)
	v_cndmask_b32_e64 v15, 0, v15, s0
	v_cmp_nlt_f32_e64 s0, 0x42b17218, v14
	s_wait_alu 0xf1ff
	v_cndmask_b32_e64 v16, 0x7f800000, v15, s0
	s_delay_alu instid0(VALU_DEP_1) | instskip(NEXT) | instid1(VALU_DEP_1)
	v_add_f32_e32 v17, 1.0, v16
	v_cvt_f64_f32_e32 v[14:15], v17
	s_delay_alu instid0(VALU_DEP_1) | instskip(SKIP_1) | instid1(VALU_DEP_1)
	v_frexp_exp_i32_f64_e32 v14, v[14:15]
	v_frexp_mant_f32_e32 v15, v17
	v_cmp_gt_f32_e64 s0, 0x3f2aaaab, v15
	v_add_f32_e32 v15, -1.0, v17
	s_delay_alu instid0(VALU_DEP_1)
	v_sub_f32_e32 v19, v15, v17
	v_sub_f32_e32 v15, v16, v15
	s_wait_alu 0xf1ff
	v_subrev_co_ci_u32_e64 v14, null, 0, v14, s0
	s_mov_b32 s0, 0x3e9b6dac
	v_sub_nc_u32_e32 v18, 0, v14
	v_cvt_f32_i32_e32 v14, v14
	s_delay_alu instid0(VALU_DEP_2) | instskip(NEXT) | instid1(VALU_DEP_1)
	v_ldexp_f32 v17, v17, v18
	v_dual_add_f32 v20, 1.0, v17 :: v_dual_add_f32 v19, 1.0, v19
	s_delay_alu instid0(VALU_DEP_1) | instskip(NEXT) | instid1(VALU_DEP_2)
	v_add_f32_e32 v15, v15, v19
	v_add_f32_e32 v19, -1.0, v20
	s_delay_alu instid0(VALU_DEP_2) | instskip(NEXT) | instid1(VALU_DEP_2)
	v_ldexp_f32 v15, v15, v18
	v_dual_add_f32 v18, -1.0, v17 :: v_dual_sub_f32 v19, v17, v19
	s_delay_alu instid0(VALU_DEP_1) | instskip(NEXT) | instid1(VALU_DEP_2)
	v_add_f32_e32 v21, 1.0, v18
	v_add_f32_e32 v19, v15, v19
	s_delay_alu instid0(VALU_DEP_2) | instskip(NEXT) | instid1(VALU_DEP_2)
	v_sub_f32_e32 v17, v17, v21
	v_add_f32_e32 v21, v20, v19
	s_delay_alu instid0(VALU_DEP_2) | instskip(NEXT) | instid1(VALU_DEP_2)
	v_add_f32_e32 v15, v15, v17
	v_rcp_f32_e32 v17, v21
	v_sub_f32_e32 v20, v20, v21
	s_delay_alu instid0(VALU_DEP_1) | instskip(NEXT) | instid1(VALU_DEP_1)
	v_dual_add_f32 v22, v18, v15 :: v_dual_add_f32 v19, v19, v20
	v_sub_f32_e32 v18, v18, v22
	s_delay_alu instid0(TRANS32_DEP_1) | instskip(NEXT) | instid1(VALU_DEP_1)
	v_mul_f32_e32 v23, v22, v17
	v_dual_add_f32 v15, v15, v18 :: v_dual_mul_f32 v24, v21, v23
	s_delay_alu instid0(VALU_DEP_1) | instskip(NEXT) | instid1(VALU_DEP_1)
	v_fma_f32 v20, v23, v21, -v24
	v_fmac_f32_e32 v20, v23, v19
	s_delay_alu instid0(VALU_DEP_1) | instskip(NEXT) | instid1(VALU_DEP_1)
	v_add_f32_e32 v25, v24, v20
	v_sub_f32_e32 v26, v22, v25
	v_sub_f32_e32 v18, v25, v24
	s_delay_alu instid0(VALU_DEP_2) | instskip(NEXT) | instid1(VALU_DEP_2)
	v_sub_f32_e32 v22, v22, v26
	v_sub_f32_e32 v18, v18, v20
	s_delay_alu instid0(VALU_DEP_2) | instskip(NEXT) | instid1(VALU_DEP_1)
	v_sub_f32_e32 v22, v22, v25
	v_add_f32_e32 v15, v15, v22
	s_delay_alu instid0(VALU_DEP_1) | instskip(NEXT) | instid1(VALU_DEP_1)
	v_add_f32_e32 v15, v18, v15
	v_add_f32_e32 v18, v26, v15
	s_delay_alu instid0(VALU_DEP_1) | instskip(NEXT) | instid1(VALU_DEP_1)
	v_mul_f32_e32 v20, v17, v18
	v_dual_sub_f32 v25, v26, v18 :: v_dual_mul_f32 v22, v21, v20
	s_delay_alu instid0(VALU_DEP_1) | instskip(NEXT) | instid1(VALU_DEP_2)
	v_add_f32_e32 v15, v15, v25
	v_fma_f32 v21, v20, v21, -v22
	s_delay_alu instid0(VALU_DEP_1) | instskip(NEXT) | instid1(VALU_DEP_1)
	v_fmac_f32_e32 v21, v20, v19
	v_add_f32_e32 v19, v22, v21
	s_delay_alu instid0(VALU_DEP_1) | instskip(SKIP_1) | instid1(VALU_DEP_2)
	v_sub_f32_e32 v24, v18, v19
	v_sub_f32_e32 v22, v19, v22
	;; [unrolled: 1-line block ×3, first 2 shown]
	s_delay_alu instid0(VALU_DEP_1) | instskip(NEXT) | instid1(VALU_DEP_3)
	v_sub_f32_e32 v18, v18, v19
	v_sub_f32_e32 v19, v22, v21
	s_delay_alu instid0(VALU_DEP_2) | instskip(SKIP_1) | instid1(VALU_DEP_2)
	v_add_f32_e32 v15, v15, v18
	v_add_f32_e32 v18, v23, v20
	v_add_f32_e32 v15, v19, v15
	s_delay_alu instid0(VALU_DEP_2) | instskip(NEXT) | instid1(VALU_DEP_2)
	v_sub_f32_e32 v19, v18, v23
	v_add_f32_e32 v15, v24, v15
	s_delay_alu instid0(VALU_DEP_2) | instskip(NEXT) | instid1(VALU_DEP_2)
	v_sub_f32_e32 v19, v20, v19
	v_mul_f32_e32 v15, v17, v15
	s_delay_alu instid0(VALU_DEP_1) | instskip(NEXT) | instid1(VALU_DEP_1)
	v_add_f32_e32 v15, v19, v15
	v_add_f32_e32 v17, v18, v15
	s_delay_alu instid0(VALU_DEP_1) | instskip(SKIP_1) | instid1(VALU_DEP_1)
	v_mul_f32_e32 v19, v17, v17
	s_wait_alu 0xfffe
	v_fmaak_f32 v20, s0, v19, 0x3ecc95a3
	v_mul_f32_e32 v21, v17, v19
	v_cmp_neq_f32_e64 s0, 0x7f800000, v16
	s_delay_alu instid0(VALU_DEP_3) | instskip(SKIP_2) | instid1(VALU_DEP_3)
	v_fmaak_f32 v19, v19, v20, 0x3f2aaada
	v_ldexp_f32 v20, v17, 1
	v_sub_f32_e32 v17, v17, v18
	v_mul_f32_e32 v19, v21, v19
	v_mul_f32_e32 v21, 0x3f317218, v14
	s_delay_alu instid0(VALU_DEP_2) | instskip(NEXT) | instid1(VALU_DEP_1)
	v_dual_sub_f32 v15, v15, v17 :: v_dual_add_f32 v18, v20, v19
	v_ldexp_f32 v15, v15, 1
	s_delay_alu instid0(VALU_DEP_2) | instskip(NEXT) | instid1(VALU_DEP_4)
	v_sub_f32_e32 v17, v18, v20
	v_fma_f32 v20, 0x3f317218, v14, -v21
	s_delay_alu instid0(VALU_DEP_1) | instskip(NEXT) | instid1(VALU_DEP_1)
	v_dual_sub_f32 v17, v19, v17 :: v_dual_fmamk_f32 v14, v14, 0xb102e308, v20
	v_add_f32_e32 v15, v15, v17
	s_delay_alu instid0(VALU_DEP_2) | instskip(NEXT) | instid1(VALU_DEP_2)
	v_add_f32_e32 v17, v21, v14
	v_add_f32_e32 v19, v18, v15
	s_delay_alu instid0(VALU_DEP_2) | instskip(NEXT) | instid1(VALU_DEP_2)
	v_sub_f32_e32 v21, v17, v21
	v_add_f32_e32 v20, v17, v19
	v_sub_f32_e32 v18, v19, v18
	s_delay_alu instid0(VALU_DEP_3) | instskip(NEXT) | instid1(VALU_DEP_2)
	v_sub_f32_e32 v14, v14, v21
	v_dual_sub_f32 v22, v20, v17 :: v_dual_sub_f32 v15, v15, v18
	s_delay_alu instid0(VALU_DEP_1) | instskip(NEXT) | instid1(VALU_DEP_2)
	v_sub_f32_e32 v23, v20, v22
	v_dual_sub_f32 v18, v19, v22 :: v_dual_add_f32 v19, v14, v15
	s_delay_alu instid0(VALU_DEP_2) | instskip(NEXT) | instid1(VALU_DEP_1)
	v_sub_f32_e32 v17, v17, v23
	v_dual_add_f32 v17, v18, v17 :: v_dual_sub_f32 v18, v19, v14
	s_delay_alu instid0(VALU_DEP_1) | instskip(NEXT) | instid1(VALU_DEP_2)
	v_add_f32_e32 v17, v19, v17
	v_sub_f32_e32 v19, v19, v18
	v_sub_f32_e32 v15, v15, v18
	s_delay_alu instid0(VALU_DEP_2) | instskip(NEXT) | instid1(VALU_DEP_1)
	v_dual_add_f32 v21, v20, v17 :: v_dual_sub_f32 v14, v14, v19
	v_sub_f32_e32 v18, v21, v20
	s_delay_alu instid0(VALU_DEP_2) | instskip(NEXT) | instid1(VALU_DEP_2)
	v_add_f32_e32 v14, v15, v14
	v_sub_f32_e32 v15, v17, v18
	s_delay_alu instid0(VALU_DEP_1) | instskip(NEXT) | instid1(VALU_DEP_1)
	v_add_f32_e32 v14, v14, v15
	v_add_f32_e32 v14, v21, v14
	s_wait_alu 0xf1ff
	s_delay_alu instid0(VALU_DEP_1) | instskip(SKIP_2) | instid1(VALU_DEP_1)
	v_cndmask_b32_e64 v14, 0x7f800000, v14, s0
	v_cmp_gt_f32_e64 s0, 0x33800000, |v16|
	s_wait_alu 0xf1ff
	v_cndmask_b32_e64 v14, v14, v16, s0
	s_delay_alu instid0(VALU_DEP_1)
	v_add_f32_e32 v14, v6, v14
.LBB498_124:
	s_wait_alu 0xfffe
	s_or_b32 exec_lo, exec_lo, s1
	s_delay_alu instid0(VALU_DEP_1)
	v_bfe_u32 v6, v14, 16, 1
	v_cmp_o_f32_e64 s0, v14, v14
	v_add_nc_u32_e32 v15, v7, v29
	v_perm_b32 v4, v4, v11, 0x5040100
	v_perm_b32 v3, v3, v10, 0x5040100
	v_add3_u32 v6, v14, v6, 0x7fff
	v_perm_b32 v2, v2, v9, 0x5040100
	v_perm_b32 v1, v8, v1, 0x5040100
	;; [unrolled: 1-line block ×3, first 2 shown]
	s_wait_loadcnt 0x0
	v_lshrrev_b32_e32 v6, 16, v6
	s_barrier_signal -1
	s_barrier_wait -1
	global_inv scope:SCOPE_SE
	v_lshlrev_b32_e32 v0, 1, v0
	s_wait_alu 0xf1ff
	v_cndmask_b32_e64 v6, 0x7fc0, v6, s0
	s_wait_kmcnt 0x0
	s_delay_alu instid0(VALU_DEP_2) | instskip(NEXT) | instid1(VALU_DEP_2)
	v_add_co_u32 v0, s0, s26, v0
	v_perm_b32 v6, v6, v13, 0x5040100
	ds_store_2addr_b64 v15, v[1:2], v[3:4] offset1:1
	ds_store_b64 v15, v[5:6] offset:16
	s_wait_loadcnt_dscnt 0x0
	s_barrier_signal -1
	s_barrier_wait -1
	global_inv scope:SCOPE_SE
	ds_load_u16 v13, v7 offset:512
	ds_load_u16 v12, v7 offset:1024
	;; [unrolled: 1-line block ×11, first 2 shown]
	s_wait_alu 0xf1ff
	v_add_co_ci_u32_e64 v1, null, s27, 0, s0
	s_and_saveexec_b32 s0, vcc_lo
	s_cbranch_execnz .LBB498_137
; %bb.125:
	s_wait_alu 0xfffe
	s_or_b32 exec_lo, exec_lo, s0
	s_and_saveexec_b32 s0, s2
	s_cbranch_execnz .LBB498_138
.LBB498_126:
	s_wait_alu 0xfffe
	s_or_b32 exec_lo, exec_lo, s0
	s_and_saveexec_b32 s0, s3
	s_cbranch_execnz .LBB498_139
.LBB498_127:
	s_wait_alu 0xfffe
	s_or_b32 exec_lo, exec_lo, s0
	s_and_saveexec_b32 s0, s4
	s_cbranch_execnz .LBB498_140
.LBB498_128:
	s_wait_alu 0xfffe
	s_or_b32 exec_lo, exec_lo, s0
	s_and_saveexec_b32 s0, s5
	s_cbranch_execnz .LBB498_141
.LBB498_129:
	s_wait_alu 0xfffe
	s_or_b32 exec_lo, exec_lo, s0
	s_and_saveexec_b32 s0, s6
	s_cbranch_execnz .LBB498_142
.LBB498_130:
	s_wait_alu 0xfffe
	s_or_b32 exec_lo, exec_lo, s0
	s_and_saveexec_b32 s0, s7
	s_cbranch_execnz .LBB498_143
.LBB498_131:
	s_wait_alu 0xfffe
	s_or_b32 exec_lo, exec_lo, s0
	s_and_saveexec_b32 s0, s8
	s_cbranch_execnz .LBB498_144
.LBB498_132:
	s_wait_alu 0xfffe
	s_or_b32 exec_lo, exec_lo, s0
	s_and_saveexec_b32 s0, s9
	s_cbranch_execnz .LBB498_145
.LBB498_133:
	s_wait_alu 0xfffe
	s_or_b32 exec_lo, exec_lo, s0
	s_and_saveexec_b32 s0, s10
	s_cbranch_execnz .LBB498_146
.LBB498_134:
	s_wait_alu 0xfffe
	s_or_b32 exec_lo, exec_lo, s0
	s_and_saveexec_b32 s0, s11
	s_cbranch_execnz .LBB498_147
.LBB498_135:
	s_wait_alu 0xfffe
	s_or_b32 exec_lo, exec_lo, s0
	s_and_saveexec_b32 s0, s12
	s_cbranch_execnz .LBB498_148
.LBB498_136:
	s_endpgm
.LBB498_137:
	ds_load_u16 v7, v7
	s_wait_dscnt 0x0
	global_store_b16 v[0:1], v7, off
	s_wait_alu 0xfffe
	s_or_b32 exec_lo, exec_lo, s0
	s_and_saveexec_b32 s0, s2
	s_cbranch_execz .LBB498_126
.LBB498_138:
	s_wait_dscnt 0xa
	global_store_b16 v[0:1], v13, off offset:512
	s_wait_alu 0xfffe
	s_or_b32 exec_lo, exec_lo, s0
	s_and_saveexec_b32 s0, s3
	s_cbranch_execz .LBB498_127
.LBB498_139:
	s_wait_dscnt 0x9
	global_store_b16 v[0:1], v12, off offset:1024
	s_wait_alu 0xfffe
	s_or_b32 exec_lo, exec_lo, s0
	s_and_saveexec_b32 s0, s4
	s_cbranch_execz .LBB498_128
.LBB498_140:
	s_wait_dscnt 0x8
	global_store_b16 v[0:1], v11, off offset:1536
	s_wait_alu 0xfffe
	s_or_b32 exec_lo, exec_lo, s0
	s_and_saveexec_b32 s0, s5
	s_cbranch_execz .LBB498_129
.LBB498_141:
	s_wait_dscnt 0x7
	global_store_b16 v[0:1], v10, off offset:2048
	s_wait_alu 0xfffe
	s_or_b32 exec_lo, exec_lo, s0
	s_and_saveexec_b32 s0, s6
	s_cbranch_execz .LBB498_130
.LBB498_142:
	s_wait_dscnt 0x6
	global_store_b16 v[0:1], v9, off offset:2560
	s_wait_alu 0xfffe
	s_or_b32 exec_lo, exec_lo, s0
	s_and_saveexec_b32 s0, s7
	s_cbranch_execz .LBB498_131
.LBB498_143:
	s_wait_dscnt 0x5
	global_store_b16 v[0:1], v8, off offset:3072
	s_wait_alu 0xfffe
	s_or_b32 exec_lo, exec_lo, s0
	s_and_saveexec_b32 s0, s8
	s_cbranch_execz .LBB498_132
.LBB498_144:
	s_wait_dscnt 0x4
	global_store_b16 v[0:1], v6, off offset:3584
	s_wait_alu 0xfffe
	s_or_b32 exec_lo, exec_lo, s0
	s_and_saveexec_b32 s0, s9
	s_cbranch_execz .LBB498_133
.LBB498_145:
	s_wait_dscnt 0x3
	global_store_b16 v[0:1], v5, off offset:4096
	s_wait_alu 0xfffe
	s_or_b32 exec_lo, exec_lo, s0
	s_and_saveexec_b32 s0, s10
	s_cbranch_execz .LBB498_134
.LBB498_146:
	s_wait_dscnt 0x2
	global_store_b16 v[0:1], v4, off offset:4608
	s_wait_alu 0xfffe
	s_or_b32 exec_lo, exec_lo, s0
	s_and_saveexec_b32 s0, s11
	s_cbranch_execz .LBB498_135
.LBB498_147:
	s_wait_dscnt 0x1
	global_store_b16 v[0:1], v3, off offset:5120
	s_wait_alu 0xfffe
	s_or_b32 exec_lo, exec_lo, s0
	s_and_saveexec_b32 s0, s12
	s_cbranch_execz .LBB498_136
.LBB498_148:
	s_wait_dscnt 0x0
	global_store_b16 v[0:1], v2, off offset:5632
	s_endpgm
	.section	.rodata,"a",@progbits
	.p2align	6, 0x0
	.amdhsa_kernel _ZN7rocprim17ROCPRIM_400000_NS6detail17trampoline_kernelINS0_14default_configENS1_20scan_config_selectorIN3c108BFloat16EEEZZNS1_9scan_implILNS1_25lookback_scan_determinismE0ELb0ELb0ES3_PKS6_PS6_S6_ZZZN2at6native31launch_logcumsumexp_cuda_kernelERKNSD_10TensorBaseESH_lENKUlvE_clEvENKUlvE4_clEvEUlS6_S6_E_S6_EEDaPvRmT3_T4_T5_mT6_P12ihipStream_tbENKUlT_T0_E_clISt17integral_constantIbLb1EESX_IbLb0EEEEDaST_SU_EUlST_E0_NS1_11comp_targetILNS1_3genE10ELNS1_11target_archE1201ELNS1_3gpuE5ELNS1_3repE0EEENS1_30default_config_static_selectorELNS0_4arch9wavefront6targetE0EEEvT1_
		.amdhsa_group_segment_fixed_size 6144
		.amdhsa_private_segment_fixed_size 0
		.amdhsa_kernarg_size 32
		.amdhsa_user_sgpr_count 2
		.amdhsa_user_sgpr_dispatch_ptr 0
		.amdhsa_user_sgpr_queue_ptr 0
		.amdhsa_user_sgpr_kernarg_segment_ptr 1
		.amdhsa_user_sgpr_dispatch_id 0
		.amdhsa_user_sgpr_private_segment_size 0
		.amdhsa_wavefront_size32 1
		.amdhsa_uses_dynamic_stack 0
		.amdhsa_enable_private_segment 0
		.amdhsa_system_sgpr_workgroup_id_x 1
		.amdhsa_system_sgpr_workgroup_id_y 0
		.amdhsa_system_sgpr_workgroup_id_z 0
		.amdhsa_system_sgpr_workgroup_info 0
		.amdhsa_system_vgpr_workitem_id 0
		.amdhsa_next_free_vgpr 49
		.amdhsa_next_free_sgpr 30
		.amdhsa_reserve_vcc 1
		.amdhsa_float_round_mode_32 0
		.amdhsa_float_round_mode_16_64 0
		.amdhsa_float_denorm_mode_32 3
		.amdhsa_float_denorm_mode_16_64 3
		.amdhsa_fp16_overflow 0
		.amdhsa_workgroup_processor_mode 1
		.amdhsa_memory_ordered 1
		.amdhsa_forward_progress 1
		.amdhsa_inst_pref_size 255
		.amdhsa_round_robin_scheduling 0
		.amdhsa_exception_fp_ieee_invalid_op 0
		.amdhsa_exception_fp_denorm_src 0
		.amdhsa_exception_fp_ieee_div_zero 0
		.amdhsa_exception_fp_ieee_overflow 0
		.amdhsa_exception_fp_ieee_underflow 0
		.amdhsa_exception_fp_ieee_inexact 0
		.amdhsa_exception_int_div_zero 0
	.end_amdhsa_kernel
	.section	.text._ZN7rocprim17ROCPRIM_400000_NS6detail17trampoline_kernelINS0_14default_configENS1_20scan_config_selectorIN3c108BFloat16EEEZZNS1_9scan_implILNS1_25lookback_scan_determinismE0ELb0ELb0ES3_PKS6_PS6_S6_ZZZN2at6native31launch_logcumsumexp_cuda_kernelERKNSD_10TensorBaseESH_lENKUlvE_clEvENKUlvE4_clEvEUlS6_S6_E_S6_EEDaPvRmT3_T4_T5_mT6_P12ihipStream_tbENKUlT_T0_E_clISt17integral_constantIbLb1EESX_IbLb0EEEEDaST_SU_EUlST_E0_NS1_11comp_targetILNS1_3genE10ELNS1_11target_archE1201ELNS1_3gpuE5ELNS1_3repE0EEENS1_30default_config_static_selectorELNS0_4arch9wavefront6targetE0EEEvT1_,"axG",@progbits,_ZN7rocprim17ROCPRIM_400000_NS6detail17trampoline_kernelINS0_14default_configENS1_20scan_config_selectorIN3c108BFloat16EEEZZNS1_9scan_implILNS1_25lookback_scan_determinismE0ELb0ELb0ES3_PKS6_PS6_S6_ZZZN2at6native31launch_logcumsumexp_cuda_kernelERKNSD_10TensorBaseESH_lENKUlvE_clEvENKUlvE4_clEvEUlS6_S6_E_S6_EEDaPvRmT3_T4_T5_mT6_P12ihipStream_tbENKUlT_T0_E_clISt17integral_constantIbLb1EESX_IbLb0EEEEDaST_SU_EUlST_E0_NS1_11comp_targetILNS1_3genE10ELNS1_11target_archE1201ELNS1_3gpuE5ELNS1_3repE0EEENS1_30default_config_static_selectorELNS0_4arch9wavefront6targetE0EEEvT1_,comdat
.Lfunc_end498:
	.size	_ZN7rocprim17ROCPRIM_400000_NS6detail17trampoline_kernelINS0_14default_configENS1_20scan_config_selectorIN3c108BFloat16EEEZZNS1_9scan_implILNS1_25lookback_scan_determinismE0ELb0ELb0ES3_PKS6_PS6_S6_ZZZN2at6native31launch_logcumsumexp_cuda_kernelERKNSD_10TensorBaseESH_lENKUlvE_clEvENKUlvE4_clEvEUlS6_S6_E_S6_EEDaPvRmT3_T4_T5_mT6_P12ihipStream_tbENKUlT_T0_E_clISt17integral_constantIbLb1EESX_IbLb0EEEEDaST_SU_EUlST_E0_NS1_11comp_targetILNS1_3genE10ELNS1_11target_archE1201ELNS1_3gpuE5ELNS1_3repE0EEENS1_30default_config_static_selectorELNS0_4arch9wavefront6targetE0EEEvT1_, .Lfunc_end498-_ZN7rocprim17ROCPRIM_400000_NS6detail17trampoline_kernelINS0_14default_configENS1_20scan_config_selectorIN3c108BFloat16EEEZZNS1_9scan_implILNS1_25lookback_scan_determinismE0ELb0ELb0ES3_PKS6_PS6_S6_ZZZN2at6native31launch_logcumsumexp_cuda_kernelERKNSD_10TensorBaseESH_lENKUlvE_clEvENKUlvE4_clEvEUlS6_S6_E_S6_EEDaPvRmT3_T4_T5_mT6_P12ihipStream_tbENKUlT_T0_E_clISt17integral_constantIbLb1EESX_IbLb0EEEEDaST_SU_EUlST_E0_NS1_11comp_targetILNS1_3genE10ELNS1_11target_archE1201ELNS1_3gpuE5ELNS1_3repE0EEENS1_30default_config_static_selectorELNS0_4arch9wavefront6targetE0EEEvT1_
                                        ; -- End function
	.set _ZN7rocprim17ROCPRIM_400000_NS6detail17trampoline_kernelINS0_14default_configENS1_20scan_config_selectorIN3c108BFloat16EEEZZNS1_9scan_implILNS1_25lookback_scan_determinismE0ELb0ELb0ES3_PKS6_PS6_S6_ZZZN2at6native31launch_logcumsumexp_cuda_kernelERKNSD_10TensorBaseESH_lENKUlvE_clEvENKUlvE4_clEvEUlS6_S6_E_S6_EEDaPvRmT3_T4_T5_mT6_P12ihipStream_tbENKUlT_T0_E_clISt17integral_constantIbLb1EESX_IbLb0EEEEDaST_SU_EUlST_E0_NS1_11comp_targetILNS1_3genE10ELNS1_11target_archE1201ELNS1_3gpuE5ELNS1_3repE0EEENS1_30default_config_static_selectorELNS0_4arch9wavefront6targetE0EEEvT1_.num_vgpr, 49
	.set _ZN7rocprim17ROCPRIM_400000_NS6detail17trampoline_kernelINS0_14default_configENS1_20scan_config_selectorIN3c108BFloat16EEEZZNS1_9scan_implILNS1_25lookback_scan_determinismE0ELb0ELb0ES3_PKS6_PS6_S6_ZZZN2at6native31launch_logcumsumexp_cuda_kernelERKNSD_10TensorBaseESH_lENKUlvE_clEvENKUlvE4_clEvEUlS6_S6_E_S6_EEDaPvRmT3_T4_T5_mT6_P12ihipStream_tbENKUlT_T0_E_clISt17integral_constantIbLb1EESX_IbLb0EEEEDaST_SU_EUlST_E0_NS1_11comp_targetILNS1_3genE10ELNS1_11target_archE1201ELNS1_3gpuE5ELNS1_3repE0EEENS1_30default_config_static_selectorELNS0_4arch9wavefront6targetE0EEEvT1_.num_agpr, 0
	.set _ZN7rocprim17ROCPRIM_400000_NS6detail17trampoline_kernelINS0_14default_configENS1_20scan_config_selectorIN3c108BFloat16EEEZZNS1_9scan_implILNS1_25lookback_scan_determinismE0ELb0ELb0ES3_PKS6_PS6_S6_ZZZN2at6native31launch_logcumsumexp_cuda_kernelERKNSD_10TensorBaseESH_lENKUlvE_clEvENKUlvE4_clEvEUlS6_S6_E_S6_EEDaPvRmT3_T4_T5_mT6_P12ihipStream_tbENKUlT_T0_E_clISt17integral_constantIbLb1EESX_IbLb0EEEEDaST_SU_EUlST_E0_NS1_11comp_targetILNS1_3genE10ELNS1_11target_archE1201ELNS1_3gpuE5ELNS1_3repE0EEENS1_30default_config_static_selectorELNS0_4arch9wavefront6targetE0EEEvT1_.numbered_sgpr, 30
	.set _ZN7rocprim17ROCPRIM_400000_NS6detail17trampoline_kernelINS0_14default_configENS1_20scan_config_selectorIN3c108BFloat16EEEZZNS1_9scan_implILNS1_25lookback_scan_determinismE0ELb0ELb0ES3_PKS6_PS6_S6_ZZZN2at6native31launch_logcumsumexp_cuda_kernelERKNSD_10TensorBaseESH_lENKUlvE_clEvENKUlvE4_clEvEUlS6_S6_E_S6_EEDaPvRmT3_T4_T5_mT6_P12ihipStream_tbENKUlT_T0_E_clISt17integral_constantIbLb1EESX_IbLb0EEEEDaST_SU_EUlST_E0_NS1_11comp_targetILNS1_3genE10ELNS1_11target_archE1201ELNS1_3gpuE5ELNS1_3repE0EEENS1_30default_config_static_selectorELNS0_4arch9wavefront6targetE0EEEvT1_.num_named_barrier, 0
	.set _ZN7rocprim17ROCPRIM_400000_NS6detail17trampoline_kernelINS0_14default_configENS1_20scan_config_selectorIN3c108BFloat16EEEZZNS1_9scan_implILNS1_25lookback_scan_determinismE0ELb0ELb0ES3_PKS6_PS6_S6_ZZZN2at6native31launch_logcumsumexp_cuda_kernelERKNSD_10TensorBaseESH_lENKUlvE_clEvENKUlvE4_clEvEUlS6_S6_E_S6_EEDaPvRmT3_T4_T5_mT6_P12ihipStream_tbENKUlT_T0_E_clISt17integral_constantIbLb1EESX_IbLb0EEEEDaST_SU_EUlST_E0_NS1_11comp_targetILNS1_3genE10ELNS1_11target_archE1201ELNS1_3gpuE5ELNS1_3repE0EEENS1_30default_config_static_selectorELNS0_4arch9wavefront6targetE0EEEvT1_.private_seg_size, 0
	.set _ZN7rocprim17ROCPRIM_400000_NS6detail17trampoline_kernelINS0_14default_configENS1_20scan_config_selectorIN3c108BFloat16EEEZZNS1_9scan_implILNS1_25lookback_scan_determinismE0ELb0ELb0ES3_PKS6_PS6_S6_ZZZN2at6native31launch_logcumsumexp_cuda_kernelERKNSD_10TensorBaseESH_lENKUlvE_clEvENKUlvE4_clEvEUlS6_S6_E_S6_EEDaPvRmT3_T4_T5_mT6_P12ihipStream_tbENKUlT_T0_E_clISt17integral_constantIbLb1EESX_IbLb0EEEEDaST_SU_EUlST_E0_NS1_11comp_targetILNS1_3genE10ELNS1_11target_archE1201ELNS1_3gpuE5ELNS1_3repE0EEENS1_30default_config_static_selectorELNS0_4arch9wavefront6targetE0EEEvT1_.uses_vcc, 1
	.set _ZN7rocprim17ROCPRIM_400000_NS6detail17trampoline_kernelINS0_14default_configENS1_20scan_config_selectorIN3c108BFloat16EEEZZNS1_9scan_implILNS1_25lookback_scan_determinismE0ELb0ELb0ES3_PKS6_PS6_S6_ZZZN2at6native31launch_logcumsumexp_cuda_kernelERKNSD_10TensorBaseESH_lENKUlvE_clEvENKUlvE4_clEvEUlS6_S6_E_S6_EEDaPvRmT3_T4_T5_mT6_P12ihipStream_tbENKUlT_T0_E_clISt17integral_constantIbLb1EESX_IbLb0EEEEDaST_SU_EUlST_E0_NS1_11comp_targetILNS1_3genE10ELNS1_11target_archE1201ELNS1_3gpuE5ELNS1_3repE0EEENS1_30default_config_static_selectorELNS0_4arch9wavefront6targetE0EEEvT1_.uses_flat_scratch, 0
	.set _ZN7rocprim17ROCPRIM_400000_NS6detail17trampoline_kernelINS0_14default_configENS1_20scan_config_selectorIN3c108BFloat16EEEZZNS1_9scan_implILNS1_25lookback_scan_determinismE0ELb0ELb0ES3_PKS6_PS6_S6_ZZZN2at6native31launch_logcumsumexp_cuda_kernelERKNSD_10TensorBaseESH_lENKUlvE_clEvENKUlvE4_clEvEUlS6_S6_E_S6_EEDaPvRmT3_T4_T5_mT6_P12ihipStream_tbENKUlT_T0_E_clISt17integral_constantIbLb1EESX_IbLb0EEEEDaST_SU_EUlST_E0_NS1_11comp_targetILNS1_3genE10ELNS1_11target_archE1201ELNS1_3gpuE5ELNS1_3repE0EEENS1_30default_config_static_selectorELNS0_4arch9wavefront6targetE0EEEvT1_.has_dyn_sized_stack, 0
	.set _ZN7rocprim17ROCPRIM_400000_NS6detail17trampoline_kernelINS0_14default_configENS1_20scan_config_selectorIN3c108BFloat16EEEZZNS1_9scan_implILNS1_25lookback_scan_determinismE0ELb0ELb0ES3_PKS6_PS6_S6_ZZZN2at6native31launch_logcumsumexp_cuda_kernelERKNSD_10TensorBaseESH_lENKUlvE_clEvENKUlvE4_clEvEUlS6_S6_E_S6_EEDaPvRmT3_T4_T5_mT6_P12ihipStream_tbENKUlT_T0_E_clISt17integral_constantIbLb1EESX_IbLb0EEEEDaST_SU_EUlST_E0_NS1_11comp_targetILNS1_3genE10ELNS1_11target_archE1201ELNS1_3gpuE5ELNS1_3repE0EEENS1_30default_config_static_selectorELNS0_4arch9wavefront6targetE0EEEvT1_.has_recursion, 0
	.set _ZN7rocprim17ROCPRIM_400000_NS6detail17trampoline_kernelINS0_14default_configENS1_20scan_config_selectorIN3c108BFloat16EEEZZNS1_9scan_implILNS1_25lookback_scan_determinismE0ELb0ELb0ES3_PKS6_PS6_S6_ZZZN2at6native31launch_logcumsumexp_cuda_kernelERKNSD_10TensorBaseESH_lENKUlvE_clEvENKUlvE4_clEvEUlS6_S6_E_S6_EEDaPvRmT3_T4_T5_mT6_P12ihipStream_tbENKUlT_T0_E_clISt17integral_constantIbLb1EESX_IbLb0EEEEDaST_SU_EUlST_E0_NS1_11comp_targetILNS1_3genE10ELNS1_11target_archE1201ELNS1_3gpuE5ELNS1_3repE0EEENS1_30default_config_static_selectorELNS0_4arch9wavefront6targetE0EEEvT1_.has_indirect_call, 0
	.section	.AMDGPU.csdata,"",@progbits
; Kernel info:
; codeLenInByte = 46580
; TotalNumSgprs: 32
; NumVgprs: 49
; ScratchSize: 0
; MemoryBound: 0
; FloatMode: 240
; IeeeMode: 1
; LDSByteSize: 6144 bytes/workgroup (compile time only)
; SGPRBlocks: 0
; VGPRBlocks: 6
; NumSGPRsForWavesPerEU: 32
; NumVGPRsForWavesPerEU: 49
; Occupancy: 16
; WaveLimiterHint : 0
; COMPUTE_PGM_RSRC2:SCRATCH_EN: 0
; COMPUTE_PGM_RSRC2:USER_SGPR: 2
; COMPUTE_PGM_RSRC2:TRAP_HANDLER: 0
; COMPUTE_PGM_RSRC2:TGID_X_EN: 1
; COMPUTE_PGM_RSRC2:TGID_Y_EN: 0
; COMPUTE_PGM_RSRC2:TGID_Z_EN: 0
; COMPUTE_PGM_RSRC2:TIDIG_COMP_CNT: 0
	.section	.text._ZN7rocprim17ROCPRIM_400000_NS6detail17trampoline_kernelINS0_14default_configENS1_20scan_config_selectorIN3c108BFloat16EEEZZNS1_9scan_implILNS1_25lookback_scan_determinismE0ELb0ELb0ES3_PKS6_PS6_S6_ZZZN2at6native31launch_logcumsumexp_cuda_kernelERKNSD_10TensorBaseESH_lENKUlvE_clEvENKUlvE4_clEvEUlS6_S6_E_S6_EEDaPvRmT3_T4_T5_mT6_P12ihipStream_tbENKUlT_T0_E_clISt17integral_constantIbLb1EESX_IbLb0EEEEDaST_SU_EUlST_E0_NS1_11comp_targetILNS1_3genE10ELNS1_11target_archE1200ELNS1_3gpuE4ELNS1_3repE0EEENS1_30default_config_static_selectorELNS0_4arch9wavefront6targetE0EEEvT1_,"axG",@progbits,_ZN7rocprim17ROCPRIM_400000_NS6detail17trampoline_kernelINS0_14default_configENS1_20scan_config_selectorIN3c108BFloat16EEEZZNS1_9scan_implILNS1_25lookback_scan_determinismE0ELb0ELb0ES3_PKS6_PS6_S6_ZZZN2at6native31launch_logcumsumexp_cuda_kernelERKNSD_10TensorBaseESH_lENKUlvE_clEvENKUlvE4_clEvEUlS6_S6_E_S6_EEDaPvRmT3_T4_T5_mT6_P12ihipStream_tbENKUlT_T0_E_clISt17integral_constantIbLb1EESX_IbLb0EEEEDaST_SU_EUlST_E0_NS1_11comp_targetILNS1_3genE10ELNS1_11target_archE1200ELNS1_3gpuE4ELNS1_3repE0EEENS1_30default_config_static_selectorELNS0_4arch9wavefront6targetE0EEEvT1_,comdat
	.globl	_ZN7rocprim17ROCPRIM_400000_NS6detail17trampoline_kernelINS0_14default_configENS1_20scan_config_selectorIN3c108BFloat16EEEZZNS1_9scan_implILNS1_25lookback_scan_determinismE0ELb0ELb0ES3_PKS6_PS6_S6_ZZZN2at6native31launch_logcumsumexp_cuda_kernelERKNSD_10TensorBaseESH_lENKUlvE_clEvENKUlvE4_clEvEUlS6_S6_E_S6_EEDaPvRmT3_T4_T5_mT6_P12ihipStream_tbENKUlT_T0_E_clISt17integral_constantIbLb1EESX_IbLb0EEEEDaST_SU_EUlST_E0_NS1_11comp_targetILNS1_3genE10ELNS1_11target_archE1200ELNS1_3gpuE4ELNS1_3repE0EEENS1_30default_config_static_selectorELNS0_4arch9wavefront6targetE0EEEvT1_ ; -- Begin function _ZN7rocprim17ROCPRIM_400000_NS6detail17trampoline_kernelINS0_14default_configENS1_20scan_config_selectorIN3c108BFloat16EEEZZNS1_9scan_implILNS1_25lookback_scan_determinismE0ELb0ELb0ES3_PKS6_PS6_S6_ZZZN2at6native31launch_logcumsumexp_cuda_kernelERKNSD_10TensorBaseESH_lENKUlvE_clEvENKUlvE4_clEvEUlS6_S6_E_S6_EEDaPvRmT3_T4_T5_mT6_P12ihipStream_tbENKUlT_T0_E_clISt17integral_constantIbLb1EESX_IbLb0EEEEDaST_SU_EUlST_E0_NS1_11comp_targetILNS1_3genE10ELNS1_11target_archE1200ELNS1_3gpuE4ELNS1_3repE0EEENS1_30default_config_static_selectorELNS0_4arch9wavefront6targetE0EEEvT1_
	.p2align	8
	.type	_ZN7rocprim17ROCPRIM_400000_NS6detail17trampoline_kernelINS0_14default_configENS1_20scan_config_selectorIN3c108BFloat16EEEZZNS1_9scan_implILNS1_25lookback_scan_determinismE0ELb0ELb0ES3_PKS6_PS6_S6_ZZZN2at6native31launch_logcumsumexp_cuda_kernelERKNSD_10TensorBaseESH_lENKUlvE_clEvENKUlvE4_clEvEUlS6_S6_E_S6_EEDaPvRmT3_T4_T5_mT6_P12ihipStream_tbENKUlT_T0_E_clISt17integral_constantIbLb1EESX_IbLb0EEEEDaST_SU_EUlST_E0_NS1_11comp_targetILNS1_3genE10ELNS1_11target_archE1200ELNS1_3gpuE4ELNS1_3repE0EEENS1_30default_config_static_selectorELNS0_4arch9wavefront6targetE0EEEvT1_,@function
_ZN7rocprim17ROCPRIM_400000_NS6detail17trampoline_kernelINS0_14default_configENS1_20scan_config_selectorIN3c108BFloat16EEEZZNS1_9scan_implILNS1_25lookback_scan_determinismE0ELb0ELb0ES3_PKS6_PS6_S6_ZZZN2at6native31launch_logcumsumexp_cuda_kernelERKNSD_10TensorBaseESH_lENKUlvE_clEvENKUlvE4_clEvEUlS6_S6_E_S6_EEDaPvRmT3_T4_T5_mT6_P12ihipStream_tbENKUlT_T0_E_clISt17integral_constantIbLb1EESX_IbLb0EEEEDaST_SU_EUlST_E0_NS1_11comp_targetILNS1_3genE10ELNS1_11target_archE1200ELNS1_3gpuE4ELNS1_3repE0EEENS1_30default_config_static_selectorELNS0_4arch9wavefront6targetE0EEEvT1_: ; @_ZN7rocprim17ROCPRIM_400000_NS6detail17trampoline_kernelINS0_14default_configENS1_20scan_config_selectorIN3c108BFloat16EEEZZNS1_9scan_implILNS1_25lookback_scan_determinismE0ELb0ELb0ES3_PKS6_PS6_S6_ZZZN2at6native31launch_logcumsumexp_cuda_kernelERKNSD_10TensorBaseESH_lENKUlvE_clEvENKUlvE4_clEvEUlS6_S6_E_S6_EEDaPvRmT3_T4_T5_mT6_P12ihipStream_tbENKUlT_T0_E_clISt17integral_constantIbLb1EESX_IbLb0EEEEDaST_SU_EUlST_E0_NS1_11comp_targetILNS1_3genE10ELNS1_11target_archE1200ELNS1_3gpuE4ELNS1_3repE0EEENS1_30default_config_static_selectorELNS0_4arch9wavefront6targetE0EEEvT1_
; %bb.0:
	.section	.rodata,"a",@progbits
	.p2align	6, 0x0
	.amdhsa_kernel _ZN7rocprim17ROCPRIM_400000_NS6detail17trampoline_kernelINS0_14default_configENS1_20scan_config_selectorIN3c108BFloat16EEEZZNS1_9scan_implILNS1_25lookback_scan_determinismE0ELb0ELb0ES3_PKS6_PS6_S6_ZZZN2at6native31launch_logcumsumexp_cuda_kernelERKNSD_10TensorBaseESH_lENKUlvE_clEvENKUlvE4_clEvEUlS6_S6_E_S6_EEDaPvRmT3_T4_T5_mT6_P12ihipStream_tbENKUlT_T0_E_clISt17integral_constantIbLb1EESX_IbLb0EEEEDaST_SU_EUlST_E0_NS1_11comp_targetILNS1_3genE10ELNS1_11target_archE1200ELNS1_3gpuE4ELNS1_3repE0EEENS1_30default_config_static_selectorELNS0_4arch9wavefront6targetE0EEEvT1_
		.amdhsa_group_segment_fixed_size 0
		.amdhsa_private_segment_fixed_size 0
		.amdhsa_kernarg_size 32
		.amdhsa_user_sgpr_count 2
		.amdhsa_user_sgpr_dispatch_ptr 0
		.amdhsa_user_sgpr_queue_ptr 0
		.amdhsa_user_sgpr_kernarg_segment_ptr 1
		.amdhsa_user_sgpr_dispatch_id 0
		.amdhsa_user_sgpr_private_segment_size 0
		.amdhsa_wavefront_size32 1
		.amdhsa_uses_dynamic_stack 0
		.amdhsa_enable_private_segment 0
		.amdhsa_system_sgpr_workgroup_id_x 1
		.amdhsa_system_sgpr_workgroup_id_y 0
		.amdhsa_system_sgpr_workgroup_id_z 0
		.amdhsa_system_sgpr_workgroup_info 0
		.amdhsa_system_vgpr_workitem_id 0
		.amdhsa_next_free_vgpr 1
		.amdhsa_next_free_sgpr 1
		.amdhsa_reserve_vcc 0
		.amdhsa_float_round_mode_32 0
		.amdhsa_float_round_mode_16_64 0
		.amdhsa_float_denorm_mode_32 3
		.amdhsa_float_denorm_mode_16_64 3
		.amdhsa_fp16_overflow 0
		.amdhsa_workgroup_processor_mode 1
		.amdhsa_memory_ordered 1
		.amdhsa_forward_progress 1
		.amdhsa_inst_pref_size 0
		.amdhsa_round_robin_scheduling 0
		.amdhsa_exception_fp_ieee_invalid_op 0
		.amdhsa_exception_fp_denorm_src 0
		.amdhsa_exception_fp_ieee_div_zero 0
		.amdhsa_exception_fp_ieee_overflow 0
		.amdhsa_exception_fp_ieee_underflow 0
		.amdhsa_exception_fp_ieee_inexact 0
		.amdhsa_exception_int_div_zero 0
	.end_amdhsa_kernel
	.section	.text._ZN7rocprim17ROCPRIM_400000_NS6detail17trampoline_kernelINS0_14default_configENS1_20scan_config_selectorIN3c108BFloat16EEEZZNS1_9scan_implILNS1_25lookback_scan_determinismE0ELb0ELb0ES3_PKS6_PS6_S6_ZZZN2at6native31launch_logcumsumexp_cuda_kernelERKNSD_10TensorBaseESH_lENKUlvE_clEvENKUlvE4_clEvEUlS6_S6_E_S6_EEDaPvRmT3_T4_T5_mT6_P12ihipStream_tbENKUlT_T0_E_clISt17integral_constantIbLb1EESX_IbLb0EEEEDaST_SU_EUlST_E0_NS1_11comp_targetILNS1_3genE10ELNS1_11target_archE1200ELNS1_3gpuE4ELNS1_3repE0EEENS1_30default_config_static_selectorELNS0_4arch9wavefront6targetE0EEEvT1_,"axG",@progbits,_ZN7rocprim17ROCPRIM_400000_NS6detail17trampoline_kernelINS0_14default_configENS1_20scan_config_selectorIN3c108BFloat16EEEZZNS1_9scan_implILNS1_25lookback_scan_determinismE0ELb0ELb0ES3_PKS6_PS6_S6_ZZZN2at6native31launch_logcumsumexp_cuda_kernelERKNSD_10TensorBaseESH_lENKUlvE_clEvENKUlvE4_clEvEUlS6_S6_E_S6_EEDaPvRmT3_T4_T5_mT6_P12ihipStream_tbENKUlT_T0_E_clISt17integral_constantIbLb1EESX_IbLb0EEEEDaST_SU_EUlST_E0_NS1_11comp_targetILNS1_3genE10ELNS1_11target_archE1200ELNS1_3gpuE4ELNS1_3repE0EEENS1_30default_config_static_selectorELNS0_4arch9wavefront6targetE0EEEvT1_,comdat
.Lfunc_end499:
	.size	_ZN7rocprim17ROCPRIM_400000_NS6detail17trampoline_kernelINS0_14default_configENS1_20scan_config_selectorIN3c108BFloat16EEEZZNS1_9scan_implILNS1_25lookback_scan_determinismE0ELb0ELb0ES3_PKS6_PS6_S6_ZZZN2at6native31launch_logcumsumexp_cuda_kernelERKNSD_10TensorBaseESH_lENKUlvE_clEvENKUlvE4_clEvEUlS6_S6_E_S6_EEDaPvRmT3_T4_T5_mT6_P12ihipStream_tbENKUlT_T0_E_clISt17integral_constantIbLb1EESX_IbLb0EEEEDaST_SU_EUlST_E0_NS1_11comp_targetILNS1_3genE10ELNS1_11target_archE1200ELNS1_3gpuE4ELNS1_3repE0EEENS1_30default_config_static_selectorELNS0_4arch9wavefront6targetE0EEEvT1_, .Lfunc_end499-_ZN7rocprim17ROCPRIM_400000_NS6detail17trampoline_kernelINS0_14default_configENS1_20scan_config_selectorIN3c108BFloat16EEEZZNS1_9scan_implILNS1_25lookback_scan_determinismE0ELb0ELb0ES3_PKS6_PS6_S6_ZZZN2at6native31launch_logcumsumexp_cuda_kernelERKNSD_10TensorBaseESH_lENKUlvE_clEvENKUlvE4_clEvEUlS6_S6_E_S6_EEDaPvRmT3_T4_T5_mT6_P12ihipStream_tbENKUlT_T0_E_clISt17integral_constantIbLb1EESX_IbLb0EEEEDaST_SU_EUlST_E0_NS1_11comp_targetILNS1_3genE10ELNS1_11target_archE1200ELNS1_3gpuE4ELNS1_3repE0EEENS1_30default_config_static_selectorELNS0_4arch9wavefront6targetE0EEEvT1_
                                        ; -- End function
	.set _ZN7rocprim17ROCPRIM_400000_NS6detail17trampoline_kernelINS0_14default_configENS1_20scan_config_selectorIN3c108BFloat16EEEZZNS1_9scan_implILNS1_25lookback_scan_determinismE0ELb0ELb0ES3_PKS6_PS6_S6_ZZZN2at6native31launch_logcumsumexp_cuda_kernelERKNSD_10TensorBaseESH_lENKUlvE_clEvENKUlvE4_clEvEUlS6_S6_E_S6_EEDaPvRmT3_T4_T5_mT6_P12ihipStream_tbENKUlT_T0_E_clISt17integral_constantIbLb1EESX_IbLb0EEEEDaST_SU_EUlST_E0_NS1_11comp_targetILNS1_3genE10ELNS1_11target_archE1200ELNS1_3gpuE4ELNS1_3repE0EEENS1_30default_config_static_selectorELNS0_4arch9wavefront6targetE0EEEvT1_.num_vgpr, 0
	.set _ZN7rocprim17ROCPRIM_400000_NS6detail17trampoline_kernelINS0_14default_configENS1_20scan_config_selectorIN3c108BFloat16EEEZZNS1_9scan_implILNS1_25lookback_scan_determinismE0ELb0ELb0ES3_PKS6_PS6_S6_ZZZN2at6native31launch_logcumsumexp_cuda_kernelERKNSD_10TensorBaseESH_lENKUlvE_clEvENKUlvE4_clEvEUlS6_S6_E_S6_EEDaPvRmT3_T4_T5_mT6_P12ihipStream_tbENKUlT_T0_E_clISt17integral_constantIbLb1EESX_IbLb0EEEEDaST_SU_EUlST_E0_NS1_11comp_targetILNS1_3genE10ELNS1_11target_archE1200ELNS1_3gpuE4ELNS1_3repE0EEENS1_30default_config_static_selectorELNS0_4arch9wavefront6targetE0EEEvT1_.num_agpr, 0
	.set _ZN7rocprim17ROCPRIM_400000_NS6detail17trampoline_kernelINS0_14default_configENS1_20scan_config_selectorIN3c108BFloat16EEEZZNS1_9scan_implILNS1_25lookback_scan_determinismE0ELb0ELb0ES3_PKS6_PS6_S6_ZZZN2at6native31launch_logcumsumexp_cuda_kernelERKNSD_10TensorBaseESH_lENKUlvE_clEvENKUlvE4_clEvEUlS6_S6_E_S6_EEDaPvRmT3_T4_T5_mT6_P12ihipStream_tbENKUlT_T0_E_clISt17integral_constantIbLb1EESX_IbLb0EEEEDaST_SU_EUlST_E0_NS1_11comp_targetILNS1_3genE10ELNS1_11target_archE1200ELNS1_3gpuE4ELNS1_3repE0EEENS1_30default_config_static_selectorELNS0_4arch9wavefront6targetE0EEEvT1_.numbered_sgpr, 0
	.set _ZN7rocprim17ROCPRIM_400000_NS6detail17trampoline_kernelINS0_14default_configENS1_20scan_config_selectorIN3c108BFloat16EEEZZNS1_9scan_implILNS1_25lookback_scan_determinismE0ELb0ELb0ES3_PKS6_PS6_S6_ZZZN2at6native31launch_logcumsumexp_cuda_kernelERKNSD_10TensorBaseESH_lENKUlvE_clEvENKUlvE4_clEvEUlS6_S6_E_S6_EEDaPvRmT3_T4_T5_mT6_P12ihipStream_tbENKUlT_T0_E_clISt17integral_constantIbLb1EESX_IbLb0EEEEDaST_SU_EUlST_E0_NS1_11comp_targetILNS1_3genE10ELNS1_11target_archE1200ELNS1_3gpuE4ELNS1_3repE0EEENS1_30default_config_static_selectorELNS0_4arch9wavefront6targetE0EEEvT1_.num_named_barrier, 0
	.set _ZN7rocprim17ROCPRIM_400000_NS6detail17trampoline_kernelINS0_14default_configENS1_20scan_config_selectorIN3c108BFloat16EEEZZNS1_9scan_implILNS1_25lookback_scan_determinismE0ELb0ELb0ES3_PKS6_PS6_S6_ZZZN2at6native31launch_logcumsumexp_cuda_kernelERKNSD_10TensorBaseESH_lENKUlvE_clEvENKUlvE4_clEvEUlS6_S6_E_S6_EEDaPvRmT3_T4_T5_mT6_P12ihipStream_tbENKUlT_T0_E_clISt17integral_constantIbLb1EESX_IbLb0EEEEDaST_SU_EUlST_E0_NS1_11comp_targetILNS1_3genE10ELNS1_11target_archE1200ELNS1_3gpuE4ELNS1_3repE0EEENS1_30default_config_static_selectorELNS0_4arch9wavefront6targetE0EEEvT1_.private_seg_size, 0
	.set _ZN7rocprim17ROCPRIM_400000_NS6detail17trampoline_kernelINS0_14default_configENS1_20scan_config_selectorIN3c108BFloat16EEEZZNS1_9scan_implILNS1_25lookback_scan_determinismE0ELb0ELb0ES3_PKS6_PS6_S6_ZZZN2at6native31launch_logcumsumexp_cuda_kernelERKNSD_10TensorBaseESH_lENKUlvE_clEvENKUlvE4_clEvEUlS6_S6_E_S6_EEDaPvRmT3_T4_T5_mT6_P12ihipStream_tbENKUlT_T0_E_clISt17integral_constantIbLb1EESX_IbLb0EEEEDaST_SU_EUlST_E0_NS1_11comp_targetILNS1_3genE10ELNS1_11target_archE1200ELNS1_3gpuE4ELNS1_3repE0EEENS1_30default_config_static_selectorELNS0_4arch9wavefront6targetE0EEEvT1_.uses_vcc, 0
	.set _ZN7rocprim17ROCPRIM_400000_NS6detail17trampoline_kernelINS0_14default_configENS1_20scan_config_selectorIN3c108BFloat16EEEZZNS1_9scan_implILNS1_25lookback_scan_determinismE0ELb0ELb0ES3_PKS6_PS6_S6_ZZZN2at6native31launch_logcumsumexp_cuda_kernelERKNSD_10TensorBaseESH_lENKUlvE_clEvENKUlvE4_clEvEUlS6_S6_E_S6_EEDaPvRmT3_T4_T5_mT6_P12ihipStream_tbENKUlT_T0_E_clISt17integral_constantIbLb1EESX_IbLb0EEEEDaST_SU_EUlST_E0_NS1_11comp_targetILNS1_3genE10ELNS1_11target_archE1200ELNS1_3gpuE4ELNS1_3repE0EEENS1_30default_config_static_selectorELNS0_4arch9wavefront6targetE0EEEvT1_.uses_flat_scratch, 0
	.set _ZN7rocprim17ROCPRIM_400000_NS6detail17trampoline_kernelINS0_14default_configENS1_20scan_config_selectorIN3c108BFloat16EEEZZNS1_9scan_implILNS1_25lookback_scan_determinismE0ELb0ELb0ES3_PKS6_PS6_S6_ZZZN2at6native31launch_logcumsumexp_cuda_kernelERKNSD_10TensorBaseESH_lENKUlvE_clEvENKUlvE4_clEvEUlS6_S6_E_S6_EEDaPvRmT3_T4_T5_mT6_P12ihipStream_tbENKUlT_T0_E_clISt17integral_constantIbLb1EESX_IbLb0EEEEDaST_SU_EUlST_E0_NS1_11comp_targetILNS1_3genE10ELNS1_11target_archE1200ELNS1_3gpuE4ELNS1_3repE0EEENS1_30default_config_static_selectorELNS0_4arch9wavefront6targetE0EEEvT1_.has_dyn_sized_stack, 0
	.set _ZN7rocprim17ROCPRIM_400000_NS6detail17trampoline_kernelINS0_14default_configENS1_20scan_config_selectorIN3c108BFloat16EEEZZNS1_9scan_implILNS1_25lookback_scan_determinismE0ELb0ELb0ES3_PKS6_PS6_S6_ZZZN2at6native31launch_logcumsumexp_cuda_kernelERKNSD_10TensorBaseESH_lENKUlvE_clEvENKUlvE4_clEvEUlS6_S6_E_S6_EEDaPvRmT3_T4_T5_mT6_P12ihipStream_tbENKUlT_T0_E_clISt17integral_constantIbLb1EESX_IbLb0EEEEDaST_SU_EUlST_E0_NS1_11comp_targetILNS1_3genE10ELNS1_11target_archE1200ELNS1_3gpuE4ELNS1_3repE0EEENS1_30default_config_static_selectorELNS0_4arch9wavefront6targetE0EEEvT1_.has_recursion, 0
	.set _ZN7rocprim17ROCPRIM_400000_NS6detail17trampoline_kernelINS0_14default_configENS1_20scan_config_selectorIN3c108BFloat16EEEZZNS1_9scan_implILNS1_25lookback_scan_determinismE0ELb0ELb0ES3_PKS6_PS6_S6_ZZZN2at6native31launch_logcumsumexp_cuda_kernelERKNSD_10TensorBaseESH_lENKUlvE_clEvENKUlvE4_clEvEUlS6_S6_E_S6_EEDaPvRmT3_T4_T5_mT6_P12ihipStream_tbENKUlT_T0_E_clISt17integral_constantIbLb1EESX_IbLb0EEEEDaST_SU_EUlST_E0_NS1_11comp_targetILNS1_3genE10ELNS1_11target_archE1200ELNS1_3gpuE4ELNS1_3repE0EEENS1_30default_config_static_selectorELNS0_4arch9wavefront6targetE0EEEvT1_.has_indirect_call, 0
	.section	.AMDGPU.csdata,"",@progbits
; Kernel info:
; codeLenInByte = 0
; TotalNumSgprs: 0
; NumVgprs: 0
; ScratchSize: 0
; MemoryBound: 0
; FloatMode: 240
; IeeeMode: 1
; LDSByteSize: 0 bytes/workgroup (compile time only)
; SGPRBlocks: 0
; VGPRBlocks: 0
; NumSGPRsForWavesPerEU: 1
; NumVGPRsForWavesPerEU: 1
; Occupancy: 16
; WaveLimiterHint : 0
; COMPUTE_PGM_RSRC2:SCRATCH_EN: 0
; COMPUTE_PGM_RSRC2:USER_SGPR: 2
; COMPUTE_PGM_RSRC2:TRAP_HANDLER: 0
; COMPUTE_PGM_RSRC2:TGID_X_EN: 1
; COMPUTE_PGM_RSRC2:TGID_Y_EN: 0
; COMPUTE_PGM_RSRC2:TGID_Z_EN: 0
; COMPUTE_PGM_RSRC2:TIDIG_COMP_CNT: 0
	.section	.text._ZN7rocprim17ROCPRIM_400000_NS6detail17trampoline_kernelINS0_14default_configENS1_20scan_config_selectorIN3c108BFloat16EEEZZNS1_9scan_implILNS1_25lookback_scan_determinismE0ELb0ELb0ES3_PKS6_PS6_S6_ZZZN2at6native31launch_logcumsumexp_cuda_kernelERKNSD_10TensorBaseESH_lENKUlvE_clEvENKUlvE4_clEvEUlS6_S6_E_S6_EEDaPvRmT3_T4_T5_mT6_P12ihipStream_tbENKUlT_T0_E_clISt17integral_constantIbLb1EESX_IbLb0EEEEDaST_SU_EUlST_E0_NS1_11comp_targetILNS1_3genE9ELNS1_11target_archE1100ELNS1_3gpuE3ELNS1_3repE0EEENS1_30default_config_static_selectorELNS0_4arch9wavefront6targetE0EEEvT1_,"axG",@progbits,_ZN7rocprim17ROCPRIM_400000_NS6detail17trampoline_kernelINS0_14default_configENS1_20scan_config_selectorIN3c108BFloat16EEEZZNS1_9scan_implILNS1_25lookback_scan_determinismE0ELb0ELb0ES3_PKS6_PS6_S6_ZZZN2at6native31launch_logcumsumexp_cuda_kernelERKNSD_10TensorBaseESH_lENKUlvE_clEvENKUlvE4_clEvEUlS6_S6_E_S6_EEDaPvRmT3_T4_T5_mT6_P12ihipStream_tbENKUlT_T0_E_clISt17integral_constantIbLb1EESX_IbLb0EEEEDaST_SU_EUlST_E0_NS1_11comp_targetILNS1_3genE9ELNS1_11target_archE1100ELNS1_3gpuE3ELNS1_3repE0EEENS1_30default_config_static_selectorELNS0_4arch9wavefront6targetE0EEEvT1_,comdat
	.globl	_ZN7rocprim17ROCPRIM_400000_NS6detail17trampoline_kernelINS0_14default_configENS1_20scan_config_selectorIN3c108BFloat16EEEZZNS1_9scan_implILNS1_25lookback_scan_determinismE0ELb0ELb0ES3_PKS6_PS6_S6_ZZZN2at6native31launch_logcumsumexp_cuda_kernelERKNSD_10TensorBaseESH_lENKUlvE_clEvENKUlvE4_clEvEUlS6_S6_E_S6_EEDaPvRmT3_T4_T5_mT6_P12ihipStream_tbENKUlT_T0_E_clISt17integral_constantIbLb1EESX_IbLb0EEEEDaST_SU_EUlST_E0_NS1_11comp_targetILNS1_3genE9ELNS1_11target_archE1100ELNS1_3gpuE3ELNS1_3repE0EEENS1_30default_config_static_selectorELNS0_4arch9wavefront6targetE0EEEvT1_ ; -- Begin function _ZN7rocprim17ROCPRIM_400000_NS6detail17trampoline_kernelINS0_14default_configENS1_20scan_config_selectorIN3c108BFloat16EEEZZNS1_9scan_implILNS1_25lookback_scan_determinismE0ELb0ELb0ES3_PKS6_PS6_S6_ZZZN2at6native31launch_logcumsumexp_cuda_kernelERKNSD_10TensorBaseESH_lENKUlvE_clEvENKUlvE4_clEvEUlS6_S6_E_S6_EEDaPvRmT3_T4_T5_mT6_P12ihipStream_tbENKUlT_T0_E_clISt17integral_constantIbLb1EESX_IbLb0EEEEDaST_SU_EUlST_E0_NS1_11comp_targetILNS1_3genE9ELNS1_11target_archE1100ELNS1_3gpuE3ELNS1_3repE0EEENS1_30default_config_static_selectorELNS0_4arch9wavefront6targetE0EEEvT1_
	.p2align	8
	.type	_ZN7rocprim17ROCPRIM_400000_NS6detail17trampoline_kernelINS0_14default_configENS1_20scan_config_selectorIN3c108BFloat16EEEZZNS1_9scan_implILNS1_25lookback_scan_determinismE0ELb0ELb0ES3_PKS6_PS6_S6_ZZZN2at6native31launch_logcumsumexp_cuda_kernelERKNSD_10TensorBaseESH_lENKUlvE_clEvENKUlvE4_clEvEUlS6_S6_E_S6_EEDaPvRmT3_T4_T5_mT6_P12ihipStream_tbENKUlT_T0_E_clISt17integral_constantIbLb1EESX_IbLb0EEEEDaST_SU_EUlST_E0_NS1_11comp_targetILNS1_3genE9ELNS1_11target_archE1100ELNS1_3gpuE3ELNS1_3repE0EEENS1_30default_config_static_selectorELNS0_4arch9wavefront6targetE0EEEvT1_,@function
_ZN7rocprim17ROCPRIM_400000_NS6detail17trampoline_kernelINS0_14default_configENS1_20scan_config_selectorIN3c108BFloat16EEEZZNS1_9scan_implILNS1_25lookback_scan_determinismE0ELb0ELb0ES3_PKS6_PS6_S6_ZZZN2at6native31launch_logcumsumexp_cuda_kernelERKNSD_10TensorBaseESH_lENKUlvE_clEvENKUlvE4_clEvEUlS6_S6_E_S6_EEDaPvRmT3_T4_T5_mT6_P12ihipStream_tbENKUlT_T0_E_clISt17integral_constantIbLb1EESX_IbLb0EEEEDaST_SU_EUlST_E0_NS1_11comp_targetILNS1_3genE9ELNS1_11target_archE1100ELNS1_3gpuE3ELNS1_3repE0EEENS1_30default_config_static_selectorELNS0_4arch9wavefront6targetE0EEEvT1_: ; @_ZN7rocprim17ROCPRIM_400000_NS6detail17trampoline_kernelINS0_14default_configENS1_20scan_config_selectorIN3c108BFloat16EEEZZNS1_9scan_implILNS1_25lookback_scan_determinismE0ELb0ELb0ES3_PKS6_PS6_S6_ZZZN2at6native31launch_logcumsumexp_cuda_kernelERKNSD_10TensorBaseESH_lENKUlvE_clEvENKUlvE4_clEvEUlS6_S6_E_S6_EEDaPvRmT3_T4_T5_mT6_P12ihipStream_tbENKUlT_T0_E_clISt17integral_constantIbLb1EESX_IbLb0EEEEDaST_SU_EUlST_E0_NS1_11comp_targetILNS1_3genE9ELNS1_11target_archE1100ELNS1_3gpuE3ELNS1_3repE0EEENS1_30default_config_static_selectorELNS0_4arch9wavefront6targetE0EEEvT1_
; %bb.0:
	.section	.rodata,"a",@progbits
	.p2align	6, 0x0
	.amdhsa_kernel _ZN7rocprim17ROCPRIM_400000_NS6detail17trampoline_kernelINS0_14default_configENS1_20scan_config_selectorIN3c108BFloat16EEEZZNS1_9scan_implILNS1_25lookback_scan_determinismE0ELb0ELb0ES3_PKS6_PS6_S6_ZZZN2at6native31launch_logcumsumexp_cuda_kernelERKNSD_10TensorBaseESH_lENKUlvE_clEvENKUlvE4_clEvEUlS6_S6_E_S6_EEDaPvRmT3_T4_T5_mT6_P12ihipStream_tbENKUlT_T0_E_clISt17integral_constantIbLb1EESX_IbLb0EEEEDaST_SU_EUlST_E0_NS1_11comp_targetILNS1_3genE9ELNS1_11target_archE1100ELNS1_3gpuE3ELNS1_3repE0EEENS1_30default_config_static_selectorELNS0_4arch9wavefront6targetE0EEEvT1_
		.amdhsa_group_segment_fixed_size 0
		.amdhsa_private_segment_fixed_size 0
		.amdhsa_kernarg_size 32
		.amdhsa_user_sgpr_count 2
		.amdhsa_user_sgpr_dispatch_ptr 0
		.amdhsa_user_sgpr_queue_ptr 0
		.amdhsa_user_sgpr_kernarg_segment_ptr 1
		.amdhsa_user_sgpr_dispatch_id 0
		.amdhsa_user_sgpr_private_segment_size 0
		.amdhsa_wavefront_size32 1
		.amdhsa_uses_dynamic_stack 0
		.amdhsa_enable_private_segment 0
		.amdhsa_system_sgpr_workgroup_id_x 1
		.amdhsa_system_sgpr_workgroup_id_y 0
		.amdhsa_system_sgpr_workgroup_id_z 0
		.amdhsa_system_sgpr_workgroup_info 0
		.amdhsa_system_vgpr_workitem_id 0
		.amdhsa_next_free_vgpr 1
		.amdhsa_next_free_sgpr 1
		.amdhsa_reserve_vcc 0
		.amdhsa_float_round_mode_32 0
		.amdhsa_float_round_mode_16_64 0
		.amdhsa_float_denorm_mode_32 3
		.amdhsa_float_denorm_mode_16_64 3
		.amdhsa_fp16_overflow 0
		.amdhsa_workgroup_processor_mode 1
		.amdhsa_memory_ordered 1
		.amdhsa_forward_progress 1
		.amdhsa_inst_pref_size 0
		.amdhsa_round_robin_scheduling 0
		.amdhsa_exception_fp_ieee_invalid_op 0
		.amdhsa_exception_fp_denorm_src 0
		.amdhsa_exception_fp_ieee_div_zero 0
		.amdhsa_exception_fp_ieee_overflow 0
		.amdhsa_exception_fp_ieee_underflow 0
		.amdhsa_exception_fp_ieee_inexact 0
		.amdhsa_exception_int_div_zero 0
	.end_amdhsa_kernel
	.section	.text._ZN7rocprim17ROCPRIM_400000_NS6detail17trampoline_kernelINS0_14default_configENS1_20scan_config_selectorIN3c108BFloat16EEEZZNS1_9scan_implILNS1_25lookback_scan_determinismE0ELb0ELb0ES3_PKS6_PS6_S6_ZZZN2at6native31launch_logcumsumexp_cuda_kernelERKNSD_10TensorBaseESH_lENKUlvE_clEvENKUlvE4_clEvEUlS6_S6_E_S6_EEDaPvRmT3_T4_T5_mT6_P12ihipStream_tbENKUlT_T0_E_clISt17integral_constantIbLb1EESX_IbLb0EEEEDaST_SU_EUlST_E0_NS1_11comp_targetILNS1_3genE9ELNS1_11target_archE1100ELNS1_3gpuE3ELNS1_3repE0EEENS1_30default_config_static_selectorELNS0_4arch9wavefront6targetE0EEEvT1_,"axG",@progbits,_ZN7rocprim17ROCPRIM_400000_NS6detail17trampoline_kernelINS0_14default_configENS1_20scan_config_selectorIN3c108BFloat16EEEZZNS1_9scan_implILNS1_25lookback_scan_determinismE0ELb0ELb0ES3_PKS6_PS6_S6_ZZZN2at6native31launch_logcumsumexp_cuda_kernelERKNSD_10TensorBaseESH_lENKUlvE_clEvENKUlvE4_clEvEUlS6_S6_E_S6_EEDaPvRmT3_T4_T5_mT6_P12ihipStream_tbENKUlT_T0_E_clISt17integral_constantIbLb1EESX_IbLb0EEEEDaST_SU_EUlST_E0_NS1_11comp_targetILNS1_3genE9ELNS1_11target_archE1100ELNS1_3gpuE3ELNS1_3repE0EEENS1_30default_config_static_selectorELNS0_4arch9wavefront6targetE0EEEvT1_,comdat
.Lfunc_end500:
	.size	_ZN7rocprim17ROCPRIM_400000_NS6detail17trampoline_kernelINS0_14default_configENS1_20scan_config_selectorIN3c108BFloat16EEEZZNS1_9scan_implILNS1_25lookback_scan_determinismE0ELb0ELb0ES3_PKS6_PS6_S6_ZZZN2at6native31launch_logcumsumexp_cuda_kernelERKNSD_10TensorBaseESH_lENKUlvE_clEvENKUlvE4_clEvEUlS6_S6_E_S6_EEDaPvRmT3_T4_T5_mT6_P12ihipStream_tbENKUlT_T0_E_clISt17integral_constantIbLb1EESX_IbLb0EEEEDaST_SU_EUlST_E0_NS1_11comp_targetILNS1_3genE9ELNS1_11target_archE1100ELNS1_3gpuE3ELNS1_3repE0EEENS1_30default_config_static_selectorELNS0_4arch9wavefront6targetE0EEEvT1_, .Lfunc_end500-_ZN7rocprim17ROCPRIM_400000_NS6detail17trampoline_kernelINS0_14default_configENS1_20scan_config_selectorIN3c108BFloat16EEEZZNS1_9scan_implILNS1_25lookback_scan_determinismE0ELb0ELb0ES3_PKS6_PS6_S6_ZZZN2at6native31launch_logcumsumexp_cuda_kernelERKNSD_10TensorBaseESH_lENKUlvE_clEvENKUlvE4_clEvEUlS6_S6_E_S6_EEDaPvRmT3_T4_T5_mT6_P12ihipStream_tbENKUlT_T0_E_clISt17integral_constantIbLb1EESX_IbLb0EEEEDaST_SU_EUlST_E0_NS1_11comp_targetILNS1_3genE9ELNS1_11target_archE1100ELNS1_3gpuE3ELNS1_3repE0EEENS1_30default_config_static_selectorELNS0_4arch9wavefront6targetE0EEEvT1_
                                        ; -- End function
	.set _ZN7rocprim17ROCPRIM_400000_NS6detail17trampoline_kernelINS0_14default_configENS1_20scan_config_selectorIN3c108BFloat16EEEZZNS1_9scan_implILNS1_25lookback_scan_determinismE0ELb0ELb0ES3_PKS6_PS6_S6_ZZZN2at6native31launch_logcumsumexp_cuda_kernelERKNSD_10TensorBaseESH_lENKUlvE_clEvENKUlvE4_clEvEUlS6_S6_E_S6_EEDaPvRmT3_T4_T5_mT6_P12ihipStream_tbENKUlT_T0_E_clISt17integral_constantIbLb1EESX_IbLb0EEEEDaST_SU_EUlST_E0_NS1_11comp_targetILNS1_3genE9ELNS1_11target_archE1100ELNS1_3gpuE3ELNS1_3repE0EEENS1_30default_config_static_selectorELNS0_4arch9wavefront6targetE0EEEvT1_.num_vgpr, 0
	.set _ZN7rocprim17ROCPRIM_400000_NS6detail17trampoline_kernelINS0_14default_configENS1_20scan_config_selectorIN3c108BFloat16EEEZZNS1_9scan_implILNS1_25lookback_scan_determinismE0ELb0ELb0ES3_PKS6_PS6_S6_ZZZN2at6native31launch_logcumsumexp_cuda_kernelERKNSD_10TensorBaseESH_lENKUlvE_clEvENKUlvE4_clEvEUlS6_S6_E_S6_EEDaPvRmT3_T4_T5_mT6_P12ihipStream_tbENKUlT_T0_E_clISt17integral_constantIbLb1EESX_IbLb0EEEEDaST_SU_EUlST_E0_NS1_11comp_targetILNS1_3genE9ELNS1_11target_archE1100ELNS1_3gpuE3ELNS1_3repE0EEENS1_30default_config_static_selectorELNS0_4arch9wavefront6targetE0EEEvT1_.num_agpr, 0
	.set _ZN7rocprim17ROCPRIM_400000_NS6detail17trampoline_kernelINS0_14default_configENS1_20scan_config_selectorIN3c108BFloat16EEEZZNS1_9scan_implILNS1_25lookback_scan_determinismE0ELb0ELb0ES3_PKS6_PS6_S6_ZZZN2at6native31launch_logcumsumexp_cuda_kernelERKNSD_10TensorBaseESH_lENKUlvE_clEvENKUlvE4_clEvEUlS6_S6_E_S6_EEDaPvRmT3_T4_T5_mT6_P12ihipStream_tbENKUlT_T0_E_clISt17integral_constantIbLb1EESX_IbLb0EEEEDaST_SU_EUlST_E0_NS1_11comp_targetILNS1_3genE9ELNS1_11target_archE1100ELNS1_3gpuE3ELNS1_3repE0EEENS1_30default_config_static_selectorELNS0_4arch9wavefront6targetE0EEEvT1_.numbered_sgpr, 0
	.set _ZN7rocprim17ROCPRIM_400000_NS6detail17trampoline_kernelINS0_14default_configENS1_20scan_config_selectorIN3c108BFloat16EEEZZNS1_9scan_implILNS1_25lookback_scan_determinismE0ELb0ELb0ES3_PKS6_PS6_S6_ZZZN2at6native31launch_logcumsumexp_cuda_kernelERKNSD_10TensorBaseESH_lENKUlvE_clEvENKUlvE4_clEvEUlS6_S6_E_S6_EEDaPvRmT3_T4_T5_mT6_P12ihipStream_tbENKUlT_T0_E_clISt17integral_constantIbLb1EESX_IbLb0EEEEDaST_SU_EUlST_E0_NS1_11comp_targetILNS1_3genE9ELNS1_11target_archE1100ELNS1_3gpuE3ELNS1_3repE0EEENS1_30default_config_static_selectorELNS0_4arch9wavefront6targetE0EEEvT1_.num_named_barrier, 0
	.set _ZN7rocprim17ROCPRIM_400000_NS6detail17trampoline_kernelINS0_14default_configENS1_20scan_config_selectorIN3c108BFloat16EEEZZNS1_9scan_implILNS1_25lookback_scan_determinismE0ELb0ELb0ES3_PKS6_PS6_S6_ZZZN2at6native31launch_logcumsumexp_cuda_kernelERKNSD_10TensorBaseESH_lENKUlvE_clEvENKUlvE4_clEvEUlS6_S6_E_S6_EEDaPvRmT3_T4_T5_mT6_P12ihipStream_tbENKUlT_T0_E_clISt17integral_constantIbLb1EESX_IbLb0EEEEDaST_SU_EUlST_E0_NS1_11comp_targetILNS1_3genE9ELNS1_11target_archE1100ELNS1_3gpuE3ELNS1_3repE0EEENS1_30default_config_static_selectorELNS0_4arch9wavefront6targetE0EEEvT1_.private_seg_size, 0
	.set _ZN7rocprim17ROCPRIM_400000_NS6detail17trampoline_kernelINS0_14default_configENS1_20scan_config_selectorIN3c108BFloat16EEEZZNS1_9scan_implILNS1_25lookback_scan_determinismE0ELb0ELb0ES3_PKS6_PS6_S6_ZZZN2at6native31launch_logcumsumexp_cuda_kernelERKNSD_10TensorBaseESH_lENKUlvE_clEvENKUlvE4_clEvEUlS6_S6_E_S6_EEDaPvRmT3_T4_T5_mT6_P12ihipStream_tbENKUlT_T0_E_clISt17integral_constantIbLb1EESX_IbLb0EEEEDaST_SU_EUlST_E0_NS1_11comp_targetILNS1_3genE9ELNS1_11target_archE1100ELNS1_3gpuE3ELNS1_3repE0EEENS1_30default_config_static_selectorELNS0_4arch9wavefront6targetE0EEEvT1_.uses_vcc, 0
	.set _ZN7rocprim17ROCPRIM_400000_NS6detail17trampoline_kernelINS0_14default_configENS1_20scan_config_selectorIN3c108BFloat16EEEZZNS1_9scan_implILNS1_25lookback_scan_determinismE0ELb0ELb0ES3_PKS6_PS6_S6_ZZZN2at6native31launch_logcumsumexp_cuda_kernelERKNSD_10TensorBaseESH_lENKUlvE_clEvENKUlvE4_clEvEUlS6_S6_E_S6_EEDaPvRmT3_T4_T5_mT6_P12ihipStream_tbENKUlT_T0_E_clISt17integral_constantIbLb1EESX_IbLb0EEEEDaST_SU_EUlST_E0_NS1_11comp_targetILNS1_3genE9ELNS1_11target_archE1100ELNS1_3gpuE3ELNS1_3repE0EEENS1_30default_config_static_selectorELNS0_4arch9wavefront6targetE0EEEvT1_.uses_flat_scratch, 0
	.set _ZN7rocprim17ROCPRIM_400000_NS6detail17trampoline_kernelINS0_14default_configENS1_20scan_config_selectorIN3c108BFloat16EEEZZNS1_9scan_implILNS1_25lookback_scan_determinismE0ELb0ELb0ES3_PKS6_PS6_S6_ZZZN2at6native31launch_logcumsumexp_cuda_kernelERKNSD_10TensorBaseESH_lENKUlvE_clEvENKUlvE4_clEvEUlS6_S6_E_S6_EEDaPvRmT3_T4_T5_mT6_P12ihipStream_tbENKUlT_T0_E_clISt17integral_constantIbLb1EESX_IbLb0EEEEDaST_SU_EUlST_E0_NS1_11comp_targetILNS1_3genE9ELNS1_11target_archE1100ELNS1_3gpuE3ELNS1_3repE0EEENS1_30default_config_static_selectorELNS0_4arch9wavefront6targetE0EEEvT1_.has_dyn_sized_stack, 0
	.set _ZN7rocprim17ROCPRIM_400000_NS6detail17trampoline_kernelINS0_14default_configENS1_20scan_config_selectorIN3c108BFloat16EEEZZNS1_9scan_implILNS1_25lookback_scan_determinismE0ELb0ELb0ES3_PKS6_PS6_S6_ZZZN2at6native31launch_logcumsumexp_cuda_kernelERKNSD_10TensorBaseESH_lENKUlvE_clEvENKUlvE4_clEvEUlS6_S6_E_S6_EEDaPvRmT3_T4_T5_mT6_P12ihipStream_tbENKUlT_T0_E_clISt17integral_constantIbLb1EESX_IbLb0EEEEDaST_SU_EUlST_E0_NS1_11comp_targetILNS1_3genE9ELNS1_11target_archE1100ELNS1_3gpuE3ELNS1_3repE0EEENS1_30default_config_static_selectorELNS0_4arch9wavefront6targetE0EEEvT1_.has_recursion, 0
	.set _ZN7rocprim17ROCPRIM_400000_NS6detail17trampoline_kernelINS0_14default_configENS1_20scan_config_selectorIN3c108BFloat16EEEZZNS1_9scan_implILNS1_25lookback_scan_determinismE0ELb0ELb0ES3_PKS6_PS6_S6_ZZZN2at6native31launch_logcumsumexp_cuda_kernelERKNSD_10TensorBaseESH_lENKUlvE_clEvENKUlvE4_clEvEUlS6_S6_E_S6_EEDaPvRmT3_T4_T5_mT6_P12ihipStream_tbENKUlT_T0_E_clISt17integral_constantIbLb1EESX_IbLb0EEEEDaST_SU_EUlST_E0_NS1_11comp_targetILNS1_3genE9ELNS1_11target_archE1100ELNS1_3gpuE3ELNS1_3repE0EEENS1_30default_config_static_selectorELNS0_4arch9wavefront6targetE0EEEvT1_.has_indirect_call, 0
	.section	.AMDGPU.csdata,"",@progbits
; Kernel info:
; codeLenInByte = 0
; TotalNumSgprs: 0
; NumVgprs: 0
; ScratchSize: 0
; MemoryBound: 0
; FloatMode: 240
; IeeeMode: 1
; LDSByteSize: 0 bytes/workgroup (compile time only)
; SGPRBlocks: 0
; VGPRBlocks: 0
; NumSGPRsForWavesPerEU: 1
; NumVGPRsForWavesPerEU: 1
; Occupancy: 16
; WaveLimiterHint : 0
; COMPUTE_PGM_RSRC2:SCRATCH_EN: 0
; COMPUTE_PGM_RSRC2:USER_SGPR: 2
; COMPUTE_PGM_RSRC2:TRAP_HANDLER: 0
; COMPUTE_PGM_RSRC2:TGID_X_EN: 1
; COMPUTE_PGM_RSRC2:TGID_Y_EN: 0
; COMPUTE_PGM_RSRC2:TGID_Z_EN: 0
; COMPUTE_PGM_RSRC2:TIDIG_COMP_CNT: 0
	.section	.text._ZN7rocprim17ROCPRIM_400000_NS6detail17trampoline_kernelINS0_14default_configENS1_20scan_config_selectorIN3c108BFloat16EEEZZNS1_9scan_implILNS1_25lookback_scan_determinismE0ELb0ELb0ES3_PKS6_PS6_S6_ZZZN2at6native31launch_logcumsumexp_cuda_kernelERKNSD_10TensorBaseESH_lENKUlvE_clEvENKUlvE4_clEvEUlS6_S6_E_S6_EEDaPvRmT3_T4_T5_mT6_P12ihipStream_tbENKUlT_T0_E_clISt17integral_constantIbLb1EESX_IbLb0EEEEDaST_SU_EUlST_E0_NS1_11comp_targetILNS1_3genE8ELNS1_11target_archE1030ELNS1_3gpuE2ELNS1_3repE0EEENS1_30default_config_static_selectorELNS0_4arch9wavefront6targetE0EEEvT1_,"axG",@progbits,_ZN7rocprim17ROCPRIM_400000_NS6detail17trampoline_kernelINS0_14default_configENS1_20scan_config_selectorIN3c108BFloat16EEEZZNS1_9scan_implILNS1_25lookback_scan_determinismE0ELb0ELb0ES3_PKS6_PS6_S6_ZZZN2at6native31launch_logcumsumexp_cuda_kernelERKNSD_10TensorBaseESH_lENKUlvE_clEvENKUlvE4_clEvEUlS6_S6_E_S6_EEDaPvRmT3_T4_T5_mT6_P12ihipStream_tbENKUlT_T0_E_clISt17integral_constantIbLb1EESX_IbLb0EEEEDaST_SU_EUlST_E0_NS1_11comp_targetILNS1_3genE8ELNS1_11target_archE1030ELNS1_3gpuE2ELNS1_3repE0EEENS1_30default_config_static_selectorELNS0_4arch9wavefront6targetE0EEEvT1_,comdat
	.globl	_ZN7rocprim17ROCPRIM_400000_NS6detail17trampoline_kernelINS0_14default_configENS1_20scan_config_selectorIN3c108BFloat16EEEZZNS1_9scan_implILNS1_25lookback_scan_determinismE0ELb0ELb0ES3_PKS6_PS6_S6_ZZZN2at6native31launch_logcumsumexp_cuda_kernelERKNSD_10TensorBaseESH_lENKUlvE_clEvENKUlvE4_clEvEUlS6_S6_E_S6_EEDaPvRmT3_T4_T5_mT6_P12ihipStream_tbENKUlT_T0_E_clISt17integral_constantIbLb1EESX_IbLb0EEEEDaST_SU_EUlST_E0_NS1_11comp_targetILNS1_3genE8ELNS1_11target_archE1030ELNS1_3gpuE2ELNS1_3repE0EEENS1_30default_config_static_selectorELNS0_4arch9wavefront6targetE0EEEvT1_ ; -- Begin function _ZN7rocprim17ROCPRIM_400000_NS6detail17trampoline_kernelINS0_14default_configENS1_20scan_config_selectorIN3c108BFloat16EEEZZNS1_9scan_implILNS1_25lookback_scan_determinismE0ELb0ELb0ES3_PKS6_PS6_S6_ZZZN2at6native31launch_logcumsumexp_cuda_kernelERKNSD_10TensorBaseESH_lENKUlvE_clEvENKUlvE4_clEvEUlS6_S6_E_S6_EEDaPvRmT3_T4_T5_mT6_P12ihipStream_tbENKUlT_T0_E_clISt17integral_constantIbLb1EESX_IbLb0EEEEDaST_SU_EUlST_E0_NS1_11comp_targetILNS1_3genE8ELNS1_11target_archE1030ELNS1_3gpuE2ELNS1_3repE0EEENS1_30default_config_static_selectorELNS0_4arch9wavefront6targetE0EEEvT1_
	.p2align	8
	.type	_ZN7rocprim17ROCPRIM_400000_NS6detail17trampoline_kernelINS0_14default_configENS1_20scan_config_selectorIN3c108BFloat16EEEZZNS1_9scan_implILNS1_25lookback_scan_determinismE0ELb0ELb0ES3_PKS6_PS6_S6_ZZZN2at6native31launch_logcumsumexp_cuda_kernelERKNSD_10TensorBaseESH_lENKUlvE_clEvENKUlvE4_clEvEUlS6_S6_E_S6_EEDaPvRmT3_T4_T5_mT6_P12ihipStream_tbENKUlT_T0_E_clISt17integral_constantIbLb1EESX_IbLb0EEEEDaST_SU_EUlST_E0_NS1_11comp_targetILNS1_3genE8ELNS1_11target_archE1030ELNS1_3gpuE2ELNS1_3repE0EEENS1_30default_config_static_selectorELNS0_4arch9wavefront6targetE0EEEvT1_,@function
_ZN7rocprim17ROCPRIM_400000_NS6detail17trampoline_kernelINS0_14default_configENS1_20scan_config_selectorIN3c108BFloat16EEEZZNS1_9scan_implILNS1_25lookback_scan_determinismE0ELb0ELb0ES3_PKS6_PS6_S6_ZZZN2at6native31launch_logcumsumexp_cuda_kernelERKNSD_10TensorBaseESH_lENKUlvE_clEvENKUlvE4_clEvEUlS6_S6_E_S6_EEDaPvRmT3_T4_T5_mT6_P12ihipStream_tbENKUlT_T0_E_clISt17integral_constantIbLb1EESX_IbLb0EEEEDaST_SU_EUlST_E0_NS1_11comp_targetILNS1_3genE8ELNS1_11target_archE1030ELNS1_3gpuE2ELNS1_3repE0EEENS1_30default_config_static_selectorELNS0_4arch9wavefront6targetE0EEEvT1_: ; @_ZN7rocprim17ROCPRIM_400000_NS6detail17trampoline_kernelINS0_14default_configENS1_20scan_config_selectorIN3c108BFloat16EEEZZNS1_9scan_implILNS1_25lookback_scan_determinismE0ELb0ELb0ES3_PKS6_PS6_S6_ZZZN2at6native31launch_logcumsumexp_cuda_kernelERKNSD_10TensorBaseESH_lENKUlvE_clEvENKUlvE4_clEvEUlS6_S6_E_S6_EEDaPvRmT3_T4_T5_mT6_P12ihipStream_tbENKUlT_T0_E_clISt17integral_constantIbLb1EESX_IbLb0EEEEDaST_SU_EUlST_E0_NS1_11comp_targetILNS1_3genE8ELNS1_11target_archE1030ELNS1_3gpuE2ELNS1_3repE0EEENS1_30default_config_static_selectorELNS0_4arch9wavefront6targetE0EEEvT1_
; %bb.0:
	.section	.rodata,"a",@progbits
	.p2align	6, 0x0
	.amdhsa_kernel _ZN7rocprim17ROCPRIM_400000_NS6detail17trampoline_kernelINS0_14default_configENS1_20scan_config_selectorIN3c108BFloat16EEEZZNS1_9scan_implILNS1_25lookback_scan_determinismE0ELb0ELb0ES3_PKS6_PS6_S6_ZZZN2at6native31launch_logcumsumexp_cuda_kernelERKNSD_10TensorBaseESH_lENKUlvE_clEvENKUlvE4_clEvEUlS6_S6_E_S6_EEDaPvRmT3_T4_T5_mT6_P12ihipStream_tbENKUlT_T0_E_clISt17integral_constantIbLb1EESX_IbLb0EEEEDaST_SU_EUlST_E0_NS1_11comp_targetILNS1_3genE8ELNS1_11target_archE1030ELNS1_3gpuE2ELNS1_3repE0EEENS1_30default_config_static_selectorELNS0_4arch9wavefront6targetE0EEEvT1_
		.amdhsa_group_segment_fixed_size 0
		.amdhsa_private_segment_fixed_size 0
		.amdhsa_kernarg_size 32
		.amdhsa_user_sgpr_count 2
		.amdhsa_user_sgpr_dispatch_ptr 0
		.amdhsa_user_sgpr_queue_ptr 0
		.amdhsa_user_sgpr_kernarg_segment_ptr 1
		.amdhsa_user_sgpr_dispatch_id 0
		.amdhsa_user_sgpr_private_segment_size 0
		.amdhsa_wavefront_size32 1
		.amdhsa_uses_dynamic_stack 0
		.amdhsa_enable_private_segment 0
		.amdhsa_system_sgpr_workgroup_id_x 1
		.amdhsa_system_sgpr_workgroup_id_y 0
		.amdhsa_system_sgpr_workgroup_id_z 0
		.amdhsa_system_sgpr_workgroup_info 0
		.amdhsa_system_vgpr_workitem_id 0
		.amdhsa_next_free_vgpr 1
		.amdhsa_next_free_sgpr 1
		.amdhsa_reserve_vcc 0
		.amdhsa_float_round_mode_32 0
		.amdhsa_float_round_mode_16_64 0
		.amdhsa_float_denorm_mode_32 3
		.amdhsa_float_denorm_mode_16_64 3
		.amdhsa_fp16_overflow 0
		.amdhsa_workgroup_processor_mode 1
		.amdhsa_memory_ordered 1
		.amdhsa_forward_progress 1
		.amdhsa_inst_pref_size 0
		.amdhsa_round_robin_scheduling 0
		.amdhsa_exception_fp_ieee_invalid_op 0
		.amdhsa_exception_fp_denorm_src 0
		.amdhsa_exception_fp_ieee_div_zero 0
		.amdhsa_exception_fp_ieee_overflow 0
		.amdhsa_exception_fp_ieee_underflow 0
		.amdhsa_exception_fp_ieee_inexact 0
		.amdhsa_exception_int_div_zero 0
	.end_amdhsa_kernel
	.section	.text._ZN7rocprim17ROCPRIM_400000_NS6detail17trampoline_kernelINS0_14default_configENS1_20scan_config_selectorIN3c108BFloat16EEEZZNS1_9scan_implILNS1_25lookback_scan_determinismE0ELb0ELb0ES3_PKS6_PS6_S6_ZZZN2at6native31launch_logcumsumexp_cuda_kernelERKNSD_10TensorBaseESH_lENKUlvE_clEvENKUlvE4_clEvEUlS6_S6_E_S6_EEDaPvRmT3_T4_T5_mT6_P12ihipStream_tbENKUlT_T0_E_clISt17integral_constantIbLb1EESX_IbLb0EEEEDaST_SU_EUlST_E0_NS1_11comp_targetILNS1_3genE8ELNS1_11target_archE1030ELNS1_3gpuE2ELNS1_3repE0EEENS1_30default_config_static_selectorELNS0_4arch9wavefront6targetE0EEEvT1_,"axG",@progbits,_ZN7rocprim17ROCPRIM_400000_NS6detail17trampoline_kernelINS0_14default_configENS1_20scan_config_selectorIN3c108BFloat16EEEZZNS1_9scan_implILNS1_25lookback_scan_determinismE0ELb0ELb0ES3_PKS6_PS6_S6_ZZZN2at6native31launch_logcumsumexp_cuda_kernelERKNSD_10TensorBaseESH_lENKUlvE_clEvENKUlvE4_clEvEUlS6_S6_E_S6_EEDaPvRmT3_T4_T5_mT6_P12ihipStream_tbENKUlT_T0_E_clISt17integral_constantIbLb1EESX_IbLb0EEEEDaST_SU_EUlST_E0_NS1_11comp_targetILNS1_3genE8ELNS1_11target_archE1030ELNS1_3gpuE2ELNS1_3repE0EEENS1_30default_config_static_selectorELNS0_4arch9wavefront6targetE0EEEvT1_,comdat
.Lfunc_end501:
	.size	_ZN7rocprim17ROCPRIM_400000_NS6detail17trampoline_kernelINS0_14default_configENS1_20scan_config_selectorIN3c108BFloat16EEEZZNS1_9scan_implILNS1_25lookback_scan_determinismE0ELb0ELb0ES3_PKS6_PS6_S6_ZZZN2at6native31launch_logcumsumexp_cuda_kernelERKNSD_10TensorBaseESH_lENKUlvE_clEvENKUlvE4_clEvEUlS6_S6_E_S6_EEDaPvRmT3_T4_T5_mT6_P12ihipStream_tbENKUlT_T0_E_clISt17integral_constantIbLb1EESX_IbLb0EEEEDaST_SU_EUlST_E0_NS1_11comp_targetILNS1_3genE8ELNS1_11target_archE1030ELNS1_3gpuE2ELNS1_3repE0EEENS1_30default_config_static_selectorELNS0_4arch9wavefront6targetE0EEEvT1_, .Lfunc_end501-_ZN7rocprim17ROCPRIM_400000_NS6detail17trampoline_kernelINS0_14default_configENS1_20scan_config_selectorIN3c108BFloat16EEEZZNS1_9scan_implILNS1_25lookback_scan_determinismE0ELb0ELb0ES3_PKS6_PS6_S6_ZZZN2at6native31launch_logcumsumexp_cuda_kernelERKNSD_10TensorBaseESH_lENKUlvE_clEvENKUlvE4_clEvEUlS6_S6_E_S6_EEDaPvRmT3_T4_T5_mT6_P12ihipStream_tbENKUlT_T0_E_clISt17integral_constantIbLb1EESX_IbLb0EEEEDaST_SU_EUlST_E0_NS1_11comp_targetILNS1_3genE8ELNS1_11target_archE1030ELNS1_3gpuE2ELNS1_3repE0EEENS1_30default_config_static_selectorELNS0_4arch9wavefront6targetE0EEEvT1_
                                        ; -- End function
	.set _ZN7rocprim17ROCPRIM_400000_NS6detail17trampoline_kernelINS0_14default_configENS1_20scan_config_selectorIN3c108BFloat16EEEZZNS1_9scan_implILNS1_25lookback_scan_determinismE0ELb0ELb0ES3_PKS6_PS6_S6_ZZZN2at6native31launch_logcumsumexp_cuda_kernelERKNSD_10TensorBaseESH_lENKUlvE_clEvENKUlvE4_clEvEUlS6_S6_E_S6_EEDaPvRmT3_T4_T5_mT6_P12ihipStream_tbENKUlT_T0_E_clISt17integral_constantIbLb1EESX_IbLb0EEEEDaST_SU_EUlST_E0_NS1_11comp_targetILNS1_3genE8ELNS1_11target_archE1030ELNS1_3gpuE2ELNS1_3repE0EEENS1_30default_config_static_selectorELNS0_4arch9wavefront6targetE0EEEvT1_.num_vgpr, 0
	.set _ZN7rocprim17ROCPRIM_400000_NS6detail17trampoline_kernelINS0_14default_configENS1_20scan_config_selectorIN3c108BFloat16EEEZZNS1_9scan_implILNS1_25lookback_scan_determinismE0ELb0ELb0ES3_PKS6_PS6_S6_ZZZN2at6native31launch_logcumsumexp_cuda_kernelERKNSD_10TensorBaseESH_lENKUlvE_clEvENKUlvE4_clEvEUlS6_S6_E_S6_EEDaPvRmT3_T4_T5_mT6_P12ihipStream_tbENKUlT_T0_E_clISt17integral_constantIbLb1EESX_IbLb0EEEEDaST_SU_EUlST_E0_NS1_11comp_targetILNS1_3genE8ELNS1_11target_archE1030ELNS1_3gpuE2ELNS1_3repE0EEENS1_30default_config_static_selectorELNS0_4arch9wavefront6targetE0EEEvT1_.num_agpr, 0
	.set _ZN7rocprim17ROCPRIM_400000_NS6detail17trampoline_kernelINS0_14default_configENS1_20scan_config_selectorIN3c108BFloat16EEEZZNS1_9scan_implILNS1_25lookback_scan_determinismE0ELb0ELb0ES3_PKS6_PS6_S6_ZZZN2at6native31launch_logcumsumexp_cuda_kernelERKNSD_10TensorBaseESH_lENKUlvE_clEvENKUlvE4_clEvEUlS6_S6_E_S6_EEDaPvRmT3_T4_T5_mT6_P12ihipStream_tbENKUlT_T0_E_clISt17integral_constantIbLb1EESX_IbLb0EEEEDaST_SU_EUlST_E0_NS1_11comp_targetILNS1_3genE8ELNS1_11target_archE1030ELNS1_3gpuE2ELNS1_3repE0EEENS1_30default_config_static_selectorELNS0_4arch9wavefront6targetE0EEEvT1_.numbered_sgpr, 0
	.set _ZN7rocprim17ROCPRIM_400000_NS6detail17trampoline_kernelINS0_14default_configENS1_20scan_config_selectorIN3c108BFloat16EEEZZNS1_9scan_implILNS1_25lookback_scan_determinismE0ELb0ELb0ES3_PKS6_PS6_S6_ZZZN2at6native31launch_logcumsumexp_cuda_kernelERKNSD_10TensorBaseESH_lENKUlvE_clEvENKUlvE4_clEvEUlS6_S6_E_S6_EEDaPvRmT3_T4_T5_mT6_P12ihipStream_tbENKUlT_T0_E_clISt17integral_constantIbLb1EESX_IbLb0EEEEDaST_SU_EUlST_E0_NS1_11comp_targetILNS1_3genE8ELNS1_11target_archE1030ELNS1_3gpuE2ELNS1_3repE0EEENS1_30default_config_static_selectorELNS0_4arch9wavefront6targetE0EEEvT1_.num_named_barrier, 0
	.set _ZN7rocprim17ROCPRIM_400000_NS6detail17trampoline_kernelINS0_14default_configENS1_20scan_config_selectorIN3c108BFloat16EEEZZNS1_9scan_implILNS1_25lookback_scan_determinismE0ELb0ELb0ES3_PKS6_PS6_S6_ZZZN2at6native31launch_logcumsumexp_cuda_kernelERKNSD_10TensorBaseESH_lENKUlvE_clEvENKUlvE4_clEvEUlS6_S6_E_S6_EEDaPvRmT3_T4_T5_mT6_P12ihipStream_tbENKUlT_T0_E_clISt17integral_constantIbLb1EESX_IbLb0EEEEDaST_SU_EUlST_E0_NS1_11comp_targetILNS1_3genE8ELNS1_11target_archE1030ELNS1_3gpuE2ELNS1_3repE0EEENS1_30default_config_static_selectorELNS0_4arch9wavefront6targetE0EEEvT1_.private_seg_size, 0
	.set _ZN7rocprim17ROCPRIM_400000_NS6detail17trampoline_kernelINS0_14default_configENS1_20scan_config_selectorIN3c108BFloat16EEEZZNS1_9scan_implILNS1_25lookback_scan_determinismE0ELb0ELb0ES3_PKS6_PS6_S6_ZZZN2at6native31launch_logcumsumexp_cuda_kernelERKNSD_10TensorBaseESH_lENKUlvE_clEvENKUlvE4_clEvEUlS6_S6_E_S6_EEDaPvRmT3_T4_T5_mT6_P12ihipStream_tbENKUlT_T0_E_clISt17integral_constantIbLb1EESX_IbLb0EEEEDaST_SU_EUlST_E0_NS1_11comp_targetILNS1_3genE8ELNS1_11target_archE1030ELNS1_3gpuE2ELNS1_3repE0EEENS1_30default_config_static_selectorELNS0_4arch9wavefront6targetE0EEEvT1_.uses_vcc, 0
	.set _ZN7rocprim17ROCPRIM_400000_NS6detail17trampoline_kernelINS0_14default_configENS1_20scan_config_selectorIN3c108BFloat16EEEZZNS1_9scan_implILNS1_25lookback_scan_determinismE0ELb0ELb0ES3_PKS6_PS6_S6_ZZZN2at6native31launch_logcumsumexp_cuda_kernelERKNSD_10TensorBaseESH_lENKUlvE_clEvENKUlvE4_clEvEUlS6_S6_E_S6_EEDaPvRmT3_T4_T5_mT6_P12ihipStream_tbENKUlT_T0_E_clISt17integral_constantIbLb1EESX_IbLb0EEEEDaST_SU_EUlST_E0_NS1_11comp_targetILNS1_3genE8ELNS1_11target_archE1030ELNS1_3gpuE2ELNS1_3repE0EEENS1_30default_config_static_selectorELNS0_4arch9wavefront6targetE0EEEvT1_.uses_flat_scratch, 0
	.set _ZN7rocprim17ROCPRIM_400000_NS6detail17trampoline_kernelINS0_14default_configENS1_20scan_config_selectorIN3c108BFloat16EEEZZNS1_9scan_implILNS1_25lookback_scan_determinismE0ELb0ELb0ES3_PKS6_PS6_S6_ZZZN2at6native31launch_logcumsumexp_cuda_kernelERKNSD_10TensorBaseESH_lENKUlvE_clEvENKUlvE4_clEvEUlS6_S6_E_S6_EEDaPvRmT3_T4_T5_mT6_P12ihipStream_tbENKUlT_T0_E_clISt17integral_constantIbLb1EESX_IbLb0EEEEDaST_SU_EUlST_E0_NS1_11comp_targetILNS1_3genE8ELNS1_11target_archE1030ELNS1_3gpuE2ELNS1_3repE0EEENS1_30default_config_static_selectorELNS0_4arch9wavefront6targetE0EEEvT1_.has_dyn_sized_stack, 0
	.set _ZN7rocprim17ROCPRIM_400000_NS6detail17trampoline_kernelINS0_14default_configENS1_20scan_config_selectorIN3c108BFloat16EEEZZNS1_9scan_implILNS1_25lookback_scan_determinismE0ELb0ELb0ES3_PKS6_PS6_S6_ZZZN2at6native31launch_logcumsumexp_cuda_kernelERKNSD_10TensorBaseESH_lENKUlvE_clEvENKUlvE4_clEvEUlS6_S6_E_S6_EEDaPvRmT3_T4_T5_mT6_P12ihipStream_tbENKUlT_T0_E_clISt17integral_constantIbLb1EESX_IbLb0EEEEDaST_SU_EUlST_E0_NS1_11comp_targetILNS1_3genE8ELNS1_11target_archE1030ELNS1_3gpuE2ELNS1_3repE0EEENS1_30default_config_static_selectorELNS0_4arch9wavefront6targetE0EEEvT1_.has_recursion, 0
	.set _ZN7rocprim17ROCPRIM_400000_NS6detail17trampoline_kernelINS0_14default_configENS1_20scan_config_selectorIN3c108BFloat16EEEZZNS1_9scan_implILNS1_25lookback_scan_determinismE0ELb0ELb0ES3_PKS6_PS6_S6_ZZZN2at6native31launch_logcumsumexp_cuda_kernelERKNSD_10TensorBaseESH_lENKUlvE_clEvENKUlvE4_clEvEUlS6_S6_E_S6_EEDaPvRmT3_T4_T5_mT6_P12ihipStream_tbENKUlT_T0_E_clISt17integral_constantIbLb1EESX_IbLb0EEEEDaST_SU_EUlST_E0_NS1_11comp_targetILNS1_3genE8ELNS1_11target_archE1030ELNS1_3gpuE2ELNS1_3repE0EEENS1_30default_config_static_selectorELNS0_4arch9wavefront6targetE0EEEvT1_.has_indirect_call, 0
	.section	.AMDGPU.csdata,"",@progbits
; Kernel info:
; codeLenInByte = 0
; TotalNumSgprs: 0
; NumVgprs: 0
; ScratchSize: 0
; MemoryBound: 0
; FloatMode: 240
; IeeeMode: 1
; LDSByteSize: 0 bytes/workgroup (compile time only)
; SGPRBlocks: 0
; VGPRBlocks: 0
; NumSGPRsForWavesPerEU: 1
; NumVGPRsForWavesPerEU: 1
; Occupancy: 16
; WaveLimiterHint : 0
; COMPUTE_PGM_RSRC2:SCRATCH_EN: 0
; COMPUTE_PGM_RSRC2:USER_SGPR: 2
; COMPUTE_PGM_RSRC2:TRAP_HANDLER: 0
; COMPUTE_PGM_RSRC2:TGID_X_EN: 1
; COMPUTE_PGM_RSRC2:TGID_Y_EN: 0
; COMPUTE_PGM_RSRC2:TGID_Z_EN: 0
; COMPUTE_PGM_RSRC2:TIDIG_COMP_CNT: 0
	.section	.text._ZN7rocprim17ROCPRIM_400000_NS6detail31init_lookback_scan_state_kernelINS1_19lookback_scan_stateIN3c108BFloat16ELb0ELb1EEENS1_16block_id_wrapperIjLb1EEEEEvT_jT0_jPNS9_10value_typeE,"axG",@progbits,_ZN7rocprim17ROCPRIM_400000_NS6detail31init_lookback_scan_state_kernelINS1_19lookback_scan_stateIN3c108BFloat16ELb0ELb1EEENS1_16block_id_wrapperIjLb1EEEEEvT_jT0_jPNS9_10value_typeE,comdat
	.protected	_ZN7rocprim17ROCPRIM_400000_NS6detail31init_lookback_scan_state_kernelINS1_19lookback_scan_stateIN3c108BFloat16ELb0ELb1EEENS1_16block_id_wrapperIjLb1EEEEEvT_jT0_jPNS9_10value_typeE ; -- Begin function _ZN7rocprim17ROCPRIM_400000_NS6detail31init_lookback_scan_state_kernelINS1_19lookback_scan_stateIN3c108BFloat16ELb0ELb1EEENS1_16block_id_wrapperIjLb1EEEEEvT_jT0_jPNS9_10value_typeE
	.globl	_ZN7rocprim17ROCPRIM_400000_NS6detail31init_lookback_scan_state_kernelINS1_19lookback_scan_stateIN3c108BFloat16ELb0ELb1EEENS1_16block_id_wrapperIjLb1EEEEEvT_jT0_jPNS9_10value_typeE
	.p2align	8
	.type	_ZN7rocprim17ROCPRIM_400000_NS6detail31init_lookback_scan_state_kernelINS1_19lookback_scan_stateIN3c108BFloat16ELb0ELb1EEENS1_16block_id_wrapperIjLb1EEEEEvT_jT0_jPNS9_10value_typeE,@function
_ZN7rocprim17ROCPRIM_400000_NS6detail31init_lookback_scan_state_kernelINS1_19lookback_scan_stateIN3c108BFloat16ELb0ELb1EEENS1_16block_id_wrapperIjLb1EEEEEvT_jT0_jPNS9_10value_typeE: ; @_ZN7rocprim17ROCPRIM_400000_NS6detail31init_lookback_scan_state_kernelINS1_19lookback_scan_stateIN3c108BFloat16ELb0ELb1EEENS1_16block_id_wrapperIjLb1EEEEEvT_jT0_jPNS9_10value_typeE
; %bb.0:
	s_clause 0x2
	s_load_b32 s7, s[0:1], 0x34
	s_load_b64 s[2:3], s[0:1], 0x20
	s_load_b96 s[4:6], s[0:1], 0x0
	s_wait_kmcnt 0x0
	s_and_b32 s7, s7, 0xffff
	s_cmp_eq_u64 s[2:3], 0
	v_mad_co_u64_u32 v[0:1], null, ttmp9, s7, v[0:1]
	s_cbranch_scc1 .LBB502_6
; %bb.1:
	s_load_b32 s8, s[0:1], 0x18
	s_mov_b32 s9, 0
	s_wait_kmcnt 0x0
	s_cmp_lt_u32 s8, s6
	s_cselect_b32 s7, s8, 0
	s_wait_alu 0xfffe
	v_cmp_eq_u32_e32 vcc_lo, s7, v0
	s_and_saveexec_b32 s7, vcc_lo
	s_cbranch_execz .LBB502_5
; %bb.2:
	s_add_co_i32 s8, s8, 32
	v_mov_b32_e32 v2, 0
	s_lshl_b64 s[8:9], s[8:9], 2
	s_delay_alu instid0(SALU_CYCLE_1) | instskip(SKIP_3) | instid1(VALU_DEP_1)
	s_add_nc_u64 s[8:9], s[4:5], s[8:9]
	global_load_b32 v1, v2, s[8:9] scope:SCOPE_DEV
	s_wait_loadcnt 0x0
	v_and_b32_e32 v3, 0xff0000, v1
	v_cmp_ne_u32_e32 vcc_lo, 0, v3
	s_cbranch_vccnz .LBB502_4
.LBB502_3:                              ; =>This Inner Loop Header: Depth=1
	global_load_b32 v1, v2, s[8:9] scope:SCOPE_DEV
	s_wait_loadcnt 0x0
	v_and_b32_e32 v3, 0xff0000, v1
	s_delay_alu instid0(VALU_DEP_1)
	v_cmp_eq_u32_e32 vcc_lo, 0, v3
	s_cbranch_vccnz .LBB502_3
.LBB502_4:
	v_mov_b32_e32 v2, 0
	global_store_b16 v2, v1, s[2:3]
.LBB502_5:
	s_wait_alu 0xfffe
	s_or_b32 exec_lo, exec_lo, s7
.LBB502_6:
	s_delay_alu instid0(SALU_CYCLE_1)
	s_mov_b32 s2, exec_lo
	v_cmpx_eq_u32_e32 0, v0
	s_cbranch_execz .LBB502_8
; %bb.7:
	s_load_b64 s[0:1], s[0:1], 0x10
	v_mov_b32_e32 v1, 0
	s_wait_kmcnt 0x0
	global_store_b32 v1, v1, s[0:1]
.LBB502_8:
	s_or_b32 exec_lo, exec_lo, s2
	s_delay_alu instid0(SALU_CYCLE_1)
	s_mov_b32 s0, exec_lo
	v_cmpx_gt_u32_e64 s6, v0
	s_cbranch_execz .LBB502_10
; %bb.9:
	v_dual_mov_b32 v2, 0 :: v_dual_add_nc_u32 v1, 32, v0
	s_delay_alu instid0(VALU_DEP_1) | instskip(NEXT) | instid1(VALU_DEP_1)
	v_lshlrev_b64_e32 v[3:4], 2, v[1:2]
	v_add_co_u32 v3, vcc_lo, s4, v3
	s_delay_alu instid0(VALU_DEP_1)
	v_add_co_ci_u32_e64 v4, null, s5, v4, vcc_lo
	global_store_b32 v[3:4], v2, off
.LBB502_10:
	s_wait_alu 0xfffe
	s_or_b32 exec_lo, exec_lo, s0
	s_delay_alu instid0(SALU_CYCLE_1)
	s_mov_b32 s0, exec_lo
	v_cmpx_gt_u32_e32 32, v0
	s_cbranch_execz .LBB502_12
; %bb.11:
	v_dual_mov_b32 v1, 0 :: v_dual_mov_b32 v2, 0xff0000
	s_delay_alu instid0(VALU_DEP_1) | instskip(NEXT) | instid1(VALU_DEP_1)
	v_lshlrev_b64_e32 v[0:1], 2, v[0:1]
	v_add_co_u32 v0, vcc_lo, s4, v0
	s_wait_alu 0xfffd
	s_delay_alu instid0(VALU_DEP_2)
	v_add_co_ci_u32_e64 v1, null, s5, v1, vcc_lo
	global_store_b32 v[0:1], v2, off
.LBB502_12:
	s_endpgm
	.section	.rodata,"a",@progbits
	.p2align	6, 0x0
	.amdhsa_kernel _ZN7rocprim17ROCPRIM_400000_NS6detail31init_lookback_scan_state_kernelINS1_19lookback_scan_stateIN3c108BFloat16ELb0ELb1EEENS1_16block_id_wrapperIjLb1EEEEEvT_jT0_jPNS9_10value_typeE
		.amdhsa_group_segment_fixed_size 0
		.amdhsa_private_segment_fixed_size 0
		.amdhsa_kernarg_size 296
		.amdhsa_user_sgpr_count 2
		.amdhsa_user_sgpr_dispatch_ptr 0
		.amdhsa_user_sgpr_queue_ptr 0
		.amdhsa_user_sgpr_kernarg_segment_ptr 1
		.amdhsa_user_sgpr_dispatch_id 0
		.amdhsa_user_sgpr_private_segment_size 0
		.amdhsa_wavefront_size32 1
		.amdhsa_uses_dynamic_stack 0
		.amdhsa_enable_private_segment 0
		.amdhsa_system_sgpr_workgroup_id_x 1
		.amdhsa_system_sgpr_workgroup_id_y 0
		.amdhsa_system_sgpr_workgroup_id_z 0
		.amdhsa_system_sgpr_workgroup_info 0
		.amdhsa_system_vgpr_workitem_id 0
		.amdhsa_next_free_vgpr 5
		.amdhsa_next_free_sgpr 10
		.amdhsa_reserve_vcc 1
		.amdhsa_float_round_mode_32 0
		.amdhsa_float_round_mode_16_64 0
		.amdhsa_float_denorm_mode_32 3
		.amdhsa_float_denorm_mode_16_64 3
		.amdhsa_fp16_overflow 0
		.amdhsa_workgroup_processor_mode 1
		.amdhsa_memory_ordered 1
		.amdhsa_forward_progress 1
		.amdhsa_inst_pref_size 4
		.amdhsa_round_robin_scheduling 0
		.amdhsa_exception_fp_ieee_invalid_op 0
		.amdhsa_exception_fp_denorm_src 0
		.amdhsa_exception_fp_ieee_div_zero 0
		.amdhsa_exception_fp_ieee_overflow 0
		.amdhsa_exception_fp_ieee_underflow 0
		.amdhsa_exception_fp_ieee_inexact 0
		.amdhsa_exception_int_div_zero 0
	.end_amdhsa_kernel
	.section	.text._ZN7rocprim17ROCPRIM_400000_NS6detail31init_lookback_scan_state_kernelINS1_19lookback_scan_stateIN3c108BFloat16ELb0ELb1EEENS1_16block_id_wrapperIjLb1EEEEEvT_jT0_jPNS9_10value_typeE,"axG",@progbits,_ZN7rocprim17ROCPRIM_400000_NS6detail31init_lookback_scan_state_kernelINS1_19lookback_scan_stateIN3c108BFloat16ELb0ELb1EEENS1_16block_id_wrapperIjLb1EEEEEvT_jT0_jPNS9_10value_typeE,comdat
.Lfunc_end502:
	.size	_ZN7rocprim17ROCPRIM_400000_NS6detail31init_lookback_scan_state_kernelINS1_19lookback_scan_stateIN3c108BFloat16ELb0ELb1EEENS1_16block_id_wrapperIjLb1EEEEEvT_jT0_jPNS9_10value_typeE, .Lfunc_end502-_ZN7rocprim17ROCPRIM_400000_NS6detail31init_lookback_scan_state_kernelINS1_19lookback_scan_stateIN3c108BFloat16ELb0ELb1EEENS1_16block_id_wrapperIjLb1EEEEEvT_jT0_jPNS9_10value_typeE
                                        ; -- End function
	.set _ZN7rocprim17ROCPRIM_400000_NS6detail31init_lookback_scan_state_kernelINS1_19lookback_scan_stateIN3c108BFloat16ELb0ELb1EEENS1_16block_id_wrapperIjLb1EEEEEvT_jT0_jPNS9_10value_typeE.num_vgpr, 5
	.set _ZN7rocprim17ROCPRIM_400000_NS6detail31init_lookback_scan_state_kernelINS1_19lookback_scan_stateIN3c108BFloat16ELb0ELb1EEENS1_16block_id_wrapperIjLb1EEEEEvT_jT0_jPNS9_10value_typeE.num_agpr, 0
	.set _ZN7rocprim17ROCPRIM_400000_NS6detail31init_lookback_scan_state_kernelINS1_19lookback_scan_stateIN3c108BFloat16ELb0ELb1EEENS1_16block_id_wrapperIjLb1EEEEEvT_jT0_jPNS9_10value_typeE.numbered_sgpr, 10
	.set _ZN7rocprim17ROCPRIM_400000_NS6detail31init_lookback_scan_state_kernelINS1_19lookback_scan_stateIN3c108BFloat16ELb0ELb1EEENS1_16block_id_wrapperIjLb1EEEEEvT_jT0_jPNS9_10value_typeE.num_named_barrier, 0
	.set _ZN7rocprim17ROCPRIM_400000_NS6detail31init_lookback_scan_state_kernelINS1_19lookback_scan_stateIN3c108BFloat16ELb0ELb1EEENS1_16block_id_wrapperIjLb1EEEEEvT_jT0_jPNS9_10value_typeE.private_seg_size, 0
	.set _ZN7rocprim17ROCPRIM_400000_NS6detail31init_lookback_scan_state_kernelINS1_19lookback_scan_stateIN3c108BFloat16ELb0ELb1EEENS1_16block_id_wrapperIjLb1EEEEEvT_jT0_jPNS9_10value_typeE.uses_vcc, 1
	.set _ZN7rocprim17ROCPRIM_400000_NS6detail31init_lookback_scan_state_kernelINS1_19lookback_scan_stateIN3c108BFloat16ELb0ELb1EEENS1_16block_id_wrapperIjLb1EEEEEvT_jT0_jPNS9_10value_typeE.uses_flat_scratch, 0
	.set _ZN7rocprim17ROCPRIM_400000_NS6detail31init_lookback_scan_state_kernelINS1_19lookback_scan_stateIN3c108BFloat16ELb0ELb1EEENS1_16block_id_wrapperIjLb1EEEEEvT_jT0_jPNS9_10value_typeE.has_dyn_sized_stack, 0
	.set _ZN7rocprim17ROCPRIM_400000_NS6detail31init_lookback_scan_state_kernelINS1_19lookback_scan_stateIN3c108BFloat16ELb0ELb1EEENS1_16block_id_wrapperIjLb1EEEEEvT_jT0_jPNS9_10value_typeE.has_recursion, 0
	.set _ZN7rocprim17ROCPRIM_400000_NS6detail31init_lookback_scan_state_kernelINS1_19lookback_scan_stateIN3c108BFloat16ELb0ELb1EEENS1_16block_id_wrapperIjLb1EEEEEvT_jT0_jPNS9_10value_typeE.has_indirect_call, 0
	.section	.AMDGPU.csdata,"",@progbits
; Kernel info:
; codeLenInByte = 408
; TotalNumSgprs: 12
; NumVgprs: 5
; ScratchSize: 0
; MemoryBound: 0
; FloatMode: 240
; IeeeMode: 1
; LDSByteSize: 0 bytes/workgroup (compile time only)
; SGPRBlocks: 0
; VGPRBlocks: 0
; NumSGPRsForWavesPerEU: 12
; NumVGPRsForWavesPerEU: 5
; Occupancy: 16
; WaveLimiterHint : 0
; COMPUTE_PGM_RSRC2:SCRATCH_EN: 0
; COMPUTE_PGM_RSRC2:USER_SGPR: 2
; COMPUTE_PGM_RSRC2:TRAP_HANDLER: 0
; COMPUTE_PGM_RSRC2:TGID_X_EN: 1
; COMPUTE_PGM_RSRC2:TGID_Y_EN: 0
; COMPUTE_PGM_RSRC2:TGID_Z_EN: 0
; COMPUTE_PGM_RSRC2:TIDIG_COMP_CNT: 0
	.section	.text._ZN7rocprim17ROCPRIM_400000_NS6detail17trampoline_kernelINS0_14default_configENS1_20scan_config_selectorIN3c108BFloat16EEEZZNS1_9scan_implILNS1_25lookback_scan_determinismE0ELb0ELb0ES3_PKS6_PS6_S6_ZZZN2at6native31launch_logcumsumexp_cuda_kernelERKNSD_10TensorBaseESH_lENKUlvE_clEvENKUlvE4_clEvEUlS6_S6_E_S6_EEDaPvRmT3_T4_T5_mT6_P12ihipStream_tbENKUlT_T0_E_clISt17integral_constantIbLb0EESX_IbLb1EEEEDaST_SU_EUlST_E_NS1_11comp_targetILNS1_3genE0ELNS1_11target_archE4294967295ELNS1_3gpuE0ELNS1_3repE0EEENS1_30default_config_static_selectorELNS0_4arch9wavefront6targetE0EEEvT1_,"axG",@progbits,_ZN7rocprim17ROCPRIM_400000_NS6detail17trampoline_kernelINS0_14default_configENS1_20scan_config_selectorIN3c108BFloat16EEEZZNS1_9scan_implILNS1_25lookback_scan_determinismE0ELb0ELb0ES3_PKS6_PS6_S6_ZZZN2at6native31launch_logcumsumexp_cuda_kernelERKNSD_10TensorBaseESH_lENKUlvE_clEvENKUlvE4_clEvEUlS6_S6_E_S6_EEDaPvRmT3_T4_T5_mT6_P12ihipStream_tbENKUlT_T0_E_clISt17integral_constantIbLb0EESX_IbLb1EEEEDaST_SU_EUlST_E_NS1_11comp_targetILNS1_3genE0ELNS1_11target_archE4294967295ELNS1_3gpuE0ELNS1_3repE0EEENS1_30default_config_static_selectorELNS0_4arch9wavefront6targetE0EEEvT1_,comdat
	.globl	_ZN7rocprim17ROCPRIM_400000_NS6detail17trampoline_kernelINS0_14default_configENS1_20scan_config_selectorIN3c108BFloat16EEEZZNS1_9scan_implILNS1_25lookback_scan_determinismE0ELb0ELb0ES3_PKS6_PS6_S6_ZZZN2at6native31launch_logcumsumexp_cuda_kernelERKNSD_10TensorBaseESH_lENKUlvE_clEvENKUlvE4_clEvEUlS6_S6_E_S6_EEDaPvRmT3_T4_T5_mT6_P12ihipStream_tbENKUlT_T0_E_clISt17integral_constantIbLb0EESX_IbLb1EEEEDaST_SU_EUlST_E_NS1_11comp_targetILNS1_3genE0ELNS1_11target_archE4294967295ELNS1_3gpuE0ELNS1_3repE0EEENS1_30default_config_static_selectorELNS0_4arch9wavefront6targetE0EEEvT1_ ; -- Begin function _ZN7rocprim17ROCPRIM_400000_NS6detail17trampoline_kernelINS0_14default_configENS1_20scan_config_selectorIN3c108BFloat16EEEZZNS1_9scan_implILNS1_25lookback_scan_determinismE0ELb0ELb0ES3_PKS6_PS6_S6_ZZZN2at6native31launch_logcumsumexp_cuda_kernelERKNSD_10TensorBaseESH_lENKUlvE_clEvENKUlvE4_clEvEUlS6_S6_E_S6_EEDaPvRmT3_T4_T5_mT6_P12ihipStream_tbENKUlT_T0_E_clISt17integral_constantIbLb0EESX_IbLb1EEEEDaST_SU_EUlST_E_NS1_11comp_targetILNS1_3genE0ELNS1_11target_archE4294967295ELNS1_3gpuE0ELNS1_3repE0EEENS1_30default_config_static_selectorELNS0_4arch9wavefront6targetE0EEEvT1_
	.p2align	8
	.type	_ZN7rocprim17ROCPRIM_400000_NS6detail17trampoline_kernelINS0_14default_configENS1_20scan_config_selectorIN3c108BFloat16EEEZZNS1_9scan_implILNS1_25lookback_scan_determinismE0ELb0ELb0ES3_PKS6_PS6_S6_ZZZN2at6native31launch_logcumsumexp_cuda_kernelERKNSD_10TensorBaseESH_lENKUlvE_clEvENKUlvE4_clEvEUlS6_S6_E_S6_EEDaPvRmT3_T4_T5_mT6_P12ihipStream_tbENKUlT_T0_E_clISt17integral_constantIbLb0EESX_IbLb1EEEEDaST_SU_EUlST_E_NS1_11comp_targetILNS1_3genE0ELNS1_11target_archE4294967295ELNS1_3gpuE0ELNS1_3repE0EEENS1_30default_config_static_selectorELNS0_4arch9wavefront6targetE0EEEvT1_,@function
_ZN7rocprim17ROCPRIM_400000_NS6detail17trampoline_kernelINS0_14default_configENS1_20scan_config_selectorIN3c108BFloat16EEEZZNS1_9scan_implILNS1_25lookback_scan_determinismE0ELb0ELb0ES3_PKS6_PS6_S6_ZZZN2at6native31launch_logcumsumexp_cuda_kernelERKNSD_10TensorBaseESH_lENKUlvE_clEvENKUlvE4_clEvEUlS6_S6_E_S6_EEDaPvRmT3_T4_T5_mT6_P12ihipStream_tbENKUlT_T0_E_clISt17integral_constantIbLb0EESX_IbLb1EEEEDaST_SU_EUlST_E_NS1_11comp_targetILNS1_3genE0ELNS1_11target_archE4294967295ELNS1_3gpuE0ELNS1_3repE0EEENS1_30default_config_static_selectorELNS0_4arch9wavefront6targetE0EEEvT1_: ; @_ZN7rocprim17ROCPRIM_400000_NS6detail17trampoline_kernelINS0_14default_configENS1_20scan_config_selectorIN3c108BFloat16EEEZZNS1_9scan_implILNS1_25lookback_scan_determinismE0ELb0ELb0ES3_PKS6_PS6_S6_ZZZN2at6native31launch_logcumsumexp_cuda_kernelERKNSD_10TensorBaseESH_lENKUlvE_clEvENKUlvE4_clEvEUlS6_S6_E_S6_EEDaPvRmT3_T4_T5_mT6_P12ihipStream_tbENKUlT_T0_E_clISt17integral_constantIbLb0EESX_IbLb1EEEEDaST_SU_EUlST_E_NS1_11comp_targetILNS1_3genE0ELNS1_11target_archE4294967295ELNS1_3gpuE0ELNS1_3repE0EEENS1_30default_config_static_selectorELNS0_4arch9wavefront6targetE0EEEvT1_
; %bb.0:
	.section	.rodata,"a",@progbits
	.p2align	6, 0x0
	.amdhsa_kernel _ZN7rocprim17ROCPRIM_400000_NS6detail17trampoline_kernelINS0_14default_configENS1_20scan_config_selectorIN3c108BFloat16EEEZZNS1_9scan_implILNS1_25lookback_scan_determinismE0ELb0ELb0ES3_PKS6_PS6_S6_ZZZN2at6native31launch_logcumsumexp_cuda_kernelERKNSD_10TensorBaseESH_lENKUlvE_clEvENKUlvE4_clEvEUlS6_S6_E_S6_EEDaPvRmT3_T4_T5_mT6_P12ihipStream_tbENKUlT_T0_E_clISt17integral_constantIbLb0EESX_IbLb1EEEEDaST_SU_EUlST_E_NS1_11comp_targetILNS1_3genE0ELNS1_11target_archE4294967295ELNS1_3gpuE0ELNS1_3repE0EEENS1_30default_config_static_selectorELNS0_4arch9wavefront6targetE0EEEvT1_
		.amdhsa_group_segment_fixed_size 0
		.amdhsa_private_segment_fixed_size 0
		.amdhsa_kernarg_size 96
		.amdhsa_user_sgpr_count 2
		.amdhsa_user_sgpr_dispatch_ptr 0
		.amdhsa_user_sgpr_queue_ptr 0
		.amdhsa_user_sgpr_kernarg_segment_ptr 1
		.amdhsa_user_sgpr_dispatch_id 0
		.amdhsa_user_sgpr_private_segment_size 0
		.amdhsa_wavefront_size32 1
		.amdhsa_uses_dynamic_stack 0
		.amdhsa_enable_private_segment 0
		.amdhsa_system_sgpr_workgroup_id_x 1
		.amdhsa_system_sgpr_workgroup_id_y 0
		.amdhsa_system_sgpr_workgroup_id_z 0
		.amdhsa_system_sgpr_workgroup_info 0
		.amdhsa_system_vgpr_workitem_id 0
		.amdhsa_next_free_vgpr 1
		.amdhsa_next_free_sgpr 1
		.amdhsa_reserve_vcc 0
		.amdhsa_float_round_mode_32 0
		.amdhsa_float_round_mode_16_64 0
		.amdhsa_float_denorm_mode_32 3
		.amdhsa_float_denorm_mode_16_64 3
		.amdhsa_fp16_overflow 0
		.amdhsa_workgroup_processor_mode 1
		.amdhsa_memory_ordered 1
		.amdhsa_forward_progress 1
		.amdhsa_inst_pref_size 0
		.amdhsa_round_robin_scheduling 0
		.amdhsa_exception_fp_ieee_invalid_op 0
		.amdhsa_exception_fp_denorm_src 0
		.amdhsa_exception_fp_ieee_div_zero 0
		.amdhsa_exception_fp_ieee_overflow 0
		.amdhsa_exception_fp_ieee_underflow 0
		.amdhsa_exception_fp_ieee_inexact 0
		.amdhsa_exception_int_div_zero 0
	.end_amdhsa_kernel
	.section	.text._ZN7rocprim17ROCPRIM_400000_NS6detail17trampoline_kernelINS0_14default_configENS1_20scan_config_selectorIN3c108BFloat16EEEZZNS1_9scan_implILNS1_25lookback_scan_determinismE0ELb0ELb0ES3_PKS6_PS6_S6_ZZZN2at6native31launch_logcumsumexp_cuda_kernelERKNSD_10TensorBaseESH_lENKUlvE_clEvENKUlvE4_clEvEUlS6_S6_E_S6_EEDaPvRmT3_T4_T5_mT6_P12ihipStream_tbENKUlT_T0_E_clISt17integral_constantIbLb0EESX_IbLb1EEEEDaST_SU_EUlST_E_NS1_11comp_targetILNS1_3genE0ELNS1_11target_archE4294967295ELNS1_3gpuE0ELNS1_3repE0EEENS1_30default_config_static_selectorELNS0_4arch9wavefront6targetE0EEEvT1_,"axG",@progbits,_ZN7rocprim17ROCPRIM_400000_NS6detail17trampoline_kernelINS0_14default_configENS1_20scan_config_selectorIN3c108BFloat16EEEZZNS1_9scan_implILNS1_25lookback_scan_determinismE0ELb0ELb0ES3_PKS6_PS6_S6_ZZZN2at6native31launch_logcumsumexp_cuda_kernelERKNSD_10TensorBaseESH_lENKUlvE_clEvENKUlvE4_clEvEUlS6_S6_E_S6_EEDaPvRmT3_T4_T5_mT6_P12ihipStream_tbENKUlT_T0_E_clISt17integral_constantIbLb0EESX_IbLb1EEEEDaST_SU_EUlST_E_NS1_11comp_targetILNS1_3genE0ELNS1_11target_archE4294967295ELNS1_3gpuE0ELNS1_3repE0EEENS1_30default_config_static_selectorELNS0_4arch9wavefront6targetE0EEEvT1_,comdat
.Lfunc_end503:
	.size	_ZN7rocprim17ROCPRIM_400000_NS6detail17trampoline_kernelINS0_14default_configENS1_20scan_config_selectorIN3c108BFloat16EEEZZNS1_9scan_implILNS1_25lookback_scan_determinismE0ELb0ELb0ES3_PKS6_PS6_S6_ZZZN2at6native31launch_logcumsumexp_cuda_kernelERKNSD_10TensorBaseESH_lENKUlvE_clEvENKUlvE4_clEvEUlS6_S6_E_S6_EEDaPvRmT3_T4_T5_mT6_P12ihipStream_tbENKUlT_T0_E_clISt17integral_constantIbLb0EESX_IbLb1EEEEDaST_SU_EUlST_E_NS1_11comp_targetILNS1_3genE0ELNS1_11target_archE4294967295ELNS1_3gpuE0ELNS1_3repE0EEENS1_30default_config_static_selectorELNS0_4arch9wavefront6targetE0EEEvT1_, .Lfunc_end503-_ZN7rocprim17ROCPRIM_400000_NS6detail17trampoline_kernelINS0_14default_configENS1_20scan_config_selectorIN3c108BFloat16EEEZZNS1_9scan_implILNS1_25lookback_scan_determinismE0ELb0ELb0ES3_PKS6_PS6_S6_ZZZN2at6native31launch_logcumsumexp_cuda_kernelERKNSD_10TensorBaseESH_lENKUlvE_clEvENKUlvE4_clEvEUlS6_S6_E_S6_EEDaPvRmT3_T4_T5_mT6_P12ihipStream_tbENKUlT_T0_E_clISt17integral_constantIbLb0EESX_IbLb1EEEEDaST_SU_EUlST_E_NS1_11comp_targetILNS1_3genE0ELNS1_11target_archE4294967295ELNS1_3gpuE0ELNS1_3repE0EEENS1_30default_config_static_selectorELNS0_4arch9wavefront6targetE0EEEvT1_
                                        ; -- End function
	.set _ZN7rocprim17ROCPRIM_400000_NS6detail17trampoline_kernelINS0_14default_configENS1_20scan_config_selectorIN3c108BFloat16EEEZZNS1_9scan_implILNS1_25lookback_scan_determinismE0ELb0ELb0ES3_PKS6_PS6_S6_ZZZN2at6native31launch_logcumsumexp_cuda_kernelERKNSD_10TensorBaseESH_lENKUlvE_clEvENKUlvE4_clEvEUlS6_S6_E_S6_EEDaPvRmT3_T4_T5_mT6_P12ihipStream_tbENKUlT_T0_E_clISt17integral_constantIbLb0EESX_IbLb1EEEEDaST_SU_EUlST_E_NS1_11comp_targetILNS1_3genE0ELNS1_11target_archE4294967295ELNS1_3gpuE0ELNS1_3repE0EEENS1_30default_config_static_selectorELNS0_4arch9wavefront6targetE0EEEvT1_.num_vgpr, 0
	.set _ZN7rocprim17ROCPRIM_400000_NS6detail17trampoline_kernelINS0_14default_configENS1_20scan_config_selectorIN3c108BFloat16EEEZZNS1_9scan_implILNS1_25lookback_scan_determinismE0ELb0ELb0ES3_PKS6_PS6_S6_ZZZN2at6native31launch_logcumsumexp_cuda_kernelERKNSD_10TensorBaseESH_lENKUlvE_clEvENKUlvE4_clEvEUlS6_S6_E_S6_EEDaPvRmT3_T4_T5_mT6_P12ihipStream_tbENKUlT_T0_E_clISt17integral_constantIbLb0EESX_IbLb1EEEEDaST_SU_EUlST_E_NS1_11comp_targetILNS1_3genE0ELNS1_11target_archE4294967295ELNS1_3gpuE0ELNS1_3repE0EEENS1_30default_config_static_selectorELNS0_4arch9wavefront6targetE0EEEvT1_.num_agpr, 0
	.set _ZN7rocprim17ROCPRIM_400000_NS6detail17trampoline_kernelINS0_14default_configENS1_20scan_config_selectorIN3c108BFloat16EEEZZNS1_9scan_implILNS1_25lookback_scan_determinismE0ELb0ELb0ES3_PKS6_PS6_S6_ZZZN2at6native31launch_logcumsumexp_cuda_kernelERKNSD_10TensorBaseESH_lENKUlvE_clEvENKUlvE4_clEvEUlS6_S6_E_S6_EEDaPvRmT3_T4_T5_mT6_P12ihipStream_tbENKUlT_T0_E_clISt17integral_constantIbLb0EESX_IbLb1EEEEDaST_SU_EUlST_E_NS1_11comp_targetILNS1_3genE0ELNS1_11target_archE4294967295ELNS1_3gpuE0ELNS1_3repE0EEENS1_30default_config_static_selectorELNS0_4arch9wavefront6targetE0EEEvT1_.numbered_sgpr, 0
	.set _ZN7rocprim17ROCPRIM_400000_NS6detail17trampoline_kernelINS0_14default_configENS1_20scan_config_selectorIN3c108BFloat16EEEZZNS1_9scan_implILNS1_25lookback_scan_determinismE0ELb0ELb0ES3_PKS6_PS6_S6_ZZZN2at6native31launch_logcumsumexp_cuda_kernelERKNSD_10TensorBaseESH_lENKUlvE_clEvENKUlvE4_clEvEUlS6_S6_E_S6_EEDaPvRmT3_T4_T5_mT6_P12ihipStream_tbENKUlT_T0_E_clISt17integral_constantIbLb0EESX_IbLb1EEEEDaST_SU_EUlST_E_NS1_11comp_targetILNS1_3genE0ELNS1_11target_archE4294967295ELNS1_3gpuE0ELNS1_3repE0EEENS1_30default_config_static_selectorELNS0_4arch9wavefront6targetE0EEEvT1_.num_named_barrier, 0
	.set _ZN7rocprim17ROCPRIM_400000_NS6detail17trampoline_kernelINS0_14default_configENS1_20scan_config_selectorIN3c108BFloat16EEEZZNS1_9scan_implILNS1_25lookback_scan_determinismE0ELb0ELb0ES3_PKS6_PS6_S6_ZZZN2at6native31launch_logcumsumexp_cuda_kernelERKNSD_10TensorBaseESH_lENKUlvE_clEvENKUlvE4_clEvEUlS6_S6_E_S6_EEDaPvRmT3_T4_T5_mT6_P12ihipStream_tbENKUlT_T0_E_clISt17integral_constantIbLb0EESX_IbLb1EEEEDaST_SU_EUlST_E_NS1_11comp_targetILNS1_3genE0ELNS1_11target_archE4294967295ELNS1_3gpuE0ELNS1_3repE0EEENS1_30default_config_static_selectorELNS0_4arch9wavefront6targetE0EEEvT1_.private_seg_size, 0
	.set _ZN7rocprim17ROCPRIM_400000_NS6detail17trampoline_kernelINS0_14default_configENS1_20scan_config_selectorIN3c108BFloat16EEEZZNS1_9scan_implILNS1_25lookback_scan_determinismE0ELb0ELb0ES3_PKS6_PS6_S6_ZZZN2at6native31launch_logcumsumexp_cuda_kernelERKNSD_10TensorBaseESH_lENKUlvE_clEvENKUlvE4_clEvEUlS6_S6_E_S6_EEDaPvRmT3_T4_T5_mT6_P12ihipStream_tbENKUlT_T0_E_clISt17integral_constantIbLb0EESX_IbLb1EEEEDaST_SU_EUlST_E_NS1_11comp_targetILNS1_3genE0ELNS1_11target_archE4294967295ELNS1_3gpuE0ELNS1_3repE0EEENS1_30default_config_static_selectorELNS0_4arch9wavefront6targetE0EEEvT1_.uses_vcc, 0
	.set _ZN7rocprim17ROCPRIM_400000_NS6detail17trampoline_kernelINS0_14default_configENS1_20scan_config_selectorIN3c108BFloat16EEEZZNS1_9scan_implILNS1_25lookback_scan_determinismE0ELb0ELb0ES3_PKS6_PS6_S6_ZZZN2at6native31launch_logcumsumexp_cuda_kernelERKNSD_10TensorBaseESH_lENKUlvE_clEvENKUlvE4_clEvEUlS6_S6_E_S6_EEDaPvRmT3_T4_T5_mT6_P12ihipStream_tbENKUlT_T0_E_clISt17integral_constantIbLb0EESX_IbLb1EEEEDaST_SU_EUlST_E_NS1_11comp_targetILNS1_3genE0ELNS1_11target_archE4294967295ELNS1_3gpuE0ELNS1_3repE0EEENS1_30default_config_static_selectorELNS0_4arch9wavefront6targetE0EEEvT1_.uses_flat_scratch, 0
	.set _ZN7rocprim17ROCPRIM_400000_NS6detail17trampoline_kernelINS0_14default_configENS1_20scan_config_selectorIN3c108BFloat16EEEZZNS1_9scan_implILNS1_25lookback_scan_determinismE0ELb0ELb0ES3_PKS6_PS6_S6_ZZZN2at6native31launch_logcumsumexp_cuda_kernelERKNSD_10TensorBaseESH_lENKUlvE_clEvENKUlvE4_clEvEUlS6_S6_E_S6_EEDaPvRmT3_T4_T5_mT6_P12ihipStream_tbENKUlT_T0_E_clISt17integral_constantIbLb0EESX_IbLb1EEEEDaST_SU_EUlST_E_NS1_11comp_targetILNS1_3genE0ELNS1_11target_archE4294967295ELNS1_3gpuE0ELNS1_3repE0EEENS1_30default_config_static_selectorELNS0_4arch9wavefront6targetE0EEEvT1_.has_dyn_sized_stack, 0
	.set _ZN7rocprim17ROCPRIM_400000_NS6detail17trampoline_kernelINS0_14default_configENS1_20scan_config_selectorIN3c108BFloat16EEEZZNS1_9scan_implILNS1_25lookback_scan_determinismE0ELb0ELb0ES3_PKS6_PS6_S6_ZZZN2at6native31launch_logcumsumexp_cuda_kernelERKNSD_10TensorBaseESH_lENKUlvE_clEvENKUlvE4_clEvEUlS6_S6_E_S6_EEDaPvRmT3_T4_T5_mT6_P12ihipStream_tbENKUlT_T0_E_clISt17integral_constantIbLb0EESX_IbLb1EEEEDaST_SU_EUlST_E_NS1_11comp_targetILNS1_3genE0ELNS1_11target_archE4294967295ELNS1_3gpuE0ELNS1_3repE0EEENS1_30default_config_static_selectorELNS0_4arch9wavefront6targetE0EEEvT1_.has_recursion, 0
	.set _ZN7rocprim17ROCPRIM_400000_NS6detail17trampoline_kernelINS0_14default_configENS1_20scan_config_selectorIN3c108BFloat16EEEZZNS1_9scan_implILNS1_25lookback_scan_determinismE0ELb0ELb0ES3_PKS6_PS6_S6_ZZZN2at6native31launch_logcumsumexp_cuda_kernelERKNSD_10TensorBaseESH_lENKUlvE_clEvENKUlvE4_clEvEUlS6_S6_E_S6_EEDaPvRmT3_T4_T5_mT6_P12ihipStream_tbENKUlT_T0_E_clISt17integral_constantIbLb0EESX_IbLb1EEEEDaST_SU_EUlST_E_NS1_11comp_targetILNS1_3genE0ELNS1_11target_archE4294967295ELNS1_3gpuE0ELNS1_3repE0EEENS1_30default_config_static_selectorELNS0_4arch9wavefront6targetE0EEEvT1_.has_indirect_call, 0
	.section	.AMDGPU.csdata,"",@progbits
; Kernel info:
; codeLenInByte = 0
; TotalNumSgprs: 0
; NumVgprs: 0
; ScratchSize: 0
; MemoryBound: 0
; FloatMode: 240
; IeeeMode: 1
; LDSByteSize: 0 bytes/workgroup (compile time only)
; SGPRBlocks: 0
; VGPRBlocks: 0
; NumSGPRsForWavesPerEU: 1
; NumVGPRsForWavesPerEU: 1
; Occupancy: 16
; WaveLimiterHint : 0
; COMPUTE_PGM_RSRC2:SCRATCH_EN: 0
; COMPUTE_PGM_RSRC2:USER_SGPR: 2
; COMPUTE_PGM_RSRC2:TRAP_HANDLER: 0
; COMPUTE_PGM_RSRC2:TGID_X_EN: 1
; COMPUTE_PGM_RSRC2:TGID_Y_EN: 0
; COMPUTE_PGM_RSRC2:TGID_Z_EN: 0
; COMPUTE_PGM_RSRC2:TIDIG_COMP_CNT: 0
	.section	.text._ZN7rocprim17ROCPRIM_400000_NS6detail17trampoline_kernelINS0_14default_configENS1_20scan_config_selectorIN3c108BFloat16EEEZZNS1_9scan_implILNS1_25lookback_scan_determinismE0ELb0ELb0ES3_PKS6_PS6_S6_ZZZN2at6native31launch_logcumsumexp_cuda_kernelERKNSD_10TensorBaseESH_lENKUlvE_clEvENKUlvE4_clEvEUlS6_S6_E_S6_EEDaPvRmT3_T4_T5_mT6_P12ihipStream_tbENKUlT_T0_E_clISt17integral_constantIbLb0EESX_IbLb1EEEEDaST_SU_EUlST_E_NS1_11comp_targetILNS1_3genE5ELNS1_11target_archE942ELNS1_3gpuE9ELNS1_3repE0EEENS1_30default_config_static_selectorELNS0_4arch9wavefront6targetE0EEEvT1_,"axG",@progbits,_ZN7rocprim17ROCPRIM_400000_NS6detail17trampoline_kernelINS0_14default_configENS1_20scan_config_selectorIN3c108BFloat16EEEZZNS1_9scan_implILNS1_25lookback_scan_determinismE0ELb0ELb0ES3_PKS6_PS6_S6_ZZZN2at6native31launch_logcumsumexp_cuda_kernelERKNSD_10TensorBaseESH_lENKUlvE_clEvENKUlvE4_clEvEUlS6_S6_E_S6_EEDaPvRmT3_T4_T5_mT6_P12ihipStream_tbENKUlT_T0_E_clISt17integral_constantIbLb0EESX_IbLb1EEEEDaST_SU_EUlST_E_NS1_11comp_targetILNS1_3genE5ELNS1_11target_archE942ELNS1_3gpuE9ELNS1_3repE0EEENS1_30default_config_static_selectorELNS0_4arch9wavefront6targetE0EEEvT1_,comdat
	.globl	_ZN7rocprim17ROCPRIM_400000_NS6detail17trampoline_kernelINS0_14default_configENS1_20scan_config_selectorIN3c108BFloat16EEEZZNS1_9scan_implILNS1_25lookback_scan_determinismE0ELb0ELb0ES3_PKS6_PS6_S6_ZZZN2at6native31launch_logcumsumexp_cuda_kernelERKNSD_10TensorBaseESH_lENKUlvE_clEvENKUlvE4_clEvEUlS6_S6_E_S6_EEDaPvRmT3_T4_T5_mT6_P12ihipStream_tbENKUlT_T0_E_clISt17integral_constantIbLb0EESX_IbLb1EEEEDaST_SU_EUlST_E_NS1_11comp_targetILNS1_3genE5ELNS1_11target_archE942ELNS1_3gpuE9ELNS1_3repE0EEENS1_30default_config_static_selectorELNS0_4arch9wavefront6targetE0EEEvT1_ ; -- Begin function _ZN7rocprim17ROCPRIM_400000_NS6detail17trampoline_kernelINS0_14default_configENS1_20scan_config_selectorIN3c108BFloat16EEEZZNS1_9scan_implILNS1_25lookback_scan_determinismE0ELb0ELb0ES3_PKS6_PS6_S6_ZZZN2at6native31launch_logcumsumexp_cuda_kernelERKNSD_10TensorBaseESH_lENKUlvE_clEvENKUlvE4_clEvEUlS6_S6_E_S6_EEDaPvRmT3_T4_T5_mT6_P12ihipStream_tbENKUlT_T0_E_clISt17integral_constantIbLb0EESX_IbLb1EEEEDaST_SU_EUlST_E_NS1_11comp_targetILNS1_3genE5ELNS1_11target_archE942ELNS1_3gpuE9ELNS1_3repE0EEENS1_30default_config_static_selectorELNS0_4arch9wavefront6targetE0EEEvT1_
	.p2align	8
	.type	_ZN7rocprim17ROCPRIM_400000_NS6detail17trampoline_kernelINS0_14default_configENS1_20scan_config_selectorIN3c108BFloat16EEEZZNS1_9scan_implILNS1_25lookback_scan_determinismE0ELb0ELb0ES3_PKS6_PS6_S6_ZZZN2at6native31launch_logcumsumexp_cuda_kernelERKNSD_10TensorBaseESH_lENKUlvE_clEvENKUlvE4_clEvEUlS6_S6_E_S6_EEDaPvRmT3_T4_T5_mT6_P12ihipStream_tbENKUlT_T0_E_clISt17integral_constantIbLb0EESX_IbLb1EEEEDaST_SU_EUlST_E_NS1_11comp_targetILNS1_3genE5ELNS1_11target_archE942ELNS1_3gpuE9ELNS1_3repE0EEENS1_30default_config_static_selectorELNS0_4arch9wavefront6targetE0EEEvT1_,@function
_ZN7rocprim17ROCPRIM_400000_NS6detail17trampoline_kernelINS0_14default_configENS1_20scan_config_selectorIN3c108BFloat16EEEZZNS1_9scan_implILNS1_25lookback_scan_determinismE0ELb0ELb0ES3_PKS6_PS6_S6_ZZZN2at6native31launch_logcumsumexp_cuda_kernelERKNSD_10TensorBaseESH_lENKUlvE_clEvENKUlvE4_clEvEUlS6_S6_E_S6_EEDaPvRmT3_T4_T5_mT6_P12ihipStream_tbENKUlT_T0_E_clISt17integral_constantIbLb0EESX_IbLb1EEEEDaST_SU_EUlST_E_NS1_11comp_targetILNS1_3genE5ELNS1_11target_archE942ELNS1_3gpuE9ELNS1_3repE0EEENS1_30default_config_static_selectorELNS0_4arch9wavefront6targetE0EEEvT1_: ; @_ZN7rocprim17ROCPRIM_400000_NS6detail17trampoline_kernelINS0_14default_configENS1_20scan_config_selectorIN3c108BFloat16EEEZZNS1_9scan_implILNS1_25lookback_scan_determinismE0ELb0ELb0ES3_PKS6_PS6_S6_ZZZN2at6native31launch_logcumsumexp_cuda_kernelERKNSD_10TensorBaseESH_lENKUlvE_clEvENKUlvE4_clEvEUlS6_S6_E_S6_EEDaPvRmT3_T4_T5_mT6_P12ihipStream_tbENKUlT_T0_E_clISt17integral_constantIbLb0EESX_IbLb1EEEEDaST_SU_EUlST_E_NS1_11comp_targetILNS1_3genE5ELNS1_11target_archE942ELNS1_3gpuE9ELNS1_3repE0EEENS1_30default_config_static_selectorELNS0_4arch9wavefront6targetE0EEEvT1_
; %bb.0:
	.section	.rodata,"a",@progbits
	.p2align	6, 0x0
	.amdhsa_kernel _ZN7rocprim17ROCPRIM_400000_NS6detail17trampoline_kernelINS0_14default_configENS1_20scan_config_selectorIN3c108BFloat16EEEZZNS1_9scan_implILNS1_25lookback_scan_determinismE0ELb0ELb0ES3_PKS6_PS6_S6_ZZZN2at6native31launch_logcumsumexp_cuda_kernelERKNSD_10TensorBaseESH_lENKUlvE_clEvENKUlvE4_clEvEUlS6_S6_E_S6_EEDaPvRmT3_T4_T5_mT6_P12ihipStream_tbENKUlT_T0_E_clISt17integral_constantIbLb0EESX_IbLb1EEEEDaST_SU_EUlST_E_NS1_11comp_targetILNS1_3genE5ELNS1_11target_archE942ELNS1_3gpuE9ELNS1_3repE0EEENS1_30default_config_static_selectorELNS0_4arch9wavefront6targetE0EEEvT1_
		.amdhsa_group_segment_fixed_size 0
		.amdhsa_private_segment_fixed_size 0
		.amdhsa_kernarg_size 96
		.amdhsa_user_sgpr_count 2
		.amdhsa_user_sgpr_dispatch_ptr 0
		.amdhsa_user_sgpr_queue_ptr 0
		.amdhsa_user_sgpr_kernarg_segment_ptr 1
		.amdhsa_user_sgpr_dispatch_id 0
		.amdhsa_user_sgpr_private_segment_size 0
		.amdhsa_wavefront_size32 1
		.amdhsa_uses_dynamic_stack 0
		.amdhsa_enable_private_segment 0
		.amdhsa_system_sgpr_workgroup_id_x 1
		.amdhsa_system_sgpr_workgroup_id_y 0
		.amdhsa_system_sgpr_workgroup_id_z 0
		.amdhsa_system_sgpr_workgroup_info 0
		.amdhsa_system_vgpr_workitem_id 0
		.amdhsa_next_free_vgpr 1
		.amdhsa_next_free_sgpr 1
		.amdhsa_reserve_vcc 0
		.amdhsa_float_round_mode_32 0
		.amdhsa_float_round_mode_16_64 0
		.amdhsa_float_denorm_mode_32 3
		.amdhsa_float_denorm_mode_16_64 3
		.amdhsa_fp16_overflow 0
		.amdhsa_workgroup_processor_mode 1
		.amdhsa_memory_ordered 1
		.amdhsa_forward_progress 1
		.amdhsa_inst_pref_size 0
		.amdhsa_round_robin_scheduling 0
		.amdhsa_exception_fp_ieee_invalid_op 0
		.amdhsa_exception_fp_denorm_src 0
		.amdhsa_exception_fp_ieee_div_zero 0
		.amdhsa_exception_fp_ieee_overflow 0
		.amdhsa_exception_fp_ieee_underflow 0
		.amdhsa_exception_fp_ieee_inexact 0
		.amdhsa_exception_int_div_zero 0
	.end_amdhsa_kernel
	.section	.text._ZN7rocprim17ROCPRIM_400000_NS6detail17trampoline_kernelINS0_14default_configENS1_20scan_config_selectorIN3c108BFloat16EEEZZNS1_9scan_implILNS1_25lookback_scan_determinismE0ELb0ELb0ES3_PKS6_PS6_S6_ZZZN2at6native31launch_logcumsumexp_cuda_kernelERKNSD_10TensorBaseESH_lENKUlvE_clEvENKUlvE4_clEvEUlS6_S6_E_S6_EEDaPvRmT3_T4_T5_mT6_P12ihipStream_tbENKUlT_T0_E_clISt17integral_constantIbLb0EESX_IbLb1EEEEDaST_SU_EUlST_E_NS1_11comp_targetILNS1_3genE5ELNS1_11target_archE942ELNS1_3gpuE9ELNS1_3repE0EEENS1_30default_config_static_selectorELNS0_4arch9wavefront6targetE0EEEvT1_,"axG",@progbits,_ZN7rocprim17ROCPRIM_400000_NS6detail17trampoline_kernelINS0_14default_configENS1_20scan_config_selectorIN3c108BFloat16EEEZZNS1_9scan_implILNS1_25lookback_scan_determinismE0ELb0ELb0ES3_PKS6_PS6_S6_ZZZN2at6native31launch_logcumsumexp_cuda_kernelERKNSD_10TensorBaseESH_lENKUlvE_clEvENKUlvE4_clEvEUlS6_S6_E_S6_EEDaPvRmT3_T4_T5_mT6_P12ihipStream_tbENKUlT_T0_E_clISt17integral_constantIbLb0EESX_IbLb1EEEEDaST_SU_EUlST_E_NS1_11comp_targetILNS1_3genE5ELNS1_11target_archE942ELNS1_3gpuE9ELNS1_3repE0EEENS1_30default_config_static_selectorELNS0_4arch9wavefront6targetE0EEEvT1_,comdat
.Lfunc_end504:
	.size	_ZN7rocprim17ROCPRIM_400000_NS6detail17trampoline_kernelINS0_14default_configENS1_20scan_config_selectorIN3c108BFloat16EEEZZNS1_9scan_implILNS1_25lookback_scan_determinismE0ELb0ELb0ES3_PKS6_PS6_S6_ZZZN2at6native31launch_logcumsumexp_cuda_kernelERKNSD_10TensorBaseESH_lENKUlvE_clEvENKUlvE4_clEvEUlS6_S6_E_S6_EEDaPvRmT3_T4_T5_mT6_P12ihipStream_tbENKUlT_T0_E_clISt17integral_constantIbLb0EESX_IbLb1EEEEDaST_SU_EUlST_E_NS1_11comp_targetILNS1_3genE5ELNS1_11target_archE942ELNS1_3gpuE9ELNS1_3repE0EEENS1_30default_config_static_selectorELNS0_4arch9wavefront6targetE0EEEvT1_, .Lfunc_end504-_ZN7rocprim17ROCPRIM_400000_NS6detail17trampoline_kernelINS0_14default_configENS1_20scan_config_selectorIN3c108BFloat16EEEZZNS1_9scan_implILNS1_25lookback_scan_determinismE0ELb0ELb0ES3_PKS6_PS6_S6_ZZZN2at6native31launch_logcumsumexp_cuda_kernelERKNSD_10TensorBaseESH_lENKUlvE_clEvENKUlvE4_clEvEUlS6_S6_E_S6_EEDaPvRmT3_T4_T5_mT6_P12ihipStream_tbENKUlT_T0_E_clISt17integral_constantIbLb0EESX_IbLb1EEEEDaST_SU_EUlST_E_NS1_11comp_targetILNS1_3genE5ELNS1_11target_archE942ELNS1_3gpuE9ELNS1_3repE0EEENS1_30default_config_static_selectorELNS0_4arch9wavefront6targetE0EEEvT1_
                                        ; -- End function
	.set _ZN7rocprim17ROCPRIM_400000_NS6detail17trampoline_kernelINS0_14default_configENS1_20scan_config_selectorIN3c108BFloat16EEEZZNS1_9scan_implILNS1_25lookback_scan_determinismE0ELb0ELb0ES3_PKS6_PS6_S6_ZZZN2at6native31launch_logcumsumexp_cuda_kernelERKNSD_10TensorBaseESH_lENKUlvE_clEvENKUlvE4_clEvEUlS6_S6_E_S6_EEDaPvRmT3_T4_T5_mT6_P12ihipStream_tbENKUlT_T0_E_clISt17integral_constantIbLb0EESX_IbLb1EEEEDaST_SU_EUlST_E_NS1_11comp_targetILNS1_3genE5ELNS1_11target_archE942ELNS1_3gpuE9ELNS1_3repE0EEENS1_30default_config_static_selectorELNS0_4arch9wavefront6targetE0EEEvT1_.num_vgpr, 0
	.set _ZN7rocprim17ROCPRIM_400000_NS6detail17trampoline_kernelINS0_14default_configENS1_20scan_config_selectorIN3c108BFloat16EEEZZNS1_9scan_implILNS1_25lookback_scan_determinismE0ELb0ELb0ES3_PKS6_PS6_S6_ZZZN2at6native31launch_logcumsumexp_cuda_kernelERKNSD_10TensorBaseESH_lENKUlvE_clEvENKUlvE4_clEvEUlS6_S6_E_S6_EEDaPvRmT3_T4_T5_mT6_P12ihipStream_tbENKUlT_T0_E_clISt17integral_constantIbLb0EESX_IbLb1EEEEDaST_SU_EUlST_E_NS1_11comp_targetILNS1_3genE5ELNS1_11target_archE942ELNS1_3gpuE9ELNS1_3repE0EEENS1_30default_config_static_selectorELNS0_4arch9wavefront6targetE0EEEvT1_.num_agpr, 0
	.set _ZN7rocprim17ROCPRIM_400000_NS6detail17trampoline_kernelINS0_14default_configENS1_20scan_config_selectorIN3c108BFloat16EEEZZNS1_9scan_implILNS1_25lookback_scan_determinismE0ELb0ELb0ES3_PKS6_PS6_S6_ZZZN2at6native31launch_logcumsumexp_cuda_kernelERKNSD_10TensorBaseESH_lENKUlvE_clEvENKUlvE4_clEvEUlS6_S6_E_S6_EEDaPvRmT3_T4_T5_mT6_P12ihipStream_tbENKUlT_T0_E_clISt17integral_constantIbLb0EESX_IbLb1EEEEDaST_SU_EUlST_E_NS1_11comp_targetILNS1_3genE5ELNS1_11target_archE942ELNS1_3gpuE9ELNS1_3repE0EEENS1_30default_config_static_selectorELNS0_4arch9wavefront6targetE0EEEvT1_.numbered_sgpr, 0
	.set _ZN7rocprim17ROCPRIM_400000_NS6detail17trampoline_kernelINS0_14default_configENS1_20scan_config_selectorIN3c108BFloat16EEEZZNS1_9scan_implILNS1_25lookback_scan_determinismE0ELb0ELb0ES3_PKS6_PS6_S6_ZZZN2at6native31launch_logcumsumexp_cuda_kernelERKNSD_10TensorBaseESH_lENKUlvE_clEvENKUlvE4_clEvEUlS6_S6_E_S6_EEDaPvRmT3_T4_T5_mT6_P12ihipStream_tbENKUlT_T0_E_clISt17integral_constantIbLb0EESX_IbLb1EEEEDaST_SU_EUlST_E_NS1_11comp_targetILNS1_3genE5ELNS1_11target_archE942ELNS1_3gpuE9ELNS1_3repE0EEENS1_30default_config_static_selectorELNS0_4arch9wavefront6targetE0EEEvT1_.num_named_barrier, 0
	.set _ZN7rocprim17ROCPRIM_400000_NS6detail17trampoline_kernelINS0_14default_configENS1_20scan_config_selectorIN3c108BFloat16EEEZZNS1_9scan_implILNS1_25lookback_scan_determinismE0ELb0ELb0ES3_PKS6_PS6_S6_ZZZN2at6native31launch_logcumsumexp_cuda_kernelERKNSD_10TensorBaseESH_lENKUlvE_clEvENKUlvE4_clEvEUlS6_S6_E_S6_EEDaPvRmT3_T4_T5_mT6_P12ihipStream_tbENKUlT_T0_E_clISt17integral_constantIbLb0EESX_IbLb1EEEEDaST_SU_EUlST_E_NS1_11comp_targetILNS1_3genE5ELNS1_11target_archE942ELNS1_3gpuE9ELNS1_3repE0EEENS1_30default_config_static_selectorELNS0_4arch9wavefront6targetE0EEEvT1_.private_seg_size, 0
	.set _ZN7rocprim17ROCPRIM_400000_NS6detail17trampoline_kernelINS0_14default_configENS1_20scan_config_selectorIN3c108BFloat16EEEZZNS1_9scan_implILNS1_25lookback_scan_determinismE0ELb0ELb0ES3_PKS6_PS6_S6_ZZZN2at6native31launch_logcumsumexp_cuda_kernelERKNSD_10TensorBaseESH_lENKUlvE_clEvENKUlvE4_clEvEUlS6_S6_E_S6_EEDaPvRmT3_T4_T5_mT6_P12ihipStream_tbENKUlT_T0_E_clISt17integral_constantIbLb0EESX_IbLb1EEEEDaST_SU_EUlST_E_NS1_11comp_targetILNS1_3genE5ELNS1_11target_archE942ELNS1_3gpuE9ELNS1_3repE0EEENS1_30default_config_static_selectorELNS0_4arch9wavefront6targetE0EEEvT1_.uses_vcc, 0
	.set _ZN7rocprim17ROCPRIM_400000_NS6detail17trampoline_kernelINS0_14default_configENS1_20scan_config_selectorIN3c108BFloat16EEEZZNS1_9scan_implILNS1_25lookback_scan_determinismE0ELb0ELb0ES3_PKS6_PS6_S6_ZZZN2at6native31launch_logcumsumexp_cuda_kernelERKNSD_10TensorBaseESH_lENKUlvE_clEvENKUlvE4_clEvEUlS6_S6_E_S6_EEDaPvRmT3_T4_T5_mT6_P12ihipStream_tbENKUlT_T0_E_clISt17integral_constantIbLb0EESX_IbLb1EEEEDaST_SU_EUlST_E_NS1_11comp_targetILNS1_3genE5ELNS1_11target_archE942ELNS1_3gpuE9ELNS1_3repE0EEENS1_30default_config_static_selectorELNS0_4arch9wavefront6targetE0EEEvT1_.uses_flat_scratch, 0
	.set _ZN7rocprim17ROCPRIM_400000_NS6detail17trampoline_kernelINS0_14default_configENS1_20scan_config_selectorIN3c108BFloat16EEEZZNS1_9scan_implILNS1_25lookback_scan_determinismE0ELb0ELb0ES3_PKS6_PS6_S6_ZZZN2at6native31launch_logcumsumexp_cuda_kernelERKNSD_10TensorBaseESH_lENKUlvE_clEvENKUlvE4_clEvEUlS6_S6_E_S6_EEDaPvRmT3_T4_T5_mT6_P12ihipStream_tbENKUlT_T0_E_clISt17integral_constantIbLb0EESX_IbLb1EEEEDaST_SU_EUlST_E_NS1_11comp_targetILNS1_3genE5ELNS1_11target_archE942ELNS1_3gpuE9ELNS1_3repE0EEENS1_30default_config_static_selectorELNS0_4arch9wavefront6targetE0EEEvT1_.has_dyn_sized_stack, 0
	.set _ZN7rocprim17ROCPRIM_400000_NS6detail17trampoline_kernelINS0_14default_configENS1_20scan_config_selectorIN3c108BFloat16EEEZZNS1_9scan_implILNS1_25lookback_scan_determinismE0ELb0ELb0ES3_PKS6_PS6_S6_ZZZN2at6native31launch_logcumsumexp_cuda_kernelERKNSD_10TensorBaseESH_lENKUlvE_clEvENKUlvE4_clEvEUlS6_S6_E_S6_EEDaPvRmT3_T4_T5_mT6_P12ihipStream_tbENKUlT_T0_E_clISt17integral_constantIbLb0EESX_IbLb1EEEEDaST_SU_EUlST_E_NS1_11comp_targetILNS1_3genE5ELNS1_11target_archE942ELNS1_3gpuE9ELNS1_3repE0EEENS1_30default_config_static_selectorELNS0_4arch9wavefront6targetE0EEEvT1_.has_recursion, 0
	.set _ZN7rocprim17ROCPRIM_400000_NS6detail17trampoline_kernelINS0_14default_configENS1_20scan_config_selectorIN3c108BFloat16EEEZZNS1_9scan_implILNS1_25lookback_scan_determinismE0ELb0ELb0ES3_PKS6_PS6_S6_ZZZN2at6native31launch_logcumsumexp_cuda_kernelERKNSD_10TensorBaseESH_lENKUlvE_clEvENKUlvE4_clEvEUlS6_S6_E_S6_EEDaPvRmT3_T4_T5_mT6_P12ihipStream_tbENKUlT_T0_E_clISt17integral_constantIbLb0EESX_IbLb1EEEEDaST_SU_EUlST_E_NS1_11comp_targetILNS1_3genE5ELNS1_11target_archE942ELNS1_3gpuE9ELNS1_3repE0EEENS1_30default_config_static_selectorELNS0_4arch9wavefront6targetE0EEEvT1_.has_indirect_call, 0
	.section	.AMDGPU.csdata,"",@progbits
; Kernel info:
; codeLenInByte = 0
; TotalNumSgprs: 0
; NumVgprs: 0
; ScratchSize: 0
; MemoryBound: 0
; FloatMode: 240
; IeeeMode: 1
; LDSByteSize: 0 bytes/workgroup (compile time only)
; SGPRBlocks: 0
; VGPRBlocks: 0
; NumSGPRsForWavesPerEU: 1
; NumVGPRsForWavesPerEU: 1
; Occupancy: 16
; WaveLimiterHint : 0
; COMPUTE_PGM_RSRC2:SCRATCH_EN: 0
; COMPUTE_PGM_RSRC2:USER_SGPR: 2
; COMPUTE_PGM_RSRC2:TRAP_HANDLER: 0
; COMPUTE_PGM_RSRC2:TGID_X_EN: 1
; COMPUTE_PGM_RSRC2:TGID_Y_EN: 0
; COMPUTE_PGM_RSRC2:TGID_Z_EN: 0
; COMPUTE_PGM_RSRC2:TIDIG_COMP_CNT: 0
	.section	.text._ZN7rocprim17ROCPRIM_400000_NS6detail17trampoline_kernelINS0_14default_configENS1_20scan_config_selectorIN3c108BFloat16EEEZZNS1_9scan_implILNS1_25lookback_scan_determinismE0ELb0ELb0ES3_PKS6_PS6_S6_ZZZN2at6native31launch_logcumsumexp_cuda_kernelERKNSD_10TensorBaseESH_lENKUlvE_clEvENKUlvE4_clEvEUlS6_S6_E_S6_EEDaPvRmT3_T4_T5_mT6_P12ihipStream_tbENKUlT_T0_E_clISt17integral_constantIbLb0EESX_IbLb1EEEEDaST_SU_EUlST_E_NS1_11comp_targetILNS1_3genE4ELNS1_11target_archE910ELNS1_3gpuE8ELNS1_3repE0EEENS1_30default_config_static_selectorELNS0_4arch9wavefront6targetE0EEEvT1_,"axG",@progbits,_ZN7rocprim17ROCPRIM_400000_NS6detail17trampoline_kernelINS0_14default_configENS1_20scan_config_selectorIN3c108BFloat16EEEZZNS1_9scan_implILNS1_25lookback_scan_determinismE0ELb0ELb0ES3_PKS6_PS6_S6_ZZZN2at6native31launch_logcumsumexp_cuda_kernelERKNSD_10TensorBaseESH_lENKUlvE_clEvENKUlvE4_clEvEUlS6_S6_E_S6_EEDaPvRmT3_T4_T5_mT6_P12ihipStream_tbENKUlT_T0_E_clISt17integral_constantIbLb0EESX_IbLb1EEEEDaST_SU_EUlST_E_NS1_11comp_targetILNS1_3genE4ELNS1_11target_archE910ELNS1_3gpuE8ELNS1_3repE0EEENS1_30default_config_static_selectorELNS0_4arch9wavefront6targetE0EEEvT1_,comdat
	.globl	_ZN7rocprim17ROCPRIM_400000_NS6detail17trampoline_kernelINS0_14default_configENS1_20scan_config_selectorIN3c108BFloat16EEEZZNS1_9scan_implILNS1_25lookback_scan_determinismE0ELb0ELb0ES3_PKS6_PS6_S6_ZZZN2at6native31launch_logcumsumexp_cuda_kernelERKNSD_10TensorBaseESH_lENKUlvE_clEvENKUlvE4_clEvEUlS6_S6_E_S6_EEDaPvRmT3_T4_T5_mT6_P12ihipStream_tbENKUlT_T0_E_clISt17integral_constantIbLb0EESX_IbLb1EEEEDaST_SU_EUlST_E_NS1_11comp_targetILNS1_3genE4ELNS1_11target_archE910ELNS1_3gpuE8ELNS1_3repE0EEENS1_30default_config_static_selectorELNS0_4arch9wavefront6targetE0EEEvT1_ ; -- Begin function _ZN7rocprim17ROCPRIM_400000_NS6detail17trampoline_kernelINS0_14default_configENS1_20scan_config_selectorIN3c108BFloat16EEEZZNS1_9scan_implILNS1_25lookback_scan_determinismE0ELb0ELb0ES3_PKS6_PS6_S6_ZZZN2at6native31launch_logcumsumexp_cuda_kernelERKNSD_10TensorBaseESH_lENKUlvE_clEvENKUlvE4_clEvEUlS6_S6_E_S6_EEDaPvRmT3_T4_T5_mT6_P12ihipStream_tbENKUlT_T0_E_clISt17integral_constantIbLb0EESX_IbLb1EEEEDaST_SU_EUlST_E_NS1_11comp_targetILNS1_3genE4ELNS1_11target_archE910ELNS1_3gpuE8ELNS1_3repE0EEENS1_30default_config_static_selectorELNS0_4arch9wavefront6targetE0EEEvT1_
	.p2align	8
	.type	_ZN7rocprim17ROCPRIM_400000_NS6detail17trampoline_kernelINS0_14default_configENS1_20scan_config_selectorIN3c108BFloat16EEEZZNS1_9scan_implILNS1_25lookback_scan_determinismE0ELb0ELb0ES3_PKS6_PS6_S6_ZZZN2at6native31launch_logcumsumexp_cuda_kernelERKNSD_10TensorBaseESH_lENKUlvE_clEvENKUlvE4_clEvEUlS6_S6_E_S6_EEDaPvRmT3_T4_T5_mT6_P12ihipStream_tbENKUlT_T0_E_clISt17integral_constantIbLb0EESX_IbLb1EEEEDaST_SU_EUlST_E_NS1_11comp_targetILNS1_3genE4ELNS1_11target_archE910ELNS1_3gpuE8ELNS1_3repE0EEENS1_30default_config_static_selectorELNS0_4arch9wavefront6targetE0EEEvT1_,@function
_ZN7rocprim17ROCPRIM_400000_NS6detail17trampoline_kernelINS0_14default_configENS1_20scan_config_selectorIN3c108BFloat16EEEZZNS1_9scan_implILNS1_25lookback_scan_determinismE0ELb0ELb0ES3_PKS6_PS6_S6_ZZZN2at6native31launch_logcumsumexp_cuda_kernelERKNSD_10TensorBaseESH_lENKUlvE_clEvENKUlvE4_clEvEUlS6_S6_E_S6_EEDaPvRmT3_T4_T5_mT6_P12ihipStream_tbENKUlT_T0_E_clISt17integral_constantIbLb0EESX_IbLb1EEEEDaST_SU_EUlST_E_NS1_11comp_targetILNS1_3genE4ELNS1_11target_archE910ELNS1_3gpuE8ELNS1_3repE0EEENS1_30default_config_static_selectorELNS0_4arch9wavefront6targetE0EEEvT1_: ; @_ZN7rocprim17ROCPRIM_400000_NS6detail17trampoline_kernelINS0_14default_configENS1_20scan_config_selectorIN3c108BFloat16EEEZZNS1_9scan_implILNS1_25lookback_scan_determinismE0ELb0ELb0ES3_PKS6_PS6_S6_ZZZN2at6native31launch_logcumsumexp_cuda_kernelERKNSD_10TensorBaseESH_lENKUlvE_clEvENKUlvE4_clEvEUlS6_S6_E_S6_EEDaPvRmT3_T4_T5_mT6_P12ihipStream_tbENKUlT_T0_E_clISt17integral_constantIbLb0EESX_IbLb1EEEEDaST_SU_EUlST_E_NS1_11comp_targetILNS1_3genE4ELNS1_11target_archE910ELNS1_3gpuE8ELNS1_3repE0EEENS1_30default_config_static_selectorELNS0_4arch9wavefront6targetE0EEEvT1_
; %bb.0:
	.section	.rodata,"a",@progbits
	.p2align	6, 0x0
	.amdhsa_kernel _ZN7rocprim17ROCPRIM_400000_NS6detail17trampoline_kernelINS0_14default_configENS1_20scan_config_selectorIN3c108BFloat16EEEZZNS1_9scan_implILNS1_25lookback_scan_determinismE0ELb0ELb0ES3_PKS6_PS6_S6_ZZZN2at6native31launch_logcumsumexp_cuda_kernelERKNSD_10TensorBaseESH_lENKUlvE_clEvENKUlvE4_clEvEUlS6_S6_E_S6_EEDaPvRmT3_T4_T5_mT6_P12ihipStream_tbENKUlT_T0_E_clISt17integral_constantIbLb0EESX_IbLb1EEEEDaST_SU_EUlST_E_NS1_11comp_targetILNS1_3genE4ELNS1_11target_archE910ELNS1_3gpuE8ELNS1_3repE0EEENS1_30default_config_static_selectorELNS0_4arch9wavefront6targetE0EEEvT1_
		.amdhsa_group_segment_fixed_size 0
		.amdhsa_private_segment_fixed_size 0
		.amdhsa_kernarg_size 96
		.amdhsa_user_sgpr_count 2
		.amdhsa_user_sgpr_dispatch_ptr 0
		.amdhsa_user_sgpr_queue_ptr 0
		.amdhsa_user_sgpr_kernarg_segment_ptr 1
		.amdhsa_user_sgpr_dispatch_id 0
		.amdhsa_user_sgpr_private_segment_size 0
		.amdhsa_wavefront_size32 1
		.amdhsa_uses_dynamic_stack 0
		.amdhsa_enable_private_segment 0
		.amdhsa_system_sgpr_workgroup_id_x 1
		.amdhsa_system_sgpr_workgroup_id_y 0
		.amdhsa_system_sgpr_workgroup_id_z 0
		.amdhsa_system_sgpr_workgroup_info 0
		.amdhsa_system_vgpr_workitem_id 0
		.amdhsa_next_free_vgpr 1
		.amdhsa_next_free_sgpr 1
		.amdhsa_reserve_vcc 0
		.amdhsa_float_round_mode_32 0
		.amdhsa_float_round_mode_16_64 0
		.amdhsa_float_denorm_mode_32 3
		.amdhsa_float_denorm_mode_16_64 3
		.amdhsa_fp16_overflow 0
		.amdhsa_workgroup_processor_mode 1
		.amdhsa_memory_ordered 1
		.amdhsa_forward_progress 1
		.amdhsa_inst_pref_size 0
		.amdhsa_round_robin_scheduling 0
		.amdhsa_exception_fp_ieee_invalid_op 0
		.amdhsa_exception_fp_denorm_src 0
		.amdhsa_exception_fp_ieee_div_zero 0
		.amdhsa_exception_fp_ieee_overflow 0
		.amdhsa_exception_fp_ieee_underflow 0
		.amdhsa_exception_fp_ieee_inexact 0
		.amdhsa_exception_int_div_zero 0
	.end_amdhsa_kernel
	.section	.text._ZN7rocprim17ROCPRIM_400000_NS6detail17trampoline_kernelINS0_14default_configENS1_20scan_config_selectorIN3c108BFloat16EEEZZNS1_9scan_implILNS1_25lookback_scan_determinismE0ELb0ELb0ES3_PKS6_PS6_S6_ZZZN2at6native31launch_logcumsumexp_cuda_kernelERKNSD_10TensorBaseESH_lENKUlvE_clEvENKUlvE4_clEvEUlS6_S6_E_S6_EEDaPvRmT3_T4_T5_mT6_P12ihipStream_tbENKUlT_T0_E_clISt17integral_constantIbLb0EESX_IbLb1EEEEDaST_SU_EUlST_E_NS1_11comp_targetILNS1_3genE4ELNS1_11target_archE910ELNS1_3gpuE8ELNS1_3repE0EEENS1_30default_config_static_selectorELNS0_4arch9wavefront6targetE0EEEvT1_,"axG",@progbits,_ZN7rocprim17ROCPRIM_400000_NS6detail17trampoline_kernelINS0_14default_configENS1_20scan_config_selectorIN3c108BFloat16EEEZZNS1_9scan_implILNS1_25lookback_scan_determinismE0ELb0ELb0ES3_PKS6_PS6_S6_ZZZN2at6native31launch_logcumsumexp_cuda_kernelERKNSD_10TensorBaseESH_lENKUlvE_clEvENKUlvE4_clEvEUlS6_S6_E_S6_EEDaPvRmT3_T4_T5_mT6_P12ihipStream_tbENKUlT_T0_E_clISt17integral_constantIbLb0EESX_IbLb1EEEEDaST_SU_EUlST_E_NS1_11comp_targetILNS1_3genE4ELNS1_11target_archE910ELNS1_3gpuE8ELNS1_3repE0EEENS1_30default_config_static_selectorELNS0_4arch9wavefront6targetE0EEEvT1_,comdat
.Lfunc_end505:
	.size	_ZN7rocprim17ROCPRIM_400000_NS6detail17trampoline_kernelINS0_14default_configENS1_20scan_config_selectorIN3c108BFloat16EEEZZNS1_9scan_implILNS1_25lookback_scan_determinismE0ELb0ELb0ES3_PKS6_PS6_S6_ZZZN2at6native31launch_logcumsumexp_cuda_kernelERKNSD_10TensorBaseESH_lENKUlvE_clEvENKUlvE4_clEvEUlS6_S6_E_S6_EEDaPvRmT3_T4_T5_mT6_P12ihipStream_tbENKUlT_T0_E_clISt17integral_constantIbLb0EESX_IbLb1EEEEDaST_SU_EUlST_E_NS1_11comp_targetILNS1_3genE4ELNS1_11target_archE910ELNS1_3gpuE8ELNS1_3repE0EEENS1_30default_config_static_selectorELNS0_4arch9wavefront6targetE0EEEvT1_, .Lfunc_end505-_ZN7rocprim17ROCPRIM_400000_NS6detail17trampoline_kernelINS0_14default_configENS1_20scan_config_selectorIN3c108BFloat16EEEZZNS1_9scan_implILNS1_25lookback_scan_determinismE0ELb0ELb0ES3_PKS6_PS6_S6_ZZZN2at6native31launch_logcumsumexp_cuda_kernelERKNSD_10TensorBaseESH_lENKUlvE_clEvENKUlvE4_clEvEUlS6_S6_E_S6_EEDaPvRmT3_T4_T5_mT6_P12ihipStream_tbENKUlT_T0_E_clISt17integral_constantIbLb0EESX_IbLb1EEEEDaST_SU_EUlST_E_NS1_11comp_targetILNS1_3genE4ELNS1_11target_archE910ELNS1_3gpuE8ELNS1_3repE0EEENS1_30default_config_static_selectorELNS0_4arch9wavefront6targetE0EEEvT1_
                                        ; -- End function
	.set _ZN7rocprim17ROCPRIM_400000_NS6detail17trampoline_kernelINS0_14default_configENS1_20scan_config_selectorIN3c108BFloat16EEEZZNS1_9scan_implILNS1_25lookback_scan_determinismE0ELb0ELb0ES3_PKS6_PS6_S6_ZZZN2at6native31launch_logcumsumexp_cuda_kernelERKNSD_10TensorBaseESH_lENKUlvE_clEvENKUlvE4_clEvEUlS6_S6_E_S6_EEDaPvRmT3_T4_T5_mT6_P12ihipStream_tbENKUlT_T0_E_clISt17integral_constantIbLb0EESX_IbLb1EEEEDaST_SU_EUlST_E_NS1_11comp_targetILNS1_3genE4ELNS1_11target_archE910ELNS1_3gpuE8ELNS1_3repE0EEENS1_30default_config_static_selectorELNS0_4arch9wavefront6targetE0EEEvT1_.num_vgpr, 0
	.set _ZN7rocprim17ROCPRIM_400000_NS6detail17trampoline_kernelINS0_14default_configENS1_20scan_config_selectorIN3c108BFloat16EEEZZNS1_9scan_implILNS1_25lookback_scan_determinismE0ELb0ELb0ES3_PKS6_PS6_S6_ZZZN2at6native31launch_logcumsumexp_cuda_kernelERKNSD_10TensorBaseESH_lENKUlvE_clEvENKUlvE4_clEvEUlS6_S6_E_S6_EEDaPvRmT3_T4_T5_mT6_P12ihipStream_tbENKUlT_T0_E_clISt17integral_constantIbLb0EESX_IbLb1EEEEDaST_SU_EUlST_E_NS1_11comp_targetILNS1_3genE4ELNS1_11target_archE910ELNS1_3gpuE8ELNS1_3repE0EEENS1_30default_config_static_selectorELNS0_4arch9wavefront6targetE0EEEvT1_.num_agpr, 0
	.set _ZN7rocprim17ROCPRIM_400000_NS6detail17trampoline_kernelINS0_14default_configENS1_20scan_config_selectorIN3c108BFloat16EEEZZNS1_9scan_implILNS1_25lookback_scan_determinismE0ELb0ELb0ES3_PKS6_PS6_S6_ZZZN2at6native31launch_logcumsumexp_cuda_kernelERKNSD_10TensorBaseESH_lENKUlvE_clEvENKUlvE4_clEvEUlS6_S6_E_S6_EEDaPvRmT3_T4_T5_mT6_P12ihipStream_tbENKUlT_T0_E_clISt17integral_constantIbLb0EESX_IbLb1EEEEDaST_SU_EUlST_E_NS1_11comp_targetILNS1_3genE4ELNS1_11target_archE910ELNS1_3gpuE8ELNS1_3repE0EEENS1_30default_config_static_selectorELNS0_4arch9wavefront6targetE0EEEvT1_.numbered_sgpr, 0
	.set _ZN7rocprim17ROCPRIM_400000_NS6detail17trampoline_kernelINS0_14default_configENS1_20scan_config_selectorIN3c108BFloat16EEEZZNS1_9scan_implILNS1_25lookback_scan_determinismE0ELb0ELb0ES3_PKS6_PS6_S6_ZZZN2at6native31launch_logcumsumexp_cuda_kernelERKNSD_10TensorBaseESH_lENKUlvE_clEvENKUlvE4_clEvEUlS6_S6_E_S6_EEDaPvRmT3_T4_T5_mT6_P12ihipStream_tbENKUlT_T0_E_clISt17integral_constantIbLb0EESX_IbLb1EEEEDaST_SU_EUlST_E_NS1_11comp_targetILNS1_3genE4ELNS1_11target_archE910ELNS1_3gpuE8ELNS1_3repE0EEENS1_30default_config_static_selectorELNS0_4arch9wavefront6targetE0EEEvT1_.num_named_barrier, 0
	.set _ZN7rocprim17ROCPRIM_400000_NS6detail17trampoline_kernelINS0_14default_configENS1_20scan_config_selectorIN3c108BFloat16EEEZZNS1_9scan_implILNS1_25lookback_scan_determinismE0ELb0ELb0ES3_PKS6_PS6_S6_ZZZN2at6native31launch_logcumsumexp_cuda_kernelERKNSD_10TensorBaseESH_lENKUlvE_clEvENKUlvE4_clEvEUlS6_S6_E_S6_EEDaPvRmT3_T4_T5_mT6_P12ihipStream_tbENKUlT_T0_E_clISt17integral_constantIbLb0EESX_IbLb1EEEEDaST_SU_EUlST_E_NS1_11comp_targetILNS1_3genE4ELNS1_11target_archE910ELNS1_3gpuE8ELNS1_3repE0EEENS1_30default_config_static_selectorELNS0_4arch9wavefront6targetE0EEEvT1_.private_seg_size, 0
	.set _ZN7rocprim17ROCPRIM_400000_NS6detail17trampoline_kernelINS0_14default_configENS1_20scan_config_selectorIN3c108BFloat16EEEZZNS1_9scan_implILNS1_25lookback_scan_determinismE0ELb0ELb0ES3_PKS6_PS6_S6_ZZZN2at6native31launch_logcumsumexp_cuda_kernelERKNSD_10TensorBaseESH_lENKUlvE_clEvENKUlvE4_clEvEUlS6_S6_E_S6_EEDaPvRmT3_T4_T5_mT6_P12ihipStream_tbENKUlT_T0_E_clISt17integral_constantIbLb0EESX_IbLb1EEEEDaST_SU_EUlST_E_NS1_11comp_targetILNS1_3genE4ELNS1_11target_archE910ELNS1_3gpuE8ELNS1_3repE0EEENS1_30default_config_static_selectorELNS0_4arch9wavefront6targetE0EEEvT1_.uses_vcc, 0
	.set _ZN7rocprim17ROCPRIM_400000_NS6detail17trampoline_kernelINS0_14default_configENS1_20scan_config_selectorIN3c108BFloat16EEEZZNS1_9scan_implILNS1_25lookback_scan_determinismE0ELb0ELb0ES3_PKS6_PS6_S6_ZZZN2at6native31launch_logcumsumexp_cuda_kernelERKNSD_10TensorBaseESH_lENKUlvE_clEvENKUlvE4_clEvEUlS6_S6_E_S6_EEDaPvRmT3_T4_T5_mT6_P12ihipStream_tbENKUlT_T0_E_clISt17integral_constantIbLb0EESX_IbLb1EEEEDaST_SU_EUlST_E_NS1_11comp_targetILNS1_3genE4ELNS1_11target_archE910ELNS1_3gpuE8ELNS1_3repE0EEENS1_30default_config_static_selectorELNS0_4arch9wavefront6targetE0EEEvT1_.uses_flat_scratch, 0
	.set _ZN7rocprim17ROCPRIM_400000_NS6detail17trampoline_kernelINS0_14default_configENS1_20scan_config_selectorIN3c108BFloat16EEEZZNS1_9scan_implILNS1_25lookback_scan_determinismE0ELb0ELb0ES3_PKS6_PS6_S6_ZZZN2at6native31launch_logcumsumexp_cuda_kernelERKNSD_10TensorBaseESH_lENKUlvE_clEvENKUlvE4_clEvEUlS6_S6_E_S6_EEDaPvRmT3_T4_T5_mT6_P12ihipStream_tbENKUlT_T0_E_clISt17integral_constantIbLb0EESX_IbLb1EEEEDaST_SU_EUlST_E_NS1_11comp_targetILNS1_3genE4ELNS1_11target_archE910ELNS1_3gpuE8ELNS1_3repE0EEENS1_30default_config_static_selectorELNS0_4arch9wavefront6targetE0EEEvT1_.has_dyn_sized_stack, 0
	.set _ZN7rocprim17ROCPRIM_400000_NS6detail17trampoline_kernelINS0_14default_configENS1_20scan_config_selectorIN3c108BFloat16EEEZZNS1_9scan_implILNS1_25lookback_scan_determinismE0ELb0ELb0ES3_PKS6_PS6_S6_ZZZN2at6native31launch_logcumsumexp_cuda_kernelERKNSD_10TensorBaseESH_lENKUlvE_clEvENKUlvE4_clEvEUlS6_S6_E_S6_EEDaPvRmT3_T4_T5_mT6_P12ihipStream_tbENKUlT_T0_E_clISt17integral_constantIbLb0EESX_IbLb1EEEEDaST_SU_EUlST_E_NS1_11comp_targetILNS1_3genE4ELNS1_11target_archE910ELNS1_3gpuE8ELNS1_3repE0EEENS1_30default_config_static_selectorELNS0_4arch9wavefront6targetE0EEEvT1_.has_recursion, 0
	.set _ZN7rocprim17ROCPRIM_400000_NS6detail17trampoline_kernelINS0_14default_configENS1_20scan_config_selectorIN3c108BFloat16EEEZZNS1_9scan_implILNS1_25lookback_scan_determinismE0ELb0ELb0ES3_PKS6_PS6_S6_ZZZN2at6native31launch_logcumsumexp_cuda_kernelERKNSD_10TensorBaseESH_lENKUlvE_clEvENKUlvE4_clEvEUlS6_S6_E_S6_EEDaPvRmT3_T4_T5_mT6_P12ihipStream_tbENKUlT_T0_E_clISt17integral_constantIbLb0EESX_IbLb1EEEEDaST_SU_EUlST_E_NS1_11comp_targetILNS1_3genE4ELNS1_11target_archE910ELNS1_3gpuE8ELNS1_3repE0EEENS1_30default_config_static_selectorELNS0_4arch9wavefront6targetE0EEEvT1_.has_indirect_call, 0
	.section	.AMDGPU.csdata,"",@progbits
; Kernel info:
; codeLenInByte = 0
; TotalNumSgprs: 0
; NumVgprs: 0
; ScratchSize: 0
; MemoryBound: 0
; FloatMode: 240
; IeeeMode: 1
; LDSByteSize: 0 bytes/workgroup (compile time only)
; SGPRBlocks: 0
; VGPRBlocks: 0
; NumSGPRsForWavesPerEU: 1
; NumVGPRsForWavesPerEU: 1
; Occupancy: 16
; WaveLimiterHint : 0
; COMPUTE_PGM_RSRC2:SCRATCH_EN: 0
; COMPUTE_PGM_RSRC2:USER_SGPR: 2
; COMPUTE_PGM_RSRC2:TRAP_HANDLER: 0
; COMPUTE_PGM_RSRC2:TGID_X_EN: 1
; COMPUTE_PGM_RSRC2:TGID_Y_EN: 0
; COMPUTE_PGM_RSRC2:TGID_Z_EN: 0
; COMPUTE_PGM_RSRC2:TIDIG_COMP_CNT: 0
	.section	.text._ZN7rocprim17ROCPRIM_400000_NS6detail17trampoline_kernelINS0_14default_configENS1_20scan_config_selectorIN3c108BFloat16EEEZZNS1_9scan_implILNS1_25lookback_scan_determinismE0ELb0ELb0ES3_PKS6_PS6_S6_ZZZN2at6native31launch_logcumsumexp_cuda_kernelERKNSD_10TensorBaseESH_lENKUlvE_clEvENKUlvE4_clEvEUlS6_S6_E_S6_EEDaPvRmT3_T4_T5_mT6_P12ihipStream_tbENKUlT_T0_E_clISt17integral_constantIbLb0EESX_IbLb1EEEEDaST_SU_EUlST_E_NS1_11comp_targetILNS1_3genE3ELNS1_11target_archE908ELNS1_3gpuE7ELNS1_3repE0EEENS1_30default_config_static_selectorELNS0_4arch9wavefront6targetE0EEEvT1_,"axG",@progbits,_ZN7rocprim17ROCPRIM_400000_NS6detail17trampoline_kernelINS0_14default_configENS1_20scan_config_selectorIN3c108BFloat16EEEZZNS1_9scan_implILNS1_25lookback_scan_determinismE0ELb0ELb0ES3_PKS6_PS6_S6_ZZZN2at6native31launch_logcumsumexp_cuda_kernelERKNSD_10TensorBaseESH_lENKUlvE_clEvENKUlvE4_clEvEUlS6_S6_E_S6_EEDaPvRmT3_T4_T5_mT6_P12ihipStream_tbENKUlT_T0_E_clISt17integral_constantIbLb0EESX_IbLb1EEEEDaST_SU_EUlST_E_NS1_11comp_targetILNS1_3genE3ELNS1_11target_archE908ELNS1_3gpuE7ELNS1_3repE0EEENS1_30default_config_static_selectorELNS0_4arch9wavefront6targetE0EEEvT1_,comdat
	.globl	_ZN7rocprim17ROCPRIM_400000_NS6detail17trampoline_kernelINS0_14default_configENS1_20scan_config_selectorIN3c108BFloat16EEEZZNS1_9scan_implILNS1_25lookback_scan_determinismE0ELb0ELb0ES3_PKS6_PS6_S6_ZZZN2at6native31launch_logcumsumexp_cuda_kernelERKNSD_10TensorBaseESH_lENKUlvE_clEvENKUlvE4_clEvEUlS6_S6_E_S6_EEDaPvRmT3_T4_T5_mT6_P12ihipStream_tbENKUlT_T0_E_clISt17integral_constantIbLb0EESX_IbLb1EEEEDaST_SU_EUlST_E_NS1_11comp_targetILNS1_3genE3ELNS1_11target_archE908ELNS1_3gpuE7ELNS1_3repE0EEENS1_30default_config_static_selectorELNS0_4arch9wavefront6targetE0EEEvT1_ ; -- Begin function _ZN7rocprim17ROCPRIM_400000_NS6detail17trampoline_kernelINS0_14default_configENS1_20scan_config_selectorIN3c108BFloat16EEEZZNS1_9scan_implILNS1_25lookback_scan_determinismE0ELb0ELb0ES3_PKS6_PS6_S6_ZZZN2at6native31launch_logcumsumexp_cuda_kernelERKNSD_10TensorBaseESH_lENKUlvE_clEvENKUlvE4_clEvEUlS6_S6_E_S6_EEDaPvRmT3_T4_T5_mT6_P12ihipStream_tbENKUlT_T0_E_clISt17integral_constantIbLb0EESX_IbLb1EEEEDaST_SU_EUlST_E_NS1_11comp_targetILNS1_3genE3ELNS1_11target_archE908ELNS1_3gpuE7ELNS1_3repE0EEENS1_30default_config_static_selectorELNS0_4arch9wavefront6targetE0EEEvT1_
	.p2align	8
	.type	_ZN7rocprim17ROCPRIM_400000_NS6detail17trampoline_kernelINS0_14default_configENS1_20scan_config_selectorIN3c108BFloat16EEEZZNS1_9scan_implILNS1_25lookback_scan_determinismE0ELb0ELb0ES3_PKS6_PS6_S6_ZZZN2at6native31launch_logcumsumexp_cuda_kernelERKNSD_10TensorBaseESH_lENKUlvE_clEvENKUlvE4_clEvEUlS6_S6_E_S6_EEDaPvRmT3_T4_T5_mT6_P12ihipStream_tbENKUlT_T0_E_clISt17integral_constantIbLb0EESX_IbLb1EEEEDaST_SU_EUlST_E_NS1_11comp_targetILNS1_3genE3ELNS1_11target_archE908ELNS1_3gpuE7ELNS1_3repE0EEENS1_30default_config_static_selectorELNS0_4arch9wavefront6targetE0EEEvT1_,@function
_ZN7rocprim17ROCPRIM_400000_NS6detail17trampoline_kernelINS0_14default_configENS1_20scan_config_selectorIN3c108BFloat16EEEZZNS1_9scan_implILNS1_25lookback_scan_determinismE0ELb0ELb0ES3_PKS6_PS6_S6_ZZZN2at6native31launch_logcumsumexp_cuda_kernelERKNSD_10TensorBaseESH_lENKUlvE_clEvENKUlvE4_clEvEUlS6_S6_E_S6_EEDaPvRmT3_T4_T5_mT6_P12ihipStream_tbENKUlT_T0_E_clISt17integral_constantIbLb0EESX_IbLb1EEEEDaST_SU_EUlST_E_NS1_11comp_targetILNS1_3genE3ELNS1_11target_archE908ELNS1_3gpuE7ELNS1_3repE0EEENS1_30default_config_static_selectorELNS0_4arch9wavefront6targetE0EEEvT1_: ; @_ZN7rocprim17ROCPRIM_400000_NS6detail17trampoline_kernelINS0_14default_configENS1_20scan_config_selectorIN3c108BFloat16EEEZZNS1_9scan_implILNS1_25lookback_scan_determinismE0ELb0ELb0ES3_PKS6_PS6_S6_ZZZN2at6native31launch_logcumsumexp_cuda_kernelERKNSD_10TensorBaseESH_lENKUlvE_clEvENKUlvE4_clEvEUlS6_S6_E_S6_EEDaPvRmT3_T4_T5_mT6_P12ihipStream_tbENKUlT_T0_E_clISt17integral_constantIbLb0EESX_IbLb1EEEEDaST_SU_EUlST_E_NS1_11comp_targetILNS1_3genE3ELNS1_11target_archE908ELNS1_3gpuE7ELNS1_3repE0EEENS1_30default_config_static_selectorELNS0_4arch9wavefront6targetE0EEEvT1_
; %bb.0:
	.section	.rodata,"a",@progbits
	.p2align	6, 0x0
	.amdhsa_kernel _ZN7rocprim17ROCPRIM_400000_NS6detail17trampoline_kernelINS0_14default_configENS1_20scan_config_selectorIN3c108BFloat16EEEZZNS1_9scan_implILNS1_25lookback_scan_determinismE0ELb0ELb0ES3_PKS6_PS6_S6_ZZZN2at6native31launch_logcumsumexp_cuda_kernelERKNSD_10TensorBaseESH_lENKUlvE_clEvENKUlvE4_clEvEUlS6_S6_E_S6_EEDaPvRmT3_T4_T5_mT6_P12ihipStream_tbENKUlT_T0_E_clISt17integral_constantIbLb0EESX_IbLb1EEEEDaST_SU_EUlST_E_NS1_11comp_targetILNS1_3genE3ELNS1_11target_archE908ELNS1_3gpuE7ELNS1_3repE0EEENS1_30default_config_static_selectorELNS0_4arch9wavefront6targetE0EEEvT1_
		.amdhsa_group_segment_fixed_size 0
		.amdhsa_private_segment_fixed_size 0
		.amdhsa_kernarg_size 96
		.amdhsa_user_sgpr_count 2
		.amdhsa_user_sgpr_dispatch_ptr 0
		.amdhsa_user_sgpr_queue_ptr 0
		.amdhsa_user_sgpr_kernarg_segment_ptr 1
		.amdhsa_user_sgpr_dispatch_id 0
		.amdhsa_user_sgpr_private_segment_size 0
		.amdhsa_wavefront_size32 1
		.amdhsa_uses_dynamic_stack 0
		.amdhsa_enable_private_segment 0
		.amdhsa_system_sgpr_workgroup_id_x 1
		.amdhsa_system_sgpr_workgroup_id_y 0
		.amdhsa_system_sgpr_workgroup_id_z 0
		.amdhsa_system_sgpr_workgroup_info 0
		.amdhsa_system_vgpr_workitem_id 0
		.amdhsa_next_free_vgpr 1
		.amdhsa_next_free_sgpr 1
		.amdhsa_reserve_vcc 0
		.amdhsa_float_round_mode_32 0
		.amdhsa_float_round_mode_16_64 0
		.amdhsa_float_denorm_mode_32 3
		.amdhsa_float_denorm_mode_16_64 3
		.amdhsa_fp16_overflow 0
		.amdhsa_workgroup_processor_mode 1
		.amdhsa_memory_ordered 1
		.amdhsa_forward_progress 1
		.amdhsa_inst_pref_size 0
		.amdhsa_round_robin_scheduling 0
		.amdhsa_exception_fp_ieee_invalid_op 0
		.amdhsa_exception_fp_denorm_src 0
		.amdhsa_exception_fp_ieee_div_zero 0
		.amdhsa_exception_fp_ieee_overflow 0
		.amdhsa_exception_fp_ieee_underflow 0
		.amdhsa_exception_fp_ieee_inexact 0
		.amdhsa_exception_int_div_zero 0
	.end_amdhsa_kernel
	.section	.text._ZN7rocprim17ROCPRIM_400000_NS6detail17trampoline_kernelINS0_14default_configENS1_20scan_config_selectorIN3c108BFloat16EEEZZNS1_9scan_implILNS1_25lookback_scan_determinismE0ELb0ELb0ES3_PKS6_PS6_S6_ZZZN2at6native31launch_logcumsumexp_cuda_kernelERKNSD_10TensorBaseESH_lENKUlvE_clEvENKUlvE4_clEvEUlS6_S6_E_S6_EEDaPvRmT3_T4_T5_mT6_P12ihipStream_tbENKUlT_T0_E_clISt17integral_constantIbLb0EESX_IbLb1EEEEDaST_SU_EUlST_E_NS1_11comp_targetILNS1_3genE3ELNS1_11target_archE908ELNS1_3gpuE7ELNS1_3repE0EEENS1_30default_config_static_selectorELNS0_4arch9wavefront6targetE0EEEvT1_,"axG",@progbits,_ZN7rocprim17ROCPRIM_400000_NS6detail17trampoline_kernelINS0_14default_configENS1_20scan_config_selectorIN3c108BFloat16EEEZZNS1_9scan_implILNS1_25lookback_scan_determinismE0ELb0ELb0ES3_PKS6_PS6_S6_ZZZN2at6native31launch_logcumsumexp_cuda_kernelERKNSD_10TensorBaseESH_lENKUlvE_clEvENKUlvE4_clEvEUlS6_S6_E_S6_EEDaPvRmT3_T4_T5_mT6_P12ihipStream_tbENKUlT_T0_E_clISt17integral_constantIbLb0EESX_IbLb1EEEEDaST_SU_EUlST_E_NS1_11comp_targetILNS1_3genE3ELNS1_11target_archE908ELNS1_3gpuE7ELNS1_3repE0EEENS1_30default_config_static_selectorELNS0_4arch9wavefront6targetE0EEEvT1_,comdat
.Lfunc_end506:
	.size	_ZN7rocprim17ROCPRIM_400000_NS6detail17trampoline_kernelINS0_14default_configENS1_20scan_config_selectorIN3c108BFloat16EEEZZNS1_9scan_implILNS1_25lookback_scan_determinismE0ELb0ELb0ES3_PKS6_PS6_S6_ZZZN2at6native31launch_logcumsumexp_cuda_kernelERKNSD_10TensorBaseESH_lENKUlvE_clEvENKUlvE4_clEvEUlS6_S6_E_S6_EEDaPvRmT3_T4_T5_mT6_P12ihipStream_tbENKUlT_T0_E_clISt17integral_constantIbLb0EESX_IbLb1EEEEDaST_SU_EUlST_E_NS1_11comp_targetILNS1_3genE3ELNS1_11target_archE908ELNS1_3gpuE7ELNS1_3repE0EEENS1_30default_config_static_selectorELNS0_4arch9wavefront6targetE0EEEvT1_, .Lfunc_end506-_ZN7rocprim17ROCPRIM_400000_NS6detail17trampoline_kernelINS0_14default_configENS1_20scan_config_selectorIN3c108BFloat16EEEZZNS1_9scan_implILNS1_25lookback_scan_determinismE0ELb0ELb0ES3_PKS6_PS6_S6_ZZZN2at6native31launch_logcumsumexp_cuda_kernelERKNSD_10TensorBaseESH_lENKUlvE_clEvENKUlvE4_clEvEUlS6_S6_E_S6_EEDaPvRmT3_T4_T5_mT6_P12ihipStream_tbENKUlT_T0_E_clISt17integral_constantIbLb0EESX_IbLb1EEEEDaST_SU_EUlST_E_NS1_11comp_targetILNS1_3genE3ELNS1_11target_archE908ELNS1_3gpuE7ELNS1_3repE0EEENS1_30default_config_static_selectorELNS0_4arch9wavefront6targetE0EEEvT1_
                                        ; -- End function
	.set _ZN7rocprim17ROCPRIM_400000_NS6detail17trampoline_kernelINS0_14default_configENS1_20scan_config_selectorIN3c108BFloat16EEEZZNS1_9scan_implILNS1_25lookback_scan_determinismE0ELb0ELb0ES3_PKS6_PS6_S6_ZZZN2at6native31launch_logcumsumexp_cuda_kernelERKNSD_10TensorBaseESH_lENKUlvE_clEvENKUlvE4_clEvEUlS6_S6_E_S6_EEDaPvRmT3_T4_T5_mT6_P12ihipStream_tbENKUlT_T0_E_clISt17integral_constantIbLb0EESX_IbLb1EEEEDaST_SU_EUlST_E_NS1_11comp_targetILNS1_3genE3ELNS1_11target_archE908ELNS1_3gpuE7ELNS1_3repE0EEENS1_30default_config_static_selectorELNS0_4arch9wavefront6targetE0EEEvT1_.num_vgpr, 0
	.set _ZN7rocprim17ROCPRIM_400000_NS6detail17trampoline_kernelINS0_14default_configENS1_20scan_config_selectorIN3c108BFloat16EEEZZNS1_9scan_implILNS1_25lookback_scan_determinismE0ELb0ELb0ES3_PKS6_PS6_S6_ZZZN2at6native31launch_logcumsumexp_cuda_kernelERKNSD_10TensorBaseESH_lENKUlvE_clEvENKUlvE4_clEvEUlS6_S6_E_S6_EEDaPvRmT3_T4_T5_mT6_P12ihipStream_tbENKUlT_T0_E_clISt17integral_constantIbLb0EESX_IbLb1EEEEDaST_SU_EUlST_E_NS1_11comp_targetILNS1_3genE3ELNS1_11target_archE908ELNS1_3gpuE7ELNS1_3repE0EEENS1_30default_config_static_selectorELNS0_4arch9wavefront6targetE0EEEvT1_.num_agpr, 0
	.set _ZN7rocprim17ROCPRIM_400000_NS6detail17trampoline_kernelINS0_14default_configENS1_20scan_config_selectorIN3c108BFloat16EEEZZNS1_9scan_implILNS1_25lookback_scan_determinismE0ELb0ELb0ES3_PKS6_PS6_S6_ZZZN2at6native31launch_logcumsumexp_cuda_kernelERKNSD_10TensorBaseESH_lENKUlvE_clEvENKUlvE4_clEvEUlS6_S6_E_S6_EEDaPvRmT3_T4_T5_mT6_P12ihipStream_tbENKUlT_T0_E_clISt17integral_constantIbLb0EESX_IbLb1EEEEDaST_SU_EUlST_E_NS1_11comp_targetILNS1_3genE3ELNS1_11target_archE908ELNS1_3gpuE7ELNS1_3repE0EEENS1_30default_config_static_selectorELNS0_4arch9wavefront6targetE0EEEvT1_.numbered_sgpr, 0
	.set _ZN7rocprim17ROCPRIM_400000_NS6detail17trampoline_kernelINS0_14default_configENS1_20scan_config_selectorIN3c108BFloat16EEEZZNS1_9scan_implILNS1_25lookback_scan_determinismE0ELb0ELb0ES3_PKS6_PS6_S6_ZZZN2at6native31launch_logcumsumexp_cuda_kernelERKNSD_10TensorBaseESH_lENKUlvE_clEvENKUlvE4_clEvEUlS6_S6_E_S6_EEDaPvRmT3_T4_T5_mT6_P12ihipStream_tbENKUlT_T0_E_clISt17integral_constantIbLb0EESX_IbLb1EEEEDaST_SU_EUlST_E_NS1_11comp_targetILNS1_3genE3ELNS1_11target_archE908ELNS1_3gpuE7ELNS1_3repE0EEENS1_30default_config_static_selectorELNS0_4arch9wavefront6targetE0EEEvT1_.num_named_barrier, 0
	.set _ZN7rocprim17ROCPRIM_400000_NS6detail17trampoline_kernelINS0_14default_configENS1_20scan_config_selectorIN3c108BFloat16EEEZZNS1_9scan_implILNS1_25lookback_scan_determinismE0ELb0ELb0ES3_PKS6_PS6_S6_ZZZN2at6native31launch_logcumsumexp_cuda_kernelERKNSD_10TensorBaseESH_lENKUlvE_clEvENKUlvE4_clEvEUlS6_S6_E_S6_EEDaPvRmT3_T4_T5_mT6_P12ihipStream_tbENKUlT_T0_E_clISt17integral_constantIbLb0EESX_IbLb1EEEEDaST_SU_EUlST_E_NS1_11comp_targetILNS1_3genE3ELNS1_11target_archE908ELNS1_3gpuE7ELNS1_3repE0EEENS1_30default_config_static_selectorELNS0_4arch9wavefront6targetE0EEEvT1_.private_seg_size, 0
	.set _ZN7rocprim17ROCPRIM_400000_NS6detail17trampoline_kernelINS0_14default_configENS1_20scan_config_selectorIN3c108BFloat16EEEZZNS1_9scan_implILNS1_25lookback_scan_determinismE0ELb0ELb0ES3_PKS6_PS6_S6_ZZZN2at6native31launch_logcumsumexp_cuda_kernelERKNSD_10TensorBaseESH_lENKUlvE_clEvENKUlvE4_clEvEUlS6_S6_E_S6_EEDaPvRmT3_T4_T5_mT6_P12ihipStream_tbENKUlT_T0_E_clISt17integral_constantIbLb0EESX_IbLb1EEEEDaST_SU_EUlST_E_NS1_11comp_targetILNS1_3genE3ELNS1_11target_archE908ELNS1_3gpuE7ELNS1_3repE0EEENS1_30default_config_static_selectorELNS0_4arch9wavefront6targetE0EEEvT1_.uses_vcc, 0
	.set _ZN7rocprim17ROCPRIM_400000_NS6detail17trampoline_kernelINS0_14default_configENS1_20scan_config_selectorIN3c108BFloat16EEEZZNS1_9scan_implILNS1_25lookback_scan_determinismE0ELb0ELb0ES3_PKS6_PS6_S6_ZZZN2at6native31launch_logcumsumexp_cuda_kernelERKNSD_10TensorBaseESH_lENKUlvE_clEvENKUlvE4_clEvEUlS6_S6_E_S6_EEDaPvRmT3_T4_T5_mT6_P12ihipStream_tbENKUlT_T0_E_clISt17integral_constantIbLb0EESX_IbLb1EEEEDaST_SU_EUlST_E_NS1_11comp_targetILNS1_3genE3ELNS1_11target_archE908ELNS1_3gpuE7ELNS1_3repE0EEENS1_30default_config_static_selectorELNS0_4arch9wavefront6targetE0EEEvT1_.uses_flat_scratch, 0
	.set _ZN7rocprim17ROCPRIM_400000_NS6detail17trampoline_kernelINS0_14default_configENS1_20scan_config_selectorIN3c108BFloat16EEEZZNS1_9scan_implILNS1_25lookback_scan_determinismE0ELb0ELb0ES3_PKS6_PS6_S6_ZZZN2at6native31launch_logcumsumexp_cuda_kernelERKNSD_10TensorBaseESH_lENKUlvE_clEvENKUlvE4_clEvEUlS6_S6_E_S6_EEDaPvRmT3_T4_T5_mT6_P12ihipStream_tbENKUlT_T0_E_clISt17integral_constantIbLb0EESX_IbLb1EEEEDaST_SU_EUlST_E_NS1_11comp_targetILNS1_3genE3ELNS1_11target_archE908ELNS1_3gpuE7ELNS1_3repE0EEENS1_30default_config_static_selectorELNS0_4arch9wavefront6targetE0EEEvT1_.has_dyn_sized_stack, 0
	.set _ZN7rocprim17ROCPRIM_400000_NS6detail17trampoline_kernelINS0_14default_configENS1_20scan_config_selectorIN3c108BFloat16EEEZZNS1_9scan_implILNS1_25lookback_scan_determinismE0ELb0ELb0ES3_PKS6_PS6_S6_ZZZN2at6native31launch_logcumsumexp_cuda_kernelERKNSD_10TensorBaseESH_lENKUlvE_clEvENKUlvE4_clEvEUlS6_S6_E_S6_EEDaPvRmT3_T4_T5_mT6_P12ihipStream_tbENKUlT_T0_E_clISt17integral_constantIbLb0EESX_IbLb1EEEEDaST_SU_EUlST_E_NS1_11comp_targetILNS1_3genE3ELNS1_11target_archE908ELNS1_3gpuE7ELNS1_3repE0EEENS1_30default_config_static_selectorELNS0_4arch9wavefront6targetE0EEEvT1_.has_recursion, 0
	.set _ZN7rocprim17ROCPRIM_400000_NS6detail17trampoline_kernelINS0_14default_configENS1_20scan_config_selectorIN3c108BFloat16EEEZZNS1_9scan_implILNS1_25lookback_scan_determinismE0ELb0ELb0ES3_PKS6_PS6_S6_ZZZN2at6native31launch_logcumsumexp_cuda_kernelERKNSD_10TensorBaseESH_lENKUlvE_clEvENKUlvE4_clEvEUlS6_S6_E_S6_EEDaPvRmT3_T4_T5_mT6_P12ihipStream_tbENKUlT_T0_E_clISt17integral_constantIbLb0EESX_IbLb1EEEEDaST_SU_EUlST_E_NS1_11comp_targetILNS1_3genE3ELNS1_11target_archE908ELNS1_3gpuE7ELNS1_3repE0EEENS1_30default_config_static_selectorELNS0_4arch9wavefront6targetE0EEEvT1_.has_indirect_call, 0
	.section	.AMDGPU.csdata,"",@progbits
; Kernel info:
; codeLenInByte = 0
; TotalNumSgprs: 0
; NumVgprs: 0
; ScratchSize: 0
; MemoryBound: 0
; FloatMode: 240
; IeeeMode: 1
; LDSByteSize: 0 bytes/workgroup (compile time only)
; SGPRBlocks: 0
; VGPRBlocks: 0
; NumSGPRsForWavesPerEU: 1
; NumVGPRsForWavesPerEU: 1
; Occupancy: 16
; WaveLimiterHint : 0
; COMPUTE_PGM_RSRC2:SCRATCH_EN: 0
; COMPUTE_PGM_RSRC2:USER_SGPR: 2
; COMPUTE_PGM_RSRC2:TRAP_HANDLER: 0
; COMPUTE_PGM_RSRC2:TGID_X_EN: 1
; COMPUTE_PGM_RSRC2:TGID_Y_EN: 0
; COMPUTE_PGM_RSRC2:TGID_Z_EN: 0
; COMPUTE_PGM_RSRC2:TIDIG_COMP_CNT: 0
	.section	.text._ZN7rocprim17ROCPRIM_400000_NS6detail17trampoline_kernelINS0_14default_configENS1_20scan_config_selectorIN3c108BFloat16EEEZZNS1_9scan_implILNS1_25lookback_scan_determinismE0ELb0ELb0ES3_PKS6_PS6_S6_ZZZN2at6native31launch_logcumsumexp_cuda_kernelERKNSD_10TensorBaseESH_lENKUlvE_clEvENKUlvE4_clEvEUlS6_S6_E_S6_EEDaPvRmT3_T4_T5_mT6_P12ihipStream_tbENKUlT_T0_E_clISt17integral_constantIbLb0EESX_IbLb1EEEEDaST_SU_EUlST_E_NS1_11comp_targetILNS1_3genE2ELNS1_11target_archE906ELNS1_3gpuE6ELNS1_3repE0EEENS1_30default_config_static_selectorELNS0_4arch9wavefront6targetE0EEEvT1_,"axG",@progbits,_ZN7rocprim17ROCPRIM_400000_NS6detail17trampoline_kernelINS0_14default_configENS1_20scan_config_selectorIN3c108BFloat16EEEZZNS1_9scan_implILNS1_25lookback_scan_determinismE0ELb0ELb0ES3_PKS6_PS6_S6_ZZZN2at6native31launch_logcumsumexp_cuda_kernelERKNSD_10TensorBaseESH_lENKUlvE_clEvENKUlvE4_clEvEUlS6_S6_E_S6_EEDaPvRmT3_T4_T5_mT6_P12ihipStream_tbENKUlT_T0_E_clISt17integral_constantIbLb0EESX_IbLb1EEEEDaST_SU_EUlST_E_NS1_11comp_targetILNS1_3genE2ELNS1_11target_archE906ELNS1_3gpuE6ELNS1_3repE0EEENS1_30default_config_static_selectorELNS0_4arch9wavefront6targetE0EEEvT1_,comdat
	.globl	_ZN7rocprim17ROCPRIM_400000_NS6detail17trampoline_kernelINS0_14default_configENS1_20scan_config_selectorIN3c108BFloat16EEEZZNS1_9scan_implILNS1_25lookback_scan_determinismE0ELb0ELb0ES3_PKS6_PS6_S6_ZZZN2at6native31launch_logcumsumexp_cuda_kernelERKNSD_10TensorBaseESH_lENKUlvE_clEvENKUlvE4_clEvEUlS6_S6_E_S6_EEDaPvRmT3_T4_T5_mT6_P12ihipStream_tbENKUlT_T0_E_clISt17integral_constantIbLb0EESX_IbLb1EEEEDaST_SU_EUlST_E_NS1_11comp_targetILNS1_3genE2ELNS1_11target_archE906ELNS1_3gpuE6ELNS1_3repE0EEENS1_30default_config_static_selectorELNS0_4arch9wavefront6targetE0EEEvT1_ ; -- Begin function _ZN7rocprim17ROCPRIM_400000_NS6detail17trampoline_kernelINS0_14default_configENS1_20scan_config_selectorIN3c108BFloat16EEEZZNS1_9scan_implILNS1_25lookback_scan_determinismE0ELb0ELb0ES3_PKS6_PS6_S6_ZZZN2at6native31launch_logcumsumexp_cuda_kernelERKNSD_10TensorBaseESH_lENKUlvE_clEvENKUlvE4_clEvEUlS6_S6_E_S6_EEDaPvRmT3_T4_T5_mT6_P12ihipStream_tbENKUlT_T0_E_clISt17integral_constantIbLb0EESX_IbLb1EEEEDaST_SU_EUlST_E_NS1_11comp_targetILNS1_3genE2ELNS1_11target_archE906ELNS1_3gpuE6ELNS1_3repE0EEENS1_30default_config_static_selectorELNS0_4arch9wavefront6targetE0EEEvT1_
	.p2align	8
	.type	_ZN7rocprim17ROCPRIM_400000_NS6detail17trampoline_kernelINS0_14default_configENS1_20scan_config_selectorIN3c108BFloat16EEEZZNS1_9scan_implILNS1_25lookback_scan_determinismE0ELb0ELb0ES3_PKS6_PS6_S6_ZZZN2at6native31launch_logcumsumexp_cuda_kernelERKNSD_10TensorBaseESH_lENKUlvE_clEvENKUlvE4_clEvEUlS6_S6_E_S6_EEDaPvRmT3_T4_T5_mT6_P12ihipStream_tbENKUlT_T0_E_clISt17integral_constantIbLb0EESX_IbLb1EEEEDaST_SU_EUlST_E_NS1_11comp_targetILNS1_3genE2ELNS1_11target_archE906ELNS1_3gpuE6ELNS1_3repE0EEENS1_30default_config_static_selectorELNS0_4arch9wavefront6targetE0EEEvT1_,@function
_ZN7rocprim17ROCPRIM_400000_NS6detail17trampoline_kernelINS0_14default_configENS1_20scan_config_selectorIN3c108BFloat16EEEZZNS1_9scan_implILNS1_25lookback_scan_determinismE0ELb0ELb0ES3_PKS6_PS6_S6_ZZZN2at6native31launch_logcumsumexp_cuda_kernelERKNSD_10TensorBaseESH_lENKUlvE_clEvENKUlvE4_clEvEUlS6_S6_E_S6_EEDaPvRmT3_T4_T5_mT6_P12ihipStream_tbENKUlT_T0_E_clISt17integral_constantIbLb0EESX_IbLb1EEEEDaST_SU_EUlST_E_NS1_11comp_targetILNS1_3genE2ELNS1_11target_archE906ELNS1_3gpuE6ELNS1_3repE0EEENS1_30default_config_static_selectorELNS0_4arch9wavefront6targetE0EEEvT1_: ; @_ZN7rocprim17ROCPRIM_400000_NS6detail17trampoline_kernelINS0_14default_configENS1_20scan_config_selectorIN3c108BFloat16EEEZZNS1_9scan_implILNS1_25lookback_scan_determinismE0ELb0ELb0ES3_PKS6_PS6_S6_ZZZN2at6native31launch_logcumsumexp_cuda_kernelERKNSD_10TensorBaseESH_lENKUlvE_clEvENKUlvE4_clEvEUlS6_S6_E_S6_EEDaPvRmT3_T4_T5_mT6_P12ihipStream_tbENKUlT_T0_E_clISt17integral_constantIbLb0EESX_IbLb1EEEEDaST_SU_EUlST_E_NS1_11comp_targetILNS1_3genE2ELNS1_11target_archE906ELNS1_3gpuE6ELNS1_3repE0EEENS1_30default_config_static_selectorELNS0_4arch9wavefront6targetE0EEEvT1_
; %bb.0:
	.section	.rodata,"a",@progbits
	.p2align	6, 0x0
	.amdhsa_kernel _ZN7rocprim17ROCPRIM_400000_NS6detail17trampoline_kernelINS0_14default_configENS1_20scan_config_selectorIN3c108BFloat16EEEZZNS1_9scan_implILNS1_25lookback_scan_determinismE0ELb0ELb0ES3_PKS6_PS6_S6_ZZZN2at6native31launch_logcumsumexp_cuda_kernelERKNSD_10TensorBaseESH_lENKUlvE_clEvENKUlvE4_clEvEUlS6_S6_E_S6_EEDaPvRmT3_T4_T5_mT6_P12ihipStream_tbENKUlT_T0_E_clISt17integral_constantIbLb0EESX_IbLb1EEEEDaST_SU_EUlST_E_NS1_11comp_targetILNS1_3genE2ELNS1_11target_archE906ELNS1_3gpuE6ELNS1_3repE0EEENS1_30default_config_static_selectorELNS0_4arch9wavefront6targetE0EEEvT1_
		.amdhsa_group_segment_fixed_size 0
		.amdhsa_private_segment_fixed_size 0
		.amdhsa_kernarg_size 96
		.amdhsa_user_sgpr_count 2
		.amdhsa_user_sgpr_dispatch_ptr 0
		.amdhsa_user_sgpr_queue_ptr 0
		.amdhsa_user_sgpr_kernarg_segment_ptr 1
		.amdhsa_user_sgpr_dispatch_id 0
		.amdhsa_user_sgpr_private_segment_size 0
		.amdhsa_wavefront_size32 1
		.amdhsa_uses_dynamic_stack 0
		.amdhsa_enable_private_segment 0
		.amdhsa_system_sgpr_workgroup_id_x 1
		.amdhsa_system_sgpr_workgroup_id_y 0
		.amdhsa_system_sgpr_workgroup_id_z 0
		.amdhsa_system_sgpr_workgroup_info 0
		.amdhsa_system_vgpr_workitem_id 0
		.amdhsa_next_free_vgpr 1
		.amdhsa_next_free_sgpr 1
		.amdhsa_reserve_vcc 0
		.amdhsa_float_round_mode_32 0
		.amdhsa_float_round_mode_16_64 0
		.amdhsa_float_denorm_mode_32 3
		.amdhsa_float_denorm_mode_16_64 3
		.amdhsa_fp16_overflow 0
		.amdhsa_workgroup_processor_mode 1
		.amdhsa_memory_ordered 1
		.amdhsa_forward_progress 1
		.amdhsa_inst_pref_size 0
		.amdhsa_round_robin_scheduling 0
		.amdhsa_exception_fp_ieee_invalid_op 0
		.amdhsa_exception_fp_denorm_src 0
		.amdhsa_exception_fp_ieee_div_zero 0
		.amdhsa_exception_fp_ieee_overflow 0
		.amdhsa_exception_fp_ieee_underflow 0
		.amdhsa_exception_fp_ieee_inexact 0
		.amdhsa_exception_int_div_zero 0
	.end_amdhsa_kernel
	.section	.text._ZN7rocprim17ROCPRIM_400000_NS6detail17trampoline_kernelINS0_14default_configENS1_20scan_config_selectorIN3c108BFloat16EEEZZNS1_9scan_implILNS1_25lookback_scan_determinismE0ELb0ELb0ES3_PKS6_PS6_S6_ZZZN2at6native31launch_logcumsumexp_cuda_kernelERKNSD_10TensorBaseESH_lENKUlvE_clEvENKUlvE4_clEvEUlS6_S6_E_S6_EEDaPvRmT3_T4_T5_mT6_P12ihipStream_tbENKUlT_T0_E_clISt17integral_constantIbLb0EESX_IbLb1EEEEDaST_SU_EUlST_E_NS1_11comp_targetILNS1_3genE2ELNS1_11target_archE906ELNS1_3gpuE6ELNS1_3repE0EEENS1_30default_config_static_selectorELNS0_4arch9wavefront6targetE0EEEvT1_,"axG",@progbits,_ZN7rocprim17ROCPRIM_400000_NS6detail17trampoline_kernelINS0_14default_configENS1_20scan_config_selectorIN3c108BFloat16EEEZZNS1_9scan_implILNS1_25lookback_scan_determinismE0ELb0ELb0ES3_PKS6_PS6_S6_ZZZN2at6native31launch_logcumsumexp_cuda_kernelERKNSD_10TensorBaseESH_lENKUlvE_clEvENKUlvE4_clEvEUlS6_S6_E_S6_EEDaPvRmT3_T4_T5_mT6_P12ihipStream_tbENKUlT_T0_E_clISt17integral_constantIbLb0EESX_IbLb1EEEEDaST_SU_EUlST_E_NS1_11comp_targetILNS1_3genE2ELNS1_11target_archE906ELNS1_3gpuE6ELNS1_3repE0EEENS1_30default_config_static_selectorELNS0_4arch9wavefront6targetE0EEEvT1_,comdat
.Lfunc_end507:
	.size	_ZN7rocprim17ROCPRIM_400000_NS6detail17trampoline_kernelINS0_14default_configENS1_20scan_config_selectorIN3c108BFloat16EEEZZNS1_9scan_implILNS1_25lookback_scan_determinismE0ELb0ELb0ES3_PKS6_PS6_S6_ZZZN2at6native31launch_logcumsumexp_cuda_kernelERKNSD_10TensorBaseESH_lENKUlvE_clEvENKUlvE4_clEvEUlS6_S6_E_S6_EEDaPvRmT3_T4_T5_mT6_P12ihipStream_tbENKUlT_T0_E_clISt17integral_constantIbLb0EESX_IbLb1EEEEDaST_SU_EUlST_E_NS1_11comp_targetILNS1_3genE2ELNS1_11target_archE906ELNS1_3gpuE6ELNS1_3repE0EEENS1_30default_config_static_selectorELNS0_4arch9wavefront6targetE0EEEvT1_, .Lfunc_end507-_ZN7rocprim17ROCPRIM_400000_NS6detail17trampoline_kernelINS0_14default_configENS1_20scan_config_selectorIN3c108BFloat16EEEZZNS1_9scan_implILNS1_25lookback_scan_determinismE0ELb0ELb0ES3_PKS6_PS6_S6_ZZZN2at6native31launch_logcumsumexp_cuda_kernelERKNSD_10TensorBaseESH_lENKUlvE_clEvENKUlvE4_clEvEUlS6_S6_E_S6_EEDaPvRmT3_T4_T5_mT6_P12ihipStream_tbENKUlT_T0_E_clISt17integral_constantIbLb0EESX_IbLb1EEEEDaST_SU_EUlST_E_NS1_11comp_targetILNS1_3genE2ELNS1_11target_archE906ELNS1_3gpuE6ELNS1_3repE0EEENS1_30default_config_static_selectorELNS0_4arch9wavefront6targetE0EEEvT1_
                                        ; -- End function
	.set _ZN7rocprim17ROCPRIM_400000_NS6detail17trampoline_kernelINS0_14default_configENS1_20scan_config_selectorIN3c108BFloat16EEEZZNS1_9scan_implILNS1_25lookback_scan_determinismE0ELb0ELb0ES3_PKS6_PS6_S6_ZZZN2at6native31launch_logcumsumexp_cuda_kernelERKNSD_10TensorBaseESH_lENKUlvE_clEvENKUlvE4_clEvEUlS6_S6_E_S6_EEDaPvRmT3_T4_T5_mT6_P12ihipStream_tbENKUlT_T0_E_clISt17integral_constantIbLb0EESX_IbLb1EEEEDaST_SU_EUlST_E_NS1_11comp_targetILNS1_3genE2ELNS1_11target_archE906ELNS1_3gpuE6ELNS1_3repE0EEENS1_30default_config_static_selectorELNS0_4arch9wavefront6targetE0EEEvT1_.num_vgpr, 0
	.set _ZN7rocprim17ROCPRIM_400000_NS6detail17trampoline_kernelINS0_14default_configENS1_20scan_config_selectorIN3c108BFloat16EEEZZNS1_9scan_implILNS1_25lookback_scan_determinismE0ELb0ELb0ES3_PKS6_PS6_S6_ZZZN2at6native31launch_logcumsumexp_cuda_kernelERKNSD_10TensorBaseESH_lENKUlvE_clEvENKUlvE4_clEvEUlS6_S6_E_S6_EEDaPvRmT3_T4_T5_mT6_P12ihipStream_tbENKUlT_T0_E_clISt17integral_constantIbLb0EESX_IbLb1EEEEDaST_SU_EUlST_E_NS1_11comp_targetILNS1_3genE2ELNS1_11target_archE906ELNS1_3gpuE6ELNS1_3repE0EEENS1_30default_config_static_selectorELNS0_4arch9wavefront6targetE0EEEvT1_.num_agpr, 0
	.set _ZN7rocprim17ROCPRIM_400000_NS6detail17trampoline_kernelINS0_14default_configENS1_20scan_config_selectorIN3c108BFloat16EEEZZNS1_9scan_implILNS1_25lookback_scan_determinismE0ELb0ELb0ES3_PKS6_PS6_S6_ZZZN2at6native31launch_logcumsumexp_cuda_kernelERKNSD_10TensorBaseESH_lENKUlvE_clEvENKUlvE4_clEvEUlS6_S6_E_S6_EEDaPvRmT3_T4_T5_mT6_P12ihipStream_tbENKUlT_T0_E_clISt17integral_constantIbLb0EESX_IbLb1EEEEDaST_SU_EUlST_E_NS1_11comp_targetILNS1_3genE2ELNS1_11target_archE906ELNS1_3gpuE6ELNS1_3repE0EEENS1_30default_config_static_selectorELNS0_4arch9wavefront6targetE0EEEvT1_.numbered_sgpr, 0
	.set _ZN7rocprim17ROCPRIM_400000_NS6detail17trampoline_kernelINS0_14default_configENS1_20scan_config_selectorIN3c108BFloat16EEEZZNS1_9scan_implILNS1_25lookback_scan_determinismE0ELb0ELb0ES3_PKS6_PS6_S6_ZZZN2at6native31launch_logcumsumexp_cuda_kernelERKNSD_10TensorBaseESH_lENKUlvE_clEvENKUlvE4_clEvEUlS6_S6_E_S6_EEDaPvRmT3_T4_T5_mT6_P12ihipStream_tbENKUlT_T0_E_clISt17integral_constantIbLb0EESX_IbLb1EEEEDaST_SU_EUlST_E_NS1_11comp_targetILNS1_3genE2ELNS1_11target_archE906ELNS1_3gpuE6ELNS1_3repE0EEENS1_30default_config_static_selectorELNS0_4arch9wavefront6targetE0EEEvT1_.num_named_barrier, 0
	.set _ZN7rocprim17ROCPRIM_400000_NS6detail17trampoline_kernelINS0_14default_configENS1_20scan_config_selectorIN3c108BFloat16EEEZZNS1_9scan_implILNS1_25lookback_scan_determinismE0ELb0ELb0ES3_PKS6_PS6_S6_ZZZN2at6native31launch_logcumsumexp_cuda_kernelERKNSD_10TensorBaseESH_lENKUlvE_clEvENKUlvE4_clEvEUlS6_S6_E_S6_EEDaPvRmT3_T4_T5_mT6_P12ihipStream_tbENKUlT_T0_E_clISt17integral_constantIbLb0EESX_IbLb1EEEEDaST_SU_EUlST_E_NS1_11comp_targetILNS1_3genE2ELNS1_11target_archE906ELNS1_3gpuE6ELNS1_3repE0EEENS1_30default_config_static_selectorELNS0_4arch9wavefront6targetE0EEEvT1_.private_seg_size, 0
	.set _ZN7rocprim17ROCPRIM_400000_NS6detail17trampoline_kernelINS0_14default_configENS1_20scan_config_selectorIN3c108BFloat16EEEZZNS1_9scan_implILNS1_25lookback_scan_determinismE0ELb0ELb0ES3_PKS6_PS6_S6_ZZZN2at6native31launch_logcumsumexp_cuda_kernelERKNSD_10TensorBaseESH_lENKUlvE_clEvENKUlvE4_clEvEUlS6_S6_E_S6_EEDaPvRmT3_T4_T5_mT6_P12ihipStream_tbENKUlT_T0_E_clISt17integral_constantIbLb0EESX_IbLb1EEEEDaST_SU_EUlST_E_NS1_11comp_targetILNS1_3genE2ELNS1_11target_archE906ELNS1_3gpuE6ELNS1_3repE0EEENS1_30default_config_static_selectorELNS0_4arch9wavefront6targetE0EEEvT1_.uses_vcc, 0
	.set _ZN7rocprim17ROCPRIM_400000_NS6detail17trampoline_kernelINS0_14default_configENS1_20scan_config_selectorIN3c108BFloat16EEEZZNS1_9scan_implILNS1_25lookback_scan_determinismE0ELb0ELb0ES3_PKS6_PS6_S6_ZZZN2at6native31launch_logcumsumexp_cuda_kernelERKNSD_10TensorBaseESH_lENKUlvE_clEvENKUlvE4_clEvEUlS6_S6_E_S6_EEDaPvRmT3_T4_T5_mT6_P12ihipStream_tbENKUlT_T0_E_clISt17integral_constantIbLb0EESX_IbLb1EEEEDaST_SU_EUlST_E_NS1_11comp_targetILNS1_3genE2ELNS1_11target_archE906ELNS1_3gpuE6ELNS1_3repE0EEENS1_30default_config_static_selectorELNS0_4arch9wavefront6targetE0EEEvT1_.uses_flat_scratch, 0
	.set _ZN7rocprim17ROCPRIM_400000_NS6detail17trampoline_kernelINS0_14default_configENS1_20scan_config_selectorIN3c108BFloat16EEEZZNS1_9scan_implILNS1_25lookback_scan_determinismE0ELb0ELb0ES3_PKS6_PS6_S6_ZZZN2at6native31launch_logcumsumexp_cuda_kernelERKNSD_10TensorBaseESH_lENKUlvE_clEvENKUlvE4_clEvEUlS6_S6_E_S6_EEDaPvRmT3_T4_T5_mT6_P12ihipStream_tbENKUlT_T0_E_clISt17integral_constantIbLb0EESX_IbLb1EEEEDaST_SU_EUlST_E_NS1_11comp_targetILNS1_3genE2ELNS1_11target_archE906ELNS1_3gpuE6ELNS1_3repE0EEENS1_30default_config_static_selectorELNS0_4arch9wavefront6targetE0EEEvT1_.has_dyn_sized_stack, 0
	.set _ZN7rocprim17ROCPRIM_400000_NS6detail17trampoline_kernelINS0_14default_configENS1_20scan_config_selectorIN3c108BFloat16EEEZZNS1_9scan_implILNS1_25lookback_scan_determinismE0ELb0ELb0ES3_PKS6_PS6_S6_ZZZN2at6native31launch_logcumsumexp_cuda_kernelERKNSD_10TensorBaseESH_lENKUlvE_clEvENKUlvE4_clEvEUlS6_S6_E_S6_EEDaPvRmT3_T4_T5_mT6_P12ihipStream_tbENKUlT_T0_E_clISt17integral_constantIbLb0EESX_IbLb1EEEEDaST_SU_EUlST_E_NS1_11comp_targetILNS1_3genE2ELNS1_11target_archE906ELNS1_3gpuE6ELNS1_3repE0EEENS1_30default_config_static_selectorELNS0_4arch9wavefront6targetE0EEEvT1_.has_recursion, 0
	.set _ZN7rocprim17ROCPRIM_400000_NS6detail17trampoline_kernelINS0_14default_configENS1_20scan_config_selectorIN3c108BFloat16EEEZZNS1_9scan_implILNS1_25lookback_scan_determinismE0ELb0ELb0ES3_PKS6_PS6_S6_ZZZN2at6native31launch_logcumsumexp_cuda_kernelERKNSD_10TensorBaseESH_lENKUlvE_clEvENKUlvE4_clEvEUlS6_S6_E_S6_EEDaPvRmT3_T4_T5_mT6_P12ihipStream_tbENKUlT_T0_E_clISt17integral_constantIbLb0EESX_IbLb1EEEEDaST_SU_EUlST_E_NS1_11comp_targetILNS1_3genE2ELNS1_11target_archE906ELNS1_3gpuE6ELNS1_3repE0EEENS1_30default_config_static_selectorELNS0_4arch9wavefront6targetE0EEEvT1_.has_indirect_call, 0
	.section	.AMDGPU.csdata,"",@progbits
; Kernel info:
; codeLenInByte = 0
; TotalNumSgprs: 0
; NumVgprs: 0
; ScratchSize: 0
; MemoryBound: 0
; FloatMode: 240
; IeeeMode: 1
; LDSByteSize: 0 bytes/workgroup (compile time only)
; SGPRBlocks: 0
; VGPRBlocks: 0
; NumSGPRsForWavesPerEU: 1
; NumVGPRsForWavesPerEU: 1
; Occupancy: 16
; WaveLimiterHint : 0
; COMPUTE_PGM_RSRC2:SCRATCH_EN: 0
; COMPUTE_PGM_RSRC2:USER_SGPR: 2
; COMPUTE_PGM_RSRC2:TRAP_HANDLER: 0
; COMPUTE_PGM_RSRC2:TGID_X_EN: 1
; COMPUTE_PGM_RSRC2:TGID_Y_EN: 0
; COMPUTE_PGM_RSRC2:TGID_Z_EN: 0
; COMPUTE_PGM_RSRC2:TIDIG_COMP_CNT: 0
	.section	.text._ZN7rocprim17ROCPRIM_400000_NS6detail17trampoline_kernelINS0_14default_configENS1_20scan_config_selectorIN3c108BFloat16EEEZZNS1_9scan_implILNS1_25lookback_scan_determinismE0ELb0ELb0ES3_PKS6_PS6_S6_ZZZN2at6native31launch_logcumsumexp_cuda_kernelERKNSD_10TensorBaseESH_lENKUlvE_clEvENKUlvE4_clEvEUlS6_S6_E_S6_EEDaPvRmT3_T4_T5_mT6_P12ihipStream_tbENKUlT_T0_E_clISt17integral_constantIbLb0EESX_IbLb1EEEEDaST_SU_EUlST_E_NS1_11comp_targetILNS1_3genE10ELNS1_11target_archE1201ELNS1_3gpuE5ELNS1_3repE0EEENS1_30default_config_static_selectorELNS0_4arch9wavefront6targetE0EEEvT1_,"axG",@progbits,_ZN7rocprim17ROCPRIM_400000_NS6detail17trampoline_kernelINS0_14default_configENS1_20scan_config_selectorIN3c108BFloat16EEEZZNS1_9scan_implILNS1_25lookback_scan_determinismE0ELb0ELb0ES3_PKS6_PS6_S6_ZZZN2at6native31launch_logcumsumexp_cuda_kernelERKNSD_10TensorBaseESH_lENKUlvE_clEvENKUlvE4_clEvEUlS6_S6_E_S6_EEDaPvRmT3_T4_T5_mT6_P12ihipStream_tbENKUlT_T0_E_clISt17integral_constantIbLb0EESX_IbLb1EEEEDaST_SU_EUlST_E_NS1_11comp_targetILNS1_3genE10ELNS1_11target_archE1201ELNS1_3gpuE5ELNS1_3repE0EEENS1_30default_config_static_selectorELNS0_4arch9wavefront6targetE0EEEvT1_,comdat
	.globl	_ZN7rocprim17ROCPRIM_400000_NS6detail17trampoline_kernelINS0_14default_configENS1_20scan_config_selectorIN3c108BFloat16EEEZZNS1_9scan_implILNS1_25lookback_scan_determinismE0ELb0ELb0ES3_PKS6_PS6_S6_ZZZN2at6native31launch_logcumsumexp_cuda_kernelERKNSD_10TensorBaseESH_lENKUlvE_clEvENKUlvE4_clEvEUlS6_S6_E_S6_EEDaPvRmT3_T4_T5_mT6_P12ihipStream_tbENKUlT_T0_E_clISt17integral_constantIbLb0EESX_IbLb1EEEEDaST_SU_EUlST_E_NS1_11comp_targetILNS1_3genE10ELNS1_11target_archE1201ELNS1_3gpuE5ELNS1_3repE0EEENS1_30default_config_static_selectorELNS0_4arch9wavefront6targetE0EEEvT1_ ; -- Begin function _ZN7rocprim17ROCPRIM_400000_NS6detail17trampoline_kernelINS0_14default_configENS1_20scan_config_selectorIN3c108BFloat16EEEZZNS1_9scan_implILNS1_25lookback_scan_determinismE0ELb0ELb0ES3_PKS6_PS6_S6_ZZZN2at6native31launch_logcumsumexp_cuda_kernelERKNSD_10TensorBaseESH_lENKUlvE_clEvENKUlvE4_clEvEUlS6_S6_E_S6_EEDaPvRmT3_T4_T5_mT6_P12ihipStream_tbENKUlT_T0_E_clISt17integral_constantIbLb0EESX_IbLb1EEEEDaST_SU_EUlST_E_NS1_11comp_targetILNS1_3genE10ELNS1_11target_archE1201ELNS1_3gpuE5ELNS1_3repE0EEENS1_30default_config_static_selectorELNS0_4arch9wavefront6targetE0EEEvT1_
	.p2align	8
	.type	_ZN7rocprim17ROCPRIM_400000_NS6detail17trampoline_kernelINS0_14default_configENS1_20scan_config_selectorIN3c108BFloat16EEEZZNS1_9scan_implILNS1_25lookback_scan_determinismE0ELb0ELb0ES3_PKS6_PS6_S6_ZZZN2at6native31launch_logcumsumexp_cuda_kernelERKNSD_10TensorBaseESH_lENKUlvE_clEvENKUlvE4_clEvEUlS6_S6_E_S6_EEDaPvRmT3_T4_T5_mT6_P12ihipStream_tbENKUlT_T0_E_clISt17integral_constantIbLb0EESX_IbLb1EEEEDaST_SU_EUlST_E_NS1_11comp_targetILNS1_3genE10ELNS1_11target_archE1201ELNS1_3gpuE5ELNS1_3repE0EEENS1_30default_config_static_selectorELNS0_4arch9wavefront6targetE0EEEvT1_,@function
_ZN7rocprim17ROCPRIM_400000_NS6detail17trampoline_kernelINS0_14default_configENS1_20scan_config_selectorIN3c108BFloat16EEEZZNS1_9scan_implILNS1_25lookback_scan_determinismE0ELb0ELb0ES3_PKS6_PS6_S6_ZZZN2at6native31launch_logcumsumexp_cuda_kernelERKNSD_10TensorBaseESH_lENKUlvE_clEvENKUlvE4_clEvEUlS6_S6_E_S6_EEDaPvRmT3_T4_T5_mT6_P12ihipStream_tbENKUlT_T0_E_clISt17integral_constantIbLb0EESX_IbLb1EEEEDaST_SU_EUlST_E_NS1_11comp_targetILNS1_3genE10ELNS1_11target_archE1201ELNS1_3gpuE5ELNS1_3repE0EEENS1_30default_config_static_selectorELNS0_4arch9wavefront6targetE0EEEvT1_: ; @_ZN7rocprim17ROCPRIM_400000_NS6detail17trampoline_kernelINS0_14default_configENS1_20scan_config_selectorIN3c108BFloat16EEEZZNS1_9scan_implILNS1_25lookback_scan_determinismE0ELb0ELb0ES3_PKS6_PS6_S6_ZZZN2at6native31launch_logcumsumexp_cuda_kernelERKNSD_10TensorBaseESH_lENKUlvE_clEvENKUlvE4_clEvEUlS6_S6_E_S6_EEDaPvRmT3_T4_T5_mT6_P12ihipStream_tbENKUlT_T0_E_clISt17integral_constantIbLb0EESX_IbLb1EEEEDaST_SU_EUlST_E_NS1_11comp_targetILNS1_3genE10ELNS1_11target_archE1201ELNS1_3gpuE5ELNS1_3repE0EEENS1_30default_config_static_selectorELNS0_4arch9wavefront6targetE0EEEvT1_
; %bb.0:
	s_load_b64 s[28:29], s[0:1], 0x28
	v_cmp_ne_u32_e64 s2, 0, v0
	v_cmp_eq_u32_e64 s3, 0, v0
	s_and_saveexec_b32 s4, s3
	s_cbranch_execz .LBB508_4
; %bb.1:
	s_mov_b32 s6, exec_lo
	s_mov_b32 s5, exec_lo
	v_mbcnt_lo_u32_b32 v1, s6, 0
                                        ; implicit-def: $vgpr2
	s_delay_alu instid0(VALU_DEP_1)
	v_cmpx_eq_u32_e32 0, v1
	s_cbranch_execz .LBB508_3
; %bb.2:
	s_load_b64 s[8:9], s[0:1], 0x58
	s_bcnt1_i32_b32 s6, s6
	s_wait_alu 0xfffe
	v_dual_mov_b32 v2, 0 :: v_dual_mov_b32 v3, s6
	s_wait_kmcnt 0x0
	global_atomic_add_u32 v2, v2, v3, s[8:9] th:TH_ATOMIC_RETURN scope:SCOPE_DEV
.LBB508_3:
	s_or_b32 exec_lo, exec_lo, s5
	s_wait_loadcnt 0x0
	v_readfirstlane_b32 s5, v2
	s_delay_alu instid0(VALU_DEP_1)
	v_dual_mov_b32 v2, 0 :: v_dual_add_nc_u32 v1, s5, v1
	ds_store_b32 v2, v1
.LBB508_4:
	s_or_b32 exec_lo, exec_lo, s4
	v_mov_b32_e32 v1, 0
	s_clause 0x2
	s_load_b256 s[36:43], s[0:1], 0x0
	s_load_b32 s4, s[0:1], 0x30
	s_load_b256 s[20:27], s[0:1], 0x38
	s_wait_dscnt 0x0
	s_barrier_signal -1
	s_barrier_wait -1
	global_inv scope:SCOPE_SE
	ds_load_b32 v1, v1
	s_mov_b32 s7, 0
	v_lshlrev_b32_e32 v7, 1, v0
	s_wait_alu 0xfffe
	s_mov_b32 s11, s7
	s_mov_b32 s8, -1
	s_wait_loadcnt_dscnt 0x0
	s_barrier_signal -1
	s_barrier_wait -1
	global_inv scope:SCOPE_SE
	s_wait_kmcnt 0x0
	s_lshl_b64 s[30:31], s[38:39], 1
	s_add_co_i32 s0, s4, -1
	s_add_nc_u64 s[4:5], s[36:37], s[30:31]
	s_mul_i32 s6, s0, 0xc00
	v_readfirstlane_b32 s33, v1
	v_cmp_ne_u32_e64 s0, s0, v1
	s_mul_i32 s10, s33, 0xc00
	s_and_b32 vcc_lo, exec_lo, s0
	s_lshl_b64 s[34:35], s[10:11], 1
	s_wait_alu 0xfffe
	s_add_nc_u64 s[4:5], s[4:5], s[34:35]
	s_cbranch_vccz .LBB508_6
; %bb.5:
	s_clause 0xb
	global_load_u16 v1, v7, s[4:5]
	global_load_u16 v2, v7, s[4:5] offset:512
	global_load_u16 v3, v7, s[4:5] offset:1024
	;; [unrolled: 1-line block ×11, first 2 shown]
	s_mov_b32 s8, s7
	s_wait_loadcnt 0xb
	ds_store_b16 v7, v1
	s_wait_loadcnt 0xa
	ds_store_b16 v7, v2 offset:512
	s_wait_loadcnt 0x9
	ds_store_b16 v7, v3 offset:1024
	;; [unrolled: 2-line block ×11, first 2 shown]
	s_wait_dscnt 0x0
	s_barrier_signal -1
	s_barrier_wait -1
.LBB508_6:
	s_sub_nc_u64 s[18:19], s[42:43], s[6:7]
	s_and_not1_b32 vcc_lo, exec_lo, s8
	v_cmp_gt_u32_e64 s1, s18, v0
	s_cbranch_vccnz .LBB508_32
; %bb.7:
	v_mov_b32_e32 v1, 0
	global_load_u16 v1, v1, s[4:5]
	s_wait_loadcnt 0x0
	v_mov_b32_e32 v2, v1
	s_and_saveexec_b32 s6, s1
	s_cbranch_execz .LBB508_9
; %bb.8:
	global_load_u16 v2, v7, s[4:5]
.LBB508_9:
	s_wait_alu 0xfffe
	s_or_b32 exec_lo, exec_lo, s6
	v_or_b32_e32 v3, 0x100, v0
	s_delay_alu instid0(VALU_DEP_1)
	v_cmp_gt_u32_e32 vcc_lo, s18, v3
	v_mov_b32_e32 v3, v1
	s_and_saveexec_b32 s1, vcc_lo
	s_cbranch_execz .LBB508_11
; %bb.10:
	global_load_u16 v3, v7, s[4:5] offset:512
.LBB508_11:
	s_wait_alu 0xfffe
	s_or_b32 exec_lo, exec_lo, s1
	v_or_b32_e32 v4, 0x200, v0
	s_delay_alu instid0(VALU_DEP_1)
	v_cmp_gt_u32_e32 vcc_lo, s18, v4
	v_mov_b32_e32 v4, v1
	s_and_saveexec_b32 s1, vcc_lo
	s_cbranch_execz .LBB508_13
; %bb.12:
	global_load_u16 v4, v7, s[4:5] offset:1024
.LBB508_13:
	s_wait_alu 0xfffe
	s_or_b32 exec_lo, exec_lo, s1
	v_or_b32_e32 v5, 0x300, v0
	s_delay_alu instid0(VALU_DEP_1)
	v_cmp_gt_u32_e32 vcc_lo, s18, v5
	v_mov_b32_e32 v5, v1
	s_and_saveexec_b32 s1, vcc_lo
	s_cbranch_execz .LBB508_15
; %bb.14:
	global_load_u16 v5, v7, s[4:5] offset:1536
.LBB508_15:
	s_wait_alu 0xfffe
	s_or_b32 exec_lo, exec_lo, s1
	v_or_b32_e32 v6, 0x400, v0
	s_delay_alu instid0(VALU_DEP_1)
	v_cmp_gt_u32_e32 vcc_lo, s18, v6
	v_mov_b32_e32 v6, v1
	s_and_saveexec_b32 s1, vcc_lo
	s_cbranch_execz .LBB508_17
; %bb.16:
	global_load_u16 v6, v7, s[4:5] offset:2048
.LBB508_17:
	s_wait_alu 0xfffe
	s_or_b32 exec_lo, exec_lo, s1
	v_or_b32_e32 v8, 0x500, v0
	s_delay_alu instid0(VALU_DEP_1)
	v_cmp_gt_u32_e32 vcc_lo, s18, v8
	v_mov_b32_e32 v8, v1
	s_and_saveexec_b32 s1, vcc_lo
	s_cbranch_execz .LBB508_19
; %bb.18:
	global_load_u16 v8, v7, s[4:5] offset:2560
.LBB508_19:
	s_wait_alu 0xfffe
	s_or_b32 exec_lo, exec_lo, s1
	v_or_b32_e32 v9, 0x600, v0
	s_delay_alu instid0(VALU_DEP_1)
	v_cmp_gt_u32_e32 vcc_lo, s18, v9
	v_mov_b32_e32 v9, v1
	s_and_saveexec_b32 s1, vcc_lo
	s_cbranch_execz .LBB508_21
; %bb.20:
	global_load_u16 v9, v7, s[4:5] offset:3072
.LBB508_21:
	s_wait_alu 0xfffe
	s_or_b32 exec_lo, exec_lo, s1
	v_or_b32_e32 v10, 0x700, v0
	s_delay_alu instid0(VALU_DEP_1)
	v_cmp_gt_u32_e32 vcc_lo, s18, v10
	v_mov_b32_e32 v10, v1
	s_and_saveexec_b32 s1, vcc_lo
	s_cbranch_execz .LBB508_23
; %bb.22:
	global_load_u16 v10, v7, s[4:5] offset:3584
.LBB508_23:
	s_wait_alu 0xfffe
	s_or_b32 exec_lo, exec_lo, s1
	v_or_b32_e32 v11, 0x800, v0
	s_delay_alu instid0(VALU_DEP_1)
	v_cmp_gt_u32_e32 vcc_lo, s18, v11
	v_mov_b32_e32 v11, v1
	s_and_saveexec_b32 s1, vcc_lo
	s_cbranch_execz .LBB508_25
; %bb.24:
	global_load_u16 v11, v7, s[4:5] offset:4096
.LBB508_25:
	s_wait_alu 0xfffe
	s_or_b32 exec_lo, exec_lo, s1
	v_or_b32_e32 v12, 0x900, v0
	s_delay_alu instid0(VALU_DEP_1)
	v_cmp_gt_u32_e32 vcc_lo, s18, v12
	v_mov_b32_e32 v12, v1
	s_and_saveexec_b32 s1, vcc_lo
	s_cbranch_execz .LBB508_27
; %bb.26:
	global_load_u16 v12, v7, s[4:5] offset:4608
.LBB508_27:
	s_wait_alu 0xfffe
	s_or_b32 exec_lo, exec_lo, s1
	v_or_b32_e32 v13, 0xa00, v0
	s_delay_alu instid0(VALU_DEP_1)
	v_cmp_gt_u32_e32 vcc_lo, s18, v13
	v_mov_b32_e32 v13, v1
	s_and_saveexec_b32 s1, vcc_lo
	s_cbranch_execz .LBB508_29
; %bb.28:
	global_load_u16 v13, v7, s[4:5] offset:5120
.LBB508_29:
	s_wait_alu 0xfffe
	s_or_b32 exec_lo, exec_lo, s1
	v_or_b32_e32 v14, 0xb00, v0
	s_mov_b32 s1, exec_lo
	s_delay_alu instid0(VALU_DEP_1)
	v_cmpx_gt_u32_e64 s18, v14
	s_cbranch_execz .LBB508_31
; %bb.30:
	global_load_u16 v1, v7, s[4:5] offset:5632
.LBB508_31:
	s_wait_alu 0xfffe
	s_or_b32 exec_lo, exec_lo, s1
	s_wait_loadcnt 0x0
	ds_store_b16 v7, v2
	ds_store_b16 v7, v3 offset:512
	ds_store_b16 v7, v4 offset:1024
	;; [unrolled: 1-line block ×11, first 2 shown]
	s_wait_dscnt 0x0
	s_barrier_signal -1
	s_barrier_wait -1
.LBB508_32:
	v_mul_u32_u24_e32 v8, 24, v0
	s_wait_loadcnt 0x0
	global_inv scope:SCOPE_SE
	s_cmp_lg_u32 s33, 0
	ds_load_2addr_b64 v[1:4], v8 offset1:1
	ds_load_b64 v[5:6], v8 offset:16
	s_wait_loadcnt_dscnt 0x0
	s_barrier_signal -1
	s_barrier_wait -1
	global_inv scope:SCOPE_SE
	v_lshrrev_b32_e32 v19, 16, v1
	v_lshrrev_b32_e32 v17, 16, v2
	;; [unrolled: 1-line block ×4, first 2 shown]
	v_and_b32_e32 v18, 0xffff, v2
	v_and_b32_e32 v16, 0xffff, v3
	;; [unrolled: 1-line block ×3, first 2 shown]
	v_lshrrev_b32_e32 v11, 16, v5
	v_lshrrev_b32_e32 v9, 16, v6
	v_and_b32_e32 v12, 0xffff, v5
	v_and_b32_e32 v10, 0xffff, v6
	v_lshlrev_b32_e32 v6, 16, v19
	s_cbranch_scc0 .LBB508_166
; %bb.33:
	s_delay_alu instid0(VALU_DEP_1) | instskip(SKIP_2) | instid1(VALU_DEP_2)
	v_max_num_f32_e32 v20, v6, v6
	v_lshlrev_b32_e32 v40, 16, v1
	v_cmp_u_f32_e64 s1, v6, v6
	v_max_num_f32_e32 v41, v40, v40
	s_delay_alu instid0(VALU_DEP_1) | instskip(SKIP_2) | instid1(VALU_DEP_1)
	v_max_num_f32_e32 v3, v41, v20
	v_min_num_f32_e32 v2, v41, v20
	v_cmp_u_f32_e64 s14, v40, v40
	v_cndmask_b32_e64 v2, v2, v40, s14
	s_delay_alu instid0(VALU_DEP_4) | instskip(SKIP_1) | instid1(VALU_DEP_2)
	v_cndmask_b32_e64 v3, v3, v40, s14
	s_wait_alu 0xf1ff
	v_cndmask_b32_e64 v4, v2, v6, s1
	s_delay_alu instid0(VALU_DEP_2) | instskip(SKIP_1) | instid1(VALU_DEP_3)
	v_cndmask_b32_e64 v2, v3, v6, s1
	v_mov_b32_e32 v3, v40
	v_cmp_class_f32_e64 s4, v4, 0x1f8
	s_delay_alu instid0(VALU_DEP_3)
	v_cmp_neq_f32_e32 vcc_lo, v4, v2
	s_wait_alu 0xfffe
	s_or_b32 s5, vcc_lo, s4
	s_wait_alu 0xfffe
	s_and_saveexec_b32 s4, s5
	s_cbranch_execz .LBB508_35
; %bb.34:
	v_sub_f32_e32 v3, v4, v2
	s_mov_b32 s5, 0x3e9b6dac
	s_delay_alu instid0(VALU_DEP_1) | instskip(SKIP_1) | instid1(VALU_DEP_2)
	v_mul_f32_e32 v4, 0x3fb8aa3b, v3
	v_cmp_ngt_f32_e32 vcc_lo, 0xc2ce8ed0, v3
	v_fma_f32 v5, 0x3fb8aa3b, v3, -v4
	v_rndne_f32_e32 v19, v4
	s_delay_alu instid0(VALU_DEP_1) | instskip(NEXT) | instid1(VALU_DEP_1)
	v_dual_fmamk_f32 v5, v3, 0x32a5705f, v5 :: v_dual_sub_f32 v4, v4, v19
	v_add_f32_e32 v4, v4, v5
	v_cvt_i32_f32_e32 v5, v19
	s_delay_alu instid0(VALU_DEP_2) | instskip(NEXT) | instid1(TRANS32_DEP_1)
	v_exp_f32_e32 v4, v4
	v_ldexp_f32 v4, v4, v5
	s_delay_alu instid0(VALU_DEP_1) | instskip(SKIP_2) | instid1(VALU_DEP_2)
	v_cndmask_b32_e32 v4, 0, v4, vcc_lo
	v_cmp_nlt_f32_e32 vcc_lo, 0x42b17218, v3
	s_wait_alu 0xfffd
	v_cndmask_b32_e32 v5, 0x7f800000, v4, vcc_lo
	s_delay_alu instid0(VALU_DEP_1) | instskip(NEXT) | instid1(VALU_DEP_1)
	v_add_f32_e32 v19, 1.0, v5
	v_cvt_f64_f32_e32 v[3:4], v19
	s_delay_alu instid0(VALU_DEP_1) | instskip(SKIP_1) | instid1(VALU_DEP_1)
	v_frexp_exp_i32_f64_e32 v3, v[3:4]
	v_frexp_mant_f32_e32 v4, v19
	v_cmp_gt_f32_e32 vcc_lo, 0x3f2aaaab, v4
	v_add_f32_e32 v4, -1.0, v19
	s_delay_alu instid0(VALU_DEP_1) | instskip(NEXT) | instid1(VALU_DEP_1)
	v_sub_f32_e32 v22, v4, v19
	v_add_f32_e32 v22, 1.0, v22
	s_wait_alu 0xfffd
	v_subrev_co_ci_u32_e64 v3, null, 0, v3, vcc_lo
	v_cmp_neq_f32_e32 vcc_lo, 0x7f800000, v5
	s_delay_alu instid0(VALU_DEP_2) | instskip(SKIP_1) | instid1(VALU_DEP_2)
	v_sub_nc_u32_e32 v21, 0, v3
	v_cvt_f32_i32_e32 v3, v3
	v_ldexp_f32 v19, v19, v21
	s_delay_alu instid0(VALU_DEP_1) | instskip(NEXT) | instid1(VALU_DEP_1)
	v_dual_sub_f32 v4, v5, v4 :: v_dual_add_f32 v23, 1.0, v19
	v_add_f32_e32 v4, v4, v22
	s_delay_alu instid0(VALU_DEP_2) | instskip(NEXT) | instid1(VALU_DEP_2)
	v_add_f32_e32 v22, -1.0, v23
	v_ldexp_f32 v4, v4, v21
	s_delay_alu instid0(VALU_DEP_2) | instskip(NEXT) | instid1(VALU_DEP_1)
	v_dual_add_f32 v21, -1.0, v19 :: v_dual_sub_f32 v22, v19, v22
	v_add_f32_e32 v24, 1.0, v21
	s_delay_alu instid0(VALU_DEP_1) | instskip(NEXT) | instid1(VALU_DEP_1)
	v_dual_add_f32 v22, v4, v22 :: v_dual_sub_f32 v19, v19, v24
	v_add_f32_e32 v4, v4, v19
	s_delay_alu instid0(VALU_DEP_1) | instskip(NEXT) | instid1(VALU_DEP_1)
	v_add_f32_e32 v25, v21, v4
	v_dual_sub_f32 v21, v21, v25 :: v_dual_add_f32 v24, v23, v22
	s_delay_alu instid0(VALU_DEP_1) | instskip(SKIP_1) | instid1(VALU_DEP_1)
	v_rcp_f32_e32 v19, v24
	v_sub_f32_e32 v23, v23, v24
	v_add_f32_e32 v22, v22, v23
	s_delay_alu instid0(TRANS32_DEP_1) | instskip(NEXT) | instid1(VALU_DEP_1)
	v_mul_f32_e32 v26, v25, v19
	v_mul_f32_e32 v27, v24, v26
	s_delay_alu instid0(VALU_DEP_1) | instskip(NEXT) | instid1(VALU_DEP_1)
	v_fma_f32 v23, v26, v24, -v27
	v_fmac_f32_e32 v23, v26, v22
	s_delay_alu instid0(VALU_DEP_1) | instskip(NEXT) | instid1(VALU_DEP_1)
	v_add_f32_e32 v28, v27, v23
	v_sub_f32_e32 v29, v25, v28
	s_delay_alu instid0(VALU_DEP_1) | instskip(NEXT) | instid1(VALU_DEP_1)
	v_sub_f32_e32 v25, v25, v29
	v_dual_sub_f32 v25, v25, v28 :: v_dual_add_f32 v4, v4, v21
	v_sub_f32_e32 v21, v28, v27
	s_delay_alu instid0(VALU_DEP_1) | instskip(NEXT) | instid1(VALU_DEP_1)
	v_dual_sub_f32 v21, v21, v23 :: v_dual_add_f32 v4, v4, v25
	v_add_f32_e32 v4, v21, v4
	s_delay_alu instid0(VALU_DEP_1) | instskip(NEXT) | instid1(VALU_DEP_1)
	v_add_f32_e32 v21, v29, v4
	v_mul_f32_e32 v23, v19, v21
	s_delay_alu instid0(VALU_DEP_1) | instskip(NEXT) | instid1(VALU_DEP_1)
	v_dual_sub_f32 v28, v29, v21 :: v_dual_mul_f32 v25, v24, v23
	v_fma_f32 v24, v23, v24, -v25
	s_delay_alu instid0(VALU_DEP_1) | instskip(NEXT) | instid1(VALU_DEP_1)
	v_fmac_f32_e32 v24, v23, v22
	v_add_f32_e32 v22, v25, v24
	s_delay_alu instid0(VALU_DEP_1) | instskip(NEXT) | instid1(VALU_DEP_1)
	v_dual_add_f32 v4, v4, v28 :: v_dual_sub_f32 v27, v21, v22
	v_sub_f32_e32 v21, v21, v27
	s_delay_alu instid0(VALU_DEP_1) | instskip(NEXT) | instid1(VALU_DEP_1)
	v_sub_f32_e32 v21, v21, v22
	v_dual_add_f32 v4, v4, v21 :: v_dual_add_f32 v21, v26, v23
	v_sub_f32_e32 v25, v22, v25
	s_delay_alu instid0(VALU_DEP_1) | instskip(NEXT) | instid1(VALU_DEP_1)
	v_sub_f32_e32 v22, v25, v24
	v_add_f32_e32 v4, v22, v4
	s_delay_alu instid0(VALU_DEP_4) | instskip(NEXT) | instid1(VALU_DEP_2)
	v_sub_f32_e32 v22, v21, v26
	v_add_f32_e32 v4, v27, v4
	s_delay_alu instid0(VALU_DEP_2) | instskip(NEXT) | instid1(VALU_DEP_2)
	v_sub_f32_e32 v22, v23, v22
	v_mul_f32_e32 v4, v19, v4
	s_delay_alu instid0(VALU_DEP_1) | instskip(NEXT) | instid1(VALU_DEP_1)
	v_add_f32_e32 v4, v22, v4
	v_add_f32_e32 v19, v21, v4
	s_delay_alu instid0(VALU_DEP_1) | instskip(SKIP_1) | instid1(VALU_DEP_1)
	v_mul_f32_e32 v22, v19, v19
	s_wait_alu 0xfffe
	v_fmaak_f32 v23, s5, v22, 0x3ecc95a3
	v_mul_f32_e32 v24, v19, v22
	s_delay_alu instid0(VALU_DEP_2) | instskip(SKIP_1) | instid1(VALU_DEP_2)
	v_fmaak_f32 v22, v22, v23, 0x3f2aaada
	v_ldexp_f32 v23, v19, 1
	v_dual_sub_f32 v19, v19, v21 :: v_dual_mul_f32 v22, v24, v22
	s_delay_alu instid0(VALU_DEP_1) | instskip(NEXT) | instid1(VALU_DEP_1)
	v_dual_sub_f32 v4, v4, v19 :: v_dual_add_f32 v21, v23, v22
	v_ldexp_f32 v4, v4, 1
	s_delay_alu instid0(VALU_DEP_2) | instskip(NEXT) | instid1(VALU_DEP_1)
	v_sub_f32_e32 v19, v21, v23
	v_sub_f32_e32 v19, v22, v19
	s_delay_alu instid0(VALU_DEP_1) | instskip(NEXT) | instid1(VALU_DEP_1)
	v_add_f32_e32 v4, v4, v19
	v_add_f32_e32 v22, v21, v4
	s_delay_alu instid0(VALU_DEP_1) | instskip(NEXT) | instid1(VALU_DEP_1)
	v_dual_mul_f32 v24, 0x3f317218, v3 :: v_dual_sub_f32 v21, v22, v21
	v_fma_f32 v23, 0x3f317218, v3, -v24
	s_delay_alu instid0(VALU_DEP_1) | instskip(NEXT) | instid1(VALU_DEP_1)
	v_dual_sub_f32 v4, v4, v21 :: v_dual_fmamk_f32 v3, v3, 0xb102e308, v23
	v_add_f32_e32 v19, v24, v3
	s_delay_alu instid0(VALU_DEP_1) | instskip(NEXT) | instid1(VALU_DEP_1)
	v_add_f32_e32 v23, v19, v22
	v_sub_f32_e32 v25, v23, v19
	s_delay_alu instid0(VALU_DEP_1) | instskip(SKIP_1) | instid1(VALU_DEP_2)
	v_sub_f32_e32 v26, v23, v25
	v_dual_sub_f32 v21, v22, v25 :: v_dual_sub_f32 v24, v19, v24
	v_sub_f32_e32 v19, v19, v26
	s_delay_alu instid0(VALU_DEP_1) | instskip(NEXT) | instid1(VALU_DEP_3)
	v_add_f32_e32 v19, v21, v19
	v_sub_f32_e32 v3, v3, v24
	s_delay_alu instid0(VALU_DEP_1) | instskip(NEXT) | instid1(VALU_DEP_1)
	v_add_f32_e32 v22, v3, v4
	v_sub_f32_e32 v21, v22, v3
	s_delay_alu instid0(VALU_DEP_4) | instskip(NEXT) | instid1(VALU_DEP_2)
	v_add_f32_e32 v19, v22, v19
	v_sub_f32_e32 v22, v22, v21
	s_delay_alu instid0(VALU_DEP_2) | instskip(NEXT) | instid1(VALU_DEP_2)
	v_add_f32_e32 v24, v23, v19
	v_dual_sub_f32 v4, v4, v21 :: v_dual_sub_f32 v3, v3, v22
	s_delay_alu instid0(VALU_DEP_2) | instskip(NEXT) | instid1(VALU_DEP_1)
	v_sub_f32_e32 v21, v24, v23
	v_dual_add_f32 v3, v4, v3 :: v_dual_sub_f32 v4, v19, v21
	s_delay_alu instid0(VALU_DEP_1) | instskip(NEXT) | instid1(VALU_DEP_1)
	v_add_f32_e32 v3, v3, v4
	v_add_f32_e32 v3, v24, v3
	s_wait_alu 0xfffd
	s_delay_alu instid0(VALU_DEP_1) | instskip(SKIP_2) | instid1(VALU_DEP_2)
	v_cndmask_b32_e32 v3, 0x7f800000, v3, vcc_lo
	v_cmp_gt_f32_e64 vcc_lo, 0x33800000, |v5|
	s_wait_alu 0xfffd
	v_cndmask_b32_e32 v3, v3, v5, vcc_lo
	s_delay_alu instid0(VALU_DEP_1)
	v_add_f32_e32 v3, v2, v3
.LBB508_35:
	s_wait_alu 0xfffe
	s_or_b32 exec_lo, exec_lo, s4
	s_delay_alu instid0(VALU_DEP_1) | instskip(SKIP_2) | instid1(VALU_DEP_3)
	v_bfe_u32 v2, v3, 16, 1
	v_lshlrev_b32_e32 v19, 16, v18
	v_cmp_o_f32_e32 vcc_lo, v3, v3
	v_add3_u32 v2, v3, v2, 0x7fff
	s_delay_alu instid0(VALU_DEP_1) | instskip(SKIP_1) | instid1(VALU_DEP_1)
	v_dual_max_num_f32 v23, v19, v19 :: v_dual_and_b32 v2, 0xffff0000, v2
	s_wait_alu 0xfffd
	v_cndmask_b32_e32 v3, 0x7fc00000, v2, vcc_lo
	s_delay_alu instid0(VALU_DEP_1) | instskip(SKIP_1) | instid1(VALU_DEP_2)
	v_max_num_f32_e32 v2, v3, v3
	v_cmp_u_f32_e64 s4, v19, v19
	v_min_num_f32_e32 v4, v2, v23
	v_max_num_f32_e32 v2, v2, v23
	v_cmp_u_f32_e32 vcc_lo, v3, v3
	s_wait_alu 0xfffd
	s_delay_alu instid0(VALU_DEP_3) | instskip(NEXT) | instid1(VALU_DEP_3)
	v_cndmask_b32_e32 v4, v4, v3, vcc_lo
	v_cndmask_b32_e32 v2, v2, v3, vcc_lo
	s_wait_alu 0xf1ff
	s_delay_alu instid0(VALU_DEP_2) | instskip(NEXT) | instid1(VALU_DEP_2)
	v_cndmask_b32_e64 v4, v4, v19, s4
	v_cndmask_b32_e64 v2, v2, v19, s4
	s_delay_alu instid0(VALU_DEP_2) | instskip(NEXT) | instid1(VALU_DEP_2)
	v_cmp_class_f32_e64 s5, v4, 0x1f8
	v_cmp_neq_f32_e32 vcc_lo, v4, v2
	s_or_b32 s6, vcc_lo, s5
	s_wait_alu 0xfffe
	s_and_saveexec_b32 s5, s6
	s_cbranch_execz .LBB508_37
; %bb.36:
	v_sub_f32_e32 v3, v4, v2
	s_mov_b32 s6, 0x3e9b6dac
	s_delay_alu instid0(VALU_DEP_1) | instskip(SKIP_1) | instid1(VALU_DEP_2)
	v_mul_f32_e32 v4, 0x3fb8aa3b, v3
	v_cmp_ngt_f32_e32 vcc_lo, 0xc2ce8ed0, v3
	v_fma_f32 v5, 0x3fb8aa3b, v3, -v4
	v_rndne_f32_e32 v21, v4
	s_delay_alu instid0(VALU_DEP_1) | instskip(NEXT) | instid1(VALU_DEP_1)
	v_dual_fmamk_f32 v5, v3, 0x32a5705f, v5 :: v_dual_sub_f32 v4, v4, v21
	v_add_f32_e32 v4, v4, v5
	v_cvt_i32_f32_e32 v5, v21
	s_delay_alu instid0(VALU_DEP_2) | instskip(NEXT) | instid1(TRANS32_DEP_1)
	v_exp_f32_e32 v4, v4
	v_ldexp_f32 v4, v4, v5
	s_wait_alu 0xfffd
	s_delay_alu instid0(VALU_DEP_1) | instskip(SKIP_2) | instid1(VALU_DEP_2)
	v_cndmask_b32_e32 v4, 0, v4, vcc_lo
	v_cmp_nlt_f32_e32 vcc_lo, 0x42b17218, v3
	s_wait_alu 0xfffd
	v_cndmask_b32_e32 v5, 0x7f800000, v4, vcc_lo
	s_delay_alu instid0(VALU_DEP_1) | instskip(NEXT) | instid1(VALU_DEP_1)
	v_add_f32_e32 v21, 1.0, v5
	v_cvt_f64_f32_e32 v[3:4], v21
	s_delay_alu instid0(VALU_DEP_1) | instskip(SKIP_1) | instid1(VALU_DEP_1)
	v_frexp_exp_i32_f64_e32 v3, v[3:4]
	v_frexp_mant_f32_e32 v4, v21
	v_cmp_gt_f32_e32 vcc_lo, 0x3f2aaaab, v4
	v_add_f32_e32 v4, -1.0, v21
	s_delay_alu instid0(VALU_DEP_1) | instskip(SKIP_3) | instid1(VALU_DEP_2)
	v_sub_f32_e32 v24, v4, v21
	s_wait_alu 0xfffd
	v_subrev_co_ci_u32_e64 v3, null, 0, v3, vcc_lo
	v_cmp_neq_f32_e32 vcc_lo, 0x7f800000, v5
	v_sub_nc_u32_e32 v22, 0, v3
	v_cvt_f32_i32_e32 v3, v3
	s_delay_alu instid0(VALU_DEP_2) | instskip(NEXT) | instid1(VALU_DEP_1)
	v_ldexp_f32 v21, v21, v22
	v_dual_sub_f32 v4, v5, v4 :: v_dual_add_f32 v25, 1.0, v21
	v_add_f32_e32 v24, 1.0, v24
	s_delay_alu instid0(VALU_DEP_1) | instskip(NEXT) | instid1(VALU_DEP_3)
	v_add_f32_e32 v4, v4, v24
	v_add_f32_e32 v24, -1.0, v25
	s_delay_alu instid0(VALU_DEP_2) | instskip(SKIP_1) | instid1(VALU_DEP_3)
	v_ldexp_f32 v4, v4, v22
	v_add_f32_e32 v22, -1.0, v21
	v_sub_f32_e32 v24, v21, v24
	s_delay_alu instid0(VALU_DEP_2) | instskip(NEXT) | instid1(VALU_DEP_1)
	v_add_f32_e32 v26, 1.0, v22
	v_dual_add_f32 v24, v4, v24 :: v_dual_sub_f32 v21, v21, v26
	s_delay_alu instid0(VALU_DEP_1) | instskip(NEXT) | instid1(VALU_DEP_2)
	v_add_f32_e32 v26, v25, v24
	v_add_f32_e32 v4, v4, v21
	s_delay_alu instid0(VALU_DEP_2) | instskip(SKIP_1) | instid1(VALU_DEP_1)
	v_rcp_f32_e32 v21, v26
	v_sub_f32_e32 v25, v25, v26
	v_dual_add_f32 v27, v22, v4 :: v_dual_add_f32 v24, v24, v25
	s_delay_alu instid0(TRANS32_DEP_1) | instid1(VALU_DEP_1)
	v_mul_f32_e32 v28, v27, v21
	s_delay_alu instid0(VALU_DEP_1) | instskip(NEXT) | instid1(VALU_DEP_1)
	v_mul_f32_e32 v29, v26, v28
	v_fma_f32 v25, v28, v26, -v29
	s_delay_alu instid0(VALU_DEP_1) | instskip(NEXT) | instid1(VALU_DEP_1)
	v_dual_fmac_f32 v25, v28, v24 :: v_dual_sub_f32 v22, v22, v27
	v_add_f32_e32 v30, v29, v25
	s_delay_alu instid0(VALU_DEP_2) | instskip(NEXT) | instid1(VALU_DEP_2)
	v_add_f32_e32 v4, v4, v22
	v_dual_sub_f32 v31, v27, v30 :: v_dual_sub_f32 v22, v30, v29
	s_delay_alu instid0(VALU_DEP_1) | instskip(NEXT) | instid1(VALU_DEP_1)
	v_dual_sub_f32 v27, v27, v31 :: v_dual_sub_f32 v22, v22, v25
	v_sub_f32_e32 v27, v27, v30
	s_delay_alu instid0(VALU_DEP_1) | instskip(NEXT) | instid1(VALU_DEP_1)
	v_add_f32_e32 v4, v4, v27
	v_add_f32_e32 v4, v22, v4
	s_delay_alu instid0(VALU_DEP_1) | instskip(NEXT) | instid1(VALU_DEP_1)
	v_add_f32_e32 v22, v31, v4
	v_mul_f32_e32 v25, v21, v22
	s_delay_alu instid0(VALU_DEP_1) | instskip(NEXT) | instid1(VALU_DEP_1)
	v_dual_sub_f32 v30, v31, v22 :: v_dual_mul_f32 v27, v26, v25
	v_add_f32_e32 v4, v4, v30
	s_delay_alu instid0(VALU_DEP_2) | instskip(NEXT) | instid1(VALU_DEP_1)
	v_fma_f32 v26, v25, v26, -v27
	v_fmac_f32_e32 v26, v25, v24
	s_delay_alu instid0(VALU_DEP_1) | instskip(NEXT) | instid1(VALU_DEP_1)
	v_add_f32_e32 v24, v27, v26
	v_sub_f32_e32 v29, v22, v24
	s_delay_alu instid0(VALU_DEP_1) | instskip(NEXT) | instid1(VALU_DEP_1)
	v_dual_sub_f32 v27, v24, v27 :: v_dual_sub_f32 v22, v22, v29
	v_sub_f32_e32 v22, v22, v24
	s_delay_alu instid0(VALU_DEP_2) | instskip(NEXT) | instid1(VALU_DEP_2)
	v_sub_f32_e32 v24, v27, v26
	v_add_f32_e32 v4, v4, v22
	v_add_f32_e32 v22, v28, v25
	s_delay_alu instid0(VALU_DEP_2) | instskip(NEXT) | instid1(VALU_DEP_2)
	v_add_f32_e32 v4, v24, v4
	v_sub_f32_e32 v24, v22, v28
	s_delay_alu instid0(VALU_DEP_2) | instskip(NEXT) | instid1(VALU_DEP_2)
	v_add_f32_e32 v4, v29, v4
	v_sub_f32_e32 v24, v25, v24
	s_delay_alu instid0(VALU_DEP_2) | instskip(NEXT) | instid1(VALU_DEP_1)
	v_mul_f32_e32 v4, v21, v4
	v_add_f32_e32 v4, v24, v4
	s_delay_alu instid0(VALU_DEP_1) | instskip(NEXT) | instid1(VALU_DEP_1)
	v_add_f32_e32 v21, v22, v4
	v_mul_f32_e32 v24, v21, v21
	s_wait_alu 0xfffe
	s_delay_alu instid0(VALU_DEP_1) | instskip(SKIP_1) | instid1(VALU_DEP_2)
	v_fmaak_f32 v25, s6, v24, 0x3ecc95a3
	v_mul_f32_e32 v26, v21, v24
	v_fmaak_f32 v24, v24, v25, 0x3f2aaada
	v_ldexp_f32 v25, v21, 1
	s_delay_alu instid0(VALU_DEP_2) | instskip(SKIP_1) | instid1(VALU_DEP_2)
	v_dual_sub_f32 v21, v21, v22 :: v_dual_mul_f32 v24, v26, v24
	v_mul_f32_e32 v26, 0x3f317218, v3
	v_sub_f32_e32 v4, v4, v21
	s_delay_alu instid0(VALU_DEP_3) | instskip(NEXT) | instid1(VALU_DEP_2)
	v_add_f32_e32 v22, v25, v24
	v_ldexp_f32 v4, v4, 1
	s_delay_alu instid0(VALU_DEP_2) | instskip(SKIP_1) | instid1(VALU_DEP_2)
	v_sub_f32_e32 v21, v22, v25
	v_fma_f32 v25, 0x3f317218, v3, -v26
	v_sub_f32_e32 v21, v24, v21
	s_delay_alu instid0(VALU_DEP_1) | instskip(NEXT) | instid1(VALU_DEP_1)
	v_dual_fmamk_f32 v3, v3, 0xb102e308, v25 :: v_dual_add_f32 v4, v4, v21
	v_add_f32_e32 v21, v26, v3
	s_delay_alu instid0(VALU_DEP_2) | instskip(NEXT) | instid1(VALU_DEP_2)
	v_add_f32_e32 v24, v22, v4
	v_sub_f32_e32 v26, v21, v26
	s_delay_alu instid0(VALU_DEP_2) | instskip(NEXT) | instid1(VALU_DEP_2)
	v_dual_add_f32 v25, v21, v24 :: v_dual_sub_f32 v22, v24, v22
	v_sub_f32_e32 v3, v3, v26
	s_delay_alu instid0(VALU_DEP_2) | instskip(NEXT) | instid1(VALU_DEP_1)
	v_dual_sub_f32 v27, v25, v21 :: v_dual_sub_f32 v4, v4, v22
	v_sub_f32_e32 v28, v25, v27
	v_sub_f32_e32 v22, v24, v27
	s_delay_alu instid0(VALU_DEP_3) | instskip(NEXT) | instid1(VALU_DEP_3)
	v_add_f32_e32 v24, v3, v4
	v_sub_f32_e32 v21, v21, v28
	s_delay_alu instid0(VALU_DEP_1) | instskip(NEXT) | instid1(VALU_DEP_1)
	v_dual_add_f32 v21, v22, v21 :: v_dual_sub_f32 v22, v24, v3
	v_add_f32_e32 v21, v24, v21
	s_delay_alu instid0(VALU_DEP_2) | instskip(SKIP_1) | instid1(VALU_DEP_2)
	v_sub_f32_e32 v24, v24, v22
	v_sub_f32_e32 v4, v4, v22
	v_dual_add_f32 v26, v25, v21 :: v_dual_sub_f32 v3, v3, v24
	s_delay_alu instid0(VALU_DEP_1) | instskip(NEXT) | instid1(VALU_DEP_1)
	v_dual_sub_f32 v22, v26, v25 :: v_dual_add_f32 v3, v4, v3
	v_sub_f32_e32 v4, v21, v22
	s_delay_alu instid0(VALU_DEP_1) | instskip(NEXT) | instid1(VALU_DEP_1)
	v_add_f32_e32 v3, v3, v4
	v_add_f32_e32 v3, v26, v3
	s_wait_alu 0xfffd
	s_delay_alu instid0(VALU_DEP_1) | instskip(SKIP_2) | instid1(VALU_DEP_2)
	v_cndmask_b32_e32 v3, 0x7f800000, v3, vcc_lo
	v_cmp_gt_f32_e64 vcc_lo, 0x33800000, |v5|
	s_wait_alu 0xfffd
	v_cndmask_b32_e32 v3, v3, v5, vcc_lo
	s_delay_alu instid0(VALU_DEP_1)
	v_add_f32_e32 v3, v2, v3
.LBB508_37:
	s_wait_alu 0xfffe
	s_or_b32 exec_lo, exec_lo, s5
	s_delay_alu instid0(VALU_DEP_1) | instskip(SKIP_2) | instid1(VALU_DEP_3)
	v_bfe_u32 v2, v3, 16, 1
	v_lshlrev_b32_e32 v21, 16, v17
	v_cmp_o_f32_e32 vcc_lo, v3, v3
	v_add3_u32 v2, v3, v2, 0x7fff
	s_delay_alu instid0(VALU_DEP_1) | instskip(SKIP_1) | instid1(VALU_DEP_1)
	v_dual_max_num_f32 v25, v21, v21 :: v_dual_and_b32 v2, 0xffff0000, v2
	s_wait_alu 0xfffd
	v_cndmask_b32_e32 v3, 0x7fc00000, v2, vcc_lo
	s_delay_alu instid0(VALU_DEP_1) | instskip(SKIP_1) | instid1(VALU_DEP_2)
	v_max_num_f32_e32 v2, v3, v3
	v_cmp_u_f32_e64 s5, v21, v21
	v_min_num_f32_e32 v4, v2, v25
	v_max_num_f32_e32 v2, v2, v25
	v_cmp_u_f32_e32 vcc_lo, v3, v3
	s_wait_alu 0xfffd
	s_delay_alu instid0(VALU_DEP_3) | instskip(NEXT) | instid1(VALU_DEP_3)
	v_cndmask_b32_e32 v4, v4, v3, vcc_lo
	v_cndmask_b32_e32 v2, v2, v3, vcc_lo
	s_wait_alu 0xf1ff
	s_delay_alu instid0(VALU_DEP_2) | instskip(NEXT) | instid1(VALU_DEP_2)
	v_cndmask_b32_e64 v4, v4, v21, s5
	v_cndmask_b32_e64 v2, v2, v21, s5
	s_delay_alu instid0(VALU_DEP_2) | instskip(NEXT) | instid1(VALU_DEP_2)
	v_cmp_class_f32_e64 s6, v4, 0x1f8
	v_cmp_neq_f32_e32 vcc_lo, v4, v2
	s_or_b32 s7, vcc_lo, s6
	s_wait_alu 0xfffe
	s_and_saveexec_b32 s6, s7
	s_cbranch_execz .LBB508_39
; %bb.38:
	v_sub_f32_e32 v3, v4, v2
	s_mov_b32 s7, 0x3e9b6dac
	s_delay_alu instid0(VALU_DEP_1) | instskip(SKIP_1) | instid1(VALU_DEP_2)
	v_mul_f32_e32 v4, 0x3fb8aa3b, v3
	v_cmp_ngt_f32_e32 vcc_lo, 0xc2ce8ed0, v3
	v_fma_f32 v5, 0x3fb8aa3b, v3, -v4
	v_rndne_f32_e32 v22, v4
	s_delay_alu instid0(VALU_DEP_1) | instskip(NEXT) | instid1(VALU_DEP_1)
	v_dual_fmamk_f32 v5, v3, 0x32a5705f, v5 :: v_dual_sub_f32 v4, v4, v22
	v_add_f32_e32 v4, v4, v5
	v_cvt_i32_f32_e32 v5, v22
	s_delay_alu instid0(VALU_DEP_2) | instskip(NEXT) | instid1(TRANS32_DEP_1)
	v_exp_f32_e32 v4, v4
	v_ldexp_f32 v4, v4, v5
	s_wait_alu 0xfffd
	s_delay_alu instid0(VALU_DEP_1) | instskip(SKIP_2) | instid1(VALU_DEP_2)
	v_cndmask_b32_e32 v4, 0, v4, vcc_lo
	v_cmp_nlt_f32_e32 vcc_lo, 0x42b17218, v3
	s_wait_alu 0xfffd
	v_cndmask_b32_e32 v5, 0x7f800000, v4, vcc_lo
	s_delay_alu instid0(VALU_DEP_1) | instskip(NEXT) | instid1(VALU_DEP_1)
	v_add_f32_e32 v22, 1.0, v5
	v_cvt_f64_f32_e32 v[3:4], v22
	s_delay_alu instid0(VALU_DEP_1) | instskip(SKIP_1) | instid1(VALU_DEP_1)
	v_frexp_exp_i32_f64_e32 v3, v[3:4]
	v_frexp_mant_f32_e32 v4, v22
	v_cmp_gt_f32_e32 vcc_lo, 0x3f2aaaab, v4
	v_add_f32_e32 v4, -1.0, v22
	s_delay_alu instid0(VALU_DEP_1) | instskip(SKIP_1) | instid1(VALU_DEP_2)
	v_sub_f32_e32 v26, v4, v22
	v_sub_f32_e32 v4, v5, v4
	v_add_f32_e32 v26, 1.0, v26
	s_delay_alu instid0(VALU_DEP_1) | instskip(SKIP_3) | instid1(VALU_DEP_2)
	v_add_f32_e32 v4, v4, v26
	s_wait_alu 0xfffd
	v_subrev_co_ci_u32_e64 v3, null, 0, v3, vcc_lo
	v_cmp_neq_f32_e32 vcc_lo, 0x7f800000, v5
	v_sub_nc_u32_e32 v24, 0, v3
	v_cvt_f32_i32_e32 v3, v3
	s_delay_alu instid0(VALU_DEP_2) | instskip(SKIP_1) | instid1(VALU_DEP_2)
	v_ldexp_f32 v22, v22, v24
	v_ldexp_f32 v4, v4, v24
	v_add_f32_e32 v27, 1.0, v22
	v_add_f32_e32 v24, -1.0, v22
	s_delay_alu instid0(VALU_DEP_2) | instskip(NEXT) | instid1(VALU_DEP_2)
	v_add_f32_e32 v26, -1.0, v27
	v_add_f32_e32 v28, 1.0, v24
	s_delay_alu instid0(VALU_DEP_2) | instskip(NEXT) | instid1(VALU_DEP_2)
	v_sub_f32_e32 v26, v22, v26
	v_sub_f32_e32 v22, v22, v28
	s_delay_alu instid0(VALU_DEP_2) | instskip(NEXT) | instid1(VALU_DEP_2)
	v_add_f32_e32 v26, v4, v26
	v_add_f32_e32 v4, v4, v22
	s_delay_alu instid0(VALU_DEP_1) | instskip(NEXT) | instid1(VALU_DEP_1)
	v_dual_add_f32 v28, v27, v26 :: v_dual_add_f32 v29, v24, v4
	v_rcp_f32_e32 v22, v28
	s_delay_alu instid0(VALU_DEP_1) | instskip(NEXT) | instid1(VALU_DEP_1)
	v_dual_sub_f32 v27, v27, v28 :: v_dual_sub_f32 v24, v24, v29
	v_add_f32_e32 v26, v26, v27
	s_delay_alu instid0(VALU_DEP_2) | instskip(NEXT) | instid1(TRANS32_DEP_1)
	v_add_f32_e32 v4, v4, v24
	v_mul_f32_e32 v30, v29, v22
	s_delay_alu instid0(VALU_DEP_1) | instskip(NEXT) | instid1(VALU_DEP_1)
	v_mul_f32_e32 v31, v28, v30
	v_fma_f32 v27, v30, v28, -v31
	s_delay_alu instid0(VALU_DEP_1) | instskip(NEXT) | instid1(VALU_DEP_1)
	v_fmac_f32_e32 v27, v30, v26
	v_add_f32_e32 v32, v31, v27
	s_delay_alu instid0(VALU_DEP_1) | instskip(NEXT) | instid1(VALU_DEP_1)
	v_dual_sub_f32 v33, v29, v32 :: v_dual_sub_f32 v24, v32, v31
	v_dual_sub_f32 v29, v29, v33 :: v_dual_sub_f32 v24, v24, v27
	s_delay_alu instid0(VALU_DEP_1) | instskip(NEXT) | instid1(VALU_DEP_1)
	v_sub_f32_e32 v29, v29, v32
	v_add_f32_e32 v4, v4, v29
	s_delay_alu instid0(VALU_DEP_1) | instskip(NEXT) | instid1(VALU_DEP_1)
	v_add_f32_e32 v4, v24, v4
	v_add_f32_e32 v24, v33, v4
	s_delay_alu instid0(VALU_DEP_1) | instskip(NEXT) | instid1(VALU_DEP_1)
	v_mul_f32_e32 v27, v22, v24
	v_dual_sub_f32 v32, v33, v24 :: v_dual_mul_f32 v29, v28, v27
	s_delay_alu instid0(VALU_DEP_1) | instskip(NEXT) | instid1(VALU_DEP_2)
	v_add_f32_e32 v4, v4, v32
	v_fma_f32 v28, v27, v28, -v29
	s_delay_alu instid0(VALU_DEP_1) | instskip(NEXT) | instid1(VALU_DEP_1)
	v_fmac_f32_e32 v28, v27, v26
	v_add_f32_e32 v26, v29, v28
	s_delay_alu instid0(VALU_DEP_1) | instskip(NEXT) | instid1(VALU_DEP_1)
	v_sub_f32_e32 v31, v24, v26
	v_dual_sub_f32 v29, v26, v29 :: v_dual_sub_f32 v24, v24, v31
	s_delay_alu instid0(VALU_DEP_1) | instskip(NEXT) | instid1(VALU_DEP_2)
	v_sub_f32_e32 v24, v24, v26
	v_sub_f32_e32 v26, v29, v28
	s_delay_alu instid0(VALU_DEP_2) | instskip(SKIP_1) | instid1(VALU_DEP_2)
	v_add_f32_e32 v4, v4, v24
	v_add_f32_e32 v24, v30, v27
	;; [unrolled: 1-line block ×3, first 2 shown]
	s_delay_alu instid0(VALU_DEP_2) | instskip(NEXT) | instid1(VALU_DEP_2)
	v_sub_f32_e32 v26, v24, v30
	v_add_f32_e32 v4, v31, v4
	s_delay_alu instid0(VALU_DEP_2) | instskip(NEXT) | instid1(VALU_DEP_2)
	v_sub_f32_e32 v26, v27, v26
	v_mul_f32_e32 v4, v22, v4
	s_delay_alu instid0(VALU_DEP_1) | instskip(NEXT) | instid1(VALU_DEP_1)
	v_add_f32_e32 v4, v26, v4
	v_add_f32_e32 v22, v24, v4
	s_delay_alu instid0(VALU_DEP_1) | instskip(SKIP_1) | instid1(VALU_DEP_1)
	v_mul_f32_e32 v26, v22, v22
	s_wait_alu 0xfffe
	v_fmaak_f32 v27, s7, v26, 0x3ecc95a3
	v_mul_f32_e32 v28, v22, v26
	s_delay_alu instid0(VALU_DEP_2) | instskip(SKIP_2) | instid1(VALU_DEP_3)
	v_fmaak_f32 v26, v26, v27, 0x3f2aaada
	v_ldexp_f32 v27, v22, 1
	v_sub_f32_e32 v22, v22, v24
	v_mul_f32_e32 v26, v28, v26
	v_mul_f32_e32 v28, 0x3f317218, v3
	s_delay_alu instid0(VALU_DEP_3) | instskip(NEXT) | instid1(VALU_DEP_3)
	v_sub_f32_e32 v4, v4, v22
	v_add_f32_e32 v24, v27, v26
	s_delay_alu instid0(VALU_DEP_2) | instskip(NEXT) | instid1(VALU_DEP_2)
	v_ldexp_f32 v4, v4, 1
	v_sub_f32_e32 v22, v24, v27
	v_fma_f32 v27, 0x3f317218, v3, -v28
	s_delay_alu instid0(VALU_DEP_1) | instskip(NEXT) | instid1(VALU_DEP_1)
	v_dual_sub_f32 v22, v26, v22 :: v_dual_fmamk_f32 v3, v3, 0xb102e308, v27
	v_add_f32_e32 v4, v4, v22
	s_delay_alu instid0(VALU_DEP_2) | instskip(NEXT) | instid1(VALU_DEP_2)
	v_add_f32_e32 v22, v28, v3
	v_add_f32_e32 v26, v24, v4
	s_delay_alu instid0(VALU_DEP_2) | instskip(NEXT) | instid1(VALU_DEP_2)
	v_sub_f32_e32 v28, v22, v28
	v_add_f32_e32 v27, v22, v26
	v_sub_f32_e32 v24, v26, v24
	s_delay_alu instid0(VALU_DEP_3) | instskip(NEXT) | instid1(VALU_DEP_2)
	v_sub_f32_e32 v3, v3, v28
	v_dual_sub_f32 v29, v27, v22 :: v_dual_sub_f32 v4, v4, v24
	s_delay_alu instid0(VALU_DEP_1) | instskip(SKIP_1) | instid1(VALU_DEP_3)
	v_sub_f32_e32 v30, v27, v29
	v_sub_f32_e32 v24, v26, v29
	v_add_f32_e32 v26, v3, v4
	s_delay_alu instid0(VALU_DEP_3) | instskip(NEXT) | instid1(VALU_DEP_1)
	v_sub_f32_e32 v22, v22, v30
	v_add_f32_e32 v22, v24, v22
	s_delay_alu instid0(VALU_DEP_3) | instskip(NEXT) | instid1(VALU_DEP_2)
	v_sub_f32_e32 v24, v26, v3
	v_add_f32_e32 v22, v26, v22
	s_delay_alu instid0(VALU_DEP_2) | instskip(SKIP_1) | instid1(VALU_DEP_3)
	v_sub_f32_e32 v26, v26, v24
	v_sub_f32_e32 v4, v4, v24
	v_add_f32_e32 v28, v27, v22
	s_delay_alu instid0(VALU_DEP_1) | instskip(NEXT) | instid1(VALU_DEP_1)
	v_dual_sub_f32 v3, v3, v26 :: v_dual_sub_f32 v24, v28, v27
	v_dual_add_f32 v3, v4, v3 :: v_dual_sub_f32 v4, v22, v24
	s_delay_alu instid0(VALU_DEP_1) | instskip(NEXT) | instid1(VALU_DEP_1)
	v_add_f32_e32 v3, v3, v4
	v_add_f32_e32 v3, v28, v3
	s_wait_alu 0xfffd
	s_delay_alu instid0(VALU_DEP_1) | instskip(SKIP_2) | instid1(VALU_DEP_2)
	v_cndmask_b32_e32 v3, 0x7f800000, v3, vcc_lo
	v_cmp_gt_f32_e64 vcc_lo, 0x33800000, |v5|
	s_wait_alu 0xfffd
	v_cndmask_b32_e32 v3, v3, v5, vcc_lo
	s_delay_alu instid0(VALU_DEP_1)
	v_add_f32_e32 v3, v2, v3
.LBB508_39:
	s_wait_alu 0xfffe
	s_or_b32 exec_lo, exec_lo, s6
	s_delay_alu instid0(VALU_DEP_1) | instskip(SKIP_1) | instid1(VALU_DEP_2)
	v_bfe_u32 v2, v3, 16, 1
	v_cmp_o_f32_e32 vcc_lo, v3, v3
	v_add3_u32 v2, v3, v2, 0x7fff
	s_delay_alu instid0(VALU_DEP_1) | instskip(SKIP_1) | instid1(VALU_DEP_1)
	v_and_b32_e32 v2, 0xffff0000, v2
	s_wait_alu 0xfffd
	v_dual_cndmask_b32 v3, 0x7fc00000, v2 :: v_dual_lshlrev_b32 v22, 16, v16
	s_delay_alu instid0(VALU_DEP_1) | instskip(SKIP_1) | instid1(VALU_DEP_3)
	v_max_num_f32_e32 v27, v22, v22
	v_cmp_u_f32_e64 s6, v22, v22
	v_max_num_f32_e32 v2, v3, v3
	v_cmp_u_f32_e32 vcc_lo, v3, v3
	s_delay_alu instid0(VALU_DEP_2) | instskip(SKIP_2) | instid1(VALU_DEP_2)
	v_min_num_f32_e32 v4, v2, v27
	v_max_num_f32_e32 v2, v2, v27
	s_wait_alu 0xfffd
	v_cndmask_b32_e32 v4, v4, v3, vcc_lo
	s_delay_alu instid0(VALU_DEP_2) | instskip(SKIP_1) | instid1(VALU_DEP_2)
	v_cndmask_b32_e32 v2, v2, v3, vcc_lo
	s_wait_alu 0xf1ff
	v_cndmask_b32_e64 v4, v4, v22, s6
	s_delay_alu instid0(VALU_DEP_2) | instskip(NEXT) | instid1(VALU_DEP_2)
	v_cndmask_b32_e64 v2, v2, v22, s6
	v_cmp_class_f32_e64 s7, v4, 0x1f8
	s_delay_alu instid0(VALU_DEP_2) | instskip(SKIP_1) | instid1(SALU_CYCLE_1)
	v_cmp_neq_f32_e32 vcc_lo, v4, v2
	s_or_b32 s8, vcc_lo, s7
	s_and_saveexec_b32 s7, s8
	s_cbranch_execz .LBB508_41
; %bb.40:
	v_sub_f32_e32 v3, v4, v2
	s_mov_b32 s8, 0x3e9b6dac
	s_delay_alu instid0(VALU_DEP_1) | instskip(SKIP_1) | instid1(VALU_DEP_2)
	v_mul_f32_e32 v4, 0x3fb8aa3b, v3
	v_cmp_ngt_f32_e32 vcc_lo, 0xc2ce8ed0, v3
	v_fma_f32 v5, 0x3fb8aa3b, v3, -v4
	v_rndne_f32_e32 v24, v4
	s_delay_alu instid0(VALU_DEP_1) | instskip(NEXT) | instid1(VALU_DEP_1)
	v_dual_fmamk_f32 v5, v3, 0x32a5705f, v5 :: v_dual_sub_f32 v4, v4, v24
	v_add_f32_e32 v4, v4, v5
	v_cvt_i32_f32_e32 v5, v24
	s_delay_alu instid0(VALU_DEP_2) | instskip(NEXT) | instid1(TRANS32_DEP_1)
	v_exp_f32_e32 v4, v4
	v_ldexp_f32 v4, v4, v5
	s_wait_alu 0xfffd
	s_delay_alu instid0(VALU_DEP_1) | instskip(SKIP_2) | instid1(VALU_DEP_2)
	v_cndmask_b32_e32 v4, 0, v4, vcc_lo
	v_cmp_nlt_f32_e32 vcc_lo, 0x42b17218, v3
	s_wait_alu 0xfffd
	v_cndmask_b32_e32 v5, 0x7f800000, v4, vcc_lo
	s_delay_alu instid0(VALU_DEP_1) | instskip(NEXT) | instid1(VALU_DEP_1)
	v_add_f32_e32 v24, 1.0, v5
	v_cvt_f64_f32_e32 v[3:4], v24
	s_delay_alu instid0(VALU_DEP_1) | instskip(SKIP_1) | instid1(VALU_DEP_1)
	v_frexp_exp_i32_f64_e32 v3, v[3:4]
	v_frexp_mant_f32_e32 v4, v24
	v_cmp_gt_f32_e32 vcc_lo, 0x3f2aaaab, v4
	v_add_f32_e32 v4, -1.0, v24
	s_delay_alu instid0(VALU_DEP_1) | instskip(SKIP_1) | instid1(VALU_DEP_2)
	v_sub_f32_e32 v28, v4, v24
	v_sub_f32_e32 v4, v5, v4
	v_add_f32_e32 v28, 1.0, v28
	s_delay_alu instid0(VALU_DEP_1) | instskip(SKIP_2) | instid1(VALU_DEP_1)
	v_add_f32_e32 v4, v4, v28
	s_wait_alu 0xfffd
	v_subrev_co_ci_u32_e64 v3, null, 0, v3, vcc_lo
	v_sub_nc_u32_e32 v26, 0, v3
	v_cvt_f32_i32_e32 v3, v3
	s_delay_alu instid0(VALU_DEP_2) | instskip(SKIP_1) | instid1(VALU_DEP_2)
	v_ldexp_f32 v24, v24, v26
	v_ldexp_f32 v4, v4, v26
	v_add_f32_e32 v29, 1.0, v24
	v_add_f32_e32 v26, -1.0, v24
	s_delay_alu instid0(VALU_DEP_2) | instskip(NEXT) | instid1(VALU_DEP_2)
	v_add_f32_e32 v28, -1.0, v29
	v_add_f32_e32 v30, 1.0, v26
	v_cmp_neq_f32_e32 vcc_lo, 0x7f800000, v5
	s_delay_alu instid0(VALU_DEP_3) | instskip(NEXT) | instid1(VALU_DEP_3)
	v_sub_f32_e32 v28, v24, v28
	v_sub_f32_e32 v24, v24, v30
	s_delay_alu instid0(VALU_DEP_2) | instskip(NEXT) | instid1(VALU_DEP_2)
	v_add_f32_e32 v28, v4, v28
	v_add_f32_e32 v4, v4, v24
	s_delay_alu instid0(VALU_DEP_2) | instskip(NEXT) | instid1(VALU_DEP_2)
	v_add_f32_e32 v30, v29, v28
	v_add_f32_e32 v31, v26, v4
	s_delay_alu instid0(VALU_DEP_2) | instskip(NEXT) | instid1(VALU_DEP_1)
	v_rcp_f32_e32 v24, v30
	v_dual_sub_f32 v29, v29, v30 :: v_dual_sub_f32 v26, v26, v31
	s_delay_alu instid0(VALU_DEP_1) | instskip(NEXT) | instid1(VALU_DEP_2)
	v_add_f32_e32 v28, v28, v29
	v_add_f32_e32 v4, v4, v26
	s_delay_alu instid0(TRANS32_DEP_1) | instskip(NEXT) | instid1(VALU_DEP_1)
	v_mul_f32_e32 v32, v31, v24
	v_mul_f32_e32 v33, v30, v32
	s_delay_alu instid0(VALU_DEP_1) | instskip(NEXT) | instid1(VALU_DEP_1)
	v_fma_f32 v29, v32, v30, -v33
	v_fmac_f32_e32 v29, v32, v28
	s_delay_alu instid0(VALU_DEP_1) | instskip(NEXT) | instid1(VALU_DEP_1)
	v_add_f32_e32 v34, v33, v29
	v_dual_sub_f32 v35, v31, v34 :: v_dual_sub_f32 v26, v34, v33
	s_delay_alu instid0(VALU_DEP_1) | instskip(NEXT) | instid1(VALU_DEP_1)
	v_dual_sub_f32 v31, v31, v35 :: v_dual_sub_f32 v26, v26, v29
	v_sub_f32_e32 v31, v31, v34
	s_delay_alu instid0(VALU_DEP_1) | instskip(NEXT) | instid1(VALU_DEP_1)
	v_add_f32_e32 v4, v4, v31
	v_add_f32_e32 v4, v26, v4
	s_delay_alu instid0(VALU_DEP_1) | instskip(NEXT) | instid1(VALU_DEP_1)
	v_add_f32_e32 v26, v35, v4
	v_mul_f32_e32 v29, v24, v26
	s_delay_alu instid0(VALU_DEP_1) | instskip(NEXT) | instid1(VALU_DEP_1)
	v_dual_sub_f32 v34, v35, v26 :: v_dual_mul_f32 v31, v30, v29
	v_add_f32_e32 v4, v4, v34
	s_delay_alu instid0(VALU_DEP_2) | instskip(NEXT) | instid1(VALU_DEP_1)
	v_fma_f32 v30, v29, v30, -v31
	v_fmac_f32_e32 v30, v29, v28
	s_delay_alu instid0(VALU_DEP_1) | instskip(NEXT) | instid1(VALU_DEP_1)
	v_add_f32_e32 v28, v31, v30
	v_sub_f32_e32 v33, v26, v28
	s_delay_alu instid0(VALU_DEP_1) | instskip(NEXT) | instid1(VALU_DEP_1)
	v_dual_sub_f32 v31, v28, v31 :: v_dual_sub_f32 v26, v26, v33
	v_sub_f32_e32 v26, v26, v28
	s_delay_alu instid0(VALU_DEP_2) | instskip(NEXT) | instid1(VALU_DEP_2)
	v_sub_f32_e32 v28, v31, v30
	v_add_f32_e32 v4, v4, v26
	v_add_f32_e32 v26, v32, v29
	s_delay_alu instid0(VALU_DEP_2) | instskip(NEXT) | instid1(VALU_DEP_2)
	v_add_f32_e32 v4, v28, v4
	v_sub_f32_e32 v28, v26, v32
	s_delay_alu instid0(VALU_DEP_2) | instskip(NEXT) | instid1(VALU_DEP_2)
	v_add_f32_e32 v4, v33, v4
	v_sub_f32_e32 v28, v29, v28
	s_delay_alu instid0(VALU_DEP_2) | instskip(NEXT) | instid1(VALU_DEP_1)
	v_mul_f32_e32 v4, v24, v4
	v_add_f32_e32 v4, v28, v4
	s_delay_alu instid0(VALU_DEP_1) | instskip(NEXT) | instid1(VALU_DEP_1)
	v_add_f32_e32 v24, v26, v4
	v_mul_f32_e32 v28, v24, v24
	s_delay_alu instid0(VALU_DEP_1) | instskip(SKIP_1) | instid1(VALU_DEP_2)
	v_fmaak_f32 v29, s8, v28, 0x3ecc95a3
	v_mul_f32_e32 v30, v24, v28
	v_fmaak_f32 v28, v28, v29, 0x3f2aaada
	v_ldexp_f32 v29, v24, 1
	v_sub_f32_e32 v24, v24, v26
	s_delay_alu instid0(VALU_DEP_3) | instskip(SKIP_1) | instid1(VALU_DEP_3)
	v_mul_f32_e32 v28, v30, v28
	v_mul_f32_e32 v30, 0x3f317218, v3
	v_sub_f32_e32 v4, v4, v24
	s_delay_alu instid0(VALU_DEP_3) | instskip(NEXT) | instid1(VALU_DEP_2)
	v_add_f32_e32 v26, v29, v28
	v_ldexp_f32 v4, v4, 1
	s_delay_alu instid0(VALU_DEP_2) | instskip(SKIP_1) | instid1(VALU_DEP_1)
	v_sub_f32_e32 v24, v26, v29
	v_fma_f32 v29, 0x3f317218, v3, -v30
	v_dual_sub_f32 v24, v28, v24 :: v_dual_fmamk_f32 v3, v3, 0xb102e308, v29
	s_delay_alu instid0(VALU_DEP_1) | instskip(NEXT) | instid1(VALU_DEP_2)
	v_add_f32_e32 v4, v4, v24
	v_add_f32_e32 v24, v30, v3
	s_delay_alu instid0(VALU_DEP_2) | instskip(NEXT) | instid1(VALU_DEP_2)
	v_add_f32_e32 v28, v26, v4
	v_sub_f32_e32 v30, v24, v30
	s_delay_alu instid0(VALU_DEP_2) | instskip(SKIP_1) | instid1(VALU_DEP_3)
	v_add_f32_e32 v29, v24, v28
	v_sub_f32_e32 v26, v28, v26
	v_sub_f32_e32 v3, v3, v30
	s_delay_alu instid0(VALU_DEP_2) | instskip(NEXT) | instid1(VALU_DEP_1)
	v_dual_sub_f32 v31, v29, v24 :: v_dual_sub_f32 v4, v4, v26
	v_sub_f32_e32 v32, v29, v31
	v_sub_f32_e32 v26, v28, v31
	s_delay_alu instid0(VALU_DEP_3) | instskip(NEXT) | instid1(VALU_DEP_3)
	v_add_f32_e32 v28, v3, v4
	v_sub_f32_e32 v24, v24, v32
	s_delay_alu instid0(VALU_DEP_1) | instskip(NEXT) | instid1(VALU_DEP_3)
	v_add_f32_e32 v24, v26, v24
	v_sub_f32_e32 v26, v28, v3
	s_delay_alu instid0(VALU_DEP_2) | instskip(NEXT) | instid1(VALU_DEP_2)
	v_add_f32_e32 v24, v28, v24
	v_sub_f32_e32 v28, v28, v26
	v_sub_f32_e32 v4, v4, v26
	s_delay_alu instid0(VALU_DEP_3) | instskip(NEXT) | instid1(VALU_DEP_1)
	v_add_f32_e32 v30, v29, v24
	v_dual_sub_f32 v3, v3, v28 :: v_dual_sub_f32 v26, v30, v29
	s_delay_alu instid0(VALU_DEP_1) | instskip(NEXT) | instid1(VALU_DEP_2)
	v_add_f32_e32 v3, v4, v3
	v_sub_f32_e32 v4, v24, v26
	s_delay_alu instid0(VALU_DEP_1) | instskip(NEXT) | instid1(VALU_DEP_1)
	v_add_f32_e32 v3, v3, v4
	v_add_f32_e32 v3, v30, v3
	s_wait_alu 0xfffd
	s_delay_alu instid0(VALU_DEP_1) | instskip(SKIP_2) | instid1(VALU_DEP_2)
	v_cndmask_b32_e32 v3, 0x7f800000, v3, vcc_lo
	v_cmp_gt_f32_e64 vcc_lo, 0x33800000, |v5|
	s_wait_alu 0xfffd
	v_cndmask_b32_e32 v3, v3, v5, vcc_lo
	s_delay_alu instid0(VALU_DEP_1)
	v_add_f32_e32 v3, v2, v3
.LBB508_41:
	s_wait_alu 0xfffe
	s_or_b32 exec_lo, exec_lo, s7
	s_delay_alu instid0(VALU_DEP_1) | instskip(SKIP_2) | instid1(VALU_DEP_3)
	v_bfe_u32 v2, v3, 16, 1
	v_cmp_o_f32_e32 vcc_lo, v3, v3
	v_lshlrev_b32_e32 v24, 16, v15
	v_add3_u32 v2, v3, v2, 0x7fff
	s_delay_alu instid0(VALU_DEP_1) | instskip(SKIP_1) | instid1(VALU_DEP_1)
	v_dual_max_num_f32 v29, v24, v24 :: v_dual_and_b32 v2, 0xffff0000, v2
	s_wait_alu 0xfffd
	v_cndmask_b32_e32 v3, 0x7fc00000, v2, vcc_lo
	v_cmp_u_f32_e64 s7, v24, v24
	s_delay_alu instid0(VALU_DEP_2) | instskip(SKIP_1) | instid1(VALU_DEP_2)
	v_max_num_f32_e32 v2, v3, v3
	v_cmp_u_f32_e32 vcc_lo, v3, v3
	v_min_num_f32_e32 v4, v2, v29
	v_max_num_f32_e32 v2, v2, v29
	s_wait_alu 0xfffd
	s_delay_alu instid0(VALU_DEP_2) | instskip(NEXT) | instid1(VALU_DEP_2)
	v_cndmask_b32_e32 v4, v4, v3, vcc_lo
	v_cndmask_b32_e32 v2, v2, v3, vcc_lo
	s_wait_alu 0xf1ff
	s_delay_alu instid0(VALU_DEP_2) | instskip(NEXT) | instid1(VALU_DEP_2)
	v_cndmask_b32_e64 v4, v4, v24, s7
	v_cndmask_b32_e64 v2, v2, v24, s7
	s_delay_alu instid0(VALU_DEP_2) | instskip(NEXT) | instid1(VALU_DEP_2)
	v_cmp_class_f32_e64 s8, v4, 0x1f8
	v_cmp_neq_f32_e32 vcc_lo, v4, v2
	s_or_b32 s9, vcc_lo, s8
	s_wait_alu 0xfffe
	s_and_saveexec_b32 s8, s9
	s_cbranch_execz .LBB508_43
; %bb.42:
	v_sub_f32_e32 v3, v4, v2
	s_mov_b32 s9, 0x3e9b6dac
	s_delay_alu instid0(VALU_DEP_1) | instskip(SKIP_1) | instid1(VALU_DEP_2)
	v_mul_f32_e32 v4, 0x3fb8aa3b, v3
	v_cmp_ngt_f32_e32 vcc_lo, 0xc2ce8ed0, v3
	v_fma_f32 v5, 0x3fb8aa3b, v3, -v4
	v_rndne_f32_e32 v26, v4
	s_delay_alu instid0(VALU_DEP_1) | instskip(NEXT) | instid1(VALU_DEP_1)
	v_dual_fmamk_f32 v5, v3, 0x32a5705f, v5 :: v_dual_sub_f32 v4, v4, v26
	v_add_f32_e32 v4, v4, v5
	v_cvt_i32_f32_e32 v5, v26
	s_delay_alu instid0(VALU_DEP_2) | instskip(NEXT) | instid1(TRANS32_DEP_1)
	v_exp_f32_e32 v4, v4
	v_ldexp_f32 v4, v4, v5
	s_wait_alu 0xfffd
	s_delay_alu instid0(VALU_DEP_1) | instskip(SKIP_2) | instid1(VALU_DEP_2)
	v_cndmask_b32_e32 v4, 0, v4, vcc_lo
	v_cmp_nlt_f32_e32 vcc_lo, 0x42b17218, v3
	s_wait_alu 0xfffd
	v_cndmask_b32_e32 v5, 0x7f800000, v4, vcc_lo
	s_delay_alu instid0(VALU_DEP_1) | instskip(NEXT) | instid1(VALU_DEP_1)
	v_add_f32_e32 v26, 1.0, v5
	v_cvt_f64_f32_e32 v[3:4], v26
	s_delay_alu instid0(VALU_DEP_1) | instskip(SKIP_1) | instid1(VALU_DEP_1)
	v_frexp_exp_i32_f64_e32 v3, v[3:4]
	v_frexp_mant_f32_e32 v4, v26
	v_cmp_gt_f32_e32 vcc_lo, 0x3f2aaaab, v4
	v_add_f32_e32 v4, -1.0, v26
	s_delay_alu instid0(VALU_DEP_1) | instskip(SKIP_1) | instid1(VALU_DEP_2)
	v_sub_f32_e32 v30, v4, v26
	v_sub_f32_e32 v4, v5, v4
	v_add_f32_e32 v30, 1.0, v30
	s_delay_alu instid0(VALU_DEP_1) | instskip(SKIP_3) | instid1(VALU_DEP_2)
	v_add_f32_e32 v4, v4, v30
	s_wait_alu 0xfffd
	v_subrev_co_ci_u32_e64 v3, null, 0, v3, vcc_lo
	v_cmp_neq_f32_e32 vcc_lo, 0x7f800000, v5
	v_sub_nc_u32_e32 v28, 0, v3
	v_cvt_f32_i32_e32 v3, v3
	s_delay_alu instid0(VALU_DEP_2) | instskip(SKIP_1) | instid1(VALU_DEP_2)
	v_ldexp_f32 v26, v26, v28
	v_ldexp_f32 v4, v4, v28
	v_add_f32_e32 v31, 1.0, v26
	v_add_f32_e32 v28, -1.0, v26
	s_delay_alu instid0(VALU_DEP_2) | instskip(NEXT) | instid1(VALU_DEP_2)
	v_add_f32_e32 v30, -1.0, v31
	v_add_f32_e32 v32, 1.0, v28
	s_delay_alu instid0(VALU_DEP_2) | instskip(NEXT) | instid1(VALU_DEP_2)
	v_sub_f32_e32 v30, v26, v30
	v_sub_f32_e32 v26, v26, v32
	s_delay_alu instid0(VALU_DEP_2) | instskip(NEXT) | instid1(VALU_DEP_2)
	v_add_f32_e32 v30, v4, v30
	v_add_f32_e32 v4, v4, v26
	s_delay_alu instid0(VALU_DEP_1) | instskip(NEXT) | instid1(VALU_DEP_1)
	v_dual_add_f32 v32, v31, v30 :: v_dual_add_f32 v33, v28, v4
	v_rcp_f32_e32 v26, v32
	s_delay_alu instid0(VALU_DEP_1) | instskip(NEXT) | instid1(VALU_DEP_1)
	v_dual_sub_f32 v31, v31, v32 :: v_dual_sub_f32 v28, v28, v33
	v_add_f32_e32 v30, v30, v31
	s_delay_alu instid0(VALU_DEP_2) | instskip(NEXT) | instid1(TRANS32_DEP_1)
	v_add_f32_e32 v4, v4, v28
	v_mul_f32_e32 v34, v33, v26
	s_delay_alu instid0(VALU_DEP_1) | instskip(NEXT) | instid1(VALU_DEP_1)
	v_mul_f32_e32 v35, v32, v34
	v_fma_f32 v31, v34, v32, -v35
	s_delay_alu instid0(VALU_DEP_1) | instskip(NEXT) | instid1(VALU_DEP_1)
	v_fmac_f32_e32 v31, v34, v30
	v_add_f32_e32 v36, v35, v31
	s_delay_alu instid0(VALU_DEP_1) | instskip(NEXT) | instid1(VALU_DEP_1)
	v_dual_sub_f32 v37, v33, v36 :: v_dual_sub_f32 v28, v36, v35
	v_dual_sub_f32 v33, v33, v37 :: v_dual_sub_f32 v28, v28, v31
	s_delay_alu instid0(VALU_DEP_1) | instskip(NEXT) | instid1(VALU_DEP_1)
	v_sub_f32_e32 v33, v33, v36
	v_add_f32_e32 v4, v4, v33
	s_delay_alu instid0(VALU_DEP_1) | instskip(NEXT) | instid1(VALU_DEP_1)
	v_add_f32_e32 v4, v28, v4
	v_add_f32_e32 v28, v37, v4
	s_delay_alu instid0(VALU_DEP_1) | instskip(NEXT) | instid1(VALU_DEP_1)
	v_mul_f32_e32 v31, v26, v28
	v_dual_sub_f32 v36, v37, v28 :: v_dual_mul_f32 v33, v32, v31
	s_delay_alu instid0(VALU_DEP_1) | instskip(NEXT) | instid1(VALU_DEP_2)
	v_add_f32_e32 v4, v4, v36
	v_fma_f32 v32, v31, v32, -v33
	s_delay_alu instid0(VALU_DEP_1) | instskip(NEXT) | instid1(VALU_DEP_1)
	v_fmac_f32_e32 v32, v31, v30
	v_add_f32_e32 v30, v33, v32
	s_delay_alu instid0(VALU_DEP_1) | instskip(NEXT) | instid1(VALU_DEP_1)
	v_sub_f32_e32 v35, v28, v30
	v_dual_sub_f32 v33, v30, v33 :: v_dual_sub_f32 v28, v28, v35
	s_delay_alu instid0(VALU_DEP_1) | instskip(NEXT) | instid1(VALU_DEP_2)
	v_sub_f32_e32 v28, v28, v30
	v_sub_f32_e32 v30, v33, v32
	s_delay_alu instid0(VALU_DEP_2) | instskip(SKIP_1) | instid1(VALU_DEP_2)
	v_add_f32_e32 v4, v4, v28
	v_add_f32_e32 v28, v34, v31
	;; [unrolled: 1-line block ×3, first 2 shown]
	s_delay_alu instid0(VALU_DEP_2) | instskip(NEXT) | instid1(VALU_DEP_2)
	v_sub_f32_e32 v30, v28, v34
	v_add_f32_e32 v4, v35, v4
	s_delay_alu instid0(VALU_DEP_2) | instskip(NEXT) | instid1(VALU_DEP_2)
	v_sub_f32_e32 v30, v31, v30
	v_mul_f32_e32 v4, v26, v4
	s_delay_alu instid0(VALU_DEP_1) | instskip(NEXT) | instid1(VALU_DEP_1)
	v_add_f32_e32 v4, v30, v4
	v_add_f32_e32 v26, v28, v4
	s_delay_alu instid0(VALU_DEP_1) | instskip(SKIP_1) | instid1(VALU_DEP_1)
	v_mul_f32_e32 v30, v26, v26
	s_wait_alu 0xfffe
	v_fmaak_f32 v31, s9, v30, 0x3ecc95a3
	v_mul_f32_e32 v32, v26, v30
	s_delay_alu instid0(VALU_DEP_2) | instskip(SKIP_2) | instid1(VALU_DEP_3)
	v_fmaak_f32 v30, v30, v31, 0x3f2aaada
	v_ldexp_f32 v31, v26, 1
	v_sub_f32_e32 v26, v26, v28
	v_mul_f32_e32 v30, v32, v30
	v_mul_f32_e32 v32, 0x3f317218, v3
	s_delay_alu instid0(VALU_DEP_3) | instskip(NEXT) | instid1(VALU_DEP_3)
	v_sub_f32_e32 v4, v4, v26
	v_add_f32_e32 v28, v31, v30
	s_delay_alu instid0(VALU_DEP_2) | instskip(NEXT) | instid1(VALU_DEP_2)
	v_ldexp_f32 v4, v4, 1
	v_sub_f32_e32 v26, v28, v31
	v_fma_f32 v31, 0x3f317218, v3, -v32
	s_delay_alu instid0(VALU_DEP_1) | instskip(NEXT) | instid1(VALU_DEP_1)
	v_dual_sub_f32 v26, v30, v26 :: v_dual_fmamk_f32 v3, v3, 0xb102e308, v31
	v_add_f32_e32 v4, v4, v26
	s_delay_alu instid0(VALU_DEP_2) | instskip(NEXT) | instid1(VALU_DEP_2)
	v_add_f32_e32 v26, v32, v3
	v_add_f32_e32 v30, v28, v4
	s_delay_alu instid0(VALU_DEP_2) | instskip(NEXT) | instid1(VALU_DEP_2)
	v_sub_f32_e32 v32, v26, v32
	v_add_f32_e32 v31, v26, v30
	v_sub_f32_e32 v28, v30, v28
	s_delay_alu instid0(VALU_DEP_3) | instskip(NEXT) | instid1(VALU_DEP_2)
	v_sub_f32_e32 v3, v3, v32
	v_dual_sub_f32 v33, v31, v26 :: v_dual_sub_f32 v4, v4, v28
	s_delay_alu instid0(VALU_DEP_1) | instskip(SKIP_1) | instid1(VALU_DEP_3)
	v_sub_f32_e32 v34, v31, v33
	v_sub_f32_e32 v28, v30, v33
	v_add_f32_e32 v30, v3, v4
	s_delay_alu instid0(VALU_DEP_3) | instskip(NEXT) | instid1(VALU_DEP_1)
	v_sub_f32_e32 v26, v26, v34
	v_add_f32_e32 v26, v28, v26
	s_delay_alu instid0(VALU_DEP_3) | instskip(NEXT) | instid1(VALU_DEP_2)
	v_sub_f32_e32 v28, v30, v3
	v_add_f32_e32 v26, v30, v26
	s_delay_alu instid0(VALU_DEP_2) | instskip(SKIP_1) | instid1(VALU_DEP_3)
	v_sub_f32_e32 v30, v30, v28
	v_sub_f32_e32 v4, v4, v28
	v_add_f32_e32 v32, v31, v26
	s_delay_alu instid0(VALU_DEP_1) | instskip(NEXT) | instid1(VALU_DEP_1)
	v_dual_sub_f32 v3, v3, v30 :: v_dual_sub_f32 v28, v32, v31
	v_dual_add_f32 v3, v4, v3 :: v_dual_sub_f32 v4, v26, v28
	s_delay_alu instid0(VALU_DEP_1) | instskip(NEXT) | instid1(VALU_DEP_1)
	v_add_f32_e32 v3, v3, v4
	v_add_f32_e32 v3, v32, v3
	s_wait_alu 0xfffd
	s_delay_alu instid0(VALU_DEP_1) | instskip(SKIP_2) | instid1(VALU_DEP_2)
	v_cndmask_b32_e32 v3, 0x7f800000, v3, vcc_lo
	v_cmp_gt_f32_e64 vcc_lo, 0x33800000, |v5|
	s_wait_alu 0xfffd
	v_cndmask_b32_e32 v3, v3, v5, vcc_lo
	s_delay_alu instid0(VALU_DEP_1)
	v_add_f32_e32 v3, v2, v3
.LBB508_43:
	s_wait_alu 0xfffe
	s_or_b32 exec_lo, exec_lo, s8
	s_delay_alu instid0(VALU_DEP_1) | instskip(SKIP_2) | instid1(VALU_DEP_3)
	v_bfe_u32 v2, v3, 16, 1
	v_lshlrev_b32_e32 v26, 16, v14
	v_cmp_o_f32_e32 vcc_lo, v3, v3
	v_add3_u32 v2, v3, v2, 0x7fff
	s_delay_alu instid0(VALU_DEP_3) | instskip(SKIP_1) | instid1(VALU_DEP_3)
	v_max_num_f32_e32 v31, v26, v26
	v_cmp_u_f32_e64 s8, v26, v26
	v_and_b32_e32 v2, 0xffff0000, v2
	s_wait_alu 0xfffd
	s_delay_alu instid0(VALU_DEP_1) | instskip(NEXT) | instid1(VALU_DEP_1)
	v_cndmask_b32_e32 v3, 0x7fc00000, v2, vcc_lo
	v_max_num_f32_e32 v2, v3, v3
	s_delay_alu instid0(VALU_DEP_1) | instskip(SKIP_3) | instid1(VALU_DEP_3)
	v_min_num_f32_e32 v4, v2, v31
	v_max_num_f32_e32 v2, v2, v31
	v_cmp_u_f32_e32 vcc_lo, v3, v3
	s_wait_alu 0xfffd
	v_cndmask_b32_e32 v4, v4, v3, vcc_lo
	s_delay_alu instid0(VALU_DEP_3) | instskip(SKIP_1) | instid1(VALU_DEP_2)
	v_cndmask_b32_e32 v2, v2, v3, vcc_lo
	s_wait_alu 0xf1ff
	v_cndmask_b32_e64 v4, v4, v26, s8
	s_delay_alu instid0(VALU_DEP_2) | instskip(NEXT) | instid1(VALU_DEP_2)
	v_cndmask_b32_e64 v2, v2, v26, s8
	v_cmp_class_f32_e64 s9, v4, 0x1f8
	s_delay_alu instid0(VALU_DEP_2) | instskip(SKIP_1) | instid1(SALU_CYCLE_1)
	v_cmp_neq_f32_e32 vcc_lo, v4, v2
	s_or_b32 s10, vcc_lo, s9
	s_and_saveexec_b32 s9, s10
	s_cbranch_execz .LBB508_45
; %bb.44:
	v_sub_f32_e32 v3, v4, v2
	s_mov_b32 s10, 0x3e9b6dac
	s_delay_alu instid0(VALU_DEP_1) | instskip(SKIP_1) | instid1(VALU_DEP_2)
	v_mul_f32_e32 v4, 0x3fb8aa3b, v3
	v_cmp_ngt_f32_e32 vcc_lo, 0xc2ce8ed0, v3
	v_fma_f32 v5, 0x3fb8aa3b, v3, -v4
	v_rndne_f32_e32 v28, v4
	s_delay_alu instid0(VALU_DEP_1) | instskip(NEXT) | instid1(VALU_DEP_1)
	v_dual_fmamk_f32 v5, v3, 0x32a5705f, v5 :: v_dual_sub_f32 v4, v4, v28
	v_add_f32_e32 v4, v4, v5
	v_cvt_i32_f32_e32 v5, v28
	s_delay_alu instid0(VALU_DEP_2) | instskip(NEXT) | instid1(TRANS32_DEP_1)
	v_exp_f32_e32 v4, v4
	v_ldexp_f32 v4, v4, v5
	s_wait_alu 0xfffd
	s_delay_alu instid0(VALU_DEP_1) | instskip(SKIP_2) | instid1(VALU_DEP_2)
	v_cndmask_b32_e32 v4, 0, v4, vcc_lo
	v_cmp_nlt_f32_e32 vcc_lo, 0x42b17218, v3
	s_wait_alu 0xfffd
	v_cndmask_b32_e32 v5, 0x7f800000, v4, vcc_lo
	s_delay_alu instid0(VALU_DEP_1) | instskip(NEXT) | instid1(VALU_DEP_1)
	v_add_f32_e32 v28, 1.0, v5
	v_cvt_f64_f32_e32 v[3:4], v28
	s_delay_alu instid0(VALU_DEP_1) | instskip(SKIP_1) | instid1(VALU_DEP_1)
	v_frexp_exp_i32_f64_e32 v3, v[3:4]
	v_frexp_mant_f32_e32 v4, v28
	v_cmp_gt_f32_e32 vcc_lo, 0x3f2aaaab, v4
	v_add_f32_e32 v4, -1.0, v28
	s_delay_alu instid0(VALU_DEP_1) | instskip(SKIP_1) | instid1(VALU_DEP_2)
	v_sub_f32_e32 v32, v4, v28
	v_sub_f32_e32 v4, v5, v4
	v_add_f32_e32 v32, 1.0, v32
	s_delay_alu instid0(VALU_DEP_1) | instskip(SKIP_2) | instid1(VALU_DEP_1)
	v_add_f32_e32 v4, v4, v32
	s_wait_alu 0xfffd
	v_subrev_co_ci_u32_e64 v3, null, 0, v3, vcc_lo
	v_sub_nc_u32_e32 v30, 0, v3
	v_cvt_f32_i32_e32 v3, v3
	s_delay_alu instid0(VALU_DEP_2) | instskip(SKIP_1) | instid1(VALU_DEP_2)
	v_ldexp_f32 v28, v28, v30
	v_ldexp_f32 v4, v4, v30
	v_add_f32_e32 v33, 1.0, v28
	v_add_f32_e32 v30, -1.0, v28
	s_delay_alu instid0(VALU_DEP_2) | instskip(NEXT) | instid1(VALU_DEP_2)
	v_add_f32_e32 v32, -1.0, v33
	v_add_f32_e32 v34, 1.0, v30
	v_cmp_neq_f32_e32 vcc_lo, 0x7f800000, v5
	s_delay_alu instid0(VALU_DEP_3) | instskip(NEXT) | instid1(VALU_DEP_3)
	v_sub_f32_e32 v32, v28, v32
	v_sub_f32_e32 v28, v28, v34
	s_delay_alu instid0(VALU_DEP_2) | instskip(NEXT) | instid1(VALU_DEP_2)
	v_add_f32_e32 v32, v4, v32
	v_add_f32_e32 v4, v4, v28
	s_delay_alu instid0(VALU_DEP_2) | instskip(NEXT) | instid1(VALU_DEP_2)
	v_add_f32_e32 v34, v33, v32
	v_add_f32_e32 v35, v30, v4
	s_delay_alu instid0(VALU_DEP_2) | instskip(NEXT) | instid1(VALU_DEP_1)
	v_rcp_f32_e32 v28, v34
	v_dual_sub_f32 v33, v33, v34 :: v_dual_sub_f32 v30, v30, v35
	s_delay_alu instid0(VALU_DEP_1) | instskip(NEXT) | instid1(VALU_DEP_2)
	v_add_f32_e32 v32, v32, v33
	v_add_f32_e32 v4, v4, v30
	s_delay_alu instid0(TRANS32_DEP_1) | instskip(NEXT) | instid1(VALU_DEP_1)
	v_mul_f32_e32 v36, v35, v28
	v_mul_f32_e32 v37, v34, v36
	s_delay_alu instid0(VALU_DEP_1) | instskip(NEXT) | instid1(VALU_DEP_1)
	v_fma_f32 v33, v36, v34, -v37
	v_fmac_f32_e32 v33, v36, v32
	s_delay_alu instid0(VALU_DEP_1) | instskip(NEXT) | instid1(VALU_DEP_1)
	v_add_f32_e32 v38, v37, v33
	v_dual_sub_f32 v39, v35, v38 :: v_dual_sub_f32 v30, v38, v37
	s_delay_alu instid0(VALU_DEP_1) | instskip(NEXT) | instid1(VALU_DEP_1)
	v_dual_sub_f32 v35, v35, v39 :: v_dual_sub_f32 v30, v30, v33
	v_sub_f32_e32 v35, v35, v38
	s_delay_alu instid0(VALU_DEP_1) | instskip(NEXT) | instid1(VALU_DEP_1)
	v_add_f32_e32 v4, v4, v35
	v_add_f32_e32 v4, v30, v4
	s_delay_alu instid0(VALU_DEP_1) | instskip(NEXT) | instid1(VALU_DEP_1)
	v_add_f32_e32 v30, v39, v4
	v_mul_f32_e32 v33, v28, v30
	s_delay_alu instid0(VALU_DEP_1) | instskip(NEXT) | instid1(VALU_DEP_1)
	v_dual_sub_f32 v38, v39, v30 :: v_dual_mul_f32 v35, v34, v33
	v_add_f32_e32 v4, v4, v38
	s_delay_alu instid0(VALU_DEP_2) | instskip(NEXT) | instid1(VALU_DEP_1)
	v_fma_f32 v34, v33, v34, -v35
	v_fmac_f32_e32 v34, v33, v32
	s_delay_alu instid0(VALU_DEP_1) | instskip(NEXT) | instid1(VALU_DEP_1)
	v_add_f32_e32 v32, v35, v34
	v_sub_f32_e32 v37, v30, v32
	s_delay_alu instid0(VALU_DEP_1) | instskip(NEXT) | instid1(VALU_DEP_1)
	v_dual_sub_f32 v35, v32, v35 :: v_dual_sub_f32 v30, v30, v37
	v_sub_f32_e32 v30, v30, v32
	s_delay_alu instid0(VALU_DEP_2) | instskip(NEXT) | instid1(VALU_DEP_2)
	v_sub_f32_e32 v32, v35, v34
	v_add_f32_e32 v4, v4, v30
	v_add_f32_e32 v30, v36, v33
	s_delay_alu instid0(VALU_DEP_2) | instskip(NEXT) | instid1(VALU_DEP_2)
	v_add_f32_e32 v4, v32, v4
	v_sub_f32_e32 v32, v30, v36
	s_delay_alu instid0(VALU_DEP_2) | instskip(NEXT) | instid1(VALU_DEP_2)
	v_add_f32_e32 v4, v37, v4
	v_sub_f32_e32 v32, v33, v32
	s_delay_alu instid0(VALU_DEP_2) | instskip(NEXT) | instid1(VALU_DEP_1)
	v_mul_f32_e32 v4, v28, v4
	v_add_f32_e32 v4, v32, v4
	s_delay_alu instid0(VALU_DEP_1) | instskip(NEXT) | instid1(VALU_DEP_1)
	v_add_f32_e32 v28, v30, v4
	v_mul_f32_e32 v32, v28, v28
	s_delay_alu instid0(VALU_DEP_1) | instskip(SKIP_1) | instid1(VALU_DEP_2)
	v_fmaak_f32 v33, s10, v32, 0x3ecc95a3
	v_mul_f32_e32 v34, v28, v32
	v_fmaak_f32 v32, v32, v33, 0x3f2aaada
	v_ldexp_f32 v33, v28, 1
	v_sub_f32_e32 v28, v28, v30
	s_delay_alu instid0(VALU_DEP_3) | instskip(SKIP_1) | instid1(VALU_DEP_3)
	v_mul_f32_e32 v32, v34, v32
	v_mul_f32_e32 v34, 0x3f317218, v3
	v_sub_f32_e32 v4, v4, v28
	s_delay_alu instid0(VALU_DEP_3) | instskip(NEXT) | instid1(VALU_DEP_2)
	v_add_f32_e32 v30, v33, v32
	v_ldexp_f32 v4, v4, 1
	s_delay_alu instid0(VALU_DEP_2) | instskip(SKIP_1) | instid1(VALU_DEP_1)
	v_sub_f32_e32 v28, v30, v33
	v_fma_f32 v33, 0x3f317218, v3, -v34
	v_dual_sub_f32 v28, v32, v28 :: v_dual_fmamk_f32 v3, v3, 0xb102e308, v33
	s_delay_alu instid0(VALU_DEP_1) | instskip(NEXT) | instid1(VALU_DEP_2)
	v_add_f32_e32 v4, v4, v28
	v_add_f32_e32 v28, v34, v3
	s_delay_alu instid0(VALU_DEP_2) | instskip(NEXT) | instid1(VALU_DEP_2)
	v_add_f32_e32 v32, v30, v4
	v_sub_f32_e32 v34, v28, v34
	s_delay_alu instid0(VALU_DEP_2) | instskip(SKIP_1) | instid1(VALU_DEP_3)
	v_add_f32_e32 v33, v28, v32
	v_sub_f32_e32 v30, v32, v30
	v_sub_f32_e32 v3, v3, v34
	s_delay_alu instid0(VALU_DEP_2) | instskip(NEXT) | instid1(VALU_DEP_1)
	v_dual_sub_f32 v35, v33, v28 :: v_dual_sub_f32 v4, v4, v30
	v_sub_f32_e32 v36, v33, v35
	v_sub_f32_e32 v30, v32, v35
	s_delay_alu instid0(VALU_DEP_3) | instskip(NEXT) | instid1(VALU_DEP_3)
	v_add_f32_e32 v32, v3, v4
	v_sub_f32_e32 v28, v28, v36
	s_delay_alu instid0(VALU_DEP_1) | instskip(NEXT) | instid1(VALU_DEP_3)
	v_add_f32_e32 v28, v30, v28
	v_sub_f32_e32 v30, v32, v3
	s_delay_alu instid0(VALU_DEP_2) | instskip(NEXT) | instid1(VALU_DEP_2)
	v_add_f32_e32 v28, v32, v28
	v_sub_f32_e32 v32, v32, v30
	v_sub_f32_e32 v4, v4, v30
	s_delay_alu instid0(VALU_DEP_3) | instskip(NEXT) | instid1(VALU_DEP_1)
	v_add_f32_e32 v34, v33, v28
	v_dual_sub_f32 v3, v3, v32 :: v_dual_sub_f32 v30, v34, v33
	s_delay_alu instid0(VALU_DEP_1) | instskip(NEXT) | instid1(VALU_DEP_2)
	v_add_f32_e32 v3, v4, v3
	v_sub_f32_e32 v4, v28, v30
	s_delay_alu instid0(VALU_DEP_1) | instskip(NEXT) | instid1(VALU_DEP_1)
	v_add_f32_e32 v3, v3, v4
	v_add_f32_e32 v3, v34, v3
	s_wait_alu 0xfffd
	s_delay_alu instid0(VALU_DEP_1) | instskip(SKIP_2) | instid1(VALU_DEP_2)
	v_cndmask_b32_e32 v3, 0x7f800000, v3, vcc_lo
	v_cmp_gt_f32_e64 vcc_lo, 0x33800000, |v5|
	s_wait_alu 0xfffd
	v_cndmask_b32_e32 v3, v3, v5, vcc_lo
	s_delay_alu instid0(VALU_DEP_1)
	v_add_f32_e32 v3, v2, v3
.LBB508_45:
	s_wait_alu 0xfffe
	s_or_b32 exec_lo, exec_lo, s9
	s_delay_alu instid0(VALU_DEP_1) | instskip(SKIP_2) | instid1(VALU_DEP_3)
	v_bfe_u32 v2, v3, 16, 1
	v_cmp_o_f32_e32 vcc_lo, v3, v3
	v_lshlrev_b32_e32 v28, 16, v13
	v_add3_u32 v2, v3, v2, 0x7fff
	s_delay_alu instid0(VALU_DEP_1) | instskip(SKIP_1) | instid1(VALU_DEP_1)
	v_dual_max_num_f32 v33, v28, v28 :: v_dual_and_b32 v2, 0xffff0000, v2
	s_wait_alu 0xfffd
	v_cndmask_b32_e32 v3, 0x7fc00000, v2, vcc_lo
	v_cmp_u_f32_e64 s9, v28, v28
	s_delay_alu instid0(VALU_DEP_2) | instskip(SKIP_1) | instid1(VALU_DEP_2)
	v_max_num_f32_e32 v2, v3, v3
	v_cmp_u_f32_e32 vcc_lo, v3, v3
	v_min_num_f32_e32 v4, v2, v33
	v_max_num_f32_e32 v2, v2, v33
	s_wait_alu 0xfffd
	s_delay_alu instid0(VALU_DEP_2) | instskip(NEXT) | instid1(VALU_DEP_2)
	v_cndmask_b32_e32 v4, v4, v3, vcc_lo
	v_cndmask_b32_e32 v2, v2, v3, vcc_lo
	s_wait_alu 0xf1ff
	s_delay_alu instid0(VALU_DEP_2) | instskip(NEXT) | instid1(VALU_DEP_2)
	v_cndmask_b32_e64 v4, v4, v28, s9
	v_cndmask_b32_e64 v2, v2, v28, s9
	s_delay_alu instid0(VALU_DEP_2) | instskip(NEXT) | instid1(VALU_DEP_2)
	v_cmp_class_f32_e64 s10, v4, 0x1f8
	v_cmp_neq_f32_e32 vcc_lo, v4, v2
	s_or_b32 s11, vcc_lo, s10
	s_wait_alu 0xfffe
	s_and_saveexec_b32 s10, s11
	s_cbranch_execz .LBB508_47
; %bb.46:
	v_sub_f32_e32 v3, v4, v2
	s_mov_b32 s11, 0x3e9b6dac
	s_delay_alu instid0(VALU_DEP_1) | instskip(SKIP_1) | instid1(VALU_DEP_2)
	v_mul_f32_e32 v4, 0x3fb8aa3b, v3
	v_cmp_ngt_f32_e32 vcc_lo, 0xc2ce8ed0, v3
	v_fma_f32 v5, 0x3fb8aa3b, v3, -v4
	v_rndne_f32_e32 v30, v4
	s_delay_alu instid0(VALU_DEP_1) | instskip(NEXT) | instid1(VALU_DEP_1)
	v_dual_fmamk_f32 v5, v3, 0x32a5705f, v5 :: v_dual_sub_f32 v4, v4, v30
	v_add_f32_e32 v4, v4, v5
	v_cvt_i32_f32_e32 v5, v30
	s_delay_alu instid0(VALU_DEP_2) | instskip(NEXT) | instid1(TRANS32_DEP_1)
	v_exp_f32_e32 v4, v4
	v_ldexp_f32 v4, v4, v5
	s_wait_alu 0xfffd
	s_delay_alu instid0(VALU_DEP_1) | instskip(SKIP_2) | instid1(VALU_DEP_2)
	v_cndmask_b32_e32 v4, 0, v4, vcc_lo
	v_cmp_nlt_f32_e32 vcc_lo, 0x42b17218, v3
	s_wait_alu 0xfffd
	v_cndmask_b32_e32 v5, 0x7f800000, v4, vcc_lo
	s_delay_alu instid0(VALU_DEP_1) | instskip(NEXT) | instid1(VALU_DEP_1)
	v_add_f32_e32 v30, 1.0, v5
	v_cvt_f64_f32_e32 v[3:4], v30
	s_delay_alu instid0(VALU_DEP_1) | instskip(SKIP_1) | instid1(VALU_DEP_1)
	v_frexp_exp_i32_f64_e32 v3, v[3:4]
	v_frexp_mant_f32_e32 v4, v30
	v_cmp_gt_f32_e32 vcc_lo, 0x3f2aaaab, v4
	v_add_f32_e32 v4, -1.0, v30
	s_delay_alu instid0(VALU_DEP_1) | instskip(SKIP_1) | instid1(VALU_DEP_2)
	v_sub_f32_e32 v34, v4, v30
	v_sub_f32_e32 v4, v5, v4
	v_add_f32_e32 v34, 1.0, v34
	s_delay_alu instid0(VALU_DEP_1) | instskip(SKIP_3) | instid1(VALU_DEP_2)
	v_add_f32_e32 v4, v4, v34
	s_wait_alu 0xfffd
	v_subrev_co_ci_u32_e64 v3, null, 0, v3, vcc_lo
	v_cmp_neq_f32_e32 vcc_lo, 0x7f800000, v5
	v_sub_nc_u32_e32 v32, 0, v3
	v_cvt_f32_i32_e32 v3, v3
	s_delay_alu instid0(VALU_DEP_2) | instskip(SKIP_1) | instid1(VALU_DEP_2)
	v_ldexp_f32 v30, v30, v32
	v_ldexp_f32 v4, v4, v32
	v_add_f32_e32 v35, 1.0, v30
	v_add_f32_e32 v32, -1.0, v30
	s_delay_alu instid0(VALU_DEP_2) | instskip(NEXT) | instid1(VALU_DEP_2)
	v_add_f32_e32 v34, -1.0, v35
	v_add_f32_e32 v36, 1.0, v32
	s_delay_alu instid0(VALU_DEP_2) | instskip(NEXT) | instid1(VALU_DEP_2)
	v_sub_f32_e32 v34, v30, v34
	v_sub_f32_e32 v30, v30, v36
	s_delay_alu instid0(VALU_DEP_2) | instskip(NEXT) | instid1(VALU_DEP_2)
	v_add_f32_e32 v34, v4, v34
	v_add_f32_e32 v4, v4, v30
	s_delay_alu instid0(VALU_DEP_1) | instskip(NEXT) | instid1(VALU_DEP_1)
	v_dual_add_f32 v36, v35, v34 :: v_dual_add_f32 v37, v32, v4
	v_rcp_f32_e32 v30, v36
	s_delay_alu instid0(VALU_DEP_1) | instskip(NEXT) | instid1(VALU_DEP_1)
	v_dual_sub_f32 v35, v35, v36 :: v_dual_sub_f32 v32, v32, v37
	v_add_f32_e32 v34, v34, v35
	s_delay_alu instid0(VALU_DEP_2) | instskip(NEXT) | instid1(TRANS32_DEP_1)
	v_add_f32_e32 v4, v4, v32
	v_mul_f32_e32 v38, v37, v30
	s_delay_alu instid0(VALU_DEP_1) | instskip(NEXT) | instid1(VALU_DEP_1)
	v_mul_f32_e32 v39, v36, v38
	v_fma_f32 v35, v38, v36, -v39
	s_delay_alu instid0(VALU_DEP_1) | instskip(NEXT) | instid1(VALU_DEP_1)
	v_fmac_f32_e32 v35, v38, v34
	v_add_f32_e32 v42, v39, v35
	s_delay_alu instid0(VALU_DEP_1) | instskip(NEXT) | instid1(VALU_DEP_1)
	v_dual_sub_f32 v43, v37, v42 :: v_dual_sub_f32 v32, v42, v39
	v_sub_f32_e32 v37, v37, v43
	s_delay_alu instid0(VALU_DEP_1) | instskip(NEXT) | instid1(VALU_DEP_1)
	v_dual_sub_f32 v32, v32, v35 :: v_dual_sub_f32 v37, v37, v42
	v_add_f32_e32 v4, v4, v37
	s_delay_alu instid0(VALU_DEP_1) | instskip(NEXT) | instid1(VALU_DEP_1)
	v_add_f32_e32 v4, v32, v4
	v_add_f32_e32 v32, v43, v4
	s_delay_alu instid0(VALU_DEP_1) | instskip(NEXT) | instid1(VALU_DEP_1)
	v_mul_f32_e32 v35, v30, v32
	v_dual_sub_f32 v42, v43, v32 :: v_dual_mul_f32 v37, v36, v35
	s_delay_alu instid0(VALU_DEP_1) | instskip(NEXT) | instid1(VALU_DEP_2)
	v_add_f32_e32 v4, v4, v42
	v_fma_f32 v36, v35, v36, -v37
	s_delay_alu instid0(VALU_DEP_1) | instskip(NEXT) | instid1(VALU_DEP_1)
	v_fmac_f32_e32 v36, v35, v34
	v_add_f32_e32 v34, v37, v36
	s_delay_alu instid0(VALU_DEP_1) | instskip(NEXT) | instid1(VALU_DEP_1)
	v_sub_f32_e32 v39, v32, v34
	v_dual_sub_f32 v37, v34, v37 :: v_dual_sub_f32 v32, v32, v39
	s_delay_alu instid0(VALU_DEP_1) | instskip(NEXT) | instid1(VALU_DEP_2)
	v_sub_f32_e32 v32, v32, v34
	v_sub_f32_e32 v34, v37, v36
	s_delay_alu instid0(VALU_DEP_2) | instskip(SKIP_1) | instid1(VALU_DEP_2)
	v_add_f32_e32 v4, v4, v32
	v_add_f32_e32 v32, v38, v35
	;; [unrolled: 1-line block ×3, first 2 shown]
	s_delay_alu instid0(VALU_DEP_2) | instskip(NEXT) | instid1(VALU_DEP_2)
	v_sub_f32_e32 v34, v32, v38
	v_add_f32_e32 v4, v39, v4
	s_delay_alu instid0(VALU_DEP_2) | instskip(NEXT) | instid1(VALU_DEP_2)
	v_sub_f32_e32 v34, v35, v34
	v_mul_f32_e32 v4, v30, v4
	s_delay_alu instid0(VALU_DEP_1) | instskip(NEXT) | instid1(VALU_DEP_1)
	v_add_f32_e32 v4, v34, v4
	v_add_f32_e32 v30, v32, v4
	s_delay_alu instid0(VALU_DEP_1) | instskip(SKIP_1) | instid1(VALU_DEP_1)
	v_mul_f32_e32 v34, v30, v30
	s_wait_alu 0xfffe
	v_fmaak_f32 v35, s11, v34, 0x3ecc95a3
	v_mul_f32_e32 v36, v30, v34
	s_delay_alu instid0(VALU_DEP_2) | instskip(SKIP_2) | instid1(VALU_DEP_3)
	v_fmaak_f32 v34, v34, v35, 0x3f2aaada
	v_ldexp_f32 v35, v30, 1
	v_sub_f32_e32 v30, v30, v32
	v_mul_f32_e32 v34, v36, v34
	v_mul_f32_e32 v36, 0x3f317218, v3
	s_delay_alu instid0(VALU_DEP_3) | instskip(NEXT) | instid1(VALU_DEP_3)
	v_sub_f32_e32 v4, v4, v30
	v_add_f32_e32 v32, v35, v34
	s_delay_alu instid0(VALU_DEP_2) | instskip(NEXT) | instid1(VALU_DEP_2)
	v_ldexp_f32 v4, v4, 1
	v_sub_f32_e32 v30, v32, v35
	v_fma_f32 v35, 0x3f317218, v3, -v36
	s_delay_alu instid0(VALU_DEP_1) | instskip(NEXT) | instid1(VALU_DEP_1)
	v_dual_sub_f32 v30, v34, v30 :: v_dual_fmamk_f32 v3, v3, 0xb102e308, v35
	v_add_f32_e32 v4, v4, v30
	s_delay_alu instid0(VALU_DEP_2) | instskip(NEXT) | instid1(VALU_DEP_2)
	v_add_f32_e32 v30, v36, v3
	v_add_f32_e32 v34, v32, v4
	s_delay_alu instid0(VALU_DEP_2) | instskip(NEXT) | instid1(VALU_DEP_2)
	v_sub_f32_e32 v36, v30, v36
	v_add_f32_e32 v35, v30, v34
	v_sub_f32_e32 v32, v34, v32
	s_delay_alu instid0(VALU_DEP_3) | instskip(NEXT) | instid1(VALU_DEP_2)
	v_sub_f32_e32 v3, v3, v36
	v_dual_sub_f32 v37, v35, v30 :: v_dual_sub_f32 v4, v4, v32
	s_delay_alu instid0(VALU_DEP_1) | instskip(SKIP_1) | instid1(VALU_DEP_3)
	v_sub_f32_e32 v38, v35, v37
	v_sub_f32_e32 v32, v34, v37
	v_add_f32_e32 v34, v3, v4
	s_delay_alu instid0(VALU_DEP_3) | instskip(NEXT) | instid1(VALU_DEP_1)
	v_sub_f32_e32 v30, v30, v38
	v_add_f32_e32 v30, v32, v30
	s_delay_alu instid0(VALU_DEP_3) | instskip(NEXT) | instid1(VALU_DEP_2)
	v_sub_f32_e32 v32, v34, v3
	v_add_f32_e32 v30, v34, v30
	s_delay_alu instid0(VALU_DEP_2) | instskip(SKIP_1) | instid1(VALU_DEP_3)
	v_sub_f32_e32 v34, v34, v32
	v_sub_f32_e32 v4, v4, v32
	v_add_f32_e32 v36, v35, v30
	s_delay_alu instid0(VALU_DEP_1) | instskip(NEXT) | instid1(VALU_DEP_1)
	v_dual_sub_f32 v3, v3, v34 :: v_dual_sub_f32 v32, v36, v35
	v_dual_add_f32 v3, v4, v3 :: v_dual_sub_f32 v4, v30, v32
	s_delay_alu instid0(VALU_DEP_1) | instskip(NEXT) | instid1(VALU_DEP_1)
	v_add_f32_e32 v3, v3, v4
	v_add_f32_e32 v3, v36, v3
	s_wait_alu 0xfffd
	s_delay_alu instid0(VALU_DEP_1) | instskip(SKIP_2) | instid1(VALU_DEP_2)
	v_cndmask_b32_e32 v3, 0x7f800000, v3, vcc_lo
	v_cmp_gt_f32_e64 vcc_lo, 0x33800000, |v5|
	s_wait_alu 0xfffd
	v_cndmask_b32_e32 v3, v3, v5, vcc_lo
	s_delay_alu instid0(VALU_DEP_1)
	v_add_f32_e32 v3, v2, v3
.LBB508_47:
	s_wait_alu 0xfffe
	s_or_b32 exec_lo, exec_lo, s10
	s_delay_alu instid0(VALU_DEP_1) | instskip(SKIP_1) | instid1(VALU_DEP_2)
	v_bfe_u32 v2, v3, 16, 1
	v_cmp_o_f32_e32 vcc_lo, v3, v3
	v_add3_u32 v2, v3, v2, 0x7fff
	s_delay_alu instid0(VALU_DEP_1) | instskip(SKIP_1) | instid1(VALU_DEP_1)
	v_and_b32_e32 v2, 0xffff0000, v2
	s_wait_alu 0xfffd
	v_dual_cndmask_b32 v3, 0x7fc00000, v2 :: v_dual_lshlrev_b32 v30, 16, v12
	s_delay_alu instid0(VALU_DEP_1) | instskip(SKIP_1) | instid1(VALU_DEP_3)
	v_max_num_f32_e32 v35, v30, v30
	v_cmp_u_f32_e64 s10, v30, v30
	v_max_num_f32_e32 v2, v3, v3
	v_cmp_u_f32_e32 vcc_lo, v3, v3
	s_delay_alu instid0(VALU_DEP_2) | instskip(SKIP_2) | instid1(VALU_DEP_2)
	v_min_num_f32_e32 v4, v2, v35
	v_max_num_f32_e32 v2, v2, v35
	s_wait_alu 0xfffd
	v_cndmask_b32_e32 v4, v4, v3, vcc_lo
	s_delay_alu instid0(VALU_DEP_2) | instskip(SKIP_1) | instid1(VALU_DEP_2)
	v_cndmask_b32_e32 v2, v2, v3, vcc_lo
	s_wait_alu 0xf1ff
	v_cndmask_b32_e64 v4, v4, v30, s10
	s_delay_alu instid0(VALU_DEP_2) | instskip(NEXT) | instid1(VALU_DEP_2)
	v_cndmask_b32_e64 v2, v2, v30, s10
	v_cmp_class_f32_e64 s11, v4, 0x1f8
	s_delay_alu instid0(VALU_DEP_2) | instskip(SKIP_1) | instid1(SALU_CYCLE_1)
	v_cmp_neq_f32_e32 vcc_lo, v4, v2
	s_or_b32 s12, vcc_lo, s11
	s_and_saveexec_b32 s11, s12
	s_cbranch_execz .LBB508_49
; %bb.48:
	v_sub_f32_e32 v3, v4, v2
	s_mov_b32 s12, 0x3e9b6dac
	s_delay_alu instid0(VALU_DEP_1) | instskip(SKIP_1) | instid1(VALU_DEP_2)
	v_mul_f32_e32 v4, 0x3fb8aa3b, v3
	v_cmp_ngt_f32_e32 vcc_lo, 0xc2ce8ed0, v3
	v_fma_f32 v5, 0x3fb8aa3b, v3, -v4
	v_rndne_f32_e32 v32, v4
	s_delay_alu instid0(VALU_DEP_1) | instskip(NEXT) | instid1(VALU_DEP_1)
	v_dual_fmamk_f32 v5, v3, 0x32a5705f, v5 :: v_dual_sub_f32 v4, v4, v32
	v_add_f32_e32 v4, v4, v5
	v_cvt_i32_f32_e32 v5, v32
	s_delay_alu instid0(VALU_DEP_2) | instskip(NEXT) | instid1(TRANS32_DEP_1)
	v_exp_f32_e32 v4, v4
	v_ldexp_f32 v4, v4, v5
	s_wait_alu 0xfffd
	s_delay_alu instid0(VALU_DEP_1) | instskip(SKIP_2) | instid1(VALU_DEP_2)
	v_cndmask_b32_e32 v4, 0, v4, vcc_lo
	v_cmp_nlt_f32_e32 vcc_lo, 0x42b17218, v3
	s_wait_alu 0xfffd
	v_cndmask_b32_e32 v5, 0x7f800000, v4, vcc_lo
	s_delay_alu instid0(VALU_DEP_1) | instskip(NEXT) | instid1(VALU_DEP_1)
	v_add_f32_e32 v32, 1.0, v5
	v_cvt_f64_f32_e32 v[3:4], v32
	s_delay_alu instid0(VALU_DEP_1) | instskip(SKIP_1) | instid1(VALU_DEP_1)
	v_frexp_exp_i32_f64_e32 v3, v[3:4]
	v_frexp_mant_f32_e32 v4, v32
	v_cmp_gt_f32_e32 vcc_lo, 0x3f2aaaab, v4
	v_add_f32_e32 v4, -1.0, v32
	s_delay_alu instid0(VALU_DEP_1) | instskip(SKIP_1) | instid1(VALU_DEP_2)
	v_sub_f32_e32 v36, v4, v32
	v_sub_f32_e32 v4, v5, v4
	v_add_f32_e32 v36, 1.0, v36
	s_wait_alu 0xfffd
	v_subrev_co_ci_u32_e64 v3, null, 0, v3, vcc_lo
	s_delay_alu instid0(VALU_DEP_1) | instskip(SKIP_2) | instid1(VALU_DEP_3)
	v_sub_nc_u32_e32 v34, 0, v3
	v_cvt_f32_i32_e32 v3, v3
	v_add_f32_e32 v4, v4, v36
	v_ldexp_f32 v32, v32, v34
	s_delay_alu instid0(VALU_DEP_2) | instskip(NEXT) | instid1(VALU_DEP_2)
	v_ldexp_f32 v4, v4, v34
	v_add_f32_e32 v37, 1.0, v32
	v_add_f32_e32 v34, -1.0, v32
	s_delay_alu instid0(VALU_DEP_2) | instskip(NEXT) | instid1(VALU_DEP_2)
	v_add_f32_e32 v36, -1.0, v37
	v_add_f32_e32 v38, 1.0, v34
	v_cmp_neq_f32_e32 vcc_lo, 0x7f800000, v5
	s_delay_alu instid0(VALU_DEP_3) | instskip(NEXT) | instid1(VALU_DEP_3)
	v_sub_f32_e32 v36, v32, v36
	v_sub_f32_e32 v32, v32, v38
	s_delay_alu instid0(VALU_DEP_2) | instskip(NEXT) | instid1(VALU_DEP_2)
	v_add_f32_e32 v36, v4, v36
	v_add_f32_e32 v4, v4, v32
	s_delay_alu instid0(VALU_DEP_2) | instskip(NEXT) | instid1(VALU_DEP_2)
	v_add_f32_e32 v38, v37, v36
	v_add_f32_e32 v39, v34, v4
	s_delay_alu instid0(VALU_DEP_2) | instskip(NEXT) | instid1(VALU_DEP_1)
	v_rcp_f32_e32 v32, v38
	v_dual_sub_f32 v37, v37, v38 :: v_dual_sub_f32 v34, v34, v39
	s_delay_alu instid0(VALU_DEP_1) | instskip(NEXT) | instid1(VALU_DEP_2)
	v_add_f32_e32 v36, v36, v37
	v_add_f32_e32 v4, v4, v34
	s_delay_alu instid0(TRANS32_DEP_1) | instskip(NEXT) | instid1(VALU_DEP_1)
	v_mul_f32_e32 v42, v39, v32
	v_mul_f32_e32 v43, v38, v42
	s_delay_alu instid0(VALU_DEP_1) | instskip(NEXT) | instid1(VALU_DEP_1)
	v_fma_f32 v37, v42, v38, -v43
	v_fmac_f32_e32 v37, v42, v36
	s_delay_alu instid0(VALU_DEP_1) | instskip(NEXT) | instid1(VALU_DEP_1)
	v_add_f32_e32 v44, v43, v37
	v_dual_sub_f32 v45, v39, v44 :: v_dual_sub_f32 v34, v44, v43
	s_delay_alu instid0(VALU_DEP_1) | instskip(NEXT) | instid1(VALU_DEP_1)
	v_sub_f32_e32 v39, v39, v45
	v_dual_sub_f32 v34, v34, v37 :: v_dual_sub_f32 v39, v39, v44
	s_delay_alu instid0(VALU_DEP_1) | instskip(NEXT) | instid1(VALU_DEP_1)
	v_add_f32_e32 v4, v4, v39
	v_add_f32_e32 v4, v34, v4
	s_delay_alu instid0(VALU_DEP_1) | instskip(NEXT) | instid1(VALU_DEP_1)
	v_add_f32_e32 v34, v45, v4
	v_mul_f32_e32 v37, v32, v34
	s_delay_alu instid0(VALU_DEP_1) | instskip(NEXT) | instid1(VALU_DEP_1)
	v_dual_sub_f32 v44, v45, v34 :: v_dual_mul_f32 v39, v38, v37
	v_add_f32_e32 v4, v4, v44
	s_delay_alu instid0(VALU_DEP_2) | instskip(NEXT) | instid1(VALU_DEP_1)
	v_fma_f32 v38, v37, v38, -v39
	v_fmac_f32_e32 v38, v37, v36
	s_delay_alu instid0(VALU_DEP_1) | instskip(NEXT) | instid1(VALU_DEP_1)
	v_add_f32_e32 v36, v39, v38
	v_sub_f32_e32 v43, v34, v36
	v_sub_f32_e32 v39, v36, v39
	s_delay_alu instid0(VALU_DEP_2) | instskip(NEXT) | instid1(VALU_DEP_1)
	v_sub_f32_e32 v34, v34, v43
	v_sub_f32_e32 v34, v34, v36
	s_delay_alu instid0(VALU_DEP_3) | instskip(NEXT) | instid1(VALU_DEP_2)
	v_sub_f32_e32 v36, v39, v38
	v_add_f32_e32 v4, v4, v34
	v_add_f32_e32 v34, v42, v37
	s_delay_alu instid0(VALU_DEP_2) | instskip(NEXT) | instid1(VALU_DEP_2)
	v_add_f32_e32 v4, v36, v4
	v_sub_f32_e32 v36, v34, v42
	s_delay_alu instid0(VALU_DEP_2) | instskip(NEXT) | instid1(VALU_DEP_2)
	v_add_f32_e32 v4, v43, v4
	v_sub_f32_e32 v36, v37, v36
	s_delay_alu instid0(VALU_DEP_2) | instskip(NEXT) | instid1(VALU_DEP_1)
	v_mul_f32_e32 v4, v32, v4
	v_add_f32_e32 v4, v36, v4
	s_delay_alu instid0(VALU_DEP_1) | instskip(NEXT) | instid1(VALU_DEP_1)
	v_add_f32_e32 v32, v34, v4
	v_mul_f32_e32 v36, v32, v32
	s_delay_alu instid0(VALU_DEP_1) | instskip(SKIP_1) | instid1(VALU_DEP_2)
	v_fmaak_f32 v37, s12, v36, 0x3ecc95a3
	v_mul_f32_e32 v38, v32, v36
	v_fmaak_f32 v36, v36, v37, 0x3f2aaada
	v_ldexp_f32 v37, v32, 1
	v_sub_f32_e32 v32, v32, v34
	s_delay_alu instid0(VALU_DEP_3) | instskip(SKIP_1) | instid1(VALU_DEP_3)
	v_mul_f32_e32 v36, v38, v36
	v_mul_f32_e32 v38, 0x3f317218, v3
	v_sub_f32_e32 v4, v4, v32
	s_delay_alu instid0(VALU_DEP_3) | instskip(NEXT) | instid1(VALU_DEP_2)
	v_add_f32_e32 v34, v37, v36
	v_ldexp_f32 v4, v4, 1
	s_delay_alu instid0(VALU_DEP_2) | instskip(SKIP_1) | instid1(VALU_DEP_1)
	v_sub_f32_e32 v32, v34, v37
	v_fma_f32 v37, 0x3f317218, v3, -v38
	v_dual_sub_f32 v32, v36, v32 :: v_dual_fmamk_f32 v3, v3, 0xb102e308, v37
	s_delay_alu instid0(VALU_DEP_1) | instskip(NEXT) | instid1(VALU_DEP_2)
	v_add_f32_e32 v4, v4, v32
	v_add_f32_e32 v32, v38, v3
	s_delay_alu instid0(VALU_DEP_2) | instskip(NEXT) | instid1(VALU_DEP_2)
	v_add_f32_e32 v36, v34, v4
	v_sub_f32_e32 v38, v32, v38
	s_delay_alu instid0(VALU_DEP_2) | instskip(SKIP_1) | instid1(VALU_DEP_3)
	v_add_f32_e32 v37, v32, v36
	v_sub_f32_e32 v34, v36, v34
	v_sub_f32_e32 v3, v3, v38
	s_delay_alu instid0(VALU_DEP_2) | instskip(NEXT) | instid1(VALU_DEP_1)
	v_dual_sub_f32 v39, v37, v32 :: v_dual_sub_f32 v4, v4, v34
	v_sub_f32_e32 v42, v37, v39
	v_sub_f32_e32 v34, v36, v39
	s_delay_alu instid0(VALU_DEP_3) | instskip(NEXT) | instid1(VALU_DEP_3)
	v_add_f32_e32 v36, v3, v4
	v_sub_f32_e32 v32, v32, v42
	s_delay_alu instid0(VALU_DEP_1) | instskip(NEXT) | instid1(VALU_DEP_3)
	v_add_f32_e32 v32, v34, v32
	v_sub_f32_e32 v34, v36, v3
	s_delay_alu instid0(VALU_DEP_2) | instskip(NEXT) | instid1(VALU_DEP_2)
	v_add_f32_e32 v32, v36, v32
	v_sub_f32_e32 v36, v36, v34
	v_sub_f32_e32 v4, v4, v34
	s_delay_alu instid0(VALU_DEP_3) | instskip(NEXT) | instid1(VALU_DEP_1)
	v_add_f32_e32 v38, v37, v32
	v_dual_sub_f32 v3, v3, v36 :: v_dual_sub_f32 v34, v38, v37
	s_delay_alu instid0(VALU_DEP_1) | instskip(NEXT) | instid1(VALU_DEP_2)
	v_add_f32_e32 v3, v4, v3
	v_sub_f32_e32 v4, v32, v34
	s_delay_alu instid0(VALU_DEP_1) | instskip(NEXT) | instid1(VALU_DEP_1)
	v_add_f32_e32 v3, v3, v4
	v_add_f32_e32 v3, v38, v3
	s_wait_alu 0xfffd
	s_delay_alu instid0(VALU_DEP_1) | instskip(SKIP_2) | instid1(VALU_DEP_2)
	v_cndmask_b32_e32 v3, 0x7f800000, v3, vcc_lo
	v_cmp_gt_f32_e64 vcc_lo, 0x33800000, |v5|
	s_wait_alu 0xfffd
	v_cndmask_b32_e32 v3, v3, v5, vcc_lo
	s_delay_alu instid0(VALU_DEP_1)
	v_add_f32_e32 v3, v2, v3
.LBB508_49:
	s_wait_alu 0xfffe
	s_or_b32 exec_lo, exec_lo, s11
	s_delay_alu instid0(VALU_DEP_1) | instskip(SKIP_2) | instid1(VALU_DEP_3)
	v_bfe_u32 v2, v3, 16, 1
	v_cmp_o_f32_e32 vcc_lo, v3, v3
	v_lshlrev_b32_e32 v32, 16, v11
	v_add3_u32 v2, v3, v2, 0x7fff
	s_delay_alu instid0(VALU_DEP_1) | instskip(SKIP_1) | instid1(VALU_DEP_1)
	v_dual_max_num_f32 v37, v32, v32 :: v_dual_and_b32 v2, 0xffff0000, v2
	s_wait_alu 0xfffd
	v_cndmask_b32_e32 v3, 0x7fc00000, v2, vcc_lo
	v_cmp_u_f32_e64 s11, v32, v32
	s_delay_alu instid0(VALU_DEP_2) | instskip(SKIP_1) | instid1(VALU_DEP_2)
	v_max_num_f32_e32 v2, v3, v3
	v_cmp_u_f32_e32 vcc_lo, v3, v3
	v_min_num_f32_e32 v4, v2, v37
	v_max_num_f32_e32 v2, v2, v37
	s_wait_alu 0xfffd
	s_delay_alu instid0(VALU_DEP_2) | instskip(NEXT) | instid1(VALU_DEP_2)
	v_cndmask_b32_e32 v4, v4, v3, vcc_lo
	v_cndmask_b32_e32 v2, v2, v3, vcc_lo
	s_wait_alu 0xf1ff
	s_delay_alu instid0(VALU_DEP_2) | instskip(NEXT) | instid1(VALU_DEP_2)
	v_cndmask_b32_e64 v4, v4, v32, s11
	v_cndmask_b32_e64 v2, v2, v32, s11
	s_delay_alu instid0(VALU_DEP_2) | instskip(NEXT) | instid1(VALU_DEP_2)
	v_cmp_class_f32_e64 s12, v4, 0x1f8
	v_cmp_neq_f32_e32 vcc_lo, v4, v2
	s_or_b32 s13, vcc_lo, s12
	s_wait_alu 0xfffe
	s_and_saveexec_b32 s12, s13
	s_cbranch_execz .LBB508_51
; %bb.50:
	v_sub_f32_e32 v3, v4, v2
	s_mov_b32 s13, 0x3e9b6dac
	s_delay_alu instid0(VALU_DEP_1) | instskip(SKIP_1) | instid1(VALU_DEP_2)
	v_mul_f32_e32 v4, 0x3fb8aa3b, v3
	v_cmp_ngt_f32_e32 vcc_lo, 0xc2ce8ed0, v3
	v_fma_f32 v5, 0x3fb8aa3b, v3, -v4
	v_rndne_f32_e32 v34, v4
	s_delay_alu instid0(VALU_DEP_1) | instskip(NEXT) | instid1(VALU_DEP_1)
	v_dual_fmamk_f32 v5, v3, 0x32a5705f, v5 :: v_dual_sub_f32 v4, v4, v34
	v_add_f32_e32 v4, v4, v5
	v_cvt_i32_f32_e32 v5, v34
	s_delay_alu instid0(VALU_DEP_2) | instskip(NEXT) | instid1(TRANS32_DEP_1)
	v_exp_f32_e32 v4, v4
	v_ldexp_f32 v4, v4, v5
	s_wait_alu 0xfffd
	s_delay_alu instid0(VALU_DEP_1) | instskip(SKIP_2) | instid1(VALU_DEP_2)
	v_cndmask_b32_e32 v4, 0, v4, vcc_lo
	v_cmp_nlt_f32_e32 vcc_lo, 0x42b17218, v3
	s_wait_alu 0xfffd
	v_cndmask_b32_e32 v5, 0x7f800000, v4, vcc_lo
	s_delay_alu instid0(VALU_DEP_1) | instskip(NEXT) | instid1(VALU_DEP_1)
	v_add_f32_e32 v34, 1.0, v5
	v_cvt_f64_f32_e32 v[3:4], v34
	s_delay_alu instid0(VALU_DEP_1) | instskip(SKIP_1) | instid1(VALU_DEP_1)
	v_frexp_exp_i32_f64_e32 v3, v[3:4]
	v_frexp_mant_f32_e32 v4, v34
	v_cmp_gt_f32_e32 vcc_lo, 0x3f2aaaab, v4
	v_add_f32_e32 v4, -1.0, v34
	s_delay_alu instid0(VALU_DEP_1) | instskip(SKIP_1) | instid1(VALU_DEP_2)
	v_sub_f32_e32 v38, v4, v34
	v_sub_f32_e32 v4, v5, v4
	v_add_f32_e32 v38, 1.0, v38
	s_delay_alu instid0(VALU_DEP_1) | instskip(SKIP_3) | instid1(VALU_DEP_2)
	v_add_f32_e32 v4, v4, v38
	s_wait_alu 0xfffd
	v_subrev_co_ci_u32_e64 v3, null, 0, v3, vcc_lo
	v_cmp_neq_f32_e32 vcc_lo, 0x7f800000, v5
	v_sub_nc_u32_e32 v36, 0, v3
	v_cvt_f32_i32_e32 v3, v3
	s_delay_alu instid0(VALU_DEP_2) | instskip(SKIP_1) | instid1(VALU_DEP_2)
	v_ldexp_f32 v34, v34, v36
	v_ldexp_f32 v4, v4, v36
	v_add_f32_e32 v39, 1.0, v34
	v_add_f32_e32 v36, -1.0, v34
	s_delay_alu instid0(VALU_DEP_2) | instskip(NEXT) | instid1(VALU_DEP_2)
	v_add_f32_e32 v38, -1.0, v39
	v_add_f32_e32 v42, 1.0, v36
	s_delay_alu instid0(VALU_DEP_2) | instskip(NEXT) | instid1(VALU_DEP_2)
	v_sub_f32_e32 v38, v34, v38
	v_sub_f32_e32 v34, v34, v42
	s_delay_alu instid0(VALU_DEP_2) | instskip(NEXT) | instid1(VALU_DEP_2)
	v_add_f32_e32 v38, v4, v38
	v_add_f32_e32 v4, v4, v34
	s_delay_alu instid0(VALU_DEP_1) | instskip(NEXT) | instid1(VALU_DEP_1)
	v_dual_add_f32 v42, v39, v38 :: v_dual_add_f32 v43, v36, v4
	v_rcp_f32_e32 v34, v42
	s_delay_alu instid0(VALU_DEP_1) | instskip(NEXT) | instid1(VALU_DEP_1)
	v_dual_sub_f32 v39, v39, v42 :: v_dual_sub_f32 v36, v36, v43
	v_add_f32_e32 v38, v38, v39
	s_delay_alu instid0(VALU_DEP_2) | instskip(NEXT) | instid1(TRANS32_DEP_1)
	v_add_f32_e32 v4, v4, v36
	v_mul_f32_e32 v44, v43, v34
	s_delay_alu instid0(VALU_DEP_1) | instskip(NEXT) | instid1(VALU_DEP_1)
	v_mul_f32_e32 v45, v42, v44
	v_fma_f32 v39, v44, v42, -v45
	s_delay_alu instid0(VALU_DEP_1) | instskip(NEXT) | instid1(VALU_DEP_1)
	v_fmac_f32_e32 v39, v44, v38
	v_add_f32_e32 v46, v45, v39
	s_delay_alu instid0(VALU_DEP_1) | instskip(NEXT) | instid1(VALU_DEP_1)
	v_dual_sub_f32 v47, v43, v46 :: v_dual_sub_f32 v36, v46, v45
	v_sub_f32_e32 v43, v43, v47
	s_delay_alu instid0(VALU_DEP_1) | instskip(NEXT) | instid1(VALU_DEP_1)
	v_dual_sub_f32 v36, v36, v39 :: v_dual_sub_f32 v43, v43, v46
	v_add_f32_e32 v4, v4, v43
	s_delay_alu instid0(VALU_DEP_1) | instskip(NEXT) | instid1(VALU_DEP_1)
	v_add_f32_e32 v4, v36, v4
	v_add_f32_e32 v36, v47, v4
	s_delay_alu instid0(VALU_DEP_1) | instskip(NEXT) | instid1(VALU_DEP_1)
	v_mul_f32_e32 v39, v34, v36
	v_dual_sub_f32 v46, v47, v36 :: v_dual_mul_f32 v43, v42, v39
	s_delay_alu instid0(VALU_DEP_1) | instskip(NEXT) | instid1(VALU_DEP_2)
	v_add_f32_e32 v4, v4, v46
	v_fma_f32 v42, v39, v42, -v43
	s_delay_alu instid0(VALU_DEP_1) | instskip(NEXT) | instid1(VALU_DEP_1)
	v_fmac_f32_e32 v42, v39, v38
	v_add_f32_e32 v38, v43, v42
	s_delay_alu instid0(VALU_DEP_1) | instskip(NEXT) | instid1(VALU_DEP_1)
	v_sub_f32_e32 v45, v36, v38
	v_dual_sub_f32 v43, v38, v43 :: v_dual_sub_f32 v36, v36, v45
	s_delay_alu instid0(VALU_DEP_1) | instskip(NEXT) | instid1(VALU_DEP_2)
	v_sub_f32_e32 v36, v36, v38
	v_sub_f32_e32 v38, v43, v42
	s_delay_alu instid0(VALU_DEP_2) | instskip(SKIP_1) | instid1(VALU_DEP_2)
	v_add_f32_e32 v4, v4, v36
	v_add_f32_e32 v36, v44, v39
	v_add_f32_e32 v4, v38, v4
	s_delay_alu instid0(VALU_DEP_2) | instskip(NEXT) | instid1(VALU_DEP_2)
	v_sub_f32_e32 v38, v36, v44
	v_add_f32_e32 v4, v45, v4
	s_delay_alu instid0(VALU_DEP_2) | instskip(NEXT) | instid1(VALU_DEP_2)
	v_sub_f32_e32 v38, v39, v38
	v_mul_f32_e32 v4, v34, v4
	s_delay_alu instid0(VALU_DEP_1) | instskip(NEXT) | instid1(VALU_DEP_1)
	v_add_f32_e32 v4, v38, v4
	v_add_f32_e32 v34, v36, v4
	s_delay_alu instid0(VALU_DEP_1) | instskip(SKIP_1) | instid1(VALU_DEP_1)
	v_mul_f32_e32 v38, v34, v34
	s_wait_alu 0xfffe
	v_fmaak_f32 v39, s13, v38, 0x3ecc95a3
	v_mul_f32_e32 v42, v34, v38
	s_delay_alu instid0(VALU_DEP_2) | instskip(SKIP_2) | instid1(VALU_DEP_3)
	v_fmaak_f32 v38, v38, v39, 0x3f2aaada
	v_ldexp_f32 v39, v34, 1
	v_sub_f32_e32 v34, v34, v36
	v_mul_f32_e32 v38, v42, v38
	v_mul_f32_e32 v42, 0x3f317218, v3
	s_delay_alu instid0(VALU_DEP_3) | instskip(NEXT) | instid1(VALU_DEP_3)
	v_sub_f32_e32 v4, v4, v34
	v_add_f32_e32 v36, v39, v38
	s_delay_alu instid0(VALU_DEP_2) | instskip(NEXT) | instid1(VALU_DEP_2)
	v_ldexp_f32 v4, v4, 1
	v_sub_f32_e32 v34, v36, v39
	v_fma_f32 v39, 0x3f317218, v3, -v42
	s_delay_alu instid0(VALU_DEP_1) | instskip(NEXT) | instid1(VALU_DEP_1)
	v_dual_sub_f32 v34, v38, v34 :: v_dual_fmamk_f32 v3, v3, 0xb102e308, v39
	v_add_f32_e32 v4, v4, v34
	s_delay_alu instid0(VALU_DEP_2) | instskip(NEXT) | instid1(VALU_DEP_2)
	v_add_f32_e32 v34, v42, v3
	v_add_f32_e32 v38, v36, v4
	s_delay_alu instid0(VALU_DEP_2) | instskip(NEXT) | instid1(VALU_DEP_2)
	v_sub_f32_e32 v42, v34, v42
	v_add_f32_e32 v39, v34, v38
	s_delay_alu instid0(VALU_DEP_2) | instskip(NEXT) | instid1(VALU_DEP_1)
	v_dual_sub_f32 v36, v38, v36 :: v_dual_sub_f32 v3, v3, v42
	v_dual_sub_f32 v43, v39, v34 :: v_dual_sub_f32 v4, v4, v36
	s_delay_alu instid0(VALU_DEP_1) | instskip(SKIP_1) | instid1(VALU_DEP_3)
	v_sub_f32_e32 v44, v39, v43
	v_sub_f32_e32 v36, v38, v43
	v_add_f32_e32 v38, v3, v4
	s_delay_alu instid0(VALU_DEP_3) | instskip(NEXT) | instid1(VALU_DEP_1)
	v_sub_f32_e32 v34, v34, v44
	v_add_f32_e32 v34, v36, v34
	s_delay_alu instid0(VALU_DEP_3) | instskip(NEXT) | instid1(VALU_DEP_2)
	v_sub_f32_e32 v36, v38, v3
	v_add_f32_e32 v34, v38, v34
	s_delay_alu instid0(VALU_DEP_2) | instskip(SKIP_1) | instid1(VALU_DEP_3)
	v_sub_f32_e32 v38, v38, v36
	v_sub_f32_e32 v4, v4, v36
	v_add_f32_e32 v42, v39, v34
	s_delay_alu instid0(VALU_DEP_1) | instskip(NEXT) | instid1(VALU_DEP_1)
	v_dual_sub_f32 v3, v3, v38 :: v_dual_sub_f32 v36, v42, v39
	v_dual_add_f32 v3, v4, v3 :: v_dual_sub_f32 v4, v34, v36
	s_delay_alu instid0(VALU_DEP_1) | instskip(NEXT) | instid1(VALU_DEP_1)
	v_add_f32_e32 v3, v3, v4
	v_add_f32_e32 v3, v42, v3
	s_wait_alu 0xfffd
	s_delay_alu instid0(VALU_DEP_1) | instskip(SKIP_2) | instid1(VALU_DEP_2)
	v_cndmask_b32_e32 v3, 0x7f800000, v3, vcc_lo
	v_cmp_gt_f32_e64 vcc_lo, 0x33800000, |v5|
	s_wait_alu 0xfffd
	v_cndmask_b32_e32 v3, v3, v5, vcc_lo
	s_delay_alu instid0(VALU_DEP_1)
	v_add_f32_e32 v3, v2, v3
.LBB508_51:
	s_wait_alu 0xfffe
	s_or_b32 exec_lo, exec_lo, s12
	s_delay_alu instid0(VALU_DEP_1) | instskip(SKIP_2) | instid1(VALU_DEP_3)
	v_bfe_u32 v2, v3, 16, 1
	v_cmp_o_f32_e32 vcc_lo, v3, v3
	v_lshlrev_b32_e32 v34, 16, v10
	v_add3_u32 v2, v3, v2, 0x7fff
	s_delay_alu instid0(VALU_DEP_2) | instskip(SKIP_1) | instid1(VALU_DEP_3)
	v_max_num_f32_e32 v38, v34, v34
	v_cmp_u_f32_e64 s12, v34, v34
	v_and_b32_e32 v2, 0xffff0000, v2
	s_wait_alu 0xfffd
	s_delay_alu instid0(VALU_DEP_1) | instskip(NEXT) | instid1(VALU_DEP_1)
	v_cndmask_b32_e32 v3, 0x7fc00000, v2, vcc_lo
	v_max_num_f32_e32 v2, v3, v3
	v_cmp_u_f32_e32 vcc_lo, v3, v3
	s_delay_alu instid0(VALU_DEP_2) | instskip(SKIP_2) | instid1(VALU_DEP_2)
	v_min_num_f32_e32 v4, v2, v38
	v_max_num_f32_e32 v2, v2, v38
	s_wait_alu 0xfffd
	v_cndmask_b32_e32 v4, v4, v3, vcc_lo
	s_delay_alu instid0(VALU_DEP_2) | instskip(SKIP_1) | instid1(VALU_DEP_2)
	v_cndmask_b32_e32 v2, v2, v3, vcc_lo
	s_wait_alu 0xf1ff
	v_cndmask_b32_e64 v4, v4, v34, s12
	s_delay_alu instid0(VALU_DEP_2) | instskip(NEXT) | instid1(VALU_DEP_2)
	v_cndmask_b32_e64 v2, v2, v34, s12
	v_cmp_class_f32_e64 s13, v4, 0x1f8
	s_delay_alu instid0(VALU_DEP_2)
	v_cmp_neq_f32_e32 vcc_lo, v4, v2
	s_or_b32 s15, vcc_lo, s13
	s_wait_alu 0xfffe
	s_and_saveexec_b32 s13, s15
	s_cbranch_execz .LBB508_53
; %bb.52:
	v_sub_f32_e32 v3, v4, v2
	s_mov_b32 s15, 0x3e9b6dac
	s_delay_alu instid0(VALU_DEP_1) | instskip(SKIP_1) | instid1(VALU_DEP_2)
	v_mul_f32_e32 v4, 0x3fb8aa3b, v3
	v_cmp_ngt_f32_e32 vcc_lo, 0xc2ce8ed0, v3
	v_fma_f32 v5, 0x3fb8aa3b, v3, -v4
	v_rndne_f32_e32 v36, v4
	s_delay_alu instid0(VALU_DEP_1) | instskip(NEXT) | instid1(VALU_DEP_1)
	v_dual_fmamk_f32 v5, v3, 0x32a5705f, v5 :: v_dual_sub_f32 v4, v4, v36
	v_add_f32_e32 v4, v4, v5
	v_cvt_i32_f32_e32 v5, v36
	s_delay_alu instid0(VALU_DEP_2) | instskip(NEXT) | instid1(TRANS32_DEP_1)
	v_exp_f32_e32 v4, v4
	v_ldexp_f32 v4, v4, v5
	s_wait_alu 0xfffd
	s_delay_alu instid0(VALU_DEP_1) | instskip(SKIP_2) | instid1(VALU_DEP_2)
	v_cndmask_b32_e32 v4, 0, v4, vcc_lo
	v_cmp_nlt_f32_e32 vcc_lo, 0x42b17218, v3
	s_wait_alu 0xfffd
	v_cndmask_b32_e32 v5, 0x7f800000, v4, vcc_lo
	s_delay_alu instid0(VALU_DEP_1) | instskip(NEXT) | instid1(VALU_DEP_1)
	v_add_f32_e32 v36, 1.0, v5
	v_cvt_f64_f32_e32 v[3:4], v36
	s_delay_alu instid0(VALU_DEP_1) | instskip(SKIP_1) | instid1(VALU_DEP_1)
	v_frexp_exp_i32_f64_e32 v3, v[3:4]
	v_frexp_mant_f32_e32 v4, v36
	v_cmp_gt_f32_e32 vcc_lo, 0x3f2aaaab, v4
	v_add_f32_e32 v4, -1.0, v36
	s_delay_alu instid0(VALU_DEP_1) | instskip(NEXT) | instid1(VALU_DEP_1)
	v_sub_f32_e32 v42, v4, v36
	v_add_f32_e32 v42, 1.0, v42
	v_sub_f32_e32 v4, v5, v4
	s_wait_alu 0xfffd
	v_subrev_co_ci_u32_e64 v3, null, 0, v3, vcc_lo
	v_cmp_neq_f32_e32 vcc_lo, 0x7f800000, v5
	s_delay_alu instid0(VALU_DEP_2) | instskip(SKIP_1) | instid1(VALU_DEP_2)
	v_sub_nc_u32_e32 v39, 0, v3
	v_cvt_f32_i32_e32 v3, v3
	v_ldexp_f32 v36, v36, v39
	s_delay_alu instid0(VALU_DEP_1) | instskip(NEXT) | instid1(VALU_DEP_1)
	v_dual_add_f32 v43, 1.0, v36 :: v_dual_add_f32 v4, v4, v42
	v_add_f32_e32 v42, -1.0, v43
	s_delay_alu instid0(VALU_DEP_2) | instskip(NEXT) | instid1(VALU_DEP_2)
	v_ldexp_f32 v4, v4, v39
	v_dual_add_f32 v39, -1.0, v36 :: v_dual_sub_f32 v42, v36, v42
	s_delay_alu instid0(VALU_DEP_1) | instskip(NEXT) | instid1(VALU_DEP_2)
	v_add_f32_e32 v44, 1.0, v39
	v_add_f32_e32 v42, v4, v42
	s_delay_alu instid0(VALU_DEP_2) | instskip(NEXT) | instid1(VALU_DEP_2)
	v_sub_f32_e32 v36, v36, v44
	v_add_f32_e32 v44, v43, v42
	s_delay_alu instid0(VALU_DEP_2) | instskip(NEXT) | instid1(VALU_DEP_2)
	v_add_f32_e32 v4, v4, v36
	v_rcp_f32_e32 v36, v44
	v_sub_f32_e32 v43, v43, v44
	s_delay_alu instid0(VALU_DEP_1)
	v_dual_add_f32 v45, v39, v4 :: v_dual_add_f32 v42, v42, v43
	s_delay_alu instid0(TRANS32_DEP_1) | instid1(VALU_DEP_1)
	v_dual_sub_f32 v39, v39, v45 :: v_dual_mul_f32 v46, v45, v36
	s_delay_alu instid0(VALU_DEP_1) | instskip(NEXT) | instid1(VALU_DEP_2)
	v_add_f32_e32 v4, v4, v39
	v_mul_f32_e32 v47, v44, v46
	s_delay_alu instid0(VALU_DEP_1) | instskip(NEXT) | instid1(VALU_DEP_1)
	v_fma_f32 v43, v46, v44, -v47
	v_fmac_f32_e32 v43, v46, v42
	s_delay_alu instid0(VALU_DEP_1) | instskip(NEXT) | instid1(VALU_DEP_1)
	v_add_f32_e32 v48, v47, v43
	v_sub_f32_e32 v49, v45, v48
	v_sub_f32_e32 v39, v48, v47
	s_delay_alu instid0(VALU_DEP_2) | instskip(NEXT) | instid1(VALU_DEP_2)
	v_sub_f32_e32 v45, v45, v49
	v_sub_f32_e32 v39, v39, v43
	s_delay_alu instid0(VALU_DEP_2) | instskip(NEXT) | instid1(VALU_DEP_1)
	v_sub_f32_e32 v45, v45, v48
	v_add_f32_e32 v4, v4, v45
	s_delay_alu instid0(VALU_DEP_1) | instskip(NEXT) | instid1(VALU_DEP_1)
	v_add_f32_e32 v4, v39, v4
	v_add_f32_e32 v39, v49, v4
	s_delay_alu instid0(VALU_DEP_1) | instskip(SKIP_1) | instid1(VALU_DEP_2)
	v_mul_f32_e32 v43, v36, v39
	v_sub_f32_e32 v48, v49, v39
	v_mul_f32_e32 v45, v44, v43
	s_delay_alu instid0(VALU_DEP_2) | instskip(NEXT) | instid1(VALU_DEP_2)
	v_add_f32_e32 v4, v4, v48
	v_fma_f32 v44, v43, v44, -v45
	s_delay_alu instid0(VALU_DEP_1) | instskip(NEXT) | instid1(VALU_DEP_1)
	v_fmac_f32_e32 v44, v43, v42
	v_add_f32_e32 v42, v45, v44
	s_delay_alu instid0(VALU_DEP_1) | instskip(SKIP_1) | instid1(VALU_DEP_2)
	v_sub_f32_e32 v47, v39, v42
	v_sub_f32_e32 v45, v42, v45
	;; [unrolled: 1-line block ×3, first 2 shown]
	s_delay_alu instid0(VALU_DEP_1) | instskip(NEXT) | instid1(VALU_DEP_1)
	v_dual_sub_f32 v39, v39, v42 :: v_dual_sub_f32 v42, v45, v44
	v_add_f32_e32 v4, v4, v39
	v_add_f32_e32 v39, v46, v43
	s_delay_alu instid0(VALU_DEP_2) | instskip(NEXT) | instid1(VALU_DEP_2)
	v_add_f32_e32 v4, v42, v4
	v_sub_f32_e32 v42, v39, v46
	s_delay_alu instid0(VALU_DEP_2) | instskip(NEXT) | instid1(VALU_DEP_2)
	v_add_f32_e32 v4, v47, v4
	v_sub_f32_e32 v42, v43, v42
	s_delay_alu instid0(VALU_DEP_2) | instskip(NEXT) | instid1(VALU_DEP_1)
	v_mul_f32_e32 v4, v36, v4
	v_add_f32_e32 v4, v42, v4
	s_delay_alu instid0(VALU_DEP_1) | instskip(NEXT) | instid1(VALU_DEP_1)
	v_add_f32_e32 v36, v39, v4
	v_mul_f32_e32 v42, v36, v36
	s_wait_alu 0xfffe
	s_delay_alu instid0(VALU_DEP_1) | instskip(SKIP_1) | instid1(VALU_DEP_2)
	v_fmaak_f32 v43, s15, v42, 0x3ecc95a3
	v_mul_f32_e32 v44, v36, v42
	v_fmaak_f32 v42, v42, v43, 0x3f2aaada
	v_ldexp_f32 v43, v36, 1
	v_sub_f32_e32 v36, v36, v39
	s_delay_alu instid0(VALU_DEP_3) | instskip(SKIP_1) | instid1(VALU_DEP_2)
	v_mul_f32_e32 v42, v44, v42
	v_mul_f32_e32 v44, 0x3f317218, v3
	v_dual_sub_f32 v4, v4, v36 :: v_dual_add_f32 v39, v43, v42
	s_delay_alu instid0(VALU_DEP_1) | instskip(NEXT) | instid1(VALU_DEP_2)
	v_ldexp_f32 v4, v4, 1
	v_sub_f32_e32 v36, v39, v43
	s_delay_alu instid0(VALU_DEP_4) | instskip(NEXT) | instid1(VALU_DEP_1)
	v_fma_f32 v43, 0x3f317218, v3, -v44
	v_dual_sub_f32 v36, v42, v36 :: v_dual_fmamk_f32 v3, v3, 0xb102e308, v43
	s_delay_alu instid0(VALU_DEP_1) | instskip(NEXT) | instid1(VALU_DEP_2)
	v_add_f32_e32 v4, v4, v36
	v_add_f32_e32 v36, v44, v3
	s_delay_alu instid0(VALU_DEP_2) | instskip(NEXT) | instid1(VALU_DEP_2)
	v_add_f32_e32 v42, v39, v4
	v_sub_f32_e32 v44, v36, v44
	s_delay_alu instid0(VALU_DEP_2) | instskip(SKIP_1) | instid1(VALU_DEP_3)
	v_add_f32_e32 v43, v36, v42
	v_sub_f32_e32 v39, v42, v39
	v_sub_f32_e32 v3, v3, v44
	s_delay_alu instid0(VALU_DEP_2) | instskip(NEXT) | instid1(VALU_DEP_1)
	v_dual_sub_f32 v45, v43, v36 :: v_dual_sub_f32 v4, v4, v39
	v_sub_f32_e32 v46, v43, v45
	s_delay_alu instid0(VALU_DEP_2) | instskip(NEXT) | instid1(VALU_DEP_2)
	v_dual_sub_f32 v39, v42, v45 :: v_dual_add_f32 v42, v3, v4
	v_sub_f32_e32 v36, v36, v46
	s_delay_alu instid0(VALU_DEP_1) | instskip(NEXT) | instid1(VALU_DEP_1)
	v_dual_add_f32 v36, v39, v36 :: v_dual_sub_f32 v39, v42, v3
	v_add_f32_e32 v36, v42, v36
	s_delay_alu instid0(VALU_DEP_2) | instskip(SKIP_1) | instid1(VALU_DEP_3)
	v_sub_f32_e32 v42, v42, v39
	v_sub_f32_e32 v4, v4, v39
	v_add_f32_e32 v44, v43, v36
	s_delay_alu instid0(VALU_DEP_3) | instskip(NEXT) | instid1(VALU_DEP_2)
	v_sub_f32_e32 v3, v3, v42
	v_sub_f32_e32 v39, v44, v43
	s_delay_alu instid0(VALU_DEP_2) | instskip(NEXT) | instid1(VALU_DEP_2)
	v_add_f32_e32 v3, v4, v3
	v_sub_f32_e32 v4, v36, v39
	s_delay_alu instid0(VALU_DEP_1) | instskip(NEXT) | instid1(VALU_DEP_1)
	v_add_f32_e32 v3, v3, v4
	v_add_f32_e32 v3, v44, v3
	s_wait_alu 0xfffd
	s_delay_alu instid0(VALU_DEP_1) | instskip(SKIP_2) | instid1(VALU_DEP_2)
	v_cndmask_b32_e32 v3, 0x7f800000, v3, vcc_lo
	v_cmp_gt_f32_e64 vcc_lo, 0x33800000, |v5|
	s_wait_alu 0xfffd
	v_cndmask_b32_e32 v3, v3, v5, vcc_lo
	s_delay_alu instid0(VALU_DEP_1)
	v_add_f32_e32 v3, v2, v3
.LBB508_53:
	s_wait_alu 0xfffe
	s_or_b32 exec_lo, exec_lo, s13
	s_delay_alu instid0(VALU_DEP_1) | instskip(SKIP_2) | instid1(VALU_DEP_3)
	v_bfe_u32 v2, v3, 16, 1
	v_cmp_o_f32_e32 vcc_lo, v3, v3
	v_lshlrev_b32_e32 v36, 16, v9
	v_add3_u32 v2, v3, v2, 0x7fff
	s_delay_alu instid0(VALU_DEP_1) | instskip(SKIP_1) | instid1(VALU_DEP_1)
	v_dual_max_num_f32 v39, v36, v36 :: v_dual_and_b32 v2, 0xffff0000, v2
	s_wait_alu 0xfffd
	v_cndmask_b32_e32 v3, 0x7fc00000, v2, vcc_lo
	v_cmp_u_f32_e64 s13, v36, v36
	s_delay_alu instid0(VALU_DEP_2) | instskip(SKIP_1) | instid1(VALU_DEP_2)
	v_max_num_f32_e32 v2, v3, v3
	v_cmp_u_f32_e32 vcc_lo, v3, v3
	v_min_num_f32_e32 v4, v2, v39
	v_max_num_f32_e32 v2, v2, v39
	s_wait_alu 0xfffd
	s_delay_alu instid0(VALU_DEP_2) | instskip(NEXT) | instid1(VALU_DEP_2)
	v_cndmask_b32_e32 v4, v4, v3, vcc_lo
	v_cndmask_b32_e32 v2, v2, v3, vcc_lo
	s_wait_alu 0xf1ff
	s_delay_alu instid0(VALU_DEP_2) | instskip(NEXT) | instid1(VALU_DEP_2)
	v_cndmask_b32_e64 v4, v4, v36, s13
	v_cndmask_b32_e64 v2, v2, v36, s13
	s_delay_alu instid0(VALU_DEP_2) | instskip(NEXT) | instid1(VALU_DEP_2)
	v_cmp_class_f32_e64 s15, v4, 0x1f8
	v_cmp_neq_f32_e32 vcc_lo, v4, v2
	s_or_b32 s16, vcc_lo, s15
	s_delay_alu instid0(SALU_CYCLE_1)
	s_and_saveexec_b32 s15, s16
	s_cbranch_execz .LBB508_55
; %bb.54:
	v_sub_f32_e32 v3, v4, v2
	s_mov_b32 s16, 0x3e9b6dac
	s_delay_alu instid0(VALU_DEP_1) | instskip(SKIP_1) | instid1(VALU_DEP_2)
	v_mul_f32_e32 v4, 0x3fb8aa3b, v3
	v_cmp_ngt_f32_e32 vcc_lo, 0xc2ce8ed0, v3
	v_fma_f32 v5, 0x3fb8aa3b, v3, -v4
	v_rndne_f32_e32 v42, v4
	s_delay_alu instid0(VALU_DEP_1) | instskip(NEXT) | instid1(VALU_DEP_1)
	v_dual_fmamk_f32 v5, v3, 0x32a5705f, v5 :: v_dual_sub_f32 v4, v4, v42
	v_add_f32_e32 v4, v4, v5
	v_cvt_i32_f32_e32 v5, v42
	s_delay_alu instid0(VALU_DEP_2) | instskip(NEXT) | instid1(TRANS32_DEP_1)
	v_exp_f32_e32 v4, v4
	v_ldexp_f32 v4, v4, v5
	s_wait_alu 0xfffd
	s_delay_alu instid0(VALU_DEP_1) | instskip(SKIP_2) | instid1(VALU_DEP_2)
	v_cndmask_b32_e32 v4, 0, v4, vcc_lo
	v_cmp_nlt_f32_e32 vcc_lo, 0x42b17218, v3
	s_wait_alu 0xfffd
	v_cndmask_b32_e32 v5, 0x7f800000, v4, vcc_lo
	s_delay_alu instid0(VALU_DEP_1) | instskip(NEXT) | instid1(VALU_DEP_1)
	v_add_f32_e32 v42, 1.0, v5
	v_cvt_f64_f32_e32 v[3:4], v42
	s_delay_alu instid0(VALU_DEP_1) | instskip(SKIP_1) | instid1(VALU_DEP_1)
	v_frexp_exp_i32_f64_e32 v3, v[3:4]
	v_frexp_mant_f32_e32 v4, v42
	v_cmp_gt_f32_e32 vcc_lo, 0x3f2aaaab, v4
	v_add_f32_e32 v4, -1.0, v42
	s_delay_alu instid0(VALU_DEP_1) | instskip(SKIP_4) | instid1(VALU_DEP_2)
	v_sub_f32_e32 v44, v4, v42
	v_sub_f32_e32 v4, v5, v4
	s_wait_alu 0xfffd
	v_subrev_co_ci_u32_e64 v3, null, 0, v3, vcc_lo
	v_cmp_neq_f32_e32 vcc_lo, 0x7f800000, v5
	v_sub_nc_u32_e32 v43, 0, v3
	v_cvt_f32_i32_e32 v3, v3
	s_delay_alu instid0(VALU_DEP_2) | instskip(NEXT) | instid1(VALU_DEP_1)
	v_ldexp_f32 v42, v42, v43
	v_dual_add_f32 v45, 1.0, v42 :: v_dual_add_f32 v44, 1.0, v44
	s_delay_alu instid0(VALU_DEP_1) | instskip(NEXT) | instid1(VALU_DEP_2)
	v_add_f32_e32 v4, v4, v44
	v_add_f32_e32 v44, -1.0, v45
	s_delay_alu instid0(VALU_DEP_2) | instskip(NEXT) | instid1(VALU_DEP_2)
	v_ldexp_f32 v4, v4, v43
	v_dual_add_f32 v43, -1.0, v42 :: v_dual_sub_f32 v44, v42, v44
	s_delay_alu instid0(VALU_DEP_1) | instskip(NEXT) | instid1(VALU_DEP_2)
	v_add_f32_e32 v46, 1.0, v43
	v_add_f32_e32 v44, v4, v44
	s_delay_alu instid0(VALU_DEP_2) | instskip(NEXT) | instid1(VALU_DEP_2)
	v_sub_f32_e32 v42, v42, v46
	v_add_f32_e32 v46, v45, v44
	s_delay_alu instid0(VALU_DEP_2) | instskip(NEXT) | instid1(VALU_DEP_2)
	v_add_f32_e32 v4, v4, v42
	v_rcp_f32_e32 v42, v46
	v_sub_f32_e32 v45, v45, v46
	s_delay_alu instid0(VALU_DEP_1) | instskip(NEXT) | instid1(VALU_DEP_1)
	v_dual_add_f32 v47, v43, v4 :: v_dual_add_f32 v44, v44, v45
	v_sub_f32_e32 v43, v43, v47
	s_delay_alu instid0(TRANS32_DEP_1) | instskip(NEXT) | instid1(VALU_DEP_1)
	v_mul_f32_e32 v48, v47, v42
	v_dual_add_f32 v4, v4, v43 :: v_dual_mul_f32 v49, v46, v48
	s_delay_alu instid0(VALU_DEP_1) | instskip(NEXT) | instid1(VALU_DEP_1)
	v_fma_f32 v45, v48, v46, -v49
	v_fmac_f32_e32 v45, v48, v44
	s_delay_alu instid0(VALU_DEP_1) | instskip(NEXT) | instid1(VALU_DEP_1)
	v_add_f32_e32 v50, v49, v45
	v_sub_f32_e32 v51, v47, v50
	v_sub_f32_e32 v43, v50, v49
	s_delay_alu instid0(VALU_DEP_2) | instskip(NEXT) | instid1(VALU_DEP_2)
	v_sub_f32_e32 v47, v47, v51
	v_sub_f32_e32 v43, v43, v45
	s_delay_alu instid0(VALU_DEP_2) | instskip(NEXT) | instid1(VALU_DEP_1)
	v_sub_f32_e32 v47, v47, v50
	v_add_f32_e32 v4, v4, v47
	s_delay_alu instid0(VALU_DEP_1) | instskip(NEXT) | instid1(VALU_DEP_1)
	v_add_f32_e32 v4, v43, v4
	v_add_f32_e32 v43, v51, v4
	s_delay_alu instid0(VALU_DEP_1) | instskip(NEXT) | instid1(VALU_DEP_1)
	v_mul_f32_e32 v45, v42, v43
	v_dual_sub_f32 v50, v51, v43 :: v_dual_mul_f32 v47, v46, v45
	s_delay_alu instid0(VALU_DEP_1) | instskip(NEXT) | instid1(VALU_DEP_2)
	v_add_f32_e32 v4, v4, v50
	v_fma_f32 v46, v45, v46, -v47
	s_delay_alu instid0(VALU_DEP_1) | instskip(NEXT) | instid1(VALU_DEP_1)
	v_fmac_f32_e32 v46, v45, v44
	v_add_f32_e32 v44, v47, v46
	s_delay_alu instid0(VALU_DEP_1) | instskip(SKIP_1) | instid1(VALU_DEP_2)
	v_sub_f32_e32 v49, v43, v44
	v_sub_f32_e32 v47, v44, v47
	;; [unrolled: 1-line block ×3, first 2 shown]
	s_delay_alu instid0(VALU_DEP_1) | instskip(NEXT) | instid1(VALU_DEP_3)
	v_sub_f32_e32 v43, v43, v44
	v_sub_f32_e32 v44, v47, v46
	s_delay_alu instid0(VALU_DEP_2) | instskip(SKIP_1) | instid1(VALU_DEP_2)
	v_add_f32_e32 v4, v4, v43
	v_add_f32_e32 v43, v48, v45
	;; [unrolled: 1-line block ×3, first 2 shown]
	s_delay_alu instid0(VALU_DEP_2) | instskip(NEXT) | instid1(VALU_DEP_2)
	v_sub_f32_e32 v44, v43, v48
	v_add_f32_e32 v4, v49, v4
	s_delay_alu instid0(VALU_DEP_2) | instskip(NEXT) | instid1(VALU_DEP_2)
	v_sub_f32_e32 v44, v45, v44
	v_mul_f32_e32 v4, v42, v4
	s_delay_alu instid0(VALU_DEP_1) | instskip(NEXT) | instid1(VALU_DEP_1)
	v_add_f32_e32 v4, v44, v4
	v_add_f32_e32 v42, v43, v4
	s_delay_alu instid0(VALU_DEP_1) | instskip(NEXT) | instid1(VALU_DEP_1)
	v_mul_f32_e32 v44, v42, v42
	v_fmaak_f32 v45, s16, v44, 0x3ecc95a3
	v_mul_f32_e32 v46, v42, v44
	s_delay_alu instid0(VALU_DEP_2) | instskip(SKIP_2) | instid1(VALU_DEP_3)
	v_fmaak_f32 v44, v44, v45, 0x3f2aaada
	v_ldexp_f32 v45, v42, 1
	v_sub_f32_e32 v42, v42, v43
	v_mul_f32_e32 v44, v46, v44
	v_mul_f32_e32 v46, 0x3f317218, v3
	s_delay_alu instid0(VALU_DEP_2) | instskip(NEXT) | instid1(VALU_DEP_1)
	v_dual_sub_f32 v4, v4, v42 :: v_dual_add_f32 v43, v45, v44
	v_ldexp_f32 v4, v4, 1
	s_delay_alu instid0(VALU_DEP_2) | instskip(NEXT) | instid1(VALU_DEP_4)
	v_sub_f32_e32 v42, v43, v45
	v_fma_f32 v45, 0x3f317218, v3, -v46
	s_delay_alu instid0(VALU_DEP_1) | instskip(NEXT) | instid1(VALU_DEP_1)
	v_dual_sub_f32 v42, v44, v42 :: v_dual_fmamk_f32 v3, v3, 0xb102e308, v45
	v_add_f32_e32 v4, v4, v42
	s_delay_alu instid0(VALU_DEP_2) | instskip(NEXT) | instid1(VALU_DEP_2)
	v_add_f32_e32 v42, v46, v3
	v_add_f32_e32 v44, v43, v4
	s_delay_alu instid0(VALU_DEP_2) | instskip(NEXT) | instid1(VALU_DEP_2)
	v_sub_f32_e32 v46, v42, v46
	v_add_f32_e32 v45, v42, v44
	v_sub_f32_e32 v43, v44, v43
	s_delay_alu instid0(VALU_DEP_3) | instskip(NEXT) | instid1(VALU_DEP_2)
	v_sub_f32_e32 v3, v3, v46
	v_dual_sub_f32 v47, v45, v42 :: v_dual_sub_f32 v4, v4, v43
	s_delay_alu instid0(VALU_DEP_1) | instskip(NEXT) | instid1(VALU_DEP_2)
	v_sub_f32_e32 v48, v45, v47
	v_dual_sub_f32 v43, v44, v47 :: v_dual_add_f32 v44, v3, v4
	s_delay_alu instid0(VALU_DEP_2) | instskip(NEXT) | instid1(VALU_DEP_1)
	v_sub_f32_e32 v42, v42, v48
	v_dual_add_f32 v42, v43, v42 :: v_dual_sub_f32 v43, v44, v3
	s_delay_alu instid0(VALU_DEP_1) | instskip(NEXT) | instid1(VALU_DEP_2)
	v_add_f32_e32 v42, v44, v42
	v_sub_f32_e32 v44, v44, v43
	v_sub_f32_e32 v4, v4, v43
	s_delay_alu instid0(VALU_DEP_2) | instskip(NEXT) | instid1(VALU_DEP_1)
	v_dual_add_f32 v46, v45, v42 :: v_dual_sub_f32 v3, v3, v44
	v_sub_f32_e32 v43, v46, v45
	s_delay_alu instid0(VALU_DEP_2) | instskip(NEXT) | instid1(VALU_DEP_2)
	v_add_f32_e32 v3, v4, v3
	v_sub_f32_e32 v4, v42, v43
	s_delay_alu instid0(VALU_DEP_1) | instskip(NEXT) | instid1(VALU_DEP_1)
	v_add_f32_e32 v3, v3, v4
	v_add_f32_e32 v3, v46, v3
	s_wait_alu 0xfffd
	s_delay_alu instid0(VALU_DEP_1) | instskip(SKIP_2) | instid1(VALU_DEP_2)
	v_cndmask_b32_e32 v3, 0x7f800000, v3, vcc_lo
	v_cmp_gt_f32_e64 vcc_lo, 0x33800000, |v5|
	s_wait_alu 0xfffd
	v_cndmask_b32_e32 v3, v3, v5, vcc_lo
	s_delay_alu instid0(VALU_DEP_1)
	v_add_f32_e32 v3, v2, v3
.LBB508_55:
	s_wait_alu 0xfffe
	s_or_b32 exec_lo, exec_lo, s15
	s_delay_alu instid0(VALU_DEP_1) | instskip(SKIP_2) | instid1(VALU_DEP_3)
	v_bfe_u32 v2, v3, 16, 1
	v_lshrrev_b32_e32 v4, 4, v0
	v_cmp_o_f32_e32 vcc_lo, v3, v3
	v_add3_u32 v2, v3, v2, 0x7fff
	s_delay_alu instid0(VALU_DEP_3) | instskip(NEXT) | instid1(VALU_DEP_2)
	v_and_b32_e32 v4, 14, v4
	v_lshrrev_b32_e32 v2, 16, v2
	s_delay_alu instid0(VALU_DEP_2) | instskip(SKIP_1) | instid1(VALU_DEP_2)
	v_lshl_add_u32 v4, v0, 1, v4
	s_wait_alu 0xfffd
	v_cndmask_b32_e32 v42, 0x7fc0, v2, vcc_lo
	v_cmp_gt_u32_e32 vcc_lo, 32, v0
	ds_store_b16 v4, v42
	s_wait_loadcnt_dscnt 0x0
	s_barrier_signal -1
	s_barrier_wait -1
	global_inv scope:SCOPE_SE
	s_and_saveexec_b32 s17, vcc_lo
	s_cbranch_execz .LBB508_107
; %bb.56:
	v_lshrrev_b32_e32 v2, 1, v0
	v_lshlrev_b32_e32 v3, 4, v0
	s_delay_alu instid0(VALU_DEP_2) | instskip(NEXT) | instid1(VALU_DEP_1)
	v_and_b32_e32 v2, 0x7e, v2
	v_add_nc_u32_e32 v2, v2, v3
	ds_load_u16 v3, v2 offset:2
	ds_load_u16 v4, v2
	s_wait_dscnt 0x1
	v_lshlrev_b32_e32 v5, 16, v3
	s_wait_dscnt 0x0
	v_lshlrev_b32_e32 v3, 16, v4
	s_delay_alu instid0(VALU_DEP_1) | instskip(SKIP_2) | instid1(VALU_DEP_3)
	v_dual_max_num_f32 v43, v5, v5 :: v_dual_max_num_f32 v4, v3, v3
	v_cmp_u_f32_e64 s15, v3, v3
	v_cmp_u_f32_e64 s16, v5, v5
	v_min_num_f32_e32 v44, v4, v43
	v_max_num_f32_e32 v43, v4, v43
	s_wait_alu 0xf1ff
	s_delay_alu instid0(VALU_DEP_2) | instskip(NEXT) | instid1(VALU_DEP_2)
	v_cndmask_b32_e64 v44, v44, v3, s15
	v_cndmask_b32_e64 v43, v43, v3, s15
	s_delay_alu instid0(VALU_DEP_2) | instskip(NEXT) | instid1(VALU_DEP_2)
	v_cndmask_b32_e64 v44, v44, v5, s16
	v_cndmask_b32_e64 v5, v43, v5, s16
	v_mov_b32_e32 v43, v3
	s_delay_alu instid0(VALU_DEP_3) | instskip(NEXT) | instid1(VALU_DEP_3)
	v_cmp_class_f32_e64 s36, v44, 0x1f8
	v_cmp_neq_f32_e64 s16, v44, v5
	s_or_b32 s16, s16, s36
	s_wait_alu 0xfffe
	s_and_saveexec_b32 s36, s16
	s_cbranch_execz .LBB508_58
; %bb.57:
	v_sub_f32_e32 v43, v44, v5
	s_delay_alu instid0(VALU_DEP_1) | instskip(SKIP_1) | instid1(VALU_DEP_2)
	v_mul_f32_e32 v44, 0x3fb8aa3b, v43
	v_cmp_ngt_f32_e64 s16, 0xc2ce8ed0, v43
	v_fma_f32 v45, 0x3fb8aa3b, v43, -v44
	v_rndne_f32_e32 v46, v44
	s_delay_alu instid0(VALU_DEP_1) | instskip(NEXT) | instid1(VALU_DEP_1)
	v_dual_fmamk_f32 v45, v43, 0x32a5705f, v45 :: v_dual_sub_f32 v44, v44, v46
	v_add_f32_e32 v44, v44, v45
	v_cvt_i32_f32_e32 v45, v46
	s_delay_alu instid0(VALU_DEP_2) | instskip(NEXT) | instid1(TRANS32_DEP_1)
	v_exp_f32_e32 v44, v44
	v_ldexp_f32 v44, v44, v45
	s_wait_alu 0xf1ff
	s_delay_alu instid0(VALU_DEP_1) | instskip(SKIP_2) | instid1(VALU_DEP_1)
	v_cndmask_b32_e64 v44, 0, v44, s16
	v_cmp_nlt_f32_e64 s16, 0x42b17218, v43
	s_wait_alu 0xf1ff
	v_cndmask_b32_e64 v45, 0x7f800000, v44, s16
	s_delay_alu instid0(VALU_DEP_1) | instskip(NEXT) | instid1(VALU_DEP_1)
	v_add_f32_e32 v46, 1.0, v45
	v_cvt_f64_f32_e32 v[43:44], v46
	s_delay_alu instid0(VALU_DEP_1) | instskip(SKIP_1) | instid1(VALU_DEP_1)
	v_frexp_exp_i32_f64_e32 v43, v[43:44]
	v_frexp_mant_f32_e32 v44, v46
	v_cmp_gt_f32_e64 s16, 0x3f2aaaab, v44
	v_add_f32_e32 v44, -1.0, v46
	s_delay_alu instid0(VALU_DEP_1)
	v_sub_f32_e32 v48, v44, v46
	v_sub_f32_e32 v44, v45, v44
	s_wait_alu 0xf1ff
	v_subrev_co_ci_u32_e64 v43, null, 0, v43, s16
	s_mov_b32 s16, 0x3e9b6dac
	v_sub_nc_u32_e32 v47, 0, v43
	v_cvt_f32_i32_e32 v43, v43
	s_delay_alu instid0(VALU_DEP_2) | instskip(NEXT) | instid1(VALU_DEP_1)
	v_ldexp_f32 v46, v46, v47
	v_dual_add_f32 v49, 1.0, v46 :: v_dual_add_f32 v48, 1.0, v48
	s_delay_alu instid0(VALU_DEP_1) | instskip(NEXT) | instid1(VALU_DEP_2)
	v_add_f32_e32 v44, v44, v48
	v_add_f32_e32 v48, -1.0, v49
	s_delay_alu instid0(VALU_DEP_2) | instskip(NEXT) | instid1(VALU_DEP_2)
	v_ldexp_f32 v44, v44, v47
	v_dual_add_f32 v47, -1.0, v46 :: v_dual_sub_f32 v48, v46, v48
	s_delay_alu instid0(VALU_DEP_1) | instskip(NEXT) | instid1(VALU_DEP_2)
	v_add_f32_e32 v50, 1.0, v47
	v_add_f32_e32 v48, v44, v48
	s_delay_alu instid0(VALU_DEP_2) | instskip(NEXT) | instid1(VALU_DEP_2)
	v_sub_f32_e32 v46, v46, v50
	v_add_f32_e32 v50, v49, v48
	s_delay_alu instid0(VALU_DEP_2) | instskip(NEXT) | instid1(VALU_DEP_2)
	v_add_f32_e32 v44, v44, v46
	v_rcp_f32_e32 v46, v50
	v_sub_f32_e32 v49, v49, v50
	s_delay_alu instid0(VALU_DEP_1) | instskip(NEXT) | instid1(VALU_DEP_1)
	v_dual_add_f32 v51, v47, v44 :: v_dual_add_f32 v48, v48, v49
	v_sub_f32_e32 v47, v47, v51
	s_delay_alu instid0(TRANS32_DEP_1) | instskip(NEXT) | instid1(VALU_DEP_1)
	v_mul_f32_e32 v52, v51, v46
	v_dual_add_f32 v44, v44, v47 :: v_dual_mul_f32 v53, v50, v52
	s_delay_alu instid0(VALU_DEP_1) | instskip(NEXT) | instid1(VALU_DEP_1)
	v_fma_f32 v49, v52, v50, -v53
	v_fmac_f32_e32 v49, v52, v48
	s_delay_alu instid0(VALU_DEP_1) | instskip(NEXT) | instid1(VALU_DEP_1)
	v_add_f32_e32 v54, v53, v49
	v_sub_f32_e32 v55, v51, v54
	v_sub_f32_e32 v47, v54, v53
	s_delay_alu instid0(VALU_DEP_2) | instskip(NEXT) | instid1(VALU_DEP_2)
	v_sub_f32_e32 v51, v51, v55
	v_sub_f32_e32 v47, v47, v49
	s_delay_alu instid0(VALU_DEP_2) | instskip(NEXT) | instid1(VALU_DEP_1)
	v_sub_f32_e32 v51, v51, v54
	v_add_f32_e32 v44, v44, v51
	s_delay_alu instid0(VALU_DEP_1) | instskip(NEXT) | instid1(VALU_DEP_1)
	v_add_f32_e32 v44, v47, v44
	v_add_f32_e32 v47, v55, v44
	s_delay_alu instid0(VALU_DEP_1) | instskip(NEXT) | instid1(VALU_DEP_1)
	v_mul_f32_e32 v49, v46, v47
	v_dual_sub_f32 v54, v55, v47 :: v_dual_mul_f32 v51, v50, v49
	s_delay_alu instid0(VALU_DEP_1) | instskip(NEXT) | instid1(VALU_DEP_2)
	v_add_f32_e32 v44, v44, v54
	v_fma_f32 v50, v49, v50, -v51
	s_delay_alu instid0(VALU_DEP_1) | instskip(NEXT) | instid1(VALU_DEP_1)
	v_fmac_f32_e32 v50, v49, v48
	v_add_f32_e32 v48, v51, v50
	s_delay_alu instid0(VALU_DEP_1) | instskip(SKIP_1) | instid1(VALU_DEP_2)
	v_sub_f32_e32 v53, v47, v48
	v_sub_f32_e32 v51, v48, v51
	;; [unrolled: 1-line block ×3, first 2 shown]
	s_delay_alu instid0(VALU_DEP_1) | instskip(NEXT) | instid1(VALU_DEP_3)
	v_sub_f32_e32 v47, v47, v48
	v_sub_f32_e32 v48, v51, v50
	s_delay_alu instid0(VALU_DEP_2) | instskip(SKIP_1) | instid1(VALU_DEP_2)
	v_add_f32_e32 v44, v44, v47
	v_add_f32_e32 v47, v52, v49
	v_add_f32_e32 v44, v48, v44
	s_delay_alu instid0(VALU_DEP_2) | instskip(NEXT) | instid1(VALU_DEP_2)
	v_sub_f32_e32 v48, v47, v52
	v_add_f32_e32 v44, v53, v44
	s_delay_alu instid0(VALU_DEP_2) | instskip(NEXT) | instid1(VALU_DEP_2)
	v_sub_f32_e32 v48, v49, v48
	v_mul_f32_e32 v44, v46, v44
	s_delay_alu instid0(VALU_DEP_1) | instskip(NEXT) | instid1(VALU_DEP_1)
	v_add_f32_e32 v44, v48, v44
	v_add_f32_e32 v46, v47, v44
	s_delay_alu instid0(VALU_DEP_1) | instskip(SKIP_1) | instid1(VALU_DEP_1)
	v_mul_f32_e32 v48, v46, v46
	s_wait_alu 0xfffe
	v_fmaak_f32 v49, s16, v48, 0x3ecc95a3
	v_mul_f32_e32 v50, v46, v48
	v_cmp_neq_f32_e64 s16, 0x7f800000, v45
	s_delay_alu instid0(VALU_DEP_3) | instskip(SKIP_2) | instid1(VALU_DEP_3)
	v_fmaak_f32 v48, v48, v49, 0x3f2aaada
	v_ldexp_f32 v49, v46, 1
	v_sub_f32_e32 v46, v46, v47
	v_mul_f32_e32 v48, v50, v48
	v_mul_f32_e32 v50, 0x3f317218, v43
	s_delay_alu instid0(VALU_DEP_2) | instskip(NEXT) | instid1(VALU_DEP_1)
	v_dual_sub_f32 v44, v44, v46 :: v_dual_add_f32 v47, v49, v48
	v_ldexp_f32 v44, v44, 1
	s_delay_alu instid0(VALU_DEP_2) | instskip(NEXT) | instid1(VALU_DEP_4)
	v_sub_f32_e32 v46, v47, v49
	v_fma_f32 v49, 0x3f317218, v43, -v50
	s_delay_alu instid0(VALU_DEP_1) | instskip(NEXT) | instid1(VALU_DEP_1)
	v_dual_sub_f32 v46, v48, v46 :: v_dual_fmamk_f32 v43, v43, 0xb102e308, v49
	v_add_f32_e32 v44, v44, v46
	s_delay_alu instid0(VALU_DEP_2) | instskip(NEXT) | instid1(VALU_DEP_2)
	v_add_f32_e32 v46, v50, v43
	v_add_f32_e32 v48, v47, v44
	s_delay_alu instid0(VALU_DEP_2) | instskip(NEXT) | instid1(VALU_DEP_2)
	v_sub_f32_e32 v50, v46, v50
	v_add_f32_e32 v49, v46, v48
	v_sub_f32_e32 v47, v48, v47
	s_delay_alu instid0(VALU_DEP_3) | instskip(NEXT) | instid1(VALU_DEP_2)
	v_sub_f32_e32 v43, v43, v50
	v_dual_sub_f32 v51, v49, v46 :: v_dual_sub_f32 v44, v44, v47
	s_delay_alu instid0(VALU_DEP_1) | instskip(NEXT) | instid1(VALU_DEP_2)
	v_sub_f32_e32 v52, v49, v51
	v_dual_sub_f32 v47, v48, v51 :: v_dual_add_f32 v48, v43, v44
	s_delay_alu instid0(VALU_DEP_2) | instskip(NEXT) | instid1(VALU_DEP_1)
	v_sub_f32_e32 v46, v46, v52
	v_dual_add_f32 v46, v47, v46 :: v_dual_sub_f32 v47, v48, v43
	s_delay_alu instid0(VALU_DEP_1) | instskip(NEXT) | instid1(VALU_DEP_2)
	v_add_f32_e32 v46, v48, v46
	v_sub_f32_e32 v48, v48, v47
	v_sub_f32_e32 v44, v44, v47
	s_delay_alu instid0(VALU_DEP_2) | instskip(NEXT) | instid1(VALU_DEP_1)
	v_dual_add_f32 v50, v49, v46 :: v_dual_sub_f32 v43, v43, v48
	v_sub_f32_e32 v47, v50, v49
	s_delay_alu instid0(VALU_DEP_2) | instskip(NEXT) | instid1(VALU_DEP_2)
	v_add_f32_e32 v43, v44, v43
	v_sub_f32_e32 v44, v46, v47
	s_delay_alu instid0(VALU_DEP_1) | instskip(NEXT) | instid1(VALU_DEP_1)
	v_add_f32_e32 v43, v43, v44
	v_add_f32_e32 v43, v50, v43
	s_wait_alu 0xf1ff
	s_delay_alu instid0(VALU_DEP_1) | instskip(SKIP_2) | instid1(VALU_DEP_1)
	v_cndmask_b32_e64 v43, 0x7f800000, v43, s16
	v_cmp_gt_f32_e64 s16, 0x33800000, |v45|
	s_wait_alu 0xf1ff
	v_cndmask_b32_e64 v43, v43, v45, s16
	s_delay_alu instid0(VALU_DEP_1)
	v_add_f32_e32 v43, v5, v43
.LBB508_58:
	s_or_b32 exec_lo, exec_lo, s36
	ds_load_u16 v5, v2 offset:4
	v_bfe_u32 v44, v43, 16, 1
	v_cmp_o_f32_e64 s16, v43, v43
	s_delay_alu instid0(VALU_DEP_2) | instskip(SKIP_2) | instid1(VALU_DEP_1)
	v_add3_u32 v44, v43, v44, 0x7fff
	s_wait_dscnt 0x0
	v_lshlrev_b32_e32 v5, 16, v5
	v_dual_max_num_f32 v45, v5, v5 :: v_dual_and_b32 v44, 0xffff0000, v44
	s_wait_alu 0xf1ff
	s_delay_alu instid0(VALU_DEP_1) | instskip(NEXT) | instid1(VALU_DEP_1)
	v_cndmask_b32_e64 v43, 0x7fc00000, v44, s16
	v_max_num_f32_e32 v44, v43, v43
	v_cmp_u_f32_e64 s16, v43, v43
	s_delay_alu instid0(VALU_DEP_2) | instskip(SKIP_2) | instid1(VALU_DEP_2)
	v_min_num_f32_e32 v46, v44, v45
	v_max_num_f32_e32 v44, v44, v45
	s_wait_alu 0xf1ff
	v_cndmask_b32_e64 v45, v46, v43, s16
	s_delay_alu instid0(VALU_DEP_2) | instskip(SKIP_2) | instid1(VALU_DEP_1)
	v_cndmask_b32_e64 v46, v44, v43, s16
	v_cmp_u_f32_e64 s16, v5, v5
	s_wait_alu 0xf1ff
	v_cndmask_b32_e64 v44, v45, v5, s16
	s_delay_alu instid0(VALU_DEP_3) | instskip(NEXT) | instid1(VALU_DEP_2)
	v_cndmask_b32_e64 v5, v46, v5, s16
	v_cmp_class_f32_e64 s36, v44, 0x1f8
	s_delay_alu instid0(VALU_DEP_2)
	v_cmp_neq_f32_e64 s16, v44, v5
	s_or_b32 s16, s16, s36
	s_wait_alu 0xfffe
	s_and_saveexec_b32 s36, s16
	s_cbranch_execz .LBB508_60
; %bb.59:
	v_sub_f32_e32 v43, v44, v5
	s_delay_alu instid0(VALU_DEP_1) | instskip(SKIP_1) | instid1(VALU_DEP_2)
	v_mul_f32_e32 v44, 0x3fb8aa3b, v43
	v_cmp_ngt_f32_e64 s16, 0xc2ce8ed0, v43
	v_fma_f32 v45, 0x3fb8aa3b, v43, -v44
	v_rndne_f32_e32 v46, v44
	s_delay_alu instid0(VALU_DEP_1) | instskip(NEXT) | instid1(VALU_DEP_1)
	v_dual_fmamk_f32 v45, v43, 0x32a5705f, v45 :: v_dual_sub_f32 v44, v44, v46
	v_add_f32_e32 v44, v44, v45
	v_cvt_i32_f32_e32 v45, v46
	s_delay_alu instid0(VALU_DEP_2) | instskip(NEXT) | instid1(TRANS32_DEP_1)
	v_exp_f32_e32 v44, v44
	v_ldexp_f32 v44, v44, v45
	s_wait_alu 0xf1ff
	s_delay_alu instid0(VALU_DEP_1) | instskip(SKIP_2) | instid1(VALU_DEP_1)
	v_cndmask_b32_e64 v44, 0, v44, s16
	v_cmp_nlt_f32_e64 s16, 0x42b17218, v43
	s_wait_alu 0xf1ff
	v_cndmask_b32_e64 v45, 0x7f800000, v44, s16
	s_delay_alu instid0(VALU_DEP_1) | instskip(NEXT) | instid1(VALU_DEP_1)
	v_add_f32_e32 v46, 1.0, v45
	v_cvt_f64_f32_e32 v[43:44], v46
	s_delay_alu instid0(VALU_DEP_1) | instskip(SKIP_1) | instid1(VALU_DEP_1)
	v_frexp_exp_i32_f64_e32 v43, v[43:44]
	v_frexp_mant_f32_e32 v44, v46
	v_cmp_gt_f32_e64 s16, 0x3f2aaaab, v44
	v_add_f32_e32 v44, -1.0, v46
	s_delay_alu instid0(VALU_DEP_1)
	v_sub_f32_e32 v48, v44, v46
	v_sub_f32_e32 v44, v45, v44
	s_wait_alu 0xf1ff
	v_subrev_co_ci_u32_e64 v43, null, 0, v43, s16
	s_mov_b32 s16, 0x3e9b6dac
	v_sub_nc_u32_e32 v47, 0, v43
	v_cvt_f32_i32_e32 v43, v43
	s_delay_alu instid0(VALU_DEP_2) | instskip(NEXT) | instid1(VALU_DEP_1)
	v_ldexp_f32 v46, v46, v47
	v_dual_add_f32 v49, 1.0, v46 :: v_dual_add_f32 v48, 1.0, v48
	s_delay_alu instid0(VALU_DEP_1) | instskip(NEXT) | instid1(VALU_DEP_2)
	v_add_f32_e32 v44, v44, v48
	v_add_f32_e32 v48, -1.0, v49
	s_delay_alu instid0(VALU_DEP_2) | instskip(NEXT) | instid1(VALU_DEP_2)
	v_ldexp_f32 v44, v44, v47
	v_dual_add_f32 v47, -1.0, v46 :: v_dual_sub_f32 v48, v46, v48
	s_delay_alu instid0(VALU_DEP_1) | instskip(NEXT) | instid1(VALU_DEP_2)
	v_add_f32_e32 v50, 1.0, v47
	v_add_f32_e32 v48, v44, v48
	s_delay_alu instid0(VALU_DEP_2) | instskip(NEXT) | instid1(VALU_DEP_2)
	v_sub_f32_e32 v46, v46, v50
	v_add_f32_e32 v50, v49, v48
	s_delay_alu instid0(VALU_DEP_2) | instskip(NEXT) | instid1(VALU_DEP_2)
	v_add_f32_e32 v44, v44, v46
	v_rcp_f32_e32 v46, v50
	v_sub_f32_e32 v49, v49, v50
	s_delay_alu instid0(VALU_DEP_1) | instskip(NEXT) | instid1(VALU_DEP_1)
	v_dual_add_f32 v51, v47, v44 :: v_dual_add_f32 v48, v48, v49
	v_sub_f32_e32 v47, v47, v51
	s_delay_alu instid0(TRANS32_DEP_1) | instskip(NEXT) | instid1(VALU_DEP_1)
	v_mul_f32_e32 v52, v51, v46
	v_dual_add_f32 v44, v44, v47 :: v_dual_mul_f32 v53, v50, v52
	s_delay_alu instid0(VALU_DEP_1) | instskip(NEXT) | instid1(VALU_DEP_1)
	v_fma_f32 v49, v52, v50, -v53
	v_fmac_f32_e32 v49, v52, v48
	s_delay_alu instid0(VALU_DEP_1) | instskip(NEXT) | instid1(VALU_DEP_1)
	v_add_f32_e32 v54, v53, v49
	v_sub_f32_e32 v55, v51, v54
	v_sub_f32_e32 v47, v54, v53
	s_delay_alu instid0(VALU_DEP_2) | instskip(NEXT) | instid1(VALU_DEP_2)
	v_sub_f32_e32 v51, v51, v55
	v_sub_f32_e32 v47, v47, v49
	s_delay_alu instid0(VALU_DEP_2) | instskip(NEXT) | instid1(VALU_DEP_1)
	v_sub_f32_e32 v51, v51, v54
	v_add_f32_e32 v44, v44, v51
	s_delay_alu instid0(VALU_DEP_1) | instskip(NEXT) | instid1(VALU_DEP_1)
	v_add_f32_e32 v44, v47, v44
	v_add_f32_e32 v47, v55, v44
	s_delay_alu instid0(VALU_DEP_1) | instskip(NEXT) | instid1(VALU_DEP_1)
	v_mul_f32_e32 v49, v46, v47
	v_dual_sub_f32 v54, v55, v47 :: v_dual_mul_f32 v51, v50, v49
	s_delay_alu instid0(VALU_DEP_1) | instskip(NEXT) | instid1(VALU_DEP_2)
	v_add_f32_e32 v44, v44, v54
	v_fma_f32 v50, v49, v50, -v51
	s_delay_alu instid0(VALU_DEP_1) | instskip(NEXT) | instid1(VALU_DEP_1)
	v_fmac_f32_e32 v50, v49, v48
	v_add_f32_e32 v48, v51, v50
	s_delay_alu instid0(VALU_DEP_1) | instskip(SKIP_1) | instid1(VALU_DEP_2)
	v_sub_f32_e32 v53, v47, v48
	v_sub_f32_e32 v51, v48, v51
	;; [unrolled: 1-line block ×3, first 2 shown]
	s_delay_alu instid0(VALU_DEP_1) | instskip(NEXT) | instid1(VALU_DEP_3)
	v_sub_f32_e32 v47, v47, v48
	v_sub_f32_e32 v48, v51, v50
	s_delay_alu instid0(VALU_DEP_2) | instskip(SKIP_1) | instid1(VALU_DEP_2)
	v_add_f32_e32 v44, v44, v47
	v_add_f32_e32 v47, v52, v49
	;; [unrolled: 1-line block ×3, first 2 shown]
	s_delay_alu instid0(VALU_DEP_2) | instskip(NEXT) | instid1(VALU_DEP_2)
	v_sub_f32_e32 v48, v47, v52
	v_add_f32_e32 v44, v53, v44
	s_delay_alu instid0(VALU_DEP_2) | instskip(NEXT) | instid1(VALU_DEP_2)
	v_sub_f32_e32 v48, v49, v48
	v_mul_f32_e32 v44, v46, v44
	s_delay_alu instid0(VALU_DEP_1) | instskip(NEXT) | instid1(VALU_DEP_1)
	v_add_f32_e32 v44, v48, v44
	v_add_f32_e32 v46, v47, v44
	s_delay_alu instid0(VALU_DEP_1) | instskip(SKIP_1) | instid1(VALU_DEP_1)
	v_mul_f32_e32 v48, v46, v46
	s_wait_alu 0xfffe
	v_fmaak_f32 v49, s16, v48, 0x3ecc95a3
	v_mul_f32_e32 v50, v46, v48
	v_cmp_neq_f32_e64 s16, 0x7f800000, v45
	s_delay_alu instid0(VALU_DEP_3) | instskip(SKIP_2) | instid1(VALU_DEP_3)
	v_fmaak_f32 v48, v48, v49, 0x3f2aaada
	v_ldexp_f32 v49, v46, 1
	v_sub_f32_e32 v46, v46, v47
	v_mul_f32_e32 v48, v50, v48
	v_mul_f32_e32 v50, 0x3f317218, v43
	s_delay_alu instid0(VALU_DEP_2) | instskip(NEXT) | instid1(VALU_DEP_1)
	v_dual_sub_f32 v44, v44, v46 :: v_dual_add_f32 v47, v49, v48
	v_ldexp_f32 v44, v44, 1
	s_delay_alu instid0(VALU_DEP_2) | instskip(NEXT) | instid1(VALU_DEP_4)
	v_sub_f32_e32 v46, v47, v49
	v_fma_f32 v49, 0x3f317218, v43, -v50
	s_delay_alu instid0(VALU_DEP_1) | instskip(NEXT) | instid1(VALU_DEP_1)
	v_dual_sub_f32 v46, v48, v46 :: v_dual_fmamk_f32 v43, v43, 0xb102e308, v49
	v_add_f32_e32 v44, v44, v46
	s_delay_alu instid0(VALU_DEP_2) | instskip(NEXT) | instid1(VALU_DEP_2)
	v_add_f32_e32 v46, v50, v43
	v_add_f32_e32 v48, v47, v44
	s_delay_alu instid0(VALU_DEP_2) | instskip(NEXT) | instid1(VALU_DEP_2)
	v_sub_f32_e32 v50, v46, v50
	v_add_f32_e32 v49, v46, v48
	v_sub_f32_e32 v47, v48, v47
	s_delay_alu instid0(VALU_DEP_3) | instskip(NEXT) | instid1(VALU_DEP_2)
	v_sub_f32_e32 v43, v43, v50
	v_dual_sub_f32 v51, v49, v46 :: v_dual_sub_f32 v44, v44, v47
	s_delay_alu instid0(VALU_DEP_1) | instskip(NEXT) | instid1(VALU_DEP_2)
	v_sub_f32_e32 v52, v49, v51
	v_dual_sub_f32 v47, v48, v51 :: v_dual_add_f32 v48, v43, v44
	s_delay_alu instid0(VALU_DEP_2) | instskip(NEXT) | instid1(VALU_DEP_1)
	v_sub_f32_e32 v46, v46, v52
	v_dual_add_f32 v46, v47, v46 :: v_dual_sub_f32 v47, v48, v43
	s_delay_alu instid0(VALU_DEP_1) | instskip(NEXT) | instid1(VALU_DEP_2)
	v_add_f32_e32 v46, v48, v46
	v_sub_f32_e32 v48, v48, v47
	v_sub_f32_e32 v44, v44, v47
	s_delay_alu instid0(VALU_DEP_2) | instskip(NEXT) | instid1(VALU_DEP_1)
	v_dual_add_f32 v50, v49, v46 :: v_dual_sub_f32 v43, v43, v48
	v_sub_f32_e32 v47, v50, v49
	s_delay_alu instid0(VALU_DEP_2) | instskip(NEXT) | instid1(VALU_DEP_2)
	v_add_f32_e32 v43, v44, v43
	v_sub_f32_e32 v44, v46, v47
	s_delay_alu instid0(VALU_DEP_1) | instskip(NEXT) | instid1(VALU_DEP_1)
	v_add_f32_e32 v43, v43, v44
	v_add_f32_e32 v43, v50, v43
	s_wait_alu 0xf1ff
	s_delay_alu instid0(VALU_DEP_1) | instskip(SKIP_2) | instid1(VALU_DEP_1)
	v_cndmask_b32_e64 v43, 0x7f800000, v43, s16
	v_cmp_gt_f32_e64 s16, 0x33800000, |v45|
	s_wait_alu 0xf1ff
	v_cndmask_b32_e64 v43, v43, v45, s16
	s_delay_alu instid0(VALU_DEP_1)
	v_add_f32_e32 v43, v5, v43
.LBB508_60:
	s_or_b32 exec_lo, exec_lo, s36
	ds_load_u16 v5, v2 offset:6
	v_bfe_u32 v44, v43, 16, 1
	v_cmp_o_f32_e64 s16, v43, v43
	s_delay_alu instid0(VALU_DEP_2) | instskip(SKIP_2) | instid1(VALU_DEP_1)
	v_add3_u32 v44, v43, v44, 0x7fff
	s_wait_dscnt 0x0
	v_lshlrev_b32_e32 v5, 16, v5
	v_dual_max_num_f32 v45, v5, v5 :: v_dual_and_b32 v44, 0xffff0000, v44
	s_wait_alu 0xf1ff
	s_delay_alu instid0(VALU_DEP_1) | instskip(NEXT) | instid1(VALU_DEP_1)
	v_cndmask_b32_e64 v43, 0x7fc00000, v44, s16
	v_max_num_f32_e32 v44, v43, v43
	v_cmp_u_f32_e64 s16, v43, v43
	s_delay_alu instid0(VALU_DEP_2) | instskip(SKIP_2) | instid1(VALU_DEP_2)
	v_min_num_f32_e32 v46, v44, v45
	v_max_num_f32_e32 v44, v44, v45
	s_wait_alu 0xf1ff
	v_cndmask_b32_e64 v45, v46, v43, s16
	s_delay_alu instid0(VALU_DEP_2) | instskip(SKIP_2) | instid1(VALU_DEP_1)
	v_cndmask_b32_e64 v46, v44, v43, s16
	v_cmp_u_f32_e64 s16, v5, v5
	s_wait_alu 0xf1ff
	v_cndmask_b32_e64 v44, v45, v5, s16
	s_delay_alu instid0(VALU_DEP_3) | instskip(NEXT) | instid1(VALU_DEP_2)
	v_cndmask_b32_e64 v5, v46, v5, s16
	v_cmp_class_f32_e64 s36, v44, 0x1f8
	s_delay_alu instid0(VALU_DEP_2)
	v_cmp_neq_f32_e64 s16, v44, v5
	s_or_b32 s16, s16, s36
	s_wait_alu 0xfffe
	s_and_saveexec_b32 s36, s16
	s_cbranch_execz .LBB508_62
; %bb.61:
	v_sub_f32_e32 v43, v44, v5
	s_delay_alu instid0(VALU_DEP_1) | instskip(SKIP_1) | instid1(VALU_DEP_2)
	v_mul_f32_e32 v44, 0x3fb8aa3b, v43
	v_cmp_ngt_f32_e64 s16, 0xc2ce8ed0, v43
	v_fma_f32 v45, 0x3fb8aa3b, v43, -v44
	v_rndne_f32_e32 v46, v44
	s_delay_alu instid0(VALU_DEP_1) | instskip(NEXT) | instid1(VALU_DEP_1)
	v_dual_fmamk_f32 v45, v43, 0x32a5705f, v45 :: v_dual_sub_f32 v44, v44, v46
	v_add_f32_e32 v44, v44, v45
	v_cvt_i32_f32_e32 v45, v46
	s_delay_alu instid0(VALU_DEP_2) | instskip(NEXT) | instid1(TRANS32_DEP_1)
	v_exp_f32_e32 v44, v44
	v_ldexp_f32 v44, v44, v45
	s_wait_alu 0xf1ff
	s_delay_alu instid0(VALU_DEP_1) | instskip(SKIP_2) | instid1(VALU_DEP_1)
	v_cndmask_b32_e64 v44, 0, v44, s16
	v_cmp_nlt_f32_e64 s16, 0x42b17218, v43
	s_wait_alu 0xf1ff
	v_cndmask_b32_e64 v45, 0x7f800000, v44, s16
	s_delay_alu instid0(VALU_DEP_1) | instskip(NEXT) | instid1(VALU_DEP_1)
	v_add_f32_e32 v46, 1.0, v45
	v_cvt_f64_f32_e32 v[43:44], v46
	s_delay_alu instid0(VALU_DEP_1) | instskip(SKIP_1) | instid1(VALU_DEP_1)
	v_frexp_exp_i32_f64_e32 v43, v[43:44]
	v_frexp_mant_f32_e32 v44, v46
	v_cmp_gt_f32_e64 s16, 0x3f2aaaab, v44
	v_add_f32_e32 v44, -1.0, v46
	s_delay_alu instid0(VALU_DEP_1)
	v_sub_f32_e32 v48, v44, v46
	v_sub_f32_e32 v44, v45, v44
	s_wait_alu 0xf1ff
	v_subrev_co_ci_u32_e64 v43, null, 0, v43, s16
	s_mov_b32 s16, 0x3e9b6dac
	v_sub_nc_u32_e32 v47, 0, v43
	v_cvt_f32_i32_e32 v43, v43
	s_delay_alu instid0(VALU_DEP_2) | instskip(NEXT) | instid1(VALU_DEP_1)
	v_ldexp_f32 v46, v46, v47
	v_dual_add_f32 v49, 1.0, v46 :: v_dual_add_f32 v48, 1.0, v48
	s_delay_alu instid0(VALU_DEP_1) | instskip(NEXT) | instid1(VALU_DEP_2)
	v_add_f32_e32 v44, v44, v48
	v_add_f32_e32 v48, -1.0, v49
	s_delay_alu instid0(VALU_DEP_2) | instskip(NEXT) | instid1(VALU_DEP_2)
	v_ldexp_f32 v44, v44, v47
	v_dual_add_f32 v47, -1.0, v46 :: v_dual_sub_f32 v48, v46, v48
	s_delay_alu instid0(VALU_DEP_1) | instskip(NEXT) | instid1(VALU_DEP_2)
	v_add_f32_e32 v50, 1.0, v47
	v_add_f32_e32 v48, v44, v48
	s_delay_alu instid0(VALU_DEP_2) | instskip(NEXT) | instid1(VALU_DEP_2)
	v_sub_f32_e32 v46, v46, v50
	v_add_f32_e32 v50, v49, v48
	s_delay_alu instid0(VALU_DEP_2) | instskip(NEXT) | instid1(VALU_DEP_2)
	v_add_f32_e32 v44, v44, v46
	v_rcp_f32_e32 v46, v50
	v_sub_f32_e32 v49, v49, v50
	s_delay_alu instid0(VALU_DEP_1) | instskip(NEXT) | instid1(VALU_DEP_1)
	v_dual_add_f32 v51, v47, v44 :: v_dual_add_f32 v48, v48, v49
	v_sub_f32_e32 v47, v47, v51
	s_delay_alu instid0(TRANS32_DEP_1) | instskip(NEXT) | instid1(VALU_DEP_1)
	v_mul_f32_e32 v52, v51, v46
	v_dual_add_f32 v44, v44, v47 :: v_dual_mul_f32 v53, v50, v52
	s_delay_alu instid0(VALU_DEP_1) | instskip(NEXT) | instid1(VALU_DEP_1)
	v_fma_f32 v49, v52, v50, -v53
	v_fmac_f32_e32 v49, v52, v48
	s_delay_alu instid0(VALU_DEP_1) | instskip(NEXT) | instid1(VALU_DEP_1)
	v_add_f32_e32 v54, v53, v49
	v_sub_f32_e32 v55, v51, v54
	v_sub_f32_e32 v47, v54, v53
	s_delay_alu instid0(VALU_DEP_2) | instskip(NEXT) | instid1(VALU_DEP_2)
	v_sub_f32_e32 v51, v51, v55
	v_sub_f32_e32 v47, v47, v49
	s_delay_alu instid0(VALU_DEP_2) | instskip(NEXT) | instid1(VALU_DEP_1)
	v_sub_f32_e32 v51, v51, v54
	v_add_f32_e32 v44, v44, v51
	s_delay_alu instid0(VALU_DEP_1) | instskip(NEXT) | instid1(VALU_DEP_1)
	v_add_f32_e32 v44, v47, v44
	v_add_f32_e32 v47, v55, v44
	s_delay_alu instid0(VALU_DEP_1) | instskip(NEXT) | instid1(VALU_DEP_1)
	v_mul_f32_e32 v49, v46, v47
	v_dual_sub_f32 v54, v55, v47 :: v_dual_mul_f32 v51, v50, v49
	s_delay_alu instid0(VALU_DEP_1) | instskip(NEXT) | instid1(VALU_DEP_2)
	v_add_f32_e32 v44, v44, v54
	v_fma_f32 v50, v49, v50, -v51
	s_delay_alu instid0(VALU_DEP_1) | instskip(NEXT) | instid1(VALU_DEP_1)
	v_fmac_f32_e32 v50, v49, v48
	v_add_f32_e32 v48, v51, v50
	s_delay_alu instid0(VALU_DEP_1) | instskip(SKIP_1) | instid1(VALU_DEP_2)
	v_sub_f32_e32 v53, v47, v48
	v_sub_f32_e32 v51, v48, v51
	;; [unrolled: 1-line block ×3, first 2 shown]
	s_delay_alu instid0(VALU_DEP_1) | instskip(NEXT) | instid1(VALU_DEP_3)
	v_sub_f32_e32 v47, v47, v48
	v_sub_f32_e32 v48, v51, v50
	s_delay_alu instid0(VALU_DEP_2) | instskip(SKIP_1) | instid1(VALU_DEP_2)
	v_add_f32_e32 v44, v44, v47
	v_add_f32_e32 v47, v52, v49
	;; [unrolled: 1-line block ×3, first 2 shown]
	s_delay_alu instid0(VALU_DEP_2) | instskip(NEXT) | instid1(VALU_DEP_2)
	v_sub_f32_e32 v48, v47, v52
	v_add_f32_e32 v44, v53, v44
	s_delay_alu instid0(VALU_DEP_2) | instskip(NEXT) | instid1(VALU_DEP_2)
	v_sub_f32_e32 v48, v49, v48
	v_mul_f32_e32 v44, v46, v44
	s_delay_alu instid0(VALU_DEP_1) | instskip(NEXT) | instid1(VALU_DEP_1)
	v_add_f32_e32 v44, v48, v44
	v_add_f32_e32 v46, v47, v44
	s_delay_alu instid0(VALU_DEP_1) | instskip(SKIP_1) | instid1(VALU_DEP_1)
	v_mul_f32_e32 v48, v46, v46
	s_wait_alu 0xfffe
	v_fmaak_f32 v49, s16, v48, 0x3ecc95a3
	v_mul_f32_e32 v50, v46, v48
	v_cmp_neq_f32_e64 s16, 0x7f800000, v45
	s_delay_alu instid0(VALU_DEP_3) | instskip(SKIP_2) | instid1(VALU_DEP_3)
	v_fmaak_f32 v48, v48, v49, 0x3f2aaada
	v_ldexp_f32 v49, v46, 1
	v_sub_f32_e32 v46, v46, v47
	v_mul_f32_e32 v48, v50, v48
	v_mul_f32_e32 v50, 0x3f317218, v43
	s_delay_alu instid0(VALU_DEP_2) | instskip(NEXT) | instid1(VALU_DEP_1)
	v_dual_sub_f32 v44, v44, v46 :: v_dual_add_f32 v47, v49, v48
	v_ldexp_f32 v44, v44, 1
	s_delay_alu instid0(VALU_DEP_2) | instskip(NEXT) | instid1(VALU_DEP_4)
	v_sub_f32_e32 v46, v47, v49
	v_fma_f32 v49, 0x3f317218, v43, -v50
	s_delay_alu instid0(VALU_DEP_1) | instskip(NEXT) | instid1(VALU_DEP_1)
	v_dual_sub_f32 v46, v48, v46 :: v_dual_fmamk_f32 v43, v43, 0xb102e308, v49
	v_add_f32_e32 v44, v44, v46
	s_delay_alu instid0(VALU_DEP_2) | instskip(NEXT) | instid1(VALU_DEP_2)
	v_add_f32_e32 v46, v50, v43
	v_add_f32_e32 v48, v47, v44
	s_delay_alu instid0(VALU_DEP_2) | instskip(NEXT) | instid1(VALU_DEP_2)
	v_sub_f32_e32 v50, v46, v50
	v_add_f32_e32 v49, v46, v48
	v_sub_f32_e32 v47, v48, v47
	s_delay_alu instid0(VALU_DEP_3) | instskip(NEXT) | instid1(VALU_DEP_2)
	v_sub_f32_e32 v43, v43, v50
	v_dual_sub_f32 v51, v49, v46 :: v_dual_sub_f32 v44, v44, v47
	s_delay_alu instid0(VALU_DEP_1) | instskip(NEXT) | instid1(VALU_DEP_2)
	v_sub_f32_e32 v52, v49, v51
	v_dual_sub_f32 v47, v48, v51 :: v_dual_add_f32 v48, v43, v44
	s_delay_alu instid0(VALU_DEP_2) | instskip(NEXT) | instid1(VALU_DEP_1)
	v_sub_f32_e32 v46, v46, v52
	v_dual_add_f32 v46, v47, v46 :: v_dual_sub_f32 v47, v48, v43
	s_delay_alu instid0(VALU_DEP_1) | instskip(NEXT) | instid1(VALU_DEP_2)
	v_add_f32_e32 v46, v48, v46
	v_sub_f32_e32 v48, v48, v47
	v_sub_f32_e32 v44, v44, v47
	s_delay_alu instid0(VALU_DEP_2) | instskip(NEXT) | instid1(VALU_DEP_1)
	v_dual_add_f32 v50, v49, v46 :: v_dual_sub_f32 v43, v43, v48
	v_sub_f32_e32 v47, v50, v49
	s_delay_alu instid0(VALU_DEP_2) | instskip(NEXT) | instid1(VALU_DEP_2)
	v_add_f32_e32 v43, v44, v43
	v_sub_f32_e32 v44, v46, v47
	s_delay_alu instid0(VALU_DEP_1) | instskip(NEXT) | instid1(VALU_DEP_1)
	v_add_f32_e32 v43, v43, v44
	v_add_f32_e32 v43, v50, v43
	s_wait_alu 0xf1ff
	s_delay_alu instid0(VALU_DEP_1) | instskip(SKIP_2) | instid1(VALU_DEP_1)
	v_cndmask_b32_e64 v43, 0x7f800000, v43, s16
	v_cmp_gt_f32_e64 s16, 0x33800000, |v45|
	s_wait_alu 0xf1ff
	v_cndmask_b32_e64 v43, v43, v45, s16
	s_delay_alu instid0(VALU_DEP_1)
	v_add_f32_e32 v43, v5, v43
.LBB508_62:
	s_or_b32 exec_lo, exec_lo, s36
	ds_load_u16 v5, v2 offset:8
	v_bfe_u32 v44, v43, 16, 1
	v_cmp_o_f32_e64 s16, v43, v43
	s_delay_alu instid0(VALU_DEP_2) | instskip(SKIP_2) | instid1(VALU_DEP_1)
	v_add3_u32 v44, v43, v44, 0x7fff
	s_wait_dscnt 0x0
	v_lshlrev_b32_e32 v5, 16, v5
	v_dual_max_num_f32 v45, v5, v5 :: v_dual_and_b32 v44, 0xffff0000, v44
	s_wait_alu 0xf1ff
	s_delay_alu instid0(VALU_DEP_1) | instskip(NEXT) | instid1(VALU_DEP_1)
	v_cndmask_b32_e64 v43, 0x7fc00000, v44, s16
	v_max_num_f32_e32 v44, v43, v43
	v_cmp_u_f32_e64 s16, v43, v43
	s_delay_alu instid0(VALU_DEP_2) | instskip(SKIP_2) | instid1(VALU_DEP_2)
	v_min_num_f32_e32 v46, v44, v45
	v_max_num_f32_e32 v44, v44, v45
	s_wait_alu 0xf1ff
	v_cndmask_b32_e64 v45, v46, v43, s16
	s_delay_alu instid0(VALU_DEP_2) | instskip(SKIP_2) | instid1(VALU_DEP_1)
	v_cndmask_b32_e64 v46, v44, v43, s16
	v_cmp_u_f32_e64 s16, v5, v5
	s_wait_alu 0xf1ff
	v_cndmask_b32_e64 v44, v45, v5, s16
	s_delay_alu instid0(VALU_DEP_3) | instskip(NEXT) | instid1(VALU_DEP_2)
	v_cndmask_b32_e64 v5, v46, v5, s16
	v_cmp_class_f32_e64 s36, v44, 0x1f8
	s_delay_alu instid0(VALU_DEP_2)
	v_cmp_neq_f32_e64 s16, v44, v5
	s_or_b32 s16, s16, s36
	s_wait_alu 0xfffe
	s_and_saveexec_b32 s36, s16
	s_cbranch_execz .LBB508_64
; %bb.63:
	v_sub_f32_e32 v43, v44, v5
	s_delay_alu instid0(VALU_DEP_1) | instskip(SKIP_1) | instid1(VALU_DEP_2)
	v_mul_f32_e32 v44, 0x3fb8aa3b, v43
	v_cmp_ngt_f32_e64 s16, 0xc2ce8ed0, v43
	v_fma_f32 v45, 0x3fb8aa3b, v43, -v44
	v_rndne_f32_e32 v46, v44
	s_delay_alu instid0(VALU_DEP_1) | instskip(NEXT) | instid1(VALU_DEP_1)
	v_dual_fmamk_f32 v45, v43, 0x32a5705f, v45 :: v_dual_sub_f32 v44, v44, v46
	v_add_f32_e32 v44, v44, v45
	v_cvt_i32_f32_e32 v45, v46
	s_delay_alu instid0(VALU_DEP_2) | instskip(NEXT) | instid1(TRANS32_DEP_1)
	v_exp_f32_e32 v44, v44
	v_ldexp_f32 v44, v44, v45
	s_wait_alu 0xf1ff
	s_delay_alu instid0(VALU_DEP_1) | instskip(SKIP_2) | instid1(VALU_DEP_1)
	v_cndmask_b32_e64 v44, 0, v44, s16
	v_cmp_nlt_f32_e64 s16, 0x42b17218, v43
	s_wait_alu 0xf1ff
	v_cndmask_b32_e64 v45, 0x7f800000, v44, s16
	s_delay_alu instid0(VALU_DEP_1) | instskip(NEXT) | instid1(VALU_DEP_1)
	v_add_f32_e32 v46, 1.0, v45
	v_cvt_f64_f32_e32 v[43:44], v46
	s_delay_alu instid0(VALU_DEP_1) | instskip(SKIP_1) | instid1(VALU_DEP_1)
	v_frexp_exp_i32_f64_e32 v43, v[43:44]
	v_frexp_mant_f32_e32 v44, v46
	v_cmp_gt_f32_e64 s16, 0x3f2aaaab, v44
	v_add_f32_e32 v44, -1.0, v46
	s_delay_alu instid0(VALU_DEP_1)
	v_sub_f32_e32 v48, v44, v46
	v_sub_f32_e32 v44, v45, v44
	s_wait_alu 0xf1ff
	v_subrev_co_ci_u32_e64 v43, null, 0, v43, s16
	s_mov_b32 s16, 0x3e9b6dac
	v_sub_nc_u32_e32 v47, 0, v43
	v_cvt_f32_i32_e32 v43, v43
	s_delay_alu instid0(VALU_DEP_2) | instskip(NEXT) | instid1(VALU_DEP_1)
	v_ldexp_f32 v46, v46, v47
	v_dual_add_f32 v49, 1.0, v46 :: v_dual_add_f32 v48, 1.0, v48
	s_delay_alu instid0(VALU_DEP_1) | instskip(NEXT) | instid1(VALU_DEP_2)
	v_add_f32_e32 v44, v44, v48
	v_add_f32_e32 v48, -1.0, v49
	s_delay_alu instid0(VALU_DEP_2) | instskip(NEXT) | instid1(VALU_DEP_2)
	v_ldexp_f32 v44, v44, v47
	v_dual_add_f32 v47, -1.0, v46 :: v_dual_sub_f32 v48, v46, v48
	s_delay_alu instid0(VALU_DEP_1) | instskip(NEXT) | instid1(VALU_DEP_2)
	v_add_f32_e32 v50, 1.0, v47
	v_add_f32_e32 v48, v44, v48
	s_delay_alu instid0(VALU_DEP_2) | instskip(NEXT) | instid1(VALU_DEP_2)
	v_sub_f32_e32 v46, v46, v50
	v_add_f32_e32 v50, v49, v48
	s_delay_alu instid0(VALU_DEP_2) | instskip(NEXT) | instid1(VALU_DEP_2)
	v_add_f32_e32 v44, v44, v46
	v_rcp_f32_e32 v46, v50
	v_sub_f32_e32 v49, v49, v50
	s_delay_alu instid0(VALU_DEP_1) | instskip(NEXT) | instid1(VALU_DEP_1)
	v_dual_add_f32 v51, v47, v44 :: v_dual_add_f32 v48, v48, v49
	v_sub_f32_e32 v47, v47, v51
	s_delay_alu instid0(TRANS32_DEP_1) | instskip(NEXT) | instid1(VALU_DEP_1)
	v_mul_f32_e32 v52, v51, v46
	v_dual_add_f32 v44, v44, v47 :: v_dual_mul_f32 v53, v50, v52
	s_delay_alu instid0(VALU_DEP_1) | instskip(NEXT) | instid1(VALU_DEP_1)
	v_fma_f32 v49, v52, v50, -v53
	v_fmac_f32_e32 v49, v52, v48
	s_delay_alu instid0(VALU_DEP_1) | instskip(NEXT) | instid1(VALU_DEP_1)
	v_add_f32_e32 v54, v53, v49
	v_sub_f32_e32 v55, v51, v54
	v_sub_f32_e32 v47, v54, v53
	s_delay_alu instid0(VALU_DEP_2) | instskip(NEXT) | instid1(VALU_DEP_2)
	v_sub_f32_e32 v51, v51, v55
	v_sub_f32_e32 v47, v47, v49
	s_delay_alu instid0(VALU_DEP_2) | instskip(NEXT) | instid1(VALU_DEP_1)
	v_sub_f32_e32 v51, v51, v54
	v_add_f32_e32 v44, v44, v51
	s_delay_alu instid0(VALU_DEP_1) | instskip(NEXT) | instid1(VALU_DEP_1)
	v_add_f32_e32 v44, v47, v44
	v_add_f32_e32 v47, v55, v44
	s_delay_alu instid0(VALU_DEP_1) | instskip(NEXT) | instid1(VALU_DEP_1)
	v_mul_f32_e32 v49, v46, v47
	v_dual_sub_f32 v54, v55, v47 :: v_dual_mul_f32 v51, v50, v49
	s_delay_alu instid0(VALU_DEP_1) | instskip(NEXT) | instid1(VALU_DEP_2)
	v_add_f32_e32 v44, v44, v54
	v_fma_f32 v50, v49, v50, -v51
	s_delay_alu instid0(VALU_DEP_1) | instskip(NEXT) | instid1(VALU_DEP_1)
	v_fmac_f32_e32 v50, v49, v48
	v_add_f32_e32 v48, v51, v50
	s_delay_alu instid0(VALU_DEP_1) | instskip(SKIP_1) | instid1(VALU_DEP_2)
	v_sub_f32_e32 v53, v47, v48
	v_sub_f32_e32 v51, v48, v51
	;; [unrolled: 1-line block ×3, first 2 shown]
	s_delay_alu instid0(VALU_DEP_1) | instskip(NEXT) | instid1(VALU_DEP_3)
	v_sub_f32_e32 v47, v47, v48
	v_sub_f32_e32 v48, v51, v50
	s_delay_alu instid0(VALU_DEP_2) | instskip(SKIP_1) | instid1(VALU_DEP_2)
	v_add_f32_e32 v44, v44, v47
	v_add_f32_e32 v47, v52, v49
	;; [unrolled: 1-line block ×3, first 2 shown]
	s_delay_alu instid0(VALU_DEP_2) | instskip(NEXT) | instid1(VALU_DEP_2)
	v_sub_f32_e32 v48, v47, v52
	v_add_f32_e32 v44, v53, v44
	s_delay_alu instid0(VALU_DEP_2) | instskip(NEXT) | instid1(VALU_DEP_2)
	v_sub_f32_e32 v48, v49, v48
	v_mul_f32_e32 v44, v46, v44
	s_delay_alu instid0(VALU_DEP_1) | instskip(NEXT) | instid1(VALU_DEP_1)
	v_add_f32_e32 v44, v48, v44
	v_add_f32_e32 v46, v47, v44
	s_delay_alu instid0(VALU_DEP_1) | instskip(SKIP_1) | instid1(VALU_DEP_1)
	v_mul_f32_e32 v48, v46, v46
	s_wait_alu 0xfffe
	v_fmaak_f32 v49, s16, v48, 0x3ecc95a3
	v_mul_f32_e32 v50, v46, v48
	v_cmp_neq_f32_e64 s16, 0x7f800000, v45
	s_delay_alu instid0(VALU_DEP_3) | instskip(SKIP_2) | instid1(VALU_DEP_3)
	v_fmaak_f32 v48, v48, v49, 0x3f2aaada
	v_ldexp_f32 v49, v46, 1
	v_sub_f32_e32 v46, v46, v47
	v_mul_f32_e32 v48, v50, v48
	v_mul_f32_e32 v50, 0x3f317218, v43
	s_delay_alu instid0(VALU_DEP_2) | instskip(NEXT) | instid1(VALU_DEP_1)
	v_dual_sub_f32 v44, v44, v46 :: v_dual_add_f32 v47, v49, v48
	v_ldexp_f32 v44, v44, 1
	s_delay_alu instid0(VALU_DEP_2) | instskip(NEXT) | instid1(VALU_DEP_4)
	v_sub_f32_e32 v46, v47, v49
	v_fma_f32 v49, 0x3f317218, v43, -v50
	s_delay_alu instid0(VALU_DEP_1) | instskip(NEXT) | instid1(VALU_DEP_1)
	v_dual_sub_f32 v46, v48, v46 :: v_dual_fmamk_f32 v43, v43, 0xb102e308, v49
	v_add_f32_e32 v44, v44, v46
	s_delay_alu instid0(VALU_DEP_2) | instskip(NEXT) | instid1(VALU_DEP_2)
	v_add_f32_e32 v46, v50, v43
	v_add_f32_e32 v48, v47, v44
	s_delay_alu instid0(VALU_DEP_2) | instskip(NEXT) | instid1(VALU_DEP_2)
	v_sub_f32_e32 v50, v46, v50
	v_add_f32_e32 v49, v46, v48
	v_sub_f32_e32 v47, v48, v47
	s_delay_alu instid0(VALU_DEP_3) | instskip(NEXT) | instid1(VALU_DEP_2)
	v_sub_f32_e32 v43, v43, v50
	v_dual_sub_f32 v51, v49, v46 :: v_dual_sub_f32 v44, v44, v47
	s_delay_alu instid0(VALU_DEP_1) | instskip(NEXT) | instid1(VALU_DEP_2)
	v_sub_f32_e32 v52, v49, v51
	v_dual_sub_f32 v47, v48, v51 :: v_dual_add_f32 v48, v43, v44
	s_delay_alu instid0(VALU_DEP_2) | instskip(NEXT) | instid1(VALU_DEP_1)
	v_sub_f32_e32 v46, v46, v52
	v_dual_add_f32 v46, v47, v46 :: v_dual_sub_f32 v47, v48, v43
	s_delay_alu instid0(VALU_DEP_1) | instskip(NEXT) | instid1(VALU_DEP_2)
	v_add_f32_e32 v46, v48, v46
	v_sub_f32_e32 v48, v48, v47
	v_sub_f32_e32 v44, v44, v47
	s_delay_alu instid0(VALU_DEP_2) | instskip(NEXT) | instid1(VALU_DEP_1)
	v_dual_add_f32 v50, v49, v46 :: v_dual_sub_f32 v43, v43, v48
	v_sub_f32_e32 v47, v50, v49
	s_delay_alu instid0(VALU_DEP_2) | instskip(NEXT) | instid1(VALU_DEP_2)
	v_add_f32_e32 v43, v44, v43
	v_sub_f32_e32 v44, v46, v47
	s_delay_alu instid0(VALU_DEP_1) | instskip(NEXT) | instid1(VALU_DEP_1)
	v_add_f32_e32 v43, v43, v44
	v_add_f32_e32 v43, v50, v43
	s_wait_alu 0xf1ff
	s_delay_alu instid0(VALU_DEP_1) | instskip(SKIP_2) | instid1(VALU_DEP_1)
	v_cndmask_b32_e64 v43, 0x7f800000, v43, s16
	v_cmp_gt_f32_e64 s16, 0x33800000, |v45|
	s_wait_alu 0xf1ff
	v_cndmask_b32_e64 v43, v43, v45, s16
	s_delay_alu instid0(VALU_DEP_1)
	v_add_f32_e32 v43, v5, v43
.LBB508_64:
	s_or_b32 exec_lo, exec_lo, s36
	ds_load_u16 v5, v2 offset:10
	v_bfe_u32 v44, v43, 16, 1
	v_cmp_o_f32_e64 s16, v43, v43
	s_delay_alu instid0(VALU_DEP_2) | instskip(SKIP_2) | instid1(VALU_DEP_1)
	v_add3_u32 v44, v43, v44, 0x7fff
	s_wait_dscnt 0x0
	v_lshlrev_b32_e32 v5, 16, v5
	v_dual_max_num_f32 v45, v5, v5 :: v_dual_and_b32 v44, 0xffff0000, v44
	s_wait_alu 0xf1ff
	s_delay_alu instid0(VALU_DEP_1) | instskip(NEXT) | instid1(VALU_DEP_1)
	v_cndmask_b32_e64 v43, 0x7fc00000, v44, s16
	v_max_num_f32_e32 v44, v43, v43
	v_cmp_u_f32_e64 s16, v43, v43
	s_delay_alu instid0(VALU_DEP_2) | instskip(SKIP_2) | instid1(VALU_DEP_2)
	v_min_num_f32_e32 v46, v44, v45
	v_max_num_f32_e32 v44, v44, v45
	s_wait_alu 0xf1ff
	v_cndmask_b32_e64 v45, v46, v43, s16
	s_delay_alu instid0(VALU_DEP_2) | instskip(SKIP_2) | instid1(VALU_DEP_1)
	v_cndmask_b32_e64 v46, v44, v43, s16
	v_cmp_u_f32_e64 s16, v5, v5
	s_wait_alu 0xf1ff
	v_cndmask_b32_e64 v44, v45, v5, s16
	s_delay_alu instid0(VALU_DEP_3) | instskip(NEXT) | instid1(VALU_DEP_2)
	v_cndmask_b32_e64 v5, v46, v5, s16
	v_cmp_class_f32_e64 s36, v44, 0x1f8
	s_delay_alu instid0(VALU_DEP_2)
	v_cmp_neq_f32_e64 s16, v44, v5
	s_or_b32 s16, s16, s36
	s_wait_alu 0xfffe
	s_and_saveexec_b32 s36, s16
	s_cbranch_execz .LBB508_66
; %bb.65:
	v_sub_f32_e32 v43, v44, v5
	s_delay_alu instid0(VALU_DEP_1) | instskip(SKIP_1) | instid1(VALU_DEP_2)
	v_mul_f32_e32 v44, 0x3fb8aa3b, v43
	v_cmp_ngt_f32_e64 s16, 0xc2ce8ed0, v43
	v_fma_f32 v45, 0x3fb8aa3b, v43, -v44
	v_rndne_f32_e32 v46, v44
	s_delay_alu instid0(VALU_DEP_1) | instskip(NEXT) | instid1(VALU_DEP_1)
	v_dual_fmamk_f32 v45, v43, 0x32a5705f, v45 :: v_dual_sub_f32 v44, v44, v46
	v_add_f32_e32 v44, v44, v45
	v_cvt_i32_f32_e32 v45, v46
	s_delay_alu instid0(VALU_DEP_2) | instskip(NEXT) | instid1(TRANS32_DEP_1)
	v_exp_f32_e32 v44, v44
	v_ldexp_f32 v44, v44, v45
	s_wait_alu 0xf1ff
	s_delay_alu instid0(VALU_DEP_1) | instskip(SKIP_2) | instid1(VALU_DEP_1)
	v_cndmask_b32_e64 v44, 0, v44, s16
	v_cmp_nlt_f32_e64 s16, 0x42b17218, v43
	s_wait_alu 0xf1ff
	v_cndmask_b32_e64 v45, 0x7f800000, v44, s16
	s_delay_alu instid0(VALU_DEP_1) | instskip(NEXT) | instid1(VALU_DEP_1)
	v_add_f32_e32 v46, 1.0, v45
	v_cvt_f64_f32_e32 v[43:44], v46
	s_delay_alu instid0(VALU_DEP_1) | instskip(SKIP_1) | instid1(VALU_DEP_1)
	v_frexp_exp_i32_f64_e32 v43, v[43:44]
	v_frexp_mant_f32_e32 v44, v46
	v_cmp_gt_f32_e64 s16, 0x3f2aaaab, v44
	v_add_f32_e32 v44, -1.0, v46
	s_delay_alu instid0(VALU_DEP_1)
	v_sub_f32_e32 v48, v44, v46
	v_sub_f32_e32 v44, v45, v44
	s_wait_alu 0xf1ff
	v_subrev_co_ci_u32_e64 v43, null, 0, v43, s16
	s_mov_b32 s16, 0x3e9b6dac
	v_sub_nc_u32_e32 v47, 0, v43
	v_cvt_f32_i32_e32 v43, v43
	s_delay_alu instid0(VALU_DEP_2) | instskip(NEXT) | instid1(VALU_DEP_1)
	v_ldexp_f32 v46, v46, v47
	v_dual_add_f32 v49, 1.0, v46 :: v_dual_add_f32 v48, 1.0, v48
	s_delay_alu instid0(VALU_DEP_1) | instskip(NEXT) | instid1(VALU_DEP_2)
	v_add_f32_e32 v44, v44, v48
	v_add_f32_e32 v48, -1.0, v49
	s_delay_alu instid0(VALU_DEP_2) | instskip(NEXT) | instid1(VALU_DEP_2)
	v_ldexp_f32 v44, v44, v47
	v_dual_add_f32 v47, -1.0, v46 :: v_dual_sub_f32 v48, v46, v48
	s_delay_alu instid0(VALU_DEP_1) | instskip(NEXT) | instid1(VALU_DEP_2)
	v_add_f32_e32 v50, 1.0, v47
	v_add_f32_e32 v48, v44, v48
	s_delay_alu instid0(VALU_DEP_2) | instskip(NEXT) | instid1(VALU_DEP_2)
	v_sub_f32_e32 v46, v46, v50
	v_add_f32_e32 v50, v49, v48
	s_delay_alu instid0(VALU_DEP_2) | instskip(NEXT) | instid1(VALU_DEP_2)
	v_add_f32_e32 v44, v44, v46
	v_rcp_f32_e32 v46, v50
	v_sub_f32_e32 v49, v49, v50
	s_delay_alu instid0(VALU_DEP_1) | instskip(NEXT) | instid1(VALU_DEP_1)
	v_dual_add_f32 v51, v47, v44 :: v_dual_add_f32 v48, v48, v49
	v_sub_f32_e32 v47, v47, v51
	s_delay_alu instid0(TRANS32_DEP_1) | instskip(NEXT) | instid1(VALU_DEP_1)
	v_mul_f32_e32 v52, v51, v46
	v_dual_add_f32 v44, v44, v47 :: v_dual_mul_f32 v53, v50, v52
	s_delay_alu instid0(VALU_DEP_1) | instskip(NEXT) | instid1(VALU_DEP_1)
	v_fma_f32 v49, v52, v50, -v53
	v_fmac_f32_e32 v49, v52, v48
	s_delay_alu instid0(VALU_DEP_1) | instskip(NEXT) | instid1(VALU_DEP_1)
	v_add_f32_e32 v54, v53, v49
	v_sub_f32_e32 v55, v51, v54
	v_sub_f32_e32 v47, v54, v53
	s_delay_alu instid0(VALU_DEP_2) | instskip(NEXT) | instid1(VALU_DEP_2)
	v_sub_f32_e32 v51, v51, v55
	v_sub_f32_e32 v47, v47, v49
	s_delay_alu instid0(VALU_DEP_2) | instskip(NEXT) | instid1(VALU_DEP_1)
	v_sub_f32_e32 v51, v51, v54
	v_add_f32_e32 v44, v44, v51
	s_delay_alu instid0(VALU_DEP_1) | instskip(NEXT) | instid1(VALU_DEP_1)
	v_add_f32_e32 v44, v47, v44
	v_add_f32_e32 v47, v55, v44
	s_delay_alu instid0(VALU_DEP_1) | instskip(NEXT) | instid1(VALU_DEP_1)
	v_mul_f32_e32 v49, v46, v47
	v_dual_sub_f32 v54, v55, v47 :: v_dual_mul_f32 v51, v50, v49
	s_delay_alu instid0(VALU_DEP_1) | instskip(NEXT) | instid1(VALU_DEP_2)
	v_add_f32_e32 v44, v44, v54
	v_fma_f32 v50, v49, v50, -v51
	s_delay_alu instid0(VALU_DEP_1) | instskip(NEXT) | instid1(VALU_DEP_1)
	v_fmac_f32_e32 v50, v49, v48
	v_add_f32_e32 v48, v51, v50
	s_delay_alu instid0(VALU_DEP_1) | instskip(SKIP_1) | instid1(VALU_DEP_2)
	v_sub_f32_e32 v53, v47, v48
	v_sub_f32_e32 v51, v48, v51
	;; [unrolled: 1-line block ×3, first 2 shown]
	s_delay_alu instid0(VALU_DEP_1) | instskip(NEXT) | instid1(VALU_DEP_3)
	v_sub_f32_e32 v47, v47, v48
	v_sub_f32_e32 v48, v51, v50
	s_delay_alu instid0(VALU_DEP_2) | instskip(SKIP_1) | instid1(VALU_DEP_2)
	v_add_f32_e32 v44, v44, v47
	v_add_f32_e32 v47, v52, v49
	;; [unrolled: 1-line block ×3, first 2 shown]
	s_delay_alu instid0(VALU_DEP_2) | instskip(NEXT) | instid1(VALU_DEP_2)
	v_sub_f32_e32 v48, v47, v52
	v_add_f32_e32 v44, v53, v44
	s_delay_alu instid0(VALU_DEP_2) | instskip(NEXT) | instid1(VALU_DEP_2)
	v_sub_f32_e32 v48, v49, v48
	v_mul_f32_e32 v44, v46, v44
	s_delay_alu instid0(VALU_DEP_1) | instskip(NEXT) | instid1(VALU_DEP_1)
	v_add_f32_e32 v44, v48, v44
	v_add_f32_e32 v46, v47, v44
	s_delay_alu instid0(VALU_DEP_1) | instskip(SKIP_1) | instid1(VALU_DEP_1)
	v_mul_f32_e32 v48, v46, v46
	s_wait_alu 0xfffe
	v_fmaak_f32 v49, s16, v48, 0x3ecc95a3
	v_mul_f32_e32 v50, v46, v48
	v_cmp_neq_f32_e64 s16, 0x7f800000, v45
	s_delay_alu instid0(VALU_DEP_3) | instskip(SKIP_2) | instid1(VALU_DEP_3)
	v_fmaak_f32 v48, v48, v49, 0x3f2aaada
	v_ldexp_f32 v49, v46, 1
	v_sub_f32_e32 v46, v46, v47
	v_mul_f32_e32 v48, v50, v48
	v_mul_f32_e32 v50, 0x3f317218, v43
	s_delay_alu instid0(VALU_DEP_2) | instskip(NEXT) | instid1(VALU_DEP_1)
	v_dual_sub_f32 v44, v44, v46 :: v_dual_add_f32 v47, v49, v48
	v_ldexp_f32 v44, v44, 1
	s_delay_alu instid0(VALU_DEP_2) | instskip(NEXT) | instid1(VALU_DEP_4)
	v_sub_f32_e32 v46, v47, v49
	v_fma_f32 v49, 0x3f317218, v43, -v50
	s_delay_alu instid0(VALU_DEP_1) | instskip(NEXT) | instid1(VALU_DEP_1)
	v_dual_sub_f32 v46, v48, v46 :: v_dual_fmamk_f32 v43, v43, 0xb102e308, v49
	v_add_f32_e32 v44, v44, v46
	s_delay_alu instid0(VALU_DEP_2) | instskip(NEXT) | instid1(VALU_DEP_2)
	v_add_f32_e32 v46, v50, v43
	v_add_f32_e32 v48, v47, v44
	s_delay_alu instid0(VALU_DEP_2) | instskip(NEXT) | instid1(VALU_DEP_2)
	v_sub_f32_e32 v50, v46, v50
	v_add_f32_e32 v49, v46, v48
	v_sub_f32_e32 v47, v48, v47
	s_delay_alu instid0(VALU_DEP_3) | instskip(NEXT) | instid1(VALU_DEP_2)
	v_sub_f32_e32 v43, v43, v50
	v_dual_sub_f32 v51, v49, v46 :: v_dual_sub_f32 v44, v44, v47
	s_delay_alu instid0(VALU_DEP_1) | instskip(NEXT) | instid1(VALU_DEP_2)
	v_sub_f32_e32 v52, v49, v51
	v_dual_sub_f32 v47, v48, v51 :: v_dual_add_f32 v48, v43, v44
	s_delay_alu instid0(VALU_DEP_2) | instskip(NEXT) | instid1(VALU_DEP_1)
	v_sub_f32_e32 v46, v46, v52
	v_dual_add_f32 v46, v47, v46 :: v_dual_sub_f32 v47, v48, v43
	s_delay_alu instid0(VALU_DEP_1) | instskip(NEXT) | instid1(VALU_DEP_2)
	v_add_f32_e32 v46, v48, v46
	v_sub_f32_e32 v48, v48, v47
	v_sub_f32_e32 v44, v44, v47
	s_delay_alu instid0(VALU_DEP_2) | instskip(NEXT) | instid1(VALU_DEP_1)
	v_dual_add_f32 v50, v49, v46 :: v_dual_sub_f32 v43, v43, v48
	v_sub_f32_e32 v47, v50, v49
	s_delay_alu instid0(VALU_DEP_2) | instskip(NEXT) | instid1(VALU_DEP_2)
	v_add_f32_e32 v43, v44, v43
	v_sub_f32_e32 v44, v46, v47
	s_delay_alu instid0(VALU_DEP_1) | instskip(NEXT) | instid1(VALU_DEP_1)
	v_add_f32_e32 v43, v43, v44
	v_add_f32_e32 v43, v50, v43
	s_wait_alu 0xf1ff
	s_delay_alu instid0(VALU_DEP_1) | instskip(SKIP_2) | instid1(VALU_DEP_1)
	v_cndmask_b32_e64 v43, 0x7f800000, v43, s16
	v_cmp_gt_f32_e64 s16, 0x33800000, |v45|
	s_wait_alu 0xf1ff
	v_cndmask_b32_e64 v43, v43, v45, s16
	s_delay_alu instid0(VALU_DEP_1)
	v_add_f32_e32 v43, v5, v43
.LBB508_66:
	s_or_b32 exec_lo, exec_lo, s36
	ds_load_u16 v5, v2 offset:12
	v_bfe_u32 v44, v43, 16, 1
	v_cmp_o_f32_e64 s16, v43, v43
	s_delay_alu instid0(VALU_DEP_2) | instskip(SKIP_2) | instid1(VALU_DEP_1)
	v_add3_u32 v44, v43, v44, 0x7fff
	s_wait_dscnt 0x0
	v_lshlrev_b32_e32 v5, 16, v5
	v_dual_max_num_f32 v45, v5, v5 :: v_dual_and_b32 v44, 0xffff0000, v44
	s_wait_alu 0xf1ff
	s_delay_alu instid0(VALU_DEP_1) | instskip(NEXT) | instid1(VALU_DEP_1)
	v_cndmask_b32_e64 v43, 0x7fc00000, v44, s16
	v_max_num_f32_e32 v44, v43, v43
	v_cmp_u_f32_e64 s16, v43, v43
	s_delay_alu instid0(VALU_DEP_2) | instskip(SKIP_2) | instid1(VALU_DEP_2)
	v_min_num_f32_e32 v46, v44, v45
	v_max_num_f32_e32 v44, v44, v45
	s_wait_alu 0xf1ff
	v_cndmask_b32_e64 v45, v46, v43, s16
	s_delay_alu instid0(VALU_DEP_2) | instskip(SKIP_2) | instid1(VALU_DEP_1)
	v_cndmask_b32_e64 v46, v44, v43, s16
	v_cmp_u_f32_e64 s16, v5, v5
	s_wait_alu 0xf1ff
	v_cndmask_b32_e64 v44, v45, v5, s16
	s_delay_alu instid0(VALU_DEP_3) | instskip(NEXT) | instid1(VALU_DEP_2)
	v_cndmask_b32_e64 v5, v46, v5, s16
	v_cmp_class_f32_e64 s36, v44, 0x1f8
	s_delay_alu instid0(VALU_DEP_2)
	v_cmp_neq_f32_e64 s16, v44, v5
	s_or_b32 s16, s16, s36
	s_wait_alu 0xfffe
	s_and_saveexec_b32 s36, s16
	s_cbranch_execz .LBB508_68
; %bb.67:
	v_sub_f32_e32 v43, v44, v5
	s_delay_alu instid0(VALU_DEP_1) | instskip(SKIP_1) | instid1(VALU_DEP_2)
	v_mul_f32_e32 v44, 0x3fb8aa3b, v43
	v_cmp_ngt_f32_e64 s16, 0xc2ce8ed0, v43
	v_fma_f32 v45, 0x3fb8aa3b, v43, -v44
	v_rndne_f32_e32 v46, v44
	s_delay_alu instid0(VALU_DEP_1) | instskip(NEXT) | instid1(VALU_DEP_1)
	v_dual_fmamk_f32 v45, v43, 0x32a5705f, v45 :: v_dual_sub_f32 v44, v44, v46
	v_add_f32_e32 v44, v44, v45
	v_cvt_i32_f32_e32 v45, v46
	s_delay_alu instid0(VALU_DEP_2) | instskip(NEXT) | instid1(TRANS32_DEP_1)
	v_exp_f32_e32 v44, v44
	v_ldexp_f32 v44, v44, v45
	s_wait_alu 0xf1ff
	s_delay_alu instid0(VALU_DEP_1) | instskip(SKIP_2) | instid1(VALU_DEP_1)
	v_cndmask_b32_e64 v44, 0, v44, s16
	v_cmp_nlt_f32_e64 s16, 0x42b17218, v43
	s_wait_alu 0xf1ff
	v_cndmask_b32_e64 v45, 0x7f800000, v44, s16
	s_delay_alu instid0(VALU_DEP_1) | instskip(NEXT) | instid1(VALU_DEP_1)
	v_add_f32_e32 v46, 1.0, v45
	v_cvt_f64_f32_e32 v[43:44], v46
	s_delay_alu instid0(VALU_DEP_1) | instskip(SKIP_1) | instid1(VALU_DEP_1)
	v_frexp_exp_i32_f64_e32 v43, v[43:44]
	v_frexp_mant_f32_e32 v44, v46
	v_cmp_gt_f32_e64 s16, 0x3f2aaaab, v44
	v_add_f32_e32 v44, -1.0, v46
	s_delay_alu instid0(VALU_DEP_1)
	v_sub_f32_e32 v48, v44, v46
	v_sub_f32_e32 v44, v45, v44
	s_wait_alu 0xf1ff
	v_subrev_co_ci_u32_e64 v43, null, 0, v43, s16
	s_mov_b32 s16, 0x3e9b6dac
	v_sub_nc_u32_e32 v47, 0, v43
	v_cvt_f32_i32_e32 v43, v43
	s_delay_alu instid0(VALU_DEP_2) | instskip(NEXT) | instid1(VALU_DEP_1)
	v_ldexp_f32 v46, v46, v47
	v_dual_add_f32 v49, 1.0, v46 :: v_dual_add_f32 v48, 1.0, v48
	s_delay_alu instid0(VALU_DEP_1) | instskip(NEXT) | instid1(VALU_DEP_2)
	v_add_f32_e32 v44, v44, v48
	v_add_f32_e32 v48, -1.0, v49
	s_delay_alu instid0(VALU_DEP_2) | instskip(NEXT) | instid1(VALU_DEP_2)
	v_ldexp_f32 v44, v44, v47
	v_dual_add_f32 v47, -1.0, v46 :: v_dual_sub_f32 v48, v46, v48
	s_delay_alu instid0(VALU_DEP_1) | instskip(NEXT) | instid1(VALU_DEP_2)
	v_add_f32_e32 v50, 1.0, v47
	v_add_f32_e32 v48, v44, v48
	s_delay_alu instid0(VALU_DEP_2) | instskip(NEXT) | instid1(VALU_DEP_2)
	v_sub_f32_e32 v46, v46, v50
	v_add_f32_e32 v50, v49, v48
	s_delay_alu instid0(VALU_DEP_2) | instskip(NEXT) | instid1(VALU_DEP_2)
	v_add_f32_e32 v44, v44, v46
	v_rcp_f32_e32 v46, v50
	v_sub_f32_e32 v49, v49, v50
	s_delay_alu instid0(VALU_DEP_1) | instskip(NEXT) | instid1(VALU_DEP_1)
	v_dual_add_f32 v51, v47, v44 :: v_dual_add_f32 v48, v48, v49
	v_sub_f32_e32 v47, v47, v51
	s_delay_alu instid0(TRANS32_DEP_1) | instskip(NEXT) | instid1(VALU_DEP_1)
	v_mul_f32_e32 v52, v51, v46
	v_dual_add_f32 v44, v44, v47 :: v_dual_mul_f32 v53, v50, v52
	s_delay_alu instid0(VALU_DEP_1) | instskip(NEXT) | instid1(VALU_DEP_1)
	v_fma_f32 v49, v52, v50, -v53
	v_fmac_f32_e32 v49, v52, v48
	s_delay_alu instid0(VALU_DEP_1) | instskip(NEXT) | instid1(VALU_DEP_1)
	v_add_f32_e32 v54, v53, v49
	v_sub_f32_e32 v55, v51, v54
	v_sub_f32_e32 v47, v54, v53
	s_delay_alu instid0(VALU_DEP_2) | instskip(NEXT) | instid1(VALU_DEP_2)
	v_sub_f32_e32 v51, v51, v55
	v_sub_f32_e32 v47, v47, v49
	s_delay_alu instid0(VALU_DEP_2) | instskip(NEXT) | instid1(VALU_DEP_1)
	v_sub_f32_e32 v51, v51, v54
	v_add_f32_e32 v44, v44, v51
	s_delay_alu instid0(VALU_DEP_1) | instskip(NEXT) | instid1(VALU_DEP_1)
	v_add_f32_e32 v44, v47, v44
	v_add_f32_e32 v47, v55, v44
	s_delay_alu instid0(VALU_DEP_1) | instskip(NEXT) | instid1(VALU_DEP_1)
	v_mul_f32_e32 v49, v46, v47
	v_dual_sub_f32 v54, v55, v47 :: v_dual_mul_f32 v51, v50, v49
	s_delay_alu instid0(VALU_DEP_1) | instskip(NEXT) | instid1(VALU_DEP_2)
	v_add_f32_e32 v44, v44, v54
	v_fma_f32 v50, v49, v50, -v51
	s_delay_alu instid0(VALU_DEP_1) | instskip(NEXT) | instid1(VALU_DEP_1)
	v_fmac_f32_e32 v50, v49, v48
	v_add_f32_e32 v48, v51, v50
	s_delay_alu instid0(VALU_DEP_1) | instskip(SKIP_1) | instid1(VALU_DEP_2)
	v_sub_f32_e32 v53, v47, v48
	v_sub_f32_e32 v51, v48, v51
	;; [unrolled: 1-line block ×3, first 2 shown]
	s_delay_alu instid0(VALU_DEP_1) | instskip(NEXT) | instid1(VALU_DEP_3)
	v_sub_f32_e32 v47, v47, v48
	v_sub_f32_e32 v48, v51, v50
	s_delay_alu instid0(VALU_DEP_2) | instskip(SKIP_1) | instid1(VALU_DEP_2)
	v_add_f32_e32 v44, v44, v47
	v_add_f32_e32 v47, v52, v49
	;; [unrolled: 1-line block ×3, first 2 shown]
	s_delay_alu instid0(VALU_DEP_2) | instskip(NEXT) | instid1(VALU_DEP_2)
	v_sub_f32_e32 v48, v47, v52
	v_add_f32_e32 v44, v53, v44
	s_delay_alu instid0(VALU_DEP_2) | instskip(NEXT) | instid1(VALU_DEP_2)
	v_sub_f32_e32 v48, v49, v48
	v_mul_f32_e32 v44, v46, v44
	s_delay_alu instid0(VALU_DEP_1) | instskip(NEXT) | instid1(VALU_DEP_1)
	v_add_f32_e32 v44, v48, v44
	v_add_f32_e32 v46, v47, v44
	s_delay_alu instid0(VALU_DEP_1) | instskip(SKIP_1) | instid1(VALU_DEP_1)
	v_mul_f32_e32 v48, v46, v46
	s_wait_alu 0xfffe
	v_fmaak_f32 v49, s16, v48, 0x3ecc95a3
	v_mul_f32_e32 v50, v46, v48
	v_cmp_neq_f32_e64 s16, 0x7f800000, v45
	s_delay_alu instid0(VALU_DEP_3) | instskip(SKIP_2) | instid1(VALU_DEP_3)
	v_fmaak_f32 v48, v48, v49, 0x3f2aaada
	v_ldexp_f32 v49, v46, 1
	v_sub_f32_e32 v46, v46, v47
	v_mul_f32_e32 v48, v50, v48
	v_mul_f32_e32 v50, 0x3f317218, v43
	s_delay_alu instid0(VALU_DEP_2) | instskip(NEXT) | instid1(VALU_DEP_1)
	v_dual_sub_f32 v44, v44, v46 :: v_dual_add_f32 v47, v49, v48
	v_ldexp_f32 v44, v44, 1
	s_delay_alu instid0(VALU_DEP_2) | instskip(NEXT) | instid1(VALU_DEP_4)
	v_sub_f32_e32 v46, v47, v49
	v_fma_f32 v49, 0x3f317218, v43, -v50
	s_delay_alu instid0(VALU_DEP_1) | instskip(NEXT) | instid1(VALU_DEP_1)
	v_dual_sub_f32 v46, v48, v46 :: v_dual_fmamk_f32 v43, v43, 0xb102e308, v49
	v_add_f32_e32 v44, v44, v46
	s_delay_alu instid0(VALU_DEP_2) | instskip(NEXT) | instid1(VALU_DEP_2)
	v_add_f32_e32 v46, v50, v43
	v_add_f32_e32 v48, v47, v44
	s_delay_alu instid0(VALU_DEP_2) | instskip(NEXT) | instid1(VALU_DEP_2)
	v_sub_f32_e32 v50, v46, v50
	v_add_f32_e32 v49, v46, v48
	v_sub_f32_e32 v47, v48, v47
	s_delay_alu instid0(VALU_DEP_3) | instskip(NEXT) | instid1(VALU_DEP_2)
	v_sub_f32_e32 v43, v43, v50
	v_dual_sub_f32 v51, v49, v46 :: v_dual_sub_f32 v44, v44, v47
	s_delay_alu instid0(VALU_DEP_1) | instskip(NEXT) | instid1(VALU_DEP_2)
	v_sub_f32_e32 v52, v49, v51
	v_dual_sub_f32 v47, v48, v51 :: v_dual_add_f32 v48, v43, v44
	s_delay_alu instid0(VALU_DEP_2) | instskip(NEXT) | instid1(VALU_DEP_1)
	v_sub_f32_e32 v46, v46, v52
	v_dual_add_f32 v46, v47, v46 :: v_dual_sub_f32 v47, v48, v43
	s_delay_alu instid0(VALU_DEP_1) | instskip(NEXT) | instid1(VALU_DEP_2)
	v_add_f32_e32 v46, v48, v46
	v_sub_f32_e32 v48, v48, v47
	v_sub_f32_e32 v44, v44, v47
	s_delay_alu instid0(VALU_DEP_2) | instskip(NEXT) | instid1(VALU_DEP_1)
	v_dual_add_f32 v50, v49, v46 :: v_dual_sub_f32 v43, v43, v48
	v_sub_f32_e32 v47, v50, v49
	s_delay_alu instid0(VALU_DEP_2) | instskip(NEXT) | instid1(VALU_DEP_2)
	v_add_f32_e32 v43, v44, v43
	v_sub_f32_e32 v44, v46, v47
	s_delay_alu instid0(VALU_DEP_1) | instskip(NEXT) | instid1(VALU_DEP_1)
	v_add_f32_e32 v43, v43, v44
	v_add_f32_e32 v43, v50, v43
	s_wait_alu 0xf1ff
	s_delay_alu instid0(VALU_DEP_1) | instskip(SKIP_2) | instid1(VALU_DEP_1)
	v_cndmask_b32_e64 v43, 0x7f800000, v43, s16
	v_cmp_gt_f32_e64 s16, 0x33800000, |v45|
	s_wait_alu 0xf1ff
	v_cndmask_b32_e64 v43, v43, v45, s16
	s_delay_alu instid0(VALU_DEP_1)
	v_add_f32_e32 v43, v5, v43
.LBB508_68:
	s_or_b32 exec_lo, exec_lo, s36
	ds_load_u16 v5, v2 offset:14
	v_bfe_u32 v44, v43, 16, 1
	v_cmp_o_f32_e64 s16, v43, v43
	s_delay_alu instid0(VALU_DEP_2) | instskip(SKIP_2) | instid1(VALU_DEP_1)
	v_add3_u32 v44, v43, v44, 0x7fff
	s_wait_dscnt 0x0
	v_lshlrev_b32_e32 v5, 16, v5
	v_dual_max_num_f32 v45, v5, v5 :: v_dual_and_b32 v44, 0xffff0000, v44
	s_wait_alu 0xf1ff
	s_delay_alu instid0(VALU_DEP_1) | instskip(NEXT) | instid1(VALU_DEP_1)
	v_cndmask_b32_e64 v43, 0x7fc00000, v44, s16
	v_max_num_f32_e32 v44, v43, v43
	v_cmp_u_f32_e64 s16, v43, v43
	s_delay_alu instid0(VALU_DEP_2) | instskip(SKIP_2) | instid1(VALU_DEP_2)
	v_min_num_f32_e32 v46, v44, v45
	v_max_num_f32_e32 v44, v44, v45
	s_wait_alu 0xf1ff
	v_cndmask_b32_e64 v45, v46, v43, s16
	s_delay_alu instid0(VALU_DEP_2) | instskip(SKIP_2) | instid1(VALU_DEP_1)
	v_cndmask_b32_e64 v46, v44, v43, s16
	v_cmp_u_f32_e64 s16, v5, v5
	s_wait_alu 0xf1ff
	v_cndmask_b32_e64 v44, v45, v5, s16
	s_delay_alu instid0(VALU_DEP_3) | instskip(NEXT) | instid1(VALU_DEP_2)
	v_cndmask_b32_e64 v5, v46, v5, s16
	v_cmp_class_f32_e64 s36, v44, 0x1f8
	s_delay_alu instid0(VALU_DEP_2)
	v_cmp_neq_f32_e64 s16, v44, v5
	s_or_b32 s16, s16, s36
	s_wait_alu 0xfffe
	s_and_saveexec_b32 s36, s16
	s_cbranch_execz .LBB508_70
; %bb.69:
	v_sub_f32_e32 v43, v44, v5
	s_delay_alu instid0(VALU_DEP_1) | instskip(SKIP_1) | instid1(VALU_DEP_2)
	v_mul_f32_e32 v44, 0x3fb8aa3b, v43
	v_cmp_ngt_f32_e64 s16, 0xc2ce8ed0, v43
	v_fma_f32 v45, 0x3fb8aa3b, v43, -v44
	v_rndne_f32_e32 v46, v44
	s_delay_alu instid0(VALU_DEP_1) | instskip(NEXT) | instid1(VALU_DEP_1)
	v_dual_fmamk_f32 v45, v43, 0x32a5705f, v45 :: v_dual_sub_f32 v44, v44, v46
	v_add_f32_e32 v44, v44, v45
	v_cvt_i32_f32_e32 v45, v46
	s_delay_alu instid0(VALU_DEP_2) | instskip(NEXT) | instid1(TRANS32_DEP_1)
	v_exp_f32_e32 v44, v44
	v_ldexp_f32 v44, v44, v45
	s_wait_alu 0xf1ff
	s_delay_alu instid0(VALU_DEP_1) | instskip(SKIP_2) | instid1(VALU_DEP_1)
	v_cndmask_b32_e64 v44, 0, v44, s16
	v_cmp_nlt_f32_e64 s16, 0x42b17218, v43
	s_wait_alu 0xf1ff
	v_cndmask_b32_e64 v45, 0x7f800000, v44, s16
	s_delay_alu instid0(VALU_DEP_1) | instskip(NEXT) | instid1(VALU_DEP_1)
	v_add_f32_e32 v46, 1.0, v45
	v_cvt_f64_f32_e32 v[43:44], v46
	s_delay_alu instid0(VALU_DEP_1) | instskip(SKIP_1) | instid1(VALU_DEP_1)
	v_frexp_exp_i32_f64_e32 v43, v[43:44]
	v_frexp_mant_f32_e32 v44, v46
	v_cmp_gt_f32_e64 s16, 0x3f2aaaab, v44
	v_add_f32_e32 v44, -1.0, v46
	s_delay_alu instid0(VALU_DEP_1)
	v_sub_f32_e32 v48, v44, v46
	v_sub_f32_e32 v44, v45, v44
	s_wait_alu 0xf1ff
	v_subrev_co_ci_u32_e64 v43, null, 0, v43, s16
	s_mov_b32 s16, 0x3e9b6dac
	v_sub_nc_u32_e32 v47, 0, v43
	v_cvt_f32_i32_e32 v43, v43
	s_delay_alu instid0(VALU_DEP_2) | instskip(NEXT) | instid1(VALU_DEP_1)
	v_ldexp_f32 v46, v46, v47
	v_dual_add_f32 v49, 1.0, v46 :: v_dual_add_f32 v48, 1.0, v48
	s_delay_alu instid0(VALU_DEP_1) | instskip(NEXT) | instid1(VALU_DEP_2)
	v_add_f32_e32 v44, v44, v48
	v_add_f32_e32 v48, -1.0, v49
	s_delay_alu instid0(VALU_DEP_2) | instskip(NEXT) | instid1(VALU_DEP_2)
	v_ldexp_f32 v44, v44, v47
	v_dual_add_f32 v47, -1.0, v46 :: v_dual_sub_f32 v48, v46, v48
	s_delay_alu instid0(VALU_DEP_1) | instskip(NEXT) | instid1(VALU_DEP_2)
	v_add_f32_e32 v50, 1.0, v47
	v_add_f32_e32 v48, v44, v48
	s_delay_alu instid0(VALU_DEP_2) | instskip(NEXT) | instid1(VALU_DEP_2)
	v_sub_f32_e32 v46, v46, v50
	v_add_f32_e32 v50, v49, v48
	s_delay_alu instid0(VALU_DEP_2) | instskip(NEXT) | instid1(VALU_DEP_2)
	v_add_f32_e32 v44, v44, v46
	v_rcp_f32_e32 v46, v50
	v_sub_f32_e32 v49, v49, v50
	s_delay_alu instid0(VALU_DEP_1) | instskip(NEXT) | instid1(VALU_DEP_1)
	v_dual_add_f32 v51, v47, v44 :: v_dual_add_f32 v48, v48, v49
	v_sub_f32_e32 v47, v47, v51
	s_delay_alu instid0(TRANS32_DEP_1) | instskip(NEXT) | instid1(VALU_DEP_1)
	v_mul_f32_e32 v52, v51, v46
	v_dual_add_f32 v44, v44, v47 :: v_dual_mul_f32 v53, v50, v52
	s_delay_alu instid0(VALU_DEP_1) | instskip(NEXT) | instid1(VALU_DEP_1)
	v_fma_f32 v49, v52, v50, -v53
	v_fmac_f32_e32 v49, v52, v48
	s_delay_alu instid0(VALU_DEP_1) | instskip(NEXT) | instid1(VALU_DEP_1)
	v_add_f32_e32 v54, v53, v49
	v_sub_f32_e32 v55, v51, v54
	v_sub_f32_e32 v47, v54, v53
	s_delay_alu instid0(VALU_DEP_2) | instskip(NEXT) | instid1(VALU_DEP_2)
	v_sub_f32_e32 v51, v51, v55
	v_sub_f32_e32 v47, v47, v49
	s_delay_alu instid0(VALU_DEP_2) | instskip(NEXT) | instid1(VALU_DEP_1)
	v_sub_f32_e32 v51, v51, v54
	v_add_f32_e32 v44, v44, v51
	s_delay_alu instid0(VALU_DEP_1) | instskip(NEXT) | instid1(VALU_DEP_1)
	v_add_f32_e32 v44, v47, v44
	v_add_f32_e32 v47, v55, v44
	s_delay_alu instid0(VALU_DEP_1) | instskip(NEXT) | instid1(VALU_DEP_1)
	v_mul_f32_e32 v49, v46, v47
	v_dual_sub_f32 v54, v55, v47 :: v_dual_mul_f32 v51, v50, v49
	s_delay_alu instid0(VALU_DEP_1) | instskip(NEXT) | instid1(VALU_DEP_2)
	v_add_f32_e32 v44, v44, v54
	v_fma_f32 v50, v49, v50, -v51
	s_delay_alu instid0(VALU_DEP_1) | instskip(NEXT) | instid1(VALU_DEP_1)
	v_fmac_f32_e32 v50, v49, v48
	v_add_f32_e32 v48, v51, v50
	s_delay_alu instid0(VALU_DEP_1) | instskip(SKIP_1) | instid1(VALU_DEP_2)
	v_sub_f32_e32 v53, v47, v48
	v_sub_f32_e32 v51, v48, v51
	;; [unrolled: 1-line block ×3, first 2 shown]
	s_delay_alu instid0(VALU_DEP_1) | instskip(NEXT) | instid1(VALU_DEP_3)
	v_sub_f32_e32 v47, v47, v48
	v_sub_f32_e32 v48, v51, v50
	s_delay_alu instid0(VALU_DEP_2) | instskip(SKIP_1) | instid1(VALU_DEP_2)
	v_add_f32_e32 v44, v44, v47
	v_add_f32_e32 v47, v52, v49
	v_add_f32_e32 v44, v48, v44
	s_delay_alu instid0(VALU_DEP_2) | instskip(NEXT) | instid1(VALU_DEP_2)
	v_sub_f32_e32 v48, v47, v52
	v_add_f32_e32 v44, v53, v44
	s_delay_alu instid0(VALU_DEP_2) | instskip(NEXT) | instid1(VALU_DEP_2)
	v_sub_f32_e32 v48, v49, v48
	v_mul_f32_e32 v44, v46, v44
	s_delay_alu instid0(VALU_DEP_1) | instskip(NEXT) | instid1(VALU_DEP_1)
	v_add_f32_e32 v44, v48, v44
	v_add_f32_e32 v46, v47, v44
	s_delay_alu instid0(VALU_DEP_1) | instskip(SKIP_1) | instid1(VALU_DEP_1)
	v_mul_f32_e32 v48, v46, v46
	s_wait_alu 0xfffe
	v_fmaak_f32 v49, s16, v48, 0x3ecc95a3
	v_mul_f32_e32 v50, v46, v48
	v_cmp_neq_f32_e64 s16, 0x7f800000, v45
	s_delay_alu instid0(VALU_DEP_3) | instskip(SKIP_2) | instid1(VALU_DEP_3)
	v_fmaak_f32 v48, v48, v49, 0x3f2aaada
	v_ldexp_f32 v49, v46, 1
	v_sub_f32_e32 v46, v46, v47
	v_mul_f32_e32 v48, v50, v48
	v_mul_f32_e32 v50, 0x3f317218, v43
	s_delay_alu instid0(VALU_DEP_2) | instskip(NEXT) | instid1(VALU_DEP_1)
	v_dual_sub_f32 v44, v44, v46 :: v_dual_add_f32 v47, v49, v48
	v_ldexp_f32 v44, v44, 1
	s_delay_alu instid0(VALU_DEP_2) | instskip(NEXT) | instid1(VALU_DEP_4)
	v_sub_f32_e32 v46, v47, v49
	v_fma_f32 v49, 0x3f317218, v43, -v50
	s_delay_alu instid0(VALU_DEP_1) | instskip(NEXT) | instid1(VALU_DEP_1)
	v_dual_sub_f32 v46, v48, v46 :: v_dual_fmamk_f32 v43, v43, 0xb102e308, v49
	v_add_f32_e32 v44, v44, v46
	s_delay_alu instid0(VALU_DEP_2) | instskip(NEXT) | instid1(VALU_DEP_2)
	v_add_f32_e32 v46, v50, v43
	v_add_f32_e32 v48, v47, v44
	s_delay_alu instid0(VALU_DEP_2) | instskip(NEXT) | instid1(VALU_DEP_2)
	v_sub_f32_e32 v50, v46, v50
	v_add_f32_e32 v49, v46, v48
	v_sub_f32_e32 v47, v48, v47
	s_delay_alu instid0(VALU_DEP_3) | instskip(NEXT) | instid1(VALU_DEP_2)
	v_sub_f32_e32 v43, v43, v50
	v_dual_sub_f32 v51, v49, v46 :: v_dual_sub_f32 v44, v44, v47
	s_delay_alu instid0(VALU_DEP_1) | instskip(NEXT) | instid1(VALU_DEP_2)
	v_sub_f32_e32 v52, v49, v51
	v_dual_sub_f32 v47, v48, v51 :: v_dual_add_f32 v48, v43, v44
	s_delay_alu instid0(VALU_DEP_2) | instskip(NEXT) | instid1(VALU_DEP_1)
	v_sub_f32_e32 v46, v46, v52
	v_dual_add_f32 v46, v47, v46 :: v_dual_sub_f32 v47, v48, v43
	s_delay_alu instid0(VALU_DEP_1) | instskip(NEXT) | instid1(VALU_DEP_2)
	v_add_f32_e32 v46, v48, v46
	v_sub_f32_e32 v48, v48, v47
	v_sub_f32_e32 v44, v44, v47
	s_delay_alu instid0(VALU_DEP_2) | instskip(NEXT) | instid1(VALU_DEP_1)
	v_dual_add_f32 v50, v49, v46 :: v_dual_sub_f32 v43, v43, v48
	v_sub_f32_e32 v47, v50, v49
	s_delay_alu instid0(VALU_DEP_2) | instskip(NEXT) | instid1(VALU_DEP_2)
	v_add_f32_e32 v43, v44, v43
	v_sub_f32_e32 v44, v46, v47
	s_delay_alu instid0(VALU_DEP_1) | instskip(NEXT) | instid1(VALU_DEP_1)
	v_add_f32_e32 v43, v43, v44
	v_add_f32_e32 v43, v50, v43
	s_wait_alu 0xf1ff
	s_delay_alu instid0(VALU_DEP_1) | instskip(SKIP_2) | instid1(VALU_DEP_1)
	v_cndmask_b32_e64 v43, 0x7f800000, v43, s16
	v_cmp_gt_f32_e64 s16, 0x33800000, |v45|
	s_wait_alu 0xf1ff
	v_cndmask_b32_e64 v43, v43, v45, s16
	s_delay_alu instid0(VALU_DEP_1)
	v_add_f32_e32 v43, v5, v43
.LBB508_70:
	s_or_b32 exec_lo, exec_lo, s36
	s_delay_alu instid0(VALU_DEP_1) | instskip(SKIP_3) | instid1(VALU_DEP_1)
	v_bfe_u32 v5, v43, 16, 1
	v_cmp_o_f32_e64 s16, v43, v43
	s_mov_b32 s36, exec_lo
	v_add3_u32 v5, v43, v5, 0x7fff
	v_lshrrev_b32_e32 v5, 16, v5
	s_wait_alu 0xf1ff
	s_delay_alu instid0(VALU_DEP_1) | instskip(SKIP_1) | instid1(VALU_DEP_2)
	v_cndmask_b32_e64 v44, 0x7fc0, v5, s16
	v_mbcnt_lo_u32_b32 v5, -1, 0
	v_and_b32_e32 v45, 0xffff, v44
	s_delay_alu instid0(VALU_DEP_2) | instskip(NEXT) | instid1(VALU_DEP_2)
	v_and_b32_e32 v43, 15, v5
	v_mov_b32_dpp v46, v45 row_shr:1 row_mask:0xf bank_mask:0xf
	s_delay_alu instid0(VALU_DEP_2)
	v_cmpx_ne_u32_e32 0, v43
	s_xor_b32 s36, exec_lo, s36
	s_cbranch_execz .LBB508_74
; %bb.71:
	v_lshlrev_b32_e32 v44, 16, v45
	s_delay_alu instid0(VALU_DEP_1) | instskip(NEXT) | instid1(VALU_DEP_1)
	v_dual_max_num_f32 v46, v44, v44 :: v_dual_lshlrev_b32 v45, 16, v46
	v_max_num_f32_e32 v47, v45, v45
	v_cmp_u_f32_e64 s16, v45, v45
	s_delay_alu instid0(VALU_DEP_2) | instskip(SKIP_2) | instid1(VALU_DEP_2)
	v_min_num_f32_e32 v48, v47, v46
	v_max_num_f32_e32 v46, v47, v46
	s_wait_alu 0xf1ff
	v_cndmask_b32_e64 v47, v48, v45, s16
	s_delay_alu instid0(VALU_DEP_2) | instskip(SKIP_2) | instid1(VALU_DEP_1)
	v_cndmask_b32_e64 v48, v46, v45, s16
	v_cmp_u_f32_e64 s16, v44, v44
	s_wait_alu 0xf1ff
	v_cndmask_b32_e64 v46, v47, v44, s16
	s_delay_alu instid0(VALU_DEP_3) | instskip(NEXT) | instid1(VALU_DEP_2)
	v_cndmask_b32_e64 v44, v48, v44, s16
	v_cmp_class_f32_e64 s37, v46, 0x1f8
	s_delay_alu instid0(VALU_DEP_2)
	v_cmp_neq_f32_e64 s16, v46, v44
	s_or_b32 s16, s16, s37
	s_wait_alu 0xfffe
	s_and_saveexec_b32 s37, s16
	s_cbranch_execz .LBB508_73
; %bb.72:
	v_sub_f32_e32 v45, v46, v44
	s_delay_alu instid0(VALU_DEP_1) | instskip(SKIP_1) | instid1(VALU_DEP_2)
	v_mul_f32_e32 v46, 0x3fb8aa3b, v45
	v_cmp_ngt_f32_e64 s16, 0xc2ce8ed0, v45
	v_fma_f32 v47, 0x3fb8aa3b, v45, -v46
	v_rndne_f32_e32 v48, v46
	s_delay_alu instid0(VALU_DEP_1) | instskip(NEXT) | instid1(VALU_DEP_1)
	v_dual_fmamk_f32 v47, v45, 0x32a5705f, v47 :: v_dual_sub_f32 v46, v46, v48
	v_add_f32_e32 v46, v46, v47
	v_cvt_i32_f32_e32 v47, v48
	s_delay_alu instid0(VALU_DEP_2) | instskip(NEXT) | instid1(TRANS32_DEP_1)
	v_exp_f32_e32 v46, v46
	v_ldexp_f32 v46, v46, v47
	s_wait_alu 0xf1ff
	s_delay_alu instid0(VALU_DEP_1) | instskip(SKIP_2) | instid1(VALU_DEP_1)
	v_cndmask_b32_e64 v46, 0, v46, s16
	v_cmp_nlt_f32_e64 s16, 0x42b17218, v45
	s_wait_alu 0xf1ff
	v_cndmask_b32_e64 v47, 0x7f800000, v46, s16
	s_delay_alu instid0(VALU_DEP_1) | instskip(NEXT) | instid1(VALU_DEP_1)
	v_add_f32_e32 v48, 1.0, v47
	v_cvt_f64_f32_e32 v[45:46], v48
	s_delay_alu instid0(VALU_DEP_1) | instskip(SKIP_1) | instid1(VALU_DEP_1)
	v_frexp_exp_i32_f64_e32 v45, v[45:46]
	v_frexp_mant_f32_e32 v46, v48
	v_cmp_gt_f32_e64 s16, 0x3f2aaaab, v46
	v_add_f32_e32 v46, -1.0, v48
	s_delay_alu instid0(VALU_DEP_1)
	v_sub_f32_e32 v50, v46, v48
	v_sub_f32_e32 v46, v47, v46
	s_wait_alu 0xf1ff
	v_subrev_co_ci_u32_e64 v45, null, 0, v45, s16
	s_mov_b32 s16, 0x3e9b6dac
	v_sub_nc_u32_e32 v49, 0, v45
	v_cvt_f32_i32_e32 v45, v45
	s_delay_alu instid0(VALU_DEP_2) | instskip(NEXT) | instid1(VALU_DEP_1)
	v_ldexp_f32 v48, v48, v49
	v_dual_add_f32 v51, 1.0, v48 :: v_dual_add_f32 v50, 1.0, v50
	s_delay_alu instid0(VALU_DEP_1) | instskip(NEXT) | instid1(VALU_DEP_2)
	v_add_f32_e32 v46, v46, v50
	v_add_f32_e32 v50, -1.0, v51
	s_delay_alu instid0(VALU_DEP_2) | instskip(NEXT) | instid1(VALU_DEP_2)
	v_ldexp_f32 v46, v46, v49
	v_dual_add_f32 v49, -1.0, v48 :: v_dual_sub_f32 v50, v48, v50
	s_delay_alu instid0(VALU_DEP_1) | instskip(NEXT) | instid1(VALU_DEP_2)
	v_add_f32_e32 v52, 1.0, v49
	v_add_f32_e32 v50, v46, v50
	s_delay_alu instid0(VALU_DEP_2) | instskip(NEXT) | instid1(VALU_DEP_2)
	v_sub_f32_e32 v48, v48, v52
	v_add_f32_e32 v52, v51, v50
	s_delay_alu instid0(VALU_DEP_2) | instskip(NEXT) | instid1(VALU_DEP_2)
	v_add_f32_e32 v46, v46, v48
	v_rcp_f32_e32 v48, v52
	v_sub_f32_e32 v51, v51, v52
	s_delay_alu instid0(VALU_DEP_1) | instskip(NEXT) | instid1(VALU_DEP_1)
	v_dual_add_f32 v53, v49, v46 :: v_dual_add_f32 v50, v50, v51
	v_sub_f32_e32 v49, v49, v53
	s_delay_alu instid0(TRANS32_DEP_1) | instskip(NEXT) | instid1(VALU_DEP_1)
	v_mul_f32_e32 v54, v53, v48
	v_dual_add_f32 v46, v46, v49 :: v_dual_mul_f32 v55, v52, v54
	s_delay_alu instid0(VALU_DEP_1) | instskip(NEXT) | instid1(VALU_DEP_1)
	v_fma_f32 v51, v54, v52, -v55
	v_fmac_f32_e32 v51, v54, v50
	s_delay_alu instid0(VALU_DEP_1) | instskip(NEXT) | instid1(VALU_DEP_1)
	v_add_f32_e32 v56, v55, v51
	v_sub_f32_e32 v57, v53, v56
	v_sub_f32_e32 v49, v56, v55
	s_delay_alu instid0(VALU_DEP_2) | instskip(NEXT) | instid1(VALU_DEP_2)
	v_sub_f32_e32 v53, v53, v57
	v_sub_f32_e32 v49, v49, v51
	s_delay_alu instid0(VALU_DEP_2) | instskip(NEXT) | instid1(VALU_DEP_1)
	v_sub_f32_e32 v53, v53, v56
	v_add_f32_e32 v46, v46, v53
	s_delay_alu instid0(VALU_DEP_1) | instskip(NEXT) | instid1(VALU_DEP_1)
	v_add_f32_e32 v46, v49, v46
	v_add_f32_e32 v49, v57, v46
	s_delay_alu instid0(VALU_DEP_1) | instskip(NEXT) | instid1(VALU_DEP_1)
	v_mul_f32_e32 v51, v48, v49
	v_dual_sub_f32 v56, v57, v49 :: v_dual_mul_f32 v53, v52, v51
	s_delay_alu instid0(VALU_DEP_1) | instskip(NEXT) | instid1(VALU_DEP_2)
	v_add_f32_e32 v46, v46, v56
	v_fma_f32 v52, v51, v52, -v53
	s_delay_alu instid0(VALU_DEP_1) | instskip(NEXT) | instid1(VALU_DEP_1)
	v_fmac_f32_e32 v52, v51, v50
	v_add_f32_e32 v50, v53, v52
	s_delay_alu instid0(VALU_DEP_1) | instskip(SKIP_1) | instid1(VALU_DEP_2)
	v_sub_f32_e32 v55, v49, v50
	v_sub_f32_e32 v53, v50, v53
	;; [unrolled: 1-line block ×3, first 2 shown]
	s_delay_alu instid0(VALU_DEP_1) | instskip(NEXT) | instid1(VALU_DEP_3)
	v_sub_f32_e32 v49, v49, v50
	v_sub_f32_e32 v50, v53, v52
	s_delay_alu instid0(VALU_DEP_2) | instskip(SKIP_1) | instid1(VALU_DEP_2)
	v_add_f32_e32 v46, v46, v49
	v_add_f32_e32 v49, v54, v51
	;; [unrolled: 1-line block ×3, first 2 shown]
	s_delay_alu instid0(VALU_DEP_2) | instskip(NEXT) | instid1(VALU_DEP_2)
	v_sub_f32_e32 v50, v49, v54
	v_add_f32_e32 v46, v55, v46
	s_delay_alu instid0(VALU_DEP_2) | instskip(NEXT) | instid1(VALU_DEP_2)
	v_sub_f32_e32 v50, v51, v50
	v_mul_f32_e32 v46, v48, v46
	s_delay_alu instid0(VALU_DEP_1) | instskip(NEXT) | instid1(VALU_DEP_1)
	v_add_f32_e32 v46, v50, v46
	v_add_f32_e32 v48, v49, v46
	s_delay_alu instid0(VALU_DEP_1) | instskip(SKIP_1) | instid1(VALU_DEP_1)
	v_mul_f32_e32 v50, v48, v48
	s_wait_alu 0xfffe
	v_fmaak_f32 v51, s16, v50, 0x3ecc95a3
	v_mul_f32_e32 v52, v48, v50
	v_cmp_neq_f32_e64 s16, 0x7f800000, v47
	s_delay_alu instid0(VALU_DEP_3) | instskip(SKIP_2) | instid1(VALU_DEP_3)
	v_fmaak_f32 v50, v50, v51, 0x3f2aaada
	v_ldexp_f32 v51, v48, 1
	v_sub_f32_e32 v48, v48, v49
	v_mul_f32_e32 v50, v52, v50
	v_mul_f32_e32 v52, 0x3f317218, v45
	s_delay_alu instid0(VALU_DEP_2) | instskip(NEXT) | instid1(VALU_DEP_1)
	v_dual_sub_f32 v46, v46, v48 :: v_dual_add_f32 v49, v51, v50
	v_ldexp_f32 v46, v46, 1
	s_delay_alu instid0(VALU_DEP_2) | instskip(NEXT) | instid1(VALU_DEP_4)
	v_sub_f32_e32 v48, v49, v51
	v_fma_f32 v51, 0x3f317218, v45, -v52
	s_delay_alu instid0(VALU_DEP_1) | instskip(NEXT) | instid1(VALU_DEP_1)
	v_dual_sub_f32 v48, v50, v48 :: v_dual_fmamk_f32 v45, v45, 0xb102e308, v51
	v_add_f32_e32 v46, v46, v48
	s_delay_alu instid0(VALU_DEP_2) | instskip(NEXT) | instid1(VALU_DEP_2)
	v_add_f32_e32 v48, v52, v45
	v_add_f32_e32 v50, v49, v46
	s_delay_alu instid0(VALU_DEP_2) | instskip(NEXT) | instid1(VALU_DEP_2)
	v_sub_f32_e32 v52, v48, v52
	v_add_f32_e32 v51, v48, v50
	v_sub_f32_e32 v49, v50, v49
	s_delay_alu instid0(VALU_DEP_3) | instskip(NEXT) | instid1(VALU_DEP_2)
	v_sub_f32_e32 v45, v45, v52
	v_dual_sub_f32 v53, v51, v48 :: v_dual_sub_f32 v46, v46, v49
	s_delay_alu instid0(VALU_DEP_1) | instskip(NEXT) | instid1(VALU_DEP_2)
	v_sub_f32_e32 v54, v51, v53
	v_dual_sub_f32 v49, v50, v53 :: v_dual_add_f32 v50, v45, v46
	s_delay_alu instid0(VALU_DEP_2) | instskip(NEXT) | instid1(VALU_DEP_1)
	v_sub_f32_e32 v48, v48, v54
	v_dual_add_f32 v48, v49, v48 :: v_dual_sub_f32 v49, v50, v45
	s_delay_alu instid0(VALU_DEP_1) | instskip(NEXT) | instid1(VALU_DEP_2)
	v_add_f32_e32 v48, v50, v48
	v_sub_f32_e32 v50, v50, v49
	v_sub_f32_e32 v46, v46, v49
	s_delay_alu instid0(VALU_DEP_2) | instskip(NEXT) | instid1(VALU_DEP_1)
	v_dual_add_f32 v52, v51, v48 :: v_dual_sub_f32 v45, v45, v50
	v_sub_f32_e32 v49, v52, v51
	s_delay_alu instid0(VALU_DEP_2) | instskip(NEXT) | instid1(VALU_DEP_2)
	v_add_f32_e32 v45, v46, v45
	v_sub_f32_e32 v46, v48, v49
	s_delay_alu instid0(VALU_DEP_1) | instskip(NEXT) | instid1(VALU_DEP_1)
	v_add_f32_e32 v45, v45, v46
	v_add_f32_e32 v45, v52, v45
	s_wait_alu 0xf1ff
	s_delay_alu instid0(VALU_DEP_1) | instskip(SKIP_2) | instid1(VALU_DEP_1)
	v_cndmask_b32_e64 v45, 0x7f800000, v45, s16
	v_cmp_gt_f32_e64 s16, 0x33800000, |v47|
	s_wait_alu 0xf1ff
	v_cndmask_b32_e64 v45, v45, v47, s16
	s_delay_alu instid0(VALU_DEP_1)
	v_add_f32_e32 v45, v44, v45
.LBB508_73:
	s_or_b32 exec_lo, exec_lo, s37
	s_delay_alu instid0(VALU_DEP_1) | instskip(SKIP_1) | instid1(VALU_DEP_2)
	v_bfe_u32 v44, v45, 16, 1
	v_cmp_o_f32_e64 s16, v45, v45
	v_add3_u32 v44, v45, v44, 0x7fff
	s_delay_alu instid0(VALU_DEP_1) | instskip(SKIP_1) | instid1(VALU_DEP_1)
	v_lshrrev_b32_e32 v44, 16, v44
	s_wait_alu 0xf1ff
	v_cndmask_b32_e64 v44, 0x7fc0, v44, s16
	s_delay_alu instid0(VALU_DEP_1)
	v_and_b32_e32 v45, 0xffff, v44
.LBB508_74:
	s_or_b32 exec_lo, exec_lo, s36
	s_delay_alu instid0(VALU_DEP_1)
	v_mov_b32_dpp v46, v45 row_shr:2 row_mask:0xf bank_mask:0xf
	s_mov_b32 s36, exec_lo
	v_cmpx_lt_u32_e32 1, v43
	s_cbranch_execz .LBB508_78
; %bb.75:
	v_lshlrev_b32_e32 v44, 16, v45
	s_delay_alu instid0(VALU_DEP_1) | instskip(NEXT) | instid1(VALU_DEP_1)
	v_dual_max_num_f32 v46, v44, v44 :: v_dual_lshlrev_b32 v45, 16, v46
	v_max_num_f32_e32 v47, v45, v45
	v_cmp_u_f32_e64 s16, v45, v45
	s_delay_alu instid0(VALU_DEP_2) | instskip(SKIP_2) | instid1(VALU_DEP_2)
	v_min_num_f32_e32 v48, v47, v46
	v_max_num_f32_e32 v46, v47, v46
	s_wait_alu 0xf1ff
	v_cndmask_b32_e64 v47, v48, v45, s16
	s_delay_alu instid0(VALU_DEP_2) | instskip(SKIP_2) | instid1(VALU_DEP_1)
	v_cndmask_b32_e64 v48, v46, v45, s16
	v_cmp_u_f32_e64 s16, v44, v44
	s_wait_alu 0xf1ff
	v_cndmask_b32_e64 v46, v47, v44, s16
	s_delay_alu instid0(VALU_DEP_3) | instskip(NEXT) | instid1(VALU_DEP_2)
	v_cndmask_b32_e64 v44, v48, v44, s16
	v_cmp_class_f32_e64 s37, v46, 0x1f8
	s_delay_alu instid0(VALU_DEP_2)
	v_cmp_neq_f32_e64 s16, v46, v44
	s_or_b32 s16, s16, s37
	s_wait_alu 0xfffe
	s_and_saveexec_b32 s37, s16
	s_cbranch_execz .LBB508_77
; %bb.76:
	v_sub_f32_e32 v45, v46, v44
	s_delay_alu instid0(VALU_DEP_1) | instskip(SKIP_1) | instid1(VALU_DEP_2)
	v_mul_f32_e32 v46, 0x3fb8aa3b, v45
	v_cmp_ngt_f32_e64 s16, 0xc2ce8ed0, v45
	v_fma_f32 v47, 0x3fb8aa3b, v45, -v46
	v_rndne_f32_e32 v48, v46
	s_delay_alu instid0(VALU_DEP_1) | instskip(NEXT) | instid1(VALU_DEP_1)
	v_dual_fmamk_f32 v47, v45, 0x32a5705f, v47 :: v_dual_sub_f32 v46, v46, v48
	v_add_f32_e32 v46, v46, v47
	v_cvt_i32_f32_e32 v47, v48
	s_delay_alu instid0(VALU_DEP_2) | instskip(NEXT) | instid1(TRANS32_DEP_1)
	v_exp_f32_e32 v46, v46
	v_ldexp_f32 v46, v46, v47
	s_wait_alu 0xf1ff
	s_delay_alu instid0(VALU_DEP_1) | instskip(SKIP_2) | instid1(VALU_DEP_1)
	v_cndmask_b32_e64 v46, 0, v46, s16
	v_cmp_nlt_f32_e64 s16, 0x42b17218, v45
	s_wait_alu 0xf1ff
	v_cndmask_b32_e64 v47, 0x7f800000, v46, s16
	s_delay_alu instid0(VALU_DEP_1) | instskip(NEXT) | instid1(VALU_DEP_1)
	v_add_f32_e32 v48, 1.0, v47
	v_cvt_f64_f32_e32 v[45:46], v48
	s_delay_alu instid0(VALU_DEP_1) | instskip(SKIP_1) | instid1(VALU_DEP_1)
	v_frexp_exp_i32_f64_e32 v45, v[45:46]
	v_frexp_mant_f32_e32 v46, v48
	v_cmp_gt_f32_e64 s16, 0x3f2aaaab, v46
	v_add_f32_e32 v46, -1.0, v48
	s_delay_alu instid0(VALU_DEP_1)
	v_sub_f32_e32 v50, v46, v48
	v_sub_f32_e32 v46, v47, v46
	s_wait_alu 0xf1ff
	v_subrev_co_ci_u32_e64 v45, null, 0, v45, s16
	s_mov_b32 s16, 0x3e9b6dac
	v_sub_nc_u32_e32 v49, 0, v45
	v_cvt_f32_i32_e32 v45, v45
	s_delay_alu instid0(VALU_DEP_2) | instskip(NEXT) | instid1(VALU_DEP_1)
	v_ldexp_f32 v48, v48, v49
	v_dual_add_f32 v51, 1.0, v48 :: v_dual_add_f32 v50, 1.0, v50
	s_delay_alu instid0(VALU_DEP_1) | instskip(NEXT) | instid1(VALU_DEP_2)
	v_add_f32_e32 v46, v46, v50
	v_add_f32_e32 v50, -1.0, v51
	s_delay_alu instid0(VALU_DEP_2) | instskip(NEXT) | instid1(VALU_DEP_2)
	v_ldexp_f32 v46, v46, v49
	v_dual_add_f32 v49, -1.0, v48 :: v_dual_sub_f32 v50, v48, v50
	s_delay_alu instid0(VALU_DEP_1) | instskip(NEXT) | instid1(VALU_DEP_2)
	v_add_f32_e32 v52, 1.0, v49
	v_add_f32_e32 v50, v46, v50
	s_delay_alu instid0(VALU_DEP_2) | instskip(NEXT) | instid1(VALU_DEP_2)
	v_sub_f32_e32 v48, v48, v52
	v_add_f32_e32 v52, v51, v50
	s_delay_alu instid0(VALU_DEP_2) | instskip(NEXT) | instid1(VALU_DEP_2)
	v_add_f32_e32 v46, v46, v48
	v_rcp_f32_e32 v48, v52
	v_sub_f32_e32 v51, v51, v52
	s_delay_alu instid0(VALU_DEP_1) | instskip(NEXT) | instid1(VALU_DEP_1)
	v_dual_add_f32 v53, v49, v46 :: v_dual_add_f32 v50, v50, v51
	v_sub_f32_e32 v49, v49, v53
	s_delay_alu instid0(TRANS32_DEP_1) | instskip(NEXT) | instid1(VALU_DEP_1)
	v_mul_f32_e32 v54, v53, v48
	v_dual_add_f32 v46, v46, v49 :: v_dual_mul_f32 v55, v52, v54
	s_delay_alu instid0(VALU_DEP_1) | instskip(NEXT) | instid1(VALU_DEP_1)
	v_fma_f32 v51, v54, v52, -v55
	v_fmac_f32_e32 v51, v54, v50
	s_delay_alu instid0(VALU_DEP_1) | instskip(NEXT) | instid1(VALU_DEP_1)
	v_add_f32_e32 v56, v55, v51
	v_sub_f32_e32 v57, v53, v56
	v_sub_f32_e32 v49, v56, v55
	s_delay_alu instid0(VALU_DEP_2) | instskip(NEXT) | instid1(VALU_DEP_2)
	v_sub_f32_e32 v53, v53, v57
	v_sub_f32_e32 v49, v49, v51
	s_delay_alu instid0(VALU_DEP_2) | instskip(NEXT) | instid1(VALU_DEP_1)
	v_sub_f32_e32 v53, v53, v56
	v_add_f32_e32 v46, v46, v53
	s_delay_alu instid0(VALU_DEP_1) | instskip(NEXT) | instid1(VALU_DEP_1)
	v_add_f32_e32 v46, v49, v46
	v_add_f32_e32 v49, v57, v46
	s_delay_alu instid0(VALU_DEP_1) | instskip(NEXT) | instid1(VALU_DEP_1)
	v_mul_f32_e32 v51, v48, v49
	v_dual_sub_f32 v56, v57, v49 :: v_dual_mul_f32 v53, v52, v51
	s_delay_alu instid0(VALU_DEP_1) | instskip(NEXT) | instid1(VALU_DEP_2)
	v_add_f32_e32 v46, v46, v56
	v_fma_f32 v52, v51, v52, -v53
	s_delay_alu instid0(VALU_DEP_1) | instskip(NEXT) | instid1(VALU_DEP_1)
	v_fmac_f32_e32 v52, v51, v50
	v_add_f32_e32 v50, v53, v52
	s_delay_alu instid0(VALU_DEP_1) | instskip(SKIP_1) | instid1(VALU_DEP_2)
	v_sub_f32_e32 v55, v49, v50
	v_sub_f32_e32 v53, v50, v53
	;; [unrolled: 1-line block ×3, first 2 shown]
	s_delay_alu instid0(VALU_DEP_1) | instskip(NEXT) | instid1(VALU_DEP_3)
	v_sub_f32_e32 v49, v49, v50
	v_sub_f32_e32 v50, v53, v52
	s_delay_alu instid0(VALU_DEP_2) | instskip(SKIP_1) | instid1(VALU_DEP_2)
	v_add_f32_e32 v46, v46, v49
	v_add_f32_e32 v49, v54, v51
	v_add_f32_e32 v46, v50, v46
	s_delay_alu instid0(VALU_DEP_2) | instskip(NEXT) | instid1(VALU_DEP_2)
	v_sub_f32_e32 v50, v49, v54
	v_add_f32_e32 v46, v55, v46
	s_delay_alu instid0(VALU_DEP_2) | instskip(NEXT) | instid1(VALU_DEP_2)
	v_sub_f32_e32 v50, v51, v50
	v_mul_f32_e32 v46, v48, v46
	s_delay_alu instid0(VALU_DEP_1) | instskip(NEXT) | instid1(VALU_DEP_1)
	v_add_f32_e32 v46, v50, v46
	v_add_f32_e32 v48, v49, v46
	s_delay_alu instid0(VALU_DEP_1) | instskip(SKIP_1) | instid1(VALU_DEP_1)
	v_mul_f32_e32 v50, v48, v48
	s_wait_alu 0xfffe
	v_fmaak_f32 v51, s16, v50, 0x3ecc95a3
	v_mul_f32_e32 v52, v48, v50
	v_cmp_neq_f32_e64 s16, 0x7f800000, v47
	s_delay_alu instid0(VALU_DEP_3) | instskip(SKIP_2) | instid1(VALU_DEP_3)
	v_fmaak_f32 v50, v50, v51, 0x3f2aaada
	v_ldexp_f32 v51, v48, 1
	v_sub_f32_e32 v48, v48, v49
	v_mul_f32_e32 v50, v52, v50
	v_mul_f32_e32 v52, 0x3f317218, v45
	s_delay_alu instid0(VALU_DEP_2) | instskip(NEXT) | instid1(VALU_DEP_1)
	v_dual_sub_f32 v46, v46, v48 :: v_dual_add_f32 v49, v51, v50
	v_ldexp_f32 v46, v46, 1
	s_delay_alu instid0(VALU_DEP_2) | instskip(NEXT) | instid1(VALU_DEP_4)
	v_sub_f32_e32 v48, v49, v51
	v_fma_f32 v51, 0x3f317218, v45, -v52
	s_delay_alu instid0(VALU_DEP_1) | instskip(NEXT) | instid1(VALU_DEP_1)
	v_dual_sub_f32 v48, v50, v48 :: v_dual_fmamk_f32 v45, v45, 0xb102e308, v51
	v_add_f32_e32 v46, v46, v48
	s_delay_alu instid0(VALU_DEP_2) | instskip(NEXT) | instid1(VALU_DEP_2)
	v_add_f32_e32 v48, v52, v45
	v_add_f32_e32 v50, v49, v46
	s_delay_alu instid0(VALU_DEP_2) | instskip(NEXT) | instid1(VALU_DEP_2)
	v_sub_f32_e32 v52, v48, v52
	v_add_f32_e32 v51, v48, v50
	v_sub_f32_e32 v49, v50, v49
	s_delay_alu instid0(VALU_DEP_3) | instskip(NEXT) | instid1(VALU_DEP_2)
	v_sub_f32_e32 v45, v45, v52
	v_dual_sub_f32 v53, v51, v48 :: v_dual_sub_f32 v46, v46, v49
	s_delay_alu instid0(VALU_DEP_1) | instskip(NEXT) | instid1(VALU_DEP_2)
	v_sub_f32_e32 v54, v51, v53
	v_dual_sub_f32 v49, v50, v53 :: v_dual_add_f32 v50, v45, v46
	s_delay_alu instid0(VALU_DEP_2) | instskip(NEXT) | instid1(VALU_DEP_1)
	v_sub_f32_e32 v48, v48, v54
	v_dual_add_f32 v48, v49, v48 :: v_dual_sub_f32 v49, v50, v45
	s_delay_alu instid0(VALU_DEP_1) | instskip(NEXT) | instid1(VALU_DEP_2)
	v_add_f32_e32 v48, v50, v48
	v_sub_f32_e32 v50, v50, v49
	v_sub_f32_e32 v46, v46, v49
	s_delay_alu instid0(VALU_DEP_2) | instskip(NEXT) | instid1(VALU_DEP_1)
	v_dual_add_f32 v52, v51, v48 :: v_dual_sub_f32 v45, v45, v50
	v_sub_f32_e32 v49, v52, v51
	s_delay_alu instid0(VALU_DEP_2) | instskip(NEXT) | instid1(VALU_DEP_2)
	v_add_f32_e32 v45, v46, v45
	v_sub_f32_e32 v46, v48, v49
	s_delay_alu instid0(VALU_DEP_1) | instskip(NEXT) | instid1(VALU_DEP_1)
	v_add_f32_e32 v45, v45, v46
	v_add_f32_e32 v45, v52, v45
	s_wait_alu 0xf1ff
	s_delay_alu instid0(VALU_DEP_1) | instskip(SKIP_2) | instid1(VALU_DEP_1)
	v_cndmask_b32_e64 v45, 0x7f800000, v45, s16
	v_cmp_gt_f32_e64 s16, 0x33800000, |v47|
	s_wait_alu 0xf1ff
	v_cndmask_b32_e64 v45, v45, v47, s16
	s_delay_alu instid0(VALU_DEP_1)
	v_add_f32_e32 v45, v44, v45
.LBB508_77:
	s_or_b32 exec_lo, exec_lo, s37
	s_delay_alu instid0(VALU_DEP_1) | instskip(SKIP_1) | instid1(VALU_DEP_2)
	v_bfe_u32 v44, v45, 16, 1
	v_cmp_o_f32_e64 s16, v45, v45
	v_add3_u32 v44, v45, v44, 0x7fff
	s_delay_alu instid0(VALU_DEP_1) | instskip(SKIP_1) | instid1(VALU_DEP_1)
	v_lshrrev_b32_e32 v44, 16, v44
	s_wait_alu 0xf1ff
	v_cndmask_b32_e64 v44, 0x7fc0, v44, s16
	s_delay_alu instid0(VALU_DEP_1)
	v_and_b32_e32 v45, 0xffff, v44
.LBB508_78:
	s_or_b32 exec_lo, exec_lo, s36
	s_delay_alu instid0(VALU_DEP_1)
	v_mov_b32_dpp v46, v45 row_shr:4 row_mask:0xf bank_mask:0xf
	s_mov_b32 s36, exec_lo
	v_cmpx_lt_u32_e32 3, v43
	s_cbranch_execz .LBB508_82
; %bb.79:
	v_lshlrev_b32_e32 v44, 16, v45
	s_delay_alu instid0(VALU_DEP_1) | instskip(NEXT) | instid1(VALU_DEP_1)
	v_dual_max_num_f32 v46, v44, v44 :: v_dual_lshlrev_b32 v45, 16, v46
	v_max_num_f32_e32 v47, v45, v45
	v_cmp_u_f32_e64 s16, v45, v45
	s_delay_alu instid0(VALU_DEP_2) | instskip(SKIP_2) | instid1(VALU_DEP_2)
	v_min_num_f32_e32 v48, v47, v46
	v_max_num_f32_e32 v46, v47, v46
	s_wait_alu 0xf1ff
	v_cndmask_b32_e64 v47, v48, v45, s16
	s_delay_alu instid0(VALU_DEP_2) | instskip(SKIP_2) | instid1(VALU_DEP_1)
	v_cndmask_b32_e64 v48, v46, v45, s16
	v_cmp_u_f32_e64 s16, v44, v44
	s_wait_alu 0xf1ff
	v_cndmask_b32_e64 v46, v47, v44, s16
	s_delay_alu instid0(VALU_DEP_3) | instskip(NEXT) | instid1(VALU_DEP_2)
	v_cndmask_b32_e64 v44, v48, v44, s16
	v_cmp_class_f32_e64 s37, v46, 0x1f8
	s_delay_alu instid0(VALU_DEP_2)
	v_cmp_neq_f32_e64 s16, v46, v44
	s_or_b32 s16, s16, s37
	s_wait_alu 0xfffe
	s_and_saveexec_b32 s37, s16
	s_cbranch_execz .LBB508_81
; %bb.80:
	v_sub_f32_e32 v45, v46, v44
	s_delay_alu instid0(VALU_DEP_1) | instskip(SKIP_1) | instid1(VALU_DEP_2)
	v_mul_f32_e32 v46, 0x3fb8aa3b, v45
	v_cmp_ngt_f32_e64 s16, 0xc2ce8ed0, v45
	v_fma_f32 v47, 0x3fb8aa3b, v45, -v46
	v_rndne_f32_e32 v48, v46
	s_delay_alu instid0(VALU_DEP_1) | instskip(NEXT) | instid1(VALU_DEP_1)
	v_dual_fmamk_f32 v47, v45, 0x32a5705f, v47 :: v_dual_sub_f32 v46, v46, v48
	v_add_f32_e32 v46, v46, v47
	v_cvt_i32_f32_e32 v47, v48
	s_delay_alu instid0(VALU_DEP_2) | instskip(NEXT) | instid1(TRANS32_DEP_1)
	v_exp_f32_e32 v46, v46
	v_ldexp_f32 v46, v46, v47
	s_wait_alu 0xf1ff
	s_delay_alu instid0(VALU_DEP_1) | instskip(SKIP_2) | instid1(VALU_DEP_1)
	v_cndmask_b32_e64 v46, 0, v46, s16
	v_cmp_nlt_f32_e64 s16, 0x42b17218, v45
	s_wait_alu 0xf1ff
	v_cndmask_b32_e64 v47, 0x7f800000, v46, s16
	s_delay_alu instid0(VALU_DEP_1) | instskip(NEXT) | instid1(VALU_DEP_1)
	v_add_f32_e32 v48, 1.0, v47
	v_cvt_f64_f32_e32 v[45:46], v48
	s_delay_alu instid0(VALU_DEP_1) | instskip(SKIP_1) | instid1(VALU_DEP_1)
	v_frexp_exp_i32_f64_e32 v45, v[45:46]
	v_frexp_mant_f32_e32 v46, v48
	v_cmp_gt_f32_e64 s16, 0x3f2aaaab, v46
	v_add_f32_e32 v46, -1.0, v48
	s_delay_alu instid0(VALU_DEP_1)
	v_sub_f32_e32 v50, v46, v48
	v_sub_f32_e32 v46, v47, v46
	s_wait_alu 0xf1ff
	v_subrev_co_ci_u32_e64 v45, null, 0, v45, s16
	s_mov_b32 s16, 0x3e9b6dac
	v_sub_nc_u32_e32 v49, 0, v45
	v_cvt_f32_i32_e32 v45, v45
	s_delay_alu instid0(VALU_DEP_2) | instskip(NEXT) | instid1(VALU_DEP_1)
	v_ldexp_f32 v48, v48, v49
	v_dual_add_f32 v51, 1.0, v48 :: v_dual_add_f32 v50, 1.0, v50
	s_delay_alu instid0(VALU_DEP_1) | instskip(NEXT) | instid1(VALU_DEP_2)
	v_add_f32_e32 v46, v46, v50
	v_add_f32_e32 v50, -1.0, v51
	s_delay_alu instid0(VALU_DEP_2) | instskip(NEXT) | instid1(VALU_DEP_2)
	v_ldexp_f32 v46, v46, v49
	v_dual_add_f32 v49, -1.0, v48 :: v_dual_sub_f32 v50, v48, v50
	s_delay_alu instid0(VALU_DEP_1) | instskip(NEXT) | instid1(VALU_DEP_2)
	v_add_f32_e32 v52, 1.0, v49
	v_add_f32_e32 v50, v46, v50
	s_delay_alu instid0(VALU_DEP_2) | instskip(NEXT) | instid1(VALU_DEP_2)
	v_sub_f32_e32 v48, v48, v52
	v_add_f32_e32 v52, v51, v50
	s_delay_alu instid0(VALU_DEP_2) | instskip(NEXT) | instid1(VALU_DEP_2)
	v_add_f32_e32 v46, v46, v48
	v_rcp_f32_e32 v48, v52
	v_sub_f32_e32 v51, v51, v52
	s_delay_alu instid0(VALU_DEP_1) | instskip(NEXT) | instid1(VALU_DEP_1)
	v_dual_add_f32 v53, v49, v46 :: v_dual_add_f32 v50, v50, v51
	v_sub_f32_e32 v49, v49, v53
	s_delay_alu instid0(TRANS32_DEP_1) | instskip(NEXT) | instid1(VALU_DEP_1)
	v_mul_f32_e32 v54, v53, v48
	v_dual_add_f32 v46, v46, v49 :: v_dual_mul_f32 v55, v52, v54
	s_delay_alu instid0(VALU_DEP_1) | instskip(NEXT) | instid1(VALU_DEP_1)
	v_fma_f32 v51, v54, v52, -v55
	v_fmac_f32_e32 v51, v54, v50
	s_delay_alu instid0(VALU_DEP_1) | instskip(NEXT) | instid1(VALU_DEP_1)
	v_add_f32_e32 v56, v55, v51
	v_sub_f32_e32 v57, v53, v56
	v_sub_f32_e32 v49, v56, v55
	s_delay_alu instid0(VALU_DEP_2) | instskip(NEXT) | instid1(VALU_DEP_2)
	v_sub_f32_e32 v53, v53, v57
	v_sub_f32_e32 v49, v49, v51
	s_delay_alu instid0(VALU_DEP_2) | instskip(NEXT) | instid1(VALU_DEP_1)
	v_sub_f32_e32 v53, v53, v56
	v_add_f32_e32 v46, v46, v53
	s_delay_alu instid0(VALU_DEP_1) | instskip(NEXT) | instid1(VALU_DEP_1)
	v_add_f32_e32 v46, v49, v46
	v_add_f32_e32 v49, v57, v46
	s_delay_alu instid0(VALU_DEP_1) | instskip(NEXT) | instid1(VALU_DEP_1)
	v_mul_f32_e32 v51, v48, v49
	v_dual_sub_f32 v56, v57, v49 :: v_dual_mul_f32 v53, v52, v51
	s_delay_alu instid0(VALU_DEP_1) | instskip(NEXT) | instid1(VALU_DEP_2)
	v_add_f32_e32 v46, v46, v56
	v_fma_f32 v52, v51, v52, -v53
	s_delay_alu instid0(VALU_DEP_1) | instskip(NEXT) | instid1(VALU_DEP_1)
	v_fmac_f32_e32 v52, v51, v50
	v_add_f32_e32 v50, v53, v52
	s_delay_alu instid0(VALU_DEP_1) | instskip(SKIP_1) | instid1(VALU_DEP_2)
	v_sub_f32_e32 v55, v49, v50
	v_sub_f32_e32 v53, v50, v53
	;; [unrolled: 1-line block ×3, first 2 shown]
	s_delay_alu instid0(VALU_DEP_1) | instskip(NEXT) | instid1(VALU_DEP_3)
	v_sub_f32_e32 v49, v49, v50
	v_sub_f32_e32 v50, v53, v52
	s_delay_alu instid0(VALU_DEP_2) | instskip(SKIP_1) | instid1(VALU_DEP_2)
	v_add_f32_e32 v46, v46, v49
	v_add_f32_e32 v49, v54, v51
	;; [unrolled: 1-line block ×3, first 2 shown]
	s_delay_alu instid0(VALU_DEP_2) | instskip(NEXT) | instid1(VALU_DEP_2)
	v_sub_f32_e32 v50, v49, v54
	v_add_f32_e32 v46, v55, v46
	s_delay_alu instid0(VALU_DEP_2) | instskip(NEXT) | instid1(VALU_DEP_2)
	v_sub_f32_e32 v50, v51, v50
	v_mul_f32_e32 v46, v48, v46
	s_delay_alu instid0(VALU_DEP_1) | instskip(NEXT) | instid1(VALU_DEP_1)
	v_add_f32_e32 v46, v50, v46
	v_add_f32_e32 v48, v49, v46
	s_delay_alu instid0(VALU_DEP_1) | instskip(SKIP_1) | instid1(VALU_DEP_1)
	v_mul_f32_e32 v50, v48, v48
	s_wait_alu 0xfffe
	v_fmaak_f32 v51, s16, v50, 0x3ecc95a3
	v_mul_f32_e32 v52, v48, v50
	v_cmp_neq_f32_e64 s16, 0x7f800000, v47
	s_delay_alu instid0(VALU_DEP_3) | instskip(SKIP_2) | instid1(VALU_DEP_3)
	v_fmaak_f32 v50, v50, v51, 0x3f2aaada
	v_ldexp_f32 v51, v48, 1
	v_sub_f32_e32 v48, v48, v49
	v_mul_f32_e32 v50, v52, v50
	v_mul_f32_e32 v52, 0x3f317218, v45
	s_delay_alu instid0(VALU_DEP_2) | instskip(NEXT) | instid1(VALU_DEP_1)
	v_dual_sub_f32 v46, v46, v48 :: v_dual_add_f32 v49, v51, v50
	v_ldexp_f32 v46, v46, 1
	s_delay_alu instid0(VALU_DEP_2) | instskip(NEXT) | instid1(VALU_DEP_4)
	v_sub_f32_e32 v48, v49, v51
	v_fma_f32 v51, 0x3f317218, v45, -v52
	s_delay_alu instid0(VALU_DEP_1) | instskip(NEXT) | instid1(VALU_DEP_1)
	v_dual_sub_f32 v48, v50, v48 :: v_dual_fmamk_f32 v45, v45, 0xb102e308, v51
	v_add_f32_e32 v46, v46, v48
	s_delay_alu instid0(VALU_DEP_2) | instskip(NEXT) | instid1(VALU_DEP_2)
	v_add_f32_e32 v48, v52, v45
	v_add_f32_e32 v50, v49, v46
	s_delay_alu instid0(VALU_DEP_2) | instskip(NEXT) | instid1(VALU_DEP_2)
	v_sub_f32_e32 v52, v48, v52
	v_add_f32_e32 v51, v48, v50
	v_sub_f32_e32 v49, v50, v49
	s_delay_alu instid0(VALU_DEP_3) | instskip(NEXT) | instid1(VALU_DEP_2)
	v_sub_f32_e32 v45, v45, v52
	v_dual_sub_f32 v53, v51, v48 :: v_dual_sub_f32 v46, v46, v49
	s_delay_alu instid0(VALU_DEP_1) | instskip(NEXT) | instid1(VALU_DEP_2)
	v_sub_f32_e32 v54, v51, v53
	v_dual_sub_f32 v49, v50, v53 :: v_dual_add_f32 v50, v45, v46
	s_delay_alu instid0(VALU_DEP_2) | instskip(NEXT) | instid1(VALU_DEP_1)
	v_sub_f32_e32 v48, v48, v54
	v_dual_add_f32 v48, v49, v48 :: v_dual_sub_f32 v49, v50, v45
	s_delay_alu instid0(VALU_DEP_1) | instskip(NEXT) | instid1(VALU_DEP_2)
	v_add_f32_e32 v48, v50, v48
	v_sub_f32_e32 v50, v50, v49
	v_sub_f32_e32 v46, v46, v49
	s_delay_alu instid0(VALU_DEP_2) | instskip(NEXT) | instid1(VALU_DEP_1)
	v_dual_add_f32 v52, v51, v48 :: v_dual_sub_f32 v45, v45, v50
	v_sub_f32_e32 v49, v52, v51
	s_delay_alu instid0(VALU_DEP_2) | instskip(NEXT) | instid1(VALU_DEP_2)
	v_add_f32_e32 v45, v46, v45
	v_sub_f32_e32 v46, v48, v49
	s_delay_alu instid0(VALU_DEP_1) | instskip(NEXT) | instid1(VALU_DEP_1)
	v_add_f32_e32 v45, v45, v46
	v_add_f32_e32 v45, v52, v45
	s_wait_alu 0xf1ff
	s_delay_alu instid0(VALU_DEP_1) | instskip(SKIP_2) | instid1(VALU_DEP_1)
	v_cndmask_b32_e64 v45, 0x7f800000, v45, s16
	v_cmp_gt_f32_e64 s16, 0x33800000, |v47|
	s_wait_alu 0xf1ff
	v_cndmask_b32_e64 v45, v45, v47, s16
	s_delay_alu instid0(VALU_DEP_1)
	v_add_f32_e32 v45, v44, v45
.LBB508_81:
	s_or_b32 exec_lo, exec_lo, s37
	s_delay_alu instid0(VALU_DEP_1) | instskip(SKIP_1) | instid1(VALU_DEP_2)
	v_bfe_u32 v44, v45, 16, 1
	v_cmp_o_f32_e64 s16, v45, v45
	v_add3_u32 v44, v45, v44, 0x7fff
	s_delay_alu instid0(VALU_DEP_1) | instskip(SKIP_1) | instid1(VALU_DEP_1)
	v_lshrrev_b32_e32 v44, 16, v44
	s_wait_alu 0xf1ff
	v_cndmask_b32_e64 v44, 0x7fc0, v44, s16
	s_delay_alu instid0(VALU_DEP_1)
	v_and_b32_e32 v45, 0xffff, v44
.LBB508_82:
	s_or_b32 exec_lo, exec_lo, s36
	s_delay_alu instid0(VALU_DEP_1)
	v_mov_b32_dpp v46, v45 row_shr:8 row_mask:0xf bank_mask:0xf
	s_mov_b32 s36, exec_lo
	v_cmpx_lt_u32_e32 7, v43
	s_cbranch_execz .LBB508_86
; %bb.83:
	s_delay_alu instid0(VALU_DEP_2) | instskip(NEXT) | instid1(VALU_DEP_1)
	v_lshlrev_b32_e32 v44, 16, v46
	v_dual_max_num_f32 v46, v44, v44 :: v_dual_lshlrev_b32 v43, 16, v45
	s_delay_alu instid0(VALU_DEP_1) | instskip(SKIP_1) | instid1(VALU_DEP_2)
	v_max_num_f32_e32 v45, v43, v43
	v_cmp_u_f32_e64 s16, v44, v44
	v_min_num_f32_e32 v47, v46, v45
	v_max_num_f32_e32 v45, v46, v45
	s_wait_alu 0xf1ff
	s_delay_alu instid0(VALU_DEP_2) | instskip(NEXT) | instid1(VALU_DEP_2)
	v_cndmask_b32_e64 v46, v47, v44, s16
	v_cndmask_b32_e64 v47, v45, v44, s16
	v_cmp_u_f32_e64 s16, v43, v43
	s_wait_alu 0xf1ff
	s_delay_alu instid0(VALU_DEP_1) | instskip(NEXT) | instid1(VALU_DEP_3)
	v_cndmask_b32_e64 v45, v46, v43, s16
	v_cndmask_b32_e64 v43, v47, v43, s16
	s_delay_alu instid0(VALU_DEP_2) | instskip(NEXT) | instid1(VALU_DEP_2)
	v_cmp_class_f32_e64 s37, v45, 0x1f8
	v_cmp_neq_f32_e64 s16, v45, v43
	s_or_b32 s16, s16, s37
	s_wait_alu 0xfffe
	s_and_saveexec_b32 s37, s16
	s_cbranch_execz .LBB508_85
; %bb.84:
	v_sub_f32_e32 v44, v45, v43
	s_delay_alu instid0(VALU_DEP_1) | instskip(SKIP_1) | instid1(VALU_DEP_2)
	v_mul_f32_e32 v45, 0x3fb8aa3b, v44
	v_cmp_ngt_f32_e64 s16, 0xc2ce8ed0, v44
	v_fma_f32 v46, 0x3fb8aa3b, v44, -v45
	v_rndne_f32_e32 v47, v45
	s_delay_alu instid0(VALU_DEP_1) | instskip(NEXT) | instid1(VALU_DEP_1)
	v_dual_fmamk_f32 v46, v44, 0x32a5705f, v46 :: v_dual_sub_f32 v45, v45, v47
	v_add_f32_e32 v45, v45, v46
	v_cvt_i32_f32_e32 v46, v47
	s_delay_alu instid0(VALU_DEP_2) | instskip(NEXT) | instid1(TRANS32_DEP_1)
	v_exp_f32_e32 v45, v45
	v_ldexp_f32 v45, v45, v46
	s_wait_alu 0xf1ff
	s_delay_alu instid0(VALU_DEP_1) | instskip(SKIP_2) | instid1(VALU_DEP_1)
	v_cndmask_b32_e64 v45, 0, v45, s16
	v_cmp_nlt_f32_e64 s16, 0x42b17218, v44
	s_wait_alu 0xf1ff
	v_cndmask_b32_e64 v46, 0x7f800000, v45, s16
	s_delay_alu instid0(VALU_DEP_1) | instskip(NEXT) | instid1(VALU_DEP_1)
	v_add_f32_e32 v47, 1.0, v46
	v_cvt_f64_f32_e32 v[44:45], v47
	s_delay_alu instid0(VALU_DEP_1) | instskip(SKIP_1) | instid1(VALU_DEP_1)
	v_frexp_exp_i32_f64_e32 v44, v[44:45]
	v_frexp_mant_f32_e32 v45, v47
	v_cmp_gt_f32_e64 s16, 0x3f2aaaab, v45
	v_add_f32_e32 v45, -1.0, v47
	s_delay_alu instid0(VALU_DEP_1)
	v_sub_f32_e32 v49, v45, v47
	v_sub_f32_e32 v45, v46, v45
	s_wait_alu 0xf1ff
	v_subrev_co_ci_u32_e64 v44, null, 0, v44, s16
	s_mov_b32 s16, 0x3e9b6dac
	v_sub_nc_u32_e32 v48, 0, v44
	v_cvt_f32_i32_e32 v44, v44
	s_delay_alu instid0(VALU_DEP_2) | instskip(NEXT) | instid1(VALU_DEP_1)
	v_ldexp_f32 v47, v47, v48
	v_dual_add_f32 v50, 1.0, v47 :: v_dual_add_f32 v49, 1.0, v49
	s_delay_alu instid0(VALU_DEP_1) | instskip(NEXT) | instid1(VALU_DEP_2)
	v_add_f32_e32 v45, v45, v49
	v_add_f32_e32 v49, -1.0, v50
	s_delay_alu instid0(VALU_DEP_2) | instskip(NEXT) | instid1(VALU_DEP_2)
	v_ldexp_f32 v45, v45, v48
	v_dual_add_f32 v48, -1.0, v47 :: v_dual_sub_f32 v49, v47, v49
	s_delay_alu instid0(VALU_DEP_1) | instskip(NEXT) | instid1(VALU_DEP_2)
	v_add_f32_e32 v51, 1.0, v48
	v_add_f32_e32 v49, v45, v49
	s_delay_alu instid0(VALU_DEP_2) | instskip(NEXT) | instid1(VALU_DEP_2)
	v_sub_f32_e32 v47, v47, v51
	v_add_f32_e32 v51, v50, v49
	s_delay_alu instid0(VALU_DEP_2) | instskip(NEXT) | instid1(VALU_DEP_2)
	v_add_f32_e32 v45, v45, v47
	v_rcp_f32_e32 v47, v51
	v_sub_f32_e32 v50, v50, v51
	s_delay_alu instid0(VALU_DEP_1) | instskip(NEXT) | instid1(VALU_DEP_1)
	v_dual_add_f32 v52, v48, v45 :: v_dual_add_f32 v49, v49, v50
	v_sub_f32_e32 v48, v48, v52
	s_delay_alu instid0(TRANS32_DEP_1) | instskip(NEXT) | instid1(VALU_DEP_1)
	v_mul_f32_e32 v53, v52, v47
	v_dual_add_f32 v45, v45, v48 :: v_dual_mul_f32 v54, v51, v53
	s_delay_alu instid0(VALU_DEP_1) | instskip(NEXT) | instid1(VALU_DEP_1)
	v_fma_f32 v50, v53, v51, -v54
	v_fmac_f32_e32 v50, v53, v49
	s_delay_alu instid0(VALU_DEP_1) | instskip(NEXT) | instid1(VALU_DEP_1)
	v_add_f32_e32 v55, v54, v50
	v_sub_f32_e32 v56, v52, v55
	v_sub_f32_e32 v48, v55, v54
	s_delay_alu instid0(VALU_DEP_2) | instskip(NEXT) | instid1(VALU_DEP_2)
	v_sub_f32_e32 v52, v52, v56
	v_sub_f32_e32 v48, v48, v50
	s_delay_alu instid0(VALU_DEP_2) | instskip(NEXT) | instid1(VALU_DEP_1)
	v_sub_f32_e32 v52, v52, v55
	v_add_f32_e32 v45, v45, v52
	s_delay_alu instid0(VALU_DEP_1) | instskip(NEXT) | instid1(VALU_DEP_1)
	v_add_f32_e32 v45, v48, v45
	v_add_f32_e32 v48, v56, v45
	s_delay_alu instid0(VALU_DEP_1) | instskip(NEXT) | instid1(VALU_DEP_1)
	v_mul_f32_e32 v50, v47, v48
	v_dual_sub_f32 v55, v56, v48 :: v_dual_mul_f32 v52, v51, v50
	s_delay_alu instid0(VALU_DEP_1) | instskip(NEXT) | instid1(VALU_DEP_2)
	v_add_f32_e32 v45, v45, v55
	v_fma_f32 v51, v50, v51, -v52
	s_delay_alu instid0(VALU_DEP_1) | instskip(NEXT) | instid1(VALU_DEP_1)
	v_fmac_f32_e32 v51, v50, v49
	v_add_f32_e32 v49, v52, v51
	s_delay_alu instid0(VALU_DEP_1) | instskip(SKIP_1) | instid1(VALU_DEP_2)
	v_sub_f32_e32 v54, v48, v49
	v_sub_f32_e32 v52, v49, v52
	;; [unrolled: 1-line block ×3, first 2 shown]
	s_delay_alu instid0(VALU_DEP_1) | instskip(NEXT) | instid1(VALU_DEP_3)
	v_sub_f32_e32 v48, v48, v49
	v_sub_f32_e32 v49, v52, v51
	s_delay_alu instid0(VALU_DEP_2) | instskip(SKIP_1) | instid1(VALU_DEP_2)
	v_add_f32_e32 v45, v45, v48
	v_add_f32_e32 v48, v53, v50
	;; [unrolled: 1-line block ×3, first 2 shown]
	s_delay_alu instid0(VALU_DEP_2) | instskip(NEXT) | instid1(VALU_DEP_2)
	v_sub_f32_e32 v49, v48, v53
	v_add_f32_e32 v45, v54, v45
	s_delay_alu instid0(VALU_DEP_2) | instskip(NEXT) | instid1(VALU_DEP_2)
	v_sub_f32_e32 v49, v50, v49
	v_mul_f32_e32 v45, v47, v45
	s_delay_alu instid0(VALU_DEP_1) | instskip(NEXT) | instid1(VALU_DEP_1)
	v_add_f32_e32 v45, v49, v45
	v_add_f32_e32 v47, v48, v45
	s_delay_alu instid0(VALU_DEP_1) | instskip(SKIP_1) | instid1(VALU_DEP_1)
	v_mul_f32_e32 v49, v47, v47
	s_wait_alu 0xfffe
	v_fmaak_f32 v50, s16, v49, 0x3ecc95a3
	v_mul_f32_e32 v51, v47, v49
	v_cmp_neq_f32_e64 s16, 0x7f800000, v46
	s_delay_alu instid0(VALU_DEP_3) | instskip(SKIP_2) | instid1(VALU_DEP_3)
	v_fmaak_f32 v49, v49, v50, 0x3f2aaada
	v_ldexp_f32 v50, v47, 1
	v_sub_f32_e32 v47, v47, v48
	v_mul_f32_e32 v49, v51, v49
	v_mul_f32_e32 v51, 0x3f317218, v44
	s_delay_alu instid0(VALU_DEP_2) | instskip(NEXT) | instid1(VALU_DEP_1)
	v_dual_sub_f32 v45, v45, v47 :: v_dual_add_f32 v48, v50, v49
	v_ldexp_f32 v45, v45, 1
	s_delay_alu instid0(VALU_DEP_2) | instskip(NEXT) | instid1(VALU_DEP_4)
	v_sub_f32_e32 v47, v48, v50
	v_fma_f32 v50, 0x3f317218, v44, -v51
	s_delay_alu instid0(VALU_DEP_1) | instskip(NEXT) | instid1(VALU_DEP_1)
	v_dual_sub_f32 v47, v49, v47 :: v_dual_fmamk_f32 v44, v44, 0xb102e308, v50
	v_add_f32_e32 v45, v45, v47
	s_delay_alu instid0(VALU_DEP_2) | instskip(NEXT) | instid1(VALU_DEP_2)
	v_add_f32_e32 v47, v51, v44
	v_add_f32_e32 v49, v48, v45
	s_delay_alu instid0(VALU_DEP_2) | instskip(NEXT) | instid1(VALU_DEP_2)
	v_sub_f32_e32 v51, v47, v51
	v_add_f32_e32 v50, v47, v49
	v_sub_f32_e32 v48, v49, v48
	s_delay_alu instid0(VALU_DEP_3) | instskip(NEXT) | instid1(VALU_DEP_2)
	v_sub_f32_e32 v44, v44, v51
	v_dual_sub_f32 v52, v50, v47 :: v_dual_sub_f32 v45, v45, v48
	s_delay_alu instid0(VALU_DEP_1) | instskip(NEXT) | instid1(VALU_DEP_2)
	v_sub_f32_e32 v53, v50, v52
	v_dual_sub_f32 v48, v49, v52 :: v_dual_add_f32 v49, v44, v45
	s_delay_alu instid0(VALU_DEP_2) | instskip(NEXT) | instid1(VALU_DEP_1)
	v_sub_f32_e32 v47, v47, v53
	v_dual_add_f32 v47, v48, v47 :: v_dual_sub_f32 v48, v49, v44
	s_delay_alu instid0(VALU_DEP_1) | instskip(NEXT) | instid1(VALU_DEP_2)
	v_add_f32_e32 v47, v49, v47
	v_sub_f32_e32 v49, v49, v48
	v_sub_f32_e32 v45, v45, v48
	s_delay_alu instid0(VALU_DEP_2) | instskip(NEXT) | instid1(VALU_DEP_1)
	v_dual_add_f32 v51, v50, v47 :: v_dual_sub_f32 v44, v44, v49
	v_sub_f32_e32 v48, v51, v50
	s_delay_alu instid0(VALU_DEP_2) | instskip(NEXT) | instid1(VALU_DEP_2)
	v_add_f32_e32 v44, v45, v44
	v_sub_f32_e32 v45, v47, v48
	s_delay_alu instid0(VALU_DEP_1) | instskip(NEXT) | instid1(VALU_DEP_1)
	v_add_f32_e32 v44, v44, v45
	v_add_f32_e32 v44, v51, v44
	s_wait_alu 0xf1ff
	s_delay_alu instid0(VALU_DEP_1) | instskip(SKIP_2) | instid1(VALU_DEP_1)
	v_cndmask_b32_e64 v44, 0x7f800000, v44, s16
	v_cmp_gt_f32_e64 s16, 0x33800000, |v46|
	s_wait_alu 0xf1ff
	v_cndmask_b32_e64 v44, v44, v46, s16
	s_delay_alu instid0(VALU_DEP_1)
	v_add_f32_e32 v44, v43, v44
.LBB508_85:
	s_or_b32 exec_lo, exec_lo, s37
	s_delay_alu instid0(VALU_DEP_1) | instskip(SKIP_1) | instid1(VALU_DEP_2)
	v_bfe_u32 v43, v44, 16, 1
	v_cmp_o_f32_e64 s16, v44, v44
	v_add3_u32 v43, v44, v43, 0x7fff
	s_delay_alu instid0(VALU_DEP_1) | instskip(SKIP_1) | instid1(VALU_DEP_1)
	v_lshrrev_b32_e32 v43, 16, v43
	s_wait_alu 0xf1ff
	v_cndmask_b32_e64 v44, 0x7fc0, v43, s16
	s_delay_alu instid0(VALU_DEP_1)
	v_and_b32_e32 v45, 0xffff, v44
.LBB508_86:
	s_or_b32 exec_lo, exec_lo, s36
	ds_swizzle_b32 v43, v45 offset:swizzle(BROADCAST,32,15)
	v_and_b32_e32 v46, 16, v5
	s_mov_b32 s36, exec_lo
	s_delay_alu instid0(VALU_DEP_1)
	v_cmpx_ne_u32_e32 0, v46
	s_cbranch_execz .LBB508_90
; %bb.87:
	s_wait_dscnt 0x0
	v_lshlrev_b32_e32 v44, 16, v43
	s_delay_alu instid0(VALU_DEP_1) | instskip(NEXT) | instid1(VALU_DEP_1)
	v_dual_max_num_f32 v45, v44, v44 :: v_dual_lshlrev_b32 v46, 16, v45
	v_max_num_f32_e32 v43, v46, v46
	v_cmp_u_f32_e64 s16, v44, v44
	s_delay_alu instid0(VALU_DEP_2) | instskip(SKIP_2) | instid1(VALU_DEP_2)
	v_min_num_f32_e32 v47, v45, v43
	v_max_num_f32_e32 v43, v45, v43
	s_wait_alu 0xf1ff
	v_cndmask_b32_e64 v45, v47, v44, s16
	s_delay_alu instid0(VALU_DEP_2) | instskip(SKIP_2) | instid1(VALU_DEP_1)
	v_cndmask_b32_e64 v43, v43, v44, s16
	v_cmp_u_f32_e64 s16, v46, v46
	s_wait_alu 0xf1ff
	v_cndmask_b32_e64 v45, v45, v46, s16
	s_delay_alu instid0(VALU_DEP_3) | instskip(NEXT) | instid1(VALU_DEP_2)
	v_cndmask_b32_e64 v43, v43, v46, s16
	v_cmp_class_f32_e64 s37, v45, 0x1f8
	s_delay_alu instid0(VALU_DEP_2)
	v_cmp_neq_f32_e64 s16, v45, v43
	s_or_b32 s16, s16, s37
	s_wait_alu 0xfffe
	s_and_saveexec_b32 s37, s16
	s_cbranch_execz .LBB508_89
; %bb.88:
	v_sub_f32_e32 v44, v45, v43
	s_delay_alu instid0(VALU_DEP_1) | instskip(SKIP_1) | instid1(VALU_DEP_2)
	v_mul_f32_e32 v45, 0x3fb8aa3b, v44
	v_cmp_ngt_f32_e64 s16, 0xc2ce8ed0, v44
	v_fma_f32 v46, 0x3fb8aa3b, v44, -v45
	v_rndne_f32_e32 v47, v45
	s_delay_alu instid0(VALU_DEP_1) | instskip(NEXT) | instid1(VALU_DEP_1)
	v_dual_fmamk_f32 v46, v44, 0x32a5705f, v46 :: v_dual_sub_f32 v45, v45, v47
	v_add_f32_e32 v45, v45, v46
	v_cvt_i32_f32_e32 v46, v47
	s_delay_alu instid0(VALU_DEP_2) | instskip(NEXT) | instid1(TRANS32_DEP_1)
	v_exp_f32_e32 v45, v45
	v_ldexp_f32 v45, v45, v46
	s_wait_alu 0xf1ff
	s_delay_alu instid0(VALU_DEP_1) | instskip(SKIP_2) | instid1(VALU_DEP_1)
	v_cndmask_b32_e64 v45, 0, v45, s16
	v_cmp_nlt_f32_e64 s16, 0x42b17218, v44
	s_wait_alu 0xf1ff
	v_cndmask_b32_e64 v46, 0x7f800000, v45, s16
	s_delay_alu instid0(VALU_DEP_1) | instskip(NEXT) | instid1(VALU_DEP_1)
	v_add_f32_e32 v47, 1.0, v46
	v_cvt_f64_f32_e32 v[44:45], v47
	s_delay_alu instid0(VALU_DEP_1) | instskip(SKIP_1) | instid1(VALU_DEP_1)
	v_frexp_exp_i32_f64_e32 v44, v[44:45]
	v_frexp_mant_f32_e32 v45, v47
	v_cmp_gt_f32_e64 s16, 0x3f2aaaab, v45
	v_add_f32_e32 v45, -1.0, v47
	s_delay_alu instid0(VALU_DEP_1)
	v_sub_f32_e32 v49, v45, v47
	v_sub_f32_e32 v45, v46, v45
	s_wait_alu 0xf1ff
	v_subrev_co_ci_u32_e64 v44, null, 0, v44, s16
	s_mov_b32 s16, 0x3e9b6dac
	v_sub_nc_u32_e32 v48, 0, v44
	v_cvt_f32_i32_e32 v44, v44
	s_delay_alu instid0(VALU_DEP_2) | instskip(NEXT) | instid1(VALU_DEP_1)
	v_ldexp_f32 v47, v47, v48
	v_dual_add_f32 v50, 1.0, v47 :: v_dual_add_f32 v49, 1.0, v49
	s_delay_alu instid0(VALU_DEP_1) | instskip(NEXT) | instid1(VALU_DEP_2)
	v_add_f32_e32 v45, v45, v49
	v_add_f32_e32 v49, -1.0, v50
	s_delay_alu instid0(VALU_DEP_2) | instskip(NEXT) | instid1(VALU_DEP_2)
	v_ldexp_f32 v45, v45, v48
	v_dual_add_f32 v48, -1.0, v47 :: v_dual_sub_f32 v49, v47, v49
	s_delay_alu instid0(VALU_DEP_1) | instskip(NEXT) | instid1(VALU_DEP_2)
	v_add_f32_e32 v51, 1.0, v48
	v_add_f32_e32 v49, v45, v49
	s_delay_alu instid0(VALU_DEP_2) | instskip(NEXT) | instid1(VALU_DEP_2)
	v_sub_f32_e32 v47, v47, v51
	v_add_f32_e32 v51, v50, v49
	s_delay_alu instid0(VALU_DEP_2) | instskip(NEXT) | instid1(VALU_DEP_2)
	v_add_f32_e32 v45, v45, v47
	v_rcp_f32_e32 v47, v51
	v_sub_f32_e32 v50, v50, v51
	s_delay_alu instid0(VALU_DEP_1) | instskip(NEXT) | instid1(VALU_DEP_1)
	v_dual_add_f32 v52, v48, v45 :: v_dual_add_f32 v49, v49, v50
	v_sub_f32_e32 v48, v48, v52
	s_delay_alu instid0(TRANS32_DEP_1) | instskip(NEXT) | instid1(VALU_DEP_1)
	v_mul_f32_e32 v53, v52, v47
	v_dual_add_f32 v45, v45, v48 :: v_dual_mul_f32 v54, v51, v53
	s_delay_alu instid0(VALU_DEP_1) | instskip(NEXT) | instid1(VALU_DEP_1)
	v_fma_f32 v50, v53, v51, -v54
	v_fmac_f32_e32 v50, v53, v49
	s_delay_alu instid0(VALU_DEP_1) | instskip(NEXT) | instid1(VALU_DEP_1)
	v_add_f32_e32 v55, v54, v50
	v_sub_f32_e32 v56, v52, v55
	v_sub_f32_e32 v48, v55, v54
	s_delay_alu instid0(VALU_DEP_2) | instskip(NEXT) | instid1(VALU_DEP_2)
	v_sub_f32_e32 v52, v52, v56
	v_sub_f32_e32 v48, v48, v50
	s_delay_alu instid0(VALU_DEP_2) | instskip(NEXT) | instid1(VALU_DEP_1)
	v_sub_f32_e32 v52, v52, v55
	v_add_f32_e32 v45, v45, v52
	s_delay_alu instid0(VALU_DEP_1) | instskip(NEXT) | instid1(VALU_DEP_1)
	v_add_f32_e32 v45, v48, v45
	v_add_f32_e32 v48, v56, v45
	s_delay_alu instid0(VALU_DEP_1) | instskip(NEXT) | instid1(VALU_DEP_1)
	v_mul_f32_e32 v50, v47, v48
	v_dual_sub_f32 v55, v56, v48 :: v_dual_mul_f32 v52, v51, v50
	s_delay_alu instid0(VALU_DEP_1) | instskip(NEXT) | instid1(VALU_DEP_2)
	v_add_f32_e32 v45, v45, v55
	v_fma_f32 v51, v50, v51, -v52
	s_delay_alu instid0(VALU_DEP_1) | instskip(NEXT) | instid1(VALU_DEP_1)
	v_fmac_f32_e32 v51, v50, v49
	v_add_f32_e32 v49, v52, v51
	s_delay_alu instid0(VALU_DEP_1) | instskip(SKIP_1) | instid1(VALU_DEP_2)
	v_sub_f32_e32 v54, v48, v49
	v_sub_f32_e32 v52, v49, v52
	;; [unrolled: 1-line block ×3, first 2 shown]
	s_delay_alu instid0(VALU_DEP_1) | instskip(NEXT) | instid1(VALU_DEP_3)
	v_sub_f32_e32 v48, v48, v49
	v_sub_f32_e32 v49, v52, v51
	s_delay_alu instid0(VALU_DEP_2) | instskip(SKIP_1) | instid1(VALU_DEP_2)
	v_add_f32_e32 v45, v45, v48
	v_add_f32_e32 v48, v53, v50
	;; [unrolled: 1-line block ×3, first 2 shown]
	s_delay_alu instid0(VALU_DEP_2) | instskip(NEXT) | instid1(VALU_DEP_2)
	v_sub_f32_e32 v49, v48, v53
	v_add_f32_e32 v45, v54, v45
	s_delay_alu instid0(VALU_DEP_2) | instskip(NEXT) | instid1(VALU_DEP_2)
	v_sub_f32_e32 v49, v50, v49
	v_mul_f32_e32 v45, v47, v45
	s_delay_alu instid0(VALU_DEP_1) | instskip(NEXT) | instid1(VALU_DEP_1)
	v_add_f32_e32 v45, v49, v45
	v_add_f32_e32 v47, v48, v45
	s_delay_alu instid0(VALU_DEP_1) | instskip(SKIP_1) | instid1(VALU_DEP_1)
	v_mul_f32_e32 v49, v47, v47
	s_wait_alu 0xfffe
	v_fmaak_f32 v50, s16, v49, 0x3ecc95a3
	v_mul_f32_e32 v51, v47, v49
	v_cmp_neq_f32_e64 s16, 0x7f800000, v46
	s_delay_alu instid0(VALU_DEP_3) | instskip(SKIP_2) | instid1(VALU_DEP_3)
	v_fmaak_f32 v49, v49, v50, 0x3f2aaada
	v_ldexp_f32 v50, v47, 1
	v_sub_f32_e32 v47, v47, v48
	v_mul_f32_e32 v49, v51, v49
	v_mul_f32_e32 v51, 0x3f317218, v44
	s_delay_alu instid0(VALU_DEP_2) | instskip(NEXT) | instid1(VALU_DEP_1)
	v_dual_sub_f32 v45, v45, v47 :: v_dual_add_f32 v48, v50, v49
	v_ldexp_f32 v45, v45, 1
	s_delay_alu instid0(VALU_DEP_2) | instskip(NEXT) | instid1(VALU_DEP_4)
	v_sub_f32_e32 v47, v48, v50
	v_fma_f32 v50, 0x3f317218, v44, -v51
	s_delay_alu instid0(VALU_DEP_1) | instskip(NEXT) | instid1(VALU_DEP_1)
	v_dual_sub_f32 v47, v49, v47 :: v_dual_fmamk_f32 v44, v44, 0xb102e308, v50
	v_add_f32_e32 v45, v45, v47
	s_delay_alu instid0(VALU_DEP_2) | instskip(NEXT) | instid1(VALU_DEP_2)
	v_add_f32_e32 v47, v51, v44
	v_add_f32_e32 v49, v48, v45
	s_delay_alu instid0(VALU_DEP_2) | instskip(NEXT) | instid1(VALU_DEP_2)
	v_sub_f32_e32 v51, v47, v51
	v_add_f32_e32 v50, v47, v49
	v_sub_f32_e32 v48, v49, v48
	s_delay_alu instid0(VALU_DEP_3) | instskip(NEXT) | instid1(VALU_DEP_2)
	v_sub_f32_e32 v44, v44, v51
	v_dual_sub_f32 v52, v50, v47 :: v_dual_sub_f32 v45, v45, v48
	s_delay_alu instid0(VALU_DEP_1) | instskip(NEXT) | instid1(VALU_DEP_2)
	v_sub_f32_e32 v53, v50, v52
	v_dual_sub_f32 v48, v49, v52 :: v_dual_add_f32 v49, v44, v45
	s_delay_alu instid0(VALU_DEP_2) | instskip(NEXT) | instid1(VALU_DEP_1)
	v_sub_f32_e32 v47, v47, v53
	v_dual_add_f32 v47, v48, v47 :: v_dual_sub_f32 v48, v49, v44
	s_delay_alu instid0(VALU_DEP_1) | instskip(NEXT) | instid1(VALU_DEP_2)
	v_add_f32_e32 v47, v49, v47
	v_sub_f32_e32 v49, v49, v48
	v_sub_f32_e32 v45, v45, v48
	s_delay_alu instid0(VALU_DEP_2) | instskip(NEXT) | instid1(VALU_DEP_1)
	v_dual_add_f32 v51, v50, v47 :: v_dual_sub_f32 v44, v44, v49
	v_sub_f32_e32 v48, v51, v50
	s_delay_alu instid0(VALU_DEP_2) | instskip(NEXT) | instid1(VALU_DEP_2)
	v_add_f32_e32 v44, v45, v44
	v_sub_f32_e32 v45, v47, v48
	s_delay_alu instid0(VALU_DEP_1) | instskip(NEXT) | instid1(VALU_DEP_1)
	v_add_f32_e32 v44, v44, v45
	v_add_f32_e32 v44, v51, v44
	s_wait_alu 0xf1ff
	s_delay_alu instid0(VALU_DEP_1) | instskip(SKIP_2) | instid1(VALU_DEP_1)
	v_cndmask_b32_e64 v44, 0x7f800000, v44, s16
	v_cmp_gt_f32_e64 s16, 0x33800000, |v46|
	s_wait_alu 0xf1ff
	v_cndmask_b32_e64 v44, v44, v46, s16
	s_delay_alu instid0(VALU_DEP_1)
	v_add_f32_e32 v44, v43, v44
.LBB508_89:
	s_or_b32 exec_lo, exec_lo, s37
	s_delay_alu instid0(VALU_DEP_1) | instskip(SKIP_1) | instid1(VALU_DEP_2)
	v_bfe_u32 v43, v44, 16, 1
	v_cmp_o_f32_e64 s16, v44, v44
	v_add3_u32 v43, v44, v43, 0x7fff
	s_delay_alu instid0(VALU_DEP_1) | instskip(SKIP_1) | instid1(VALU_DEP_1)
	v_lshrrev_b32_e32 v43, 16, v43
	s_wait_alu 0xf1ff
	v_cndmask_b32_e64 v44, 0x7fc0, v43, s16
.LBB508_90:
	s_or_b32 exec_lo, exec_lo, s36
	s_wait_dscnt 0x0
	v_add_nc_u32_e32 v43, -1, v5
	s_delay_alu instid0(VALU_DEP_1) | instskip(SKIP_1) | instid1(VALU_DEP_1)
	v_cmp_gt_i32_e64 s16, 0, v43
	s_wait_alu 0xf1ff
	v_cndmask_b32_e64 v5, v43, v5, s16
	v_and_b32_e32 v43, 0xffff, v44
	s_delay_alu instid0(VALU_DEP_2) | instskip(SKIP_3) | instid1(VALU_DEP_1)
	v_lshlrev_b32_e32 v5, 2, v5
	ds_bpermute_b32 v5, v5, v43
	s_wait_dscnt 0x0
	v_lshlrev_b32_e32 v5, 16, v5
	v_max_num_f32_e32 v43, v5, v5
	s_delay_alu instid0(VALU_DEP_1) | instskip(SKIP_3) | instid1(VALU_DEP_1)
	v_min_num_f32_e32 v44, v43, v4
	v_max_num_f32_e32 v4, v43, v4
	v_cmp_u_f32_e64 s16, v5, v5
	s_wait_alu 0xf1ff
	v_cndmask_b32_e64 v43, v44, v5, s16
	s_delay_alu instid0(VALU_DEP_3) | instskip(NEXT) | instid1(VALU_DEP_2)
	v_cndmask_b32_e64 v44, v4, v5, s16
	v_cndmask_b32_e64 v4, v43, v3, s15
	s_delay_alu instid0(VALU_DEP_2) | instskip(NEXT) | instid1(VALU_DEP_2)
	v_cndmask_b32_e64 v3, v44, v3, s15
	v_cmp_class_f32_e64 s16, v4, 0x1f8
	s_delay_alu instid0(VALU_DEP_2)
	v_cmp_neq_f32_e64 s15, v4, v3
	s_or_b32 s15, s15, s16
	s_wait_alu 0xfffe
	s_and_saveexec_b32 s16, s15
	s_cbranch_execz .LBB508_92
; %bb.91:
	v_sub_f32_e32 v4, v4, v3
	s_delay_alu instid0(VALU_DEP_1) | instskip(NEXT) | instid1(VALU_DEP_1)
	v_mul_f32_e32 v5, 0x3fb8aa3b, v4
	v_fma_f32 v43, 0x3fb8aa3b, v4, -v5
	v_rndne_f32_e32 v44, v5
	s_delay_alu instid0(VALU_DEP_1) | instskip(NEXT) | instid1(VALU_DEP_3)
	v_sub_f32_e32 v5, v5, v44
	v_fmamk_f32 v43, v4, 0x32a5705f, v43
	v_cmp_ngt_f32_e64 s15, 0xc2ce8ed0, v4
	s_delay_alu instid0(VALU_DEP_2) | instskip(SKIP_1) | instid1(VALU_DEP_2)
	v_add_f32_e32 v5, v5, v43
	v_cvt_i32_f32_e32 v43, v44
	v_exp_f32_e32 v5, v5
	s_delay_alu instid0(TRANS32_DEP_1) | instskip(SKIP_1) | instid1(VALU_DEP_1)
	v_ldexp_f32 v5, v5, v43
	s_wait_alu 0xf1ff
	v_cndmask_b32_e64 v5, 0, v5, s15
	v_cmp_nlt_f32_e64 s15, 0x42b17218, v4
	s_wait_alu 0xf1ff
	s_delay_alu instid0(VALU_DEP_1) | instskip(NEXT) | instid1(VALU_DEP_1)
	v_cndmask_b32_e64 v43, 0x7f800000, v5, s15
	v_add_f32_e32 v44, 1.0, v43
	s_delay_alu instid0(VALU_DEP_1) | instskip(NEXT) | instid1(VALU_DEP_1)
	v_cvt_f64_f32_e32 v[4:5], v44
	v_frexp_exp_i32_f64_e32 v4, v[4:5]
	v_frexp_mant_f32_e32 v5, v44
	s_delay_alu instid0(VALU_DEP_1) | instskip(SKIP_1) | instid1(VALU_DEP_1)
	v_cmp_gt_f32_e64 s15, 0x3f2aaaab, v5
	v_add_f32_e32 v5, -1.0, v44
	v_sub_f32_e32 v46, v5, v44
	s_delay_alu instid0(VALU_DEP_1)
	v_add_f32_e32 v46, 1.0, v46
	s_wait_alu 0xf1ff
	v_subrev_co_ci_u32_e64 v4, null, 0, v4, s15
	s_mov_b32 s15, 0x3e9b6dac
	v_sub_nc_u32_e32 v45, 0, v4
	v_cvt_f32_i32_e32 v4, v4
	s_delay_alu instid0(VALU_DEP_2) | instskip(SKIP_1) | instid1(VALU_DEP_1)
	v_ldexp_f32 v44, v44, v45
	v_sub_f32_e32 v5, v43, v5
	v_add_f32_e32 v5, v5, v46
	s_delay_alu instid0(VALU_DEP_1) | instskip(NEXT) | instid1(VALU_DEP_4)
	v_ldexp_f32 v5, v5, v45
	v_add_f32_e32 v45, -1.0, v44
	s_delay_alu instid0(VALU_DEP_1) | instskip(NEXT) | instid1(VALU_DEP_1)
	v_dual_add_f32 v47, 1.0, v44 :: v_dual_add_f32 v48, 1.0, v45
	v_add_f32_e32 v46, -1.0, v47
	s_delay_alu instid0(VALU_DEP_1) | instskip(NEXT) | instid1(VALU_DEP_3)
	v_sub_f32_e32 v46, v44, v46
	v_sub_f32_e32 v44, v44, v48
	s_delay_alu instid0(VALU_DEP_2) | instskip(NEXT) | instid1(VALU_DEP_1)
	v_add_f32_e32 v46, v5, v46
	v_dual_add_f32 v5, v5, v44 :: v_dual_add_f32 v48, v47, v46
	s_delay_alu instid0(VALU_DEP_1) | instskip(SKIP_1) | instid1(VALU_DEP_1)
	v_rcp_f32_e32 v44, v48
	v_sub_f32_e32 v47, v47, v48
	v_dual_add_f32 v49, v45, v5 :: v_dual_add_f32 v46, v46, v47
	s_delay_alu instid0(VALU_DEP_1) | instskip(NEXT) | instid1(TRANS32_DEP_1)
	v_sub_f32_e32 v45, v45, v49
	v_mul_f32_e32 v50, v49, v44
	s_delay_alu instid0(VALU_DEP_2) | instskip(NEXT) | instid1(VALU_DEP_2)
	v_add_f32_e32 v5, v5, v45
	v_mul_f32_e32 v51, v48, v50
	s_delay_alu instid0(VALU_DEP_1) | instskip(NEXT) | instid1(VALU_DEP_1)
	v_fma_f32 v47, v50, v48, -v51
	v_fmac_f32_e32 v47, v50, v46
	s_delay_alu instid0(VALU_DEP_1) | instskip(NEXT) | instid1(VALU_DEP_1)
	v_add_f32_e32 v52, v51, v47
	v_sub_f32_e32 v53, v49, v52
	v_sub_f32_e32 v45, v52, v51
	s_delay_alu instid0(VALU_DEP_2) | instskip(NEXT) | instid1(VALU_DEP_2)
	v_sub_f32_e32 v49, v49, v53
	v_sub_f32_e32 v45, v45, v47
	s_delay_alu instid0(VALU_DEP_2) | instskip(NEXT) | instid1(VALU_DEP_1)
	v_sub_f32_e32 v49, v49, v52
	v_add_f32_e32 v5, v5, v49
	s_delay_alu instid0(VALU_DEP_1) | instskip(NEXT) | instid1(VALU_DEP_1)
	v_add_f32_e32 v5, v45, v5
	v_add_f32_e32 v45, v53, v5
	s_delay_alu instid0(VALU_DEP_1) | instskip(NEXT) | instid1(VALU_DEP_1)
	v_mul_f32_e32 v47, v44, v45
	v_mul_f32_e32 v49, v48, v47
	s_delay_alu instid0(VALU_DEP_1) | instskip(NEXT) | instid1(VALU_DEP_1)
	v_fma_f32 v48, v47, v48, -v49
	v_fmac_f32_e32 v48, v47, v46
	v_sub_f32_e32 v52, v53, v45
	s_delay_alu instid0(VALU_DEP_2) | instskip(NEXT) | instid1(VALU_DEP_2)
	v_add_f32_e32 v46, v49, v48
	v_add_f32_e32 v5, v5, v52
	s_delay_alu instid0(VALU_DEP_2) | instskip(SKIP_1) | instid1(VALU_DEP_2)
	v_sub_f32_e32 v51, v45, v46
	v_sub_f32_e32 v49, v46, v49
	;; [unrolled: 1-line block ×3, first 2 shown]
	s_delay_alu instid0(VALU_DEP_1) | instskip(NEXT) | instid1(VALU_DEP_3)
	v_sub_f32_e32 v45, v45, v46
	v_sub_f32_e32 v46, v49, v48
	s_delay_alu instid0(VALU_DEP_2) | instskip(SKIP_1) | instid1(VALU_DEP_1)
	v_add_f32_e32 v5, v5, v45
	v_add_f32_e32 v45, v50, v47
	v_dual_add_f32 v5, v46, v5 :: v_dual_sub_f32 v46, v45, v50
	s_delay_alu instid0(VALU_DEP_1) | instskip(NEXT) | instid1(VALU_DEP_1)
	v_add_f32_e32 v5, v51, v5
	v_dual_sub_f32 v46, v47, v46 :: v_dual_mul_f32 v5, v44, v5
	s_delay_alu instid0(VALU_DEP_1) | instskip(NEXT) | instid1(VALU_DEP_1)
	v_add_f32_e32 v5, v46, v5
	v_add_f32_e32 v44, v45, v5
	s_delay_alu instid0(VALU_DEP_1) | instskip(SKIP_1) | instid1(VALU_DEP_1)
	v_mul_f32_e32 v46, v44, v44
	s_wait_alu 0xfffe
	v_fmaak_f32 v47, s15, v46, 0x3ecc95a3
	v_mul_f32_e32 v48, v44, v46
	v_cmp_neq_f32_e64 s15, 0x7f800000, v43
	s_delay_alu instid0(VALU_DEP_3) | instskip(SKIP_2) | instid1(VALU_DEP_3)
	v_fmaak_f32 v46, v46, v47, 0x3f2aaada
	v_ldexp_f32 v47, v44, 1
	v_sub_f32_e32 v44, v44, v45
	v_mul_f32_e32 v46, v48, v46
	v_mul_f32_e32 v48, 0x3f317218, v4
	s_delay_alu instid0(VALU_DEP_3) | instskip(NEXT) | instid1(VALU_DEP_3)
	v_sub_f32_e32 v5, v5, v44
	v_add_f32_e32 v45, v47, v46
	s_delay_alu instid0(VALU_DEP_2) | instskip(NEXT) | instid1(VALU_DEP_2)
	v_ldexp_f32 v5, v5, 1
	v_sub_f32_e32 v44, v45, v47
	v_fma_f32 v47, 0x3f317218, v4, -v48
	s_delay_alu instid0(VALU_DEP_2) | instskip(NEXT) | instid1(VALU_DEP_1)
	v_sub_f32_e32 v44, v46, v44
	v_dual_fmamk_f32 v4, v4, 0xb102e308, v47 :: v_dual_add_f32 v5, v5, v44
	s_delay_alu instid0(VALU_DEP_1) | instskip(NEXT) | instid1(VALU_DEP_2)
	v_add_f32_e32 v44, v48, v4
	v_add_f32_e32 v46, v45, v5
	s_delay_alu instid0(VALU_DEP_2) | instskip(NEXT) | instid1(VALU_DEP_2)
	v_sub_f32_e32 v48, v44, v48
	v_add_f32_e32 v47, v44, v46
	s_delay_alu instid0(VALU_DEP_2) | instskip(NEXT) | instid1(VALU_DEP_2)
	v_dual_sub_f32 v45, v46, v45 :: v_dual_sub_f32 v4, v4, v48
	v_sub_f32_e32 v49, v47, v44
	s_delay_alu instid0(VALU_DEP_2) | instskip(NEXT) | instid1(VALU_DEP_2)
	v_sub_f32_e32 v5, v5, v45
	v_sub_f32_e32 v50, v47, v49
	;; [unrolled: 1-line block ×3, first 2 shown]
	s_delay_alu instid0(VALU_DEP_3) | instskip(NEXT) | instid1(VALU_DEP_3)
	v_add_f32_e32 v46, v4, v5
	v_sub_f32_e32 v44, v44, v50
	s_delay_alu instid0(VALU_DEP_1) | instskip(NEXT) | instid1(VALU_DEP_3)
	v_add_f32_e32 v44, v45, v44
	v_sub_f32_e32 v45, v46, v4
	s_delay_alu instid0(VALU_DEP_2) | instskip(NEXT) | instid1(VALU_DEP_2)
	v_add_f32_e32 v44, v46, v44
	v_sub_f32_e32 v46, v46, v45
	s_delay_alu instid0(VALU_DEP_1) | instskip(NEXT) | instid1(VALU_DEP_1)
	v_dual_sub_f32 v5, v5, v45 :: v_dual_sub_f32 v4, v4, v46
	v_add_f32_e32 v4, v5, v4
	s_delay_alu instid0(VALU_DEP_4) | instskip(NEXT) | instid1(VALU_DEP_1)
	v_add_f32_e32 v48, v47, v44
	v_sub_f32_e32 v45, v48, v47
	s_delay_alu instid0(VALU_DEP_1) | instskip(NEXT) | instid1(VALU_DEP_1)
	v_sub_f32_e32 v5, v44, v45
	v_add_f32_e32 v4, v4, v5
	s_delay_alu instid0(VALU_DEP_1) | instskip(SKIP_1) | instid1(VALU_DEP_1)
	v_add_f32_e32 v4, v48, v4
	s_wait_alu 0xf1ff
	v_cndmask_b32_e64 v4, 0x7f800000, v4, s15
	v_cmp_gt_f32_e64 s15, 0x33800000, |v43|
	s_wait_alu 0xf1ff
	s_delay_alu instid0(VALU_DEP_1) | instskip(NEXT) | instid1(VALU_DEP_1)
	v_cndmask_b32_e64 v4, v4, v43, s15
	v_add_f32_e32 v5, v3, v4
.LBB508_92:
	s_wait_alu 0xfffe
	s_or_b32 exec_lo, exec_lo, s16
	s_delay_alu instid0(VALU_DEP_1) | instskip(SKIP_1) | instid1(VALU_DEP_2)
	v_bfe_u32 v3, v5, 16, 1
	v_cmp_o_f32_e64 s15, v5, v5
	; wave barrier
	v_add3_u32 v3, v5, v3, 0x7fff
	s_delay_alu instid0(VALU_DEP_1) | instskip(SKIP_1) | instid1(VALU_DEP_1)
	v_lshrrev_b32_e32 v3, 16, v3
	s_wait_alu 0xf1ff
	v_cndmask_b32_e64 v3, 0x7fc0, v3, s15
	s_delay_alu instid0(VALU_DEP_1) | instskip(SKIP_3) | instid1(VALU_DEP_1)
	v_cndmask_b32_e64 v3, v3, v42, s3
	ds_store_b16 v2, v3
	; wave barrier
	ds_load_u16 v5, v2 offset:2
	v_lshlrev_b32_e32 v4, 16, v3
	v_cmp_u_f32_e64 s15, v4, v4
	s_wait_dscnt 0x0
	v_lshlrev_b32_e32 v3, 16, v5
	v_max_num_f32_e32 v5, v4, v4
	s_delay_alu instid0(VALU_DEP_2) | instskip(NEXT) | instid1(VALU_DEP_1)
	v_max_num_f32_e32 v43, v3, v3
	v_min_num_f32_e32 v44, v5, v43
	v_max_num_f32_e32 v5, v5, v43
	s_wait_alu 0xf1ff
	s_delay_alu instid0(VALU_DEP_2) | instskip(NEXT) | instid1(VALU_DEP_2)
	v_cndmask_b32_e64 v43, v44, v4, s15
	v_cndmask_b32_e64 v44, v5, v4, s15
	v_cmp_u_f32_e64 s15, v3, v3
	s_wait_alu 0xf1ff
	s_delay_alu instid0(VALU_DEP_1) | instskip(NEXT) | instid1(VALU_DEP_3)
	v_cndmask_b32_e64 v5, v43, v3, s15
	v_cndmask_b32_e64 v3, v44, v3, s15
	s_delay_alu instid0(VALU_DEP_2) | instskip(NEXT) | instid1(VALU_DEP_2)
	v_cmp_class_f32_e64 s16, v5, 0x1f8
	v_cmp_neq_f32_e64 s15, v5, v3
	s_or_b32 s15, s15, s16
	s_wait_alu 0xfffe
	s_and_saveexec_b32 s16, s15
	s_cbranch_execz .LBB508_94
; %bb.93:
	v_sub_f32_e32 v4, v5, v3
	s_delay_alu instid0(VALU_DEP_1) | instskip(SKIP_1) | instid1(VALU_DEP_2)
	v_mul_f32_e32 v5, 0x3fb8aa3b, v4
	v_cmp_ngt_f32_e64 s15, 0xc2ce8ed0, v4
	v_fma_f32 v43, 0x3fb8aa3b, v4, -v5
	v_rndne_f32_e32 v44, v5
	s_delay_alu instid0(VALU_DEP_2) | instskip(NEXT) | instid1(VALU_DEP_2)
	v_fmamk_f32 v43, v4, 0x32a5705f, v43
	v_sub_f32_e32 v5, v5, v44
	s_delay_alu instid0(VALU_DEP_1) | instskip(SKIP_1) | instid1(VALU_DEP_2)
	v_add_f32_e32 v5, v5, v43
	v_cvt_i32_f32_e32 v43, v44
	v_exp_f32_e32 v5, v5
	s_delay_alu instid0(TRANS32_DEP_1) | instskip(SKIP_1) | instid1(VALU_DEP_1)
	v_ldexp_f32 v5, v5, v43
	s_wait_alu 0xf1ff
	v_cndmask_b32_e64 v5, 0, v5, s15
	v_cmp_nlt_f32_e64 s15, 0x42b17218, v4
	s_wait_alu 0xf1ff
	s_delay_alu instid0(VALU_DEP_1) | instskip(NEXT) | instid1(VALU_DEP_1)
	v_cndmask_b32_e64 v43, 0x7f800000, v5, s15
	v_add_f32_e32 v44, 1.0, v43
	s_delay_alu instid0(VALU_DEP_1) | instskip(NEXT) | instid1(VALU_DEP_1)
	v_cvt_f64_f32_e32 v[4:5], v44
	v_frexp_exp_i32_f64_e32 v4, v[4:5]
	v_frexp_mant_f32_e32 v5, v44
	s_delay_alu instid0(VALU_DEP_1) | instskip(SKIP_1) | instid1(VALU_DEP_1)
	v_cmp_gt_f32_e64 s15, 0x3f2aaaab, v5
	v_add_f32_e32 v5, -1.0, v44
	v_sub_f32_e32 v46, v5, v44
	s_delay_alu instid0(VALU_DEP_1)
	v_add_f32_e32 v46, 1.0, v46
	s_wait_alu 0xf1ff
	v_subrev_co_ci_u32_e64 v4, null, 0, v4, s15
	s_mov_b32 s15, 0x3e9b6dac
	v_sub_nc_u32_e32 v45, 0, v4
	v_cvt_f32_i32_e32 v4, v4
	s_delay_alu instid0(VALU_DEP_2) | instskip(NEXT) | instid1(VALU_DEP_1)
	v_ldexp_f32 v44, v44, v45
	v_add_f32_e32 v47, 1.0, v44
	v_sub_f32_e32 v5, v43, v5
	s_delay_alu instid0(VALU_DEP_1) | instskip(NEXT) | instid1(VALU_DEP_1)
	v_add_f32_e32 v5, v5, v46
	v_ldexp_f32 v5, v5, v45
	v_add_f32_e32 v45, -1.0, v44
	s_delay_alu instid0(VALU_DEP_1) | instskip(SKIP_1) | instid1(VALU_DEP_1)
	v_add_f32_e32 v48, 1.0, v45
	v_add_f32_e32 v46, -1.0, v47
	v_sub_f32_e32 v46, v44, v46
	s_delay_alu instid0(VALU_DEP_3) | instskip(NEXT) | instid1(VALU_DEP_2)
	v_sub_f32_e32 v44, v44, v48
	v_add_f32_e32 v46, v5, v46
	s_delay_alu instid0(VALU_DEP_1) | instskip(NEXT) | instid1(VALU_DEP_1)
	v_dual_add_f32 v5, v5, v44 :: v_dual_add_f32 v48, v47, v46
	v_rcp_f32_e32 v44, v48
	v_sub_f32_e32 v47, v47, v48
	s_delay_alu instid0(VALU_DEP_1) | instskip(NEXT) | instid1(VALU_DEP_1)
	v_dual_add_f32 v49, v45, v5 :: v_dual_add_f32 v46, v46, v47
	v_sub_f32_e32 v45, v45, v49
	s_delay_alu instid0(TRANS32_DEP_1) | instskip(NEXT) | instid1(VALU_DEP_2)
	v_mul_f32_e32 v50, v49, v44
	v_add_f32_e32 v5, v5, v45
	s_delay_alu instid0(VALU_DEP_2) | instskip(NEXT) | instid1(VALU_DEP_1)
	v_mul_f32_e32 v51, v48, v50
	v_fma_f32 v47, v50, v48, -v51
	s_delay_alu instid0(VALU_DEP_1) | instskip(NEXT) | instid1(VALU_DEP_1)
	v_fmac_f32_e32 v47, v50, v46
	v_add_f32_e32 v52, v51, v47
	s_delay_alu instid0(VALU_DEP_1) | instskip(SKIP_1) | instid1(VALU_DEP_2)
	v_sub_f32_e32 v53, v49, v52
	v_sub_f32_e32 v45, v52, v51
	;; [unrolled: 1-line block ×3, first 2 shown]
	s_delay_alu instid0(VALU_DEP_2) | instskip(NEXT) | instid1(VALU_DEP_2)
	v_sub_f32_e32 v45, v45, v47
	v_sub_f32_e32 v49, v49, v52
	s_delay_alu instid0(VALU_DEP_1) | instskip(NEXT) | instid1(VALU_DEP_1)
	v_add_f32_e32 v5, v5, v49
	v_add_f32_e32 v5, v45, v5
	s_delay_alu instid0(VALU_DEP_1) | instskip(NEXT) | instid1(VALU_DEP_1)
	v_add_f32_e32 v45, v53, v5
	v_mul_f32_e32 v47, v44, v45
	s_delay_alu instid0(VALU_DEP_1) | instskip(NEXT) | instid1(VALU_DEP_1)
	v_mul_f32_e32 v49, v48, v47
	v_fma_f32 v48, v47, v48, -v49
	s_delay_alu instid0(VALU_DEP_1) | instskip(SKIP_1) | instid1(VALU_DEP_2)
	v_fmac_f32_e32 v48, v47, v46
	v_sub_f32_e32 v52, v53, v45
	v_add_f32_e32 v46, v49, v48
	s_delay_alu instid0(VALU_DEP_2) | instskip(NEXT) | instid1(VALU_DEP_2)
	v_add_f32_e32 v5, v5, v52
	v_sub_f32_e32 v51, v45, v46
	v_sub_f32_e32 v49, v46, v49
	s_delay_alu instid0(VALU_DEP_2) | instskip(NEXT) | instid1(VALU_DEP_1)
	v_sub_f32_e32 v45, v45, v51
	v_sub_f32_e32 v45, v45, v46
	s_delay_alu instid0(VALU_DEP_3) | instskip(NEXT) | instid1(VALU_DEP_2)
	v_sub_f32_e32 v46, v49, v48
	v_add_f32_e32 v5, v5, v45
	v_add_f32_e32 v45, v50, v47
	s_delay_alu instid0(VALU_DEP_1) | instskip(NEXT) | instid1(VALU_DEP_1)
	v_dual_add_f32 v5, v46, v5 :: v_dual_sub_f32 v46, v45, v50
	v_add_f32_e32 v5, v51, v5
	s_delay_alu instid0(VALU_DEP_1) | instskip(NEXT) | instid1(VALU_DEP_1)
	v_dual_sub_f32 v46, v47, v46 :: v_dual_mul_f32 v5, v44, v5
	v_add_f32_e32 v5, v46, v5
	s_delay_alu instid0(VALU_DEP_1) | instskip(NEXT) | instid1(VALU_DEP_1)
	v_add_f32_e32 v44, v45, v5
	v_mul_f32_e32 v46, v44, v44
	s_wait_alu 0xfffe
	s_delay_alu instid0(VALU_DEP_1) | instskip(SKIP_2) | instid1(VALU_DEP_3)
	v_fmaak_f32 v47, s15, v46, 0x3ecc95a3
	v_mul_f32_e32 v48, v44, v46
	v_cmp_neq_f32_e64 s15, 0x7f800000, v43
	v_fmaak_f32 v46, v46, v47, 0x3f2aaada
	v_ldexp_f32 v47, v44, 1
	v_sub_f32_e32 v44, v44, v45
	s_delay_alu instid0(VALU_DEP_3) | instskip(SKIP_1) | instid1(VALU_DEP_3)
	v_mul_f32_e32 v46, v48, v46
	v_mul_f32_e32 v48, 0x3f317218, v4
	v_sub_f32_e32 v5, v5, v44
	s_delay_alu instid0(VALU_DEP_3) | instskip(NEXT) | instid1(VALU_DEP_2)
	v_add_f32_e32 v45, v47, v46
	v_ldexp_f32 v5, v5, 1
	s_delay_alu instid0(VALU_DEP_2) | instskip(SKIP_1) | instid1(VALU_DEP_2)
	v_sub_f32_e32 v44, v45, v47
	v_fma_f32 v47, 0x3f317218, v4, -v48
	v_sub_f32_e32 v44, v46, v44
	s_delay_alu instid0(VALU_DEP_1) | instskip(NEXT) | instid1(VALU_DEP_1)
	v_dual_fmamk_f32 v4, v4, 0xb102e308, v47 :: v_dual_add_f32 v5, v5, v44
	v_add_f32_e32 v44, v48, v4
	s_delay_alu instid0(VALU_DEP_2) | instskip(NEXT) | instid1(VALU_DEP_2)
	v_add_f32_e32 v46, v45, v5
	v_sub_f32_e32 v48, v44, v48
	s_delay_alu instid0(VALU_DEP_2) | instskip(NEXT) | instid1(VALU_DEP_2)
	v_add_f32_e32 v47, v44, v46
	v_dual_sub_f32 v45, v46, v45 :: v_dual_sub_f32 v4, v4, v48
	s_delay_alu instid0(VALU_DEP_2) | instskip(NEXT) | instid1(VALU_DEP_2)
	v_sub_f32_e32 v49, v47, v44
	v_sub_f32_e32 v5, v5, v45
	s_delay_alu instid0(VALU_DEP_2) | instskip(SKIP_1) | instid1(VALU_DEP_3)
	v_sub_f32_e32 v50, v47, v49
	v_sub_f32_e32 v45, v46, v49
	v_add_f32_e32 v46, v4, v5
	s_delay_alu instid0(VALU_DEP_3) | instskip(NEXT) | instid1(VALU_DEP_1)
	v_sub_f32_e32 v44, v44, v50
	v_add_f32_e32 v44, v45, v44
	s_delay_alu instid0(VALU_DEP_3) | instskip(NEXT) | instid1(VALU_DEP_2)
	v_sub_f32_e32 v45, v46, v4
	v_add_f32_e32 v44, v46, v44
	s_delay_alu instid0(VALU_DEP_2) | instskip(NEXT) | instid1(VALU_DEP_1)
	v_sub_f32_e32 v46, v46, v45
	v_dual_sub_f32 v5, v5, v45 :: v_dual_sub_f32 v4, v4, v46
	s_delay_alu instid0(VALU_DEP_1) | instskip(NEXT) | instid1(VALU_DEP_4)
	v_add_f32_e32 v4, v5, v4
	v_add_f32_e32 v48, v47, v44
	s_delay_alu instid0(VALU_DEP_1) | instskip(NEXT) | instid1(VALU_DEP_1)
	v_sub_f32_e32 v45, v48, v47
	v_sub_f32_e32 v5, v44, v45
	s_delay_alu instid0(VALU_DEP_1) | instskip(NEXT) | instid1(VALU_DEP_1)
	v_add_f32_e32 v4, v4, v5
	v_add_f32_e32 v4, v48, v4
	s_wait_alu 0xf1ff
	s_delay_alu instid0(VALU_DEP_1) | instskip(SKIP_2) | instid1(VALU_DEP_1)
	v_cndmask_b32_e64 v4, 0x7f800000, v4, s15
	v_cmp_gt_f32_e64 s15, 0x33800000, |v43|
	s_wait_alu 0xf1ff
	v_cndmask_b32_e64 v4, v4, v43, s15
	s_delay_alu instid0(VALU_DEP_1)
	v_add_f32_e32 v4, v3, v4
.LBB508_94:
	s_wait_alu 0xfffe
	s_or_b32 exec_lo, exec_lo, s16
	ds_load_u16 v5, v2 offset:4
	v_bfe_u32 v3, v4, 16, 1
	v_cmp_o_f32_e64 s15, v4, v4
	s_delay_alu instid0(VALU_DEP_2) | instskip(NEXT) | instid1(VALU_DEP_1)
	v_add3_u32 v3, v4, v3, 0x7fff
	v_lshrrev_b32_e32 v3, 16, v3
	s_wait_alu 0xf1ff
	s_delay_alu instid0(VALU_DEP_1)
	v_cndmask_b32_e64 v43, 0x7fc0, v3, s15
	s_wait_dscnt 0x0
	v_lshlrev_b32_e32 v3, 16, v5
	ds_store_b16 v2, v43 offset:2
	v_max_num_f32_e32 v44, v3, v3
	v_lshlrev_b32_e32 v4, 16, v43
	s_delay_alu instid0(VALU_DEP_1) | instskip(NEXT) | instid1(VALU_DEP_1)
	v_max_num_f32_e32 v5, v4, v4
	v_min_num_f32_e32 v45, v5, v44
	v_max_num_f32_e32 v5, v5, v44
	v_cmp_u_f32_e64 s15, v4, v4
	s_wait_alu 0xf1ff
	s_delay_alu instid0(VALU_DEP_1) | instskip(NEXT) | instid1(VALU_DEP_3)
	v_cndmask_b32_e64 v44, v45, v4, s15
	v_cndmask_b32_e64 v45, v5, v4, s15
	v_cmp_u_f32_e64 s15, v3, v3
	s_wait_alu 0xf1ff
	s_delay_alu instid0(VALU_DEP_1) | instskip(NEXT) | instid1(VALU_DEP_3)
	v_cndmask_b32_e64 v5, v44, v3, s15
	v_cndmask_b32_e64 v3, v45, v3, s15
	s_delay_alu instid0(VALU_DEP_2) | instskip(NEXT) | instid1(VALU_DEP_2)
	v_cmp_class_f32_e64 s16, v5, 0x1f8
	v_cmp_neq_f32_e64 s15, v5, v3
	s_or_b32 s15, s15, s16
	s_wait_alu 0xfffe
	s_and_saveexec_b32 s16, s15
	s_cbranch_execz .LBB508_96
; %bb.95:
	v_sub_f32_e32 v4, v5, v3
	s_delay_alu instid0(VALU_DEP_1) | instskip(SKIP_1) | instid1(VALU_DEP_2)
	v_mul_f32_e32 v5, 0x3fb8aa3b, v4
	v_cmp_ngt_f32_e64 s15, 0xc2ce8ed0, v4
	v_fma_f32 v43, 0x3fb8aa3b, v4, -v5
	v_rndne_f32_e32 v44, v5
	s_delay_alu instid0(VALU_DEP_2) | instskip(NEXT) | instid1(VALU_DEP_2)
	v_fmamk_f32 v43, v4, 0x32a5705f, v43
	v_sub_f32_e32 v5, v5, v44
	s_delay_alu instid0(VALU_DEP_1) | instskip(SKIP_1) | instid1(VALU_DEP_2)
	v_add_f32_e32 v5, v5, v43
	v_cvt_i32_f32_e32 v43, v44
	v_exp_f32_e32 v5, v5
	s_delay_alu instid0(TRANS32_DEP_1) | instskip(SKIP_1) | instid1(VALU_DEP_1)
	v_ldexp_f32 v5, v5, v43
	s_wait_alu 0xf1ff
	v_cndmask_b32_e64 v5, 0, v5, s15
	v_cmp_nlt_f32_e64 s15, 0x42b17218, v4
	s_wait_alu 0xf1ff
	s_delay_alu instid0(VALU_DEP_1) | instskip(NEXT) | instid1(VALU_DEP_1)
	v_cndmask_b32_e64 v43, 0x7f800000, v5, s15
	v_add_f32_e32 v44, 1.0, v43
	s_delay_alu instid0(VALU_DEP_1) | instskip(NEXT) | instid1(VALU_DEP_1)
	v_cvt_f64_f32_e32 v[4:5], v44
	v_frexp_exp_i32_f64_e32 v4, v[4:5]
	v_frexp_mant_f32_e32 v5, v44
	s_delay_alu instid0(VALU_DEP_1) | instskip(SKIP_1) | instid1(VALU_DEP_1)
	v_cmp_gt_f32_e64 s15, 0x3f2aaaab, v5
	v_add_f32_e32 v5, -1.0, v44
	v_sub_f32_e32 v46, v5, v44
	s_delay_alu instid0(VALU_DEP_1)
	v_add_f32_e32 v46, 1.0, v46
	s_wait_alu 0xf1ff
	v_subrev_co_ci_u32_e64 v4, null, 0, v4, s15
	s_mov_b32 s15, 0x3e9b6dac
	v_sub_nc_u32_e32 v45, 0, v4
	v_cvt_f32_i32_e32 v4, v4
	s_delay_alu instid0(VALU_DEP_2) | instskip(NEXT) | instid1(VALU_DEP_1)
	v_ldexp_f32 v44, v44, v45
	v_add_f32_e32 v47, 1.0, v44
	v_sub_f32_e32 v5, v43, v5
	s_delay_alu instid0(VALU_DEP_1) | instskip(NEXT) | instid1(VALU_DEP_1)
	v_add_f32_e32 v5, v5, v46
	v_ldexp_f32 v5, v5, v45
	v_add_f32_e32 v45, -1.0, v44
	s_delay_alu instid0(VALU_DEP_1) | instskip(SKIP_1) | instid1(VALU_DEP_1)
	v_add_f32_e32 v48, 1.0, v45
	v_add_f32_e32 v46, -1.0, v47
	v_sub_f32_e32 v46, v44, v46
	s_delay_alu instid0(VALU_DEP_3) | instskip(NEXT) | instid1(VALU_DEP_2)
	v_sub_f32_e32 v44, v44, v48
	v_add_f32_e32 v46, v5, v46
	s_delay_alu instid0(VALU_DEP_1) | instskip(NEXT) | instid1(VALU_DEP_1)
	v_dual_add_f32 v5, v5, v44 :: v_dual_add_f32 v48, v47, v46
	v_rcp_f32_e32 v44, v48
	v_sub_f32_e32 v47, v47, v48
	s_delay_alu instid0(VALU_DEP_1) | instskip(NEXT) | instid1(VALU_DEP_1)
	v_dual_add_f32 v49, v45, v5 :: v_dual_add_f32 v46, v46, v47
	v_sub_f32_e32 v45, v45, v49
	s_delay_alu instid0(TRANS32_DEP_1) | instskip(NEXT) | instid1(VALU_DEP_2)
	v_mul_f32_e32 v50, v49, v44
	v_add_f32_e32 v5, v5, v45
	s_delay_alu instid0(VALU_DEP_2) | instskip(NEXT) | instid1(VALU_DEP_1)
	v_mul_f32_e32 v51, v48, v50
	v_fma_f32 v47, v50, v48, -v51
	s_delay_alu instid0(VALU_DEP_1) | instskip(NEXT) | instid1(VALU_DEP_1)
	v_fmac_f32_e32 v47, v50, v46
	v_add_f32_e32 v52, v51, v47
	s_delay_alu instid0(VALU_DEP_1) | instskip(SKIP_1) | instid1(VALU_DEP_2)
	v_sub_f32_e32 v53, v49, v52
	v_sub_f32_e32 v45, v52, v51
	;; [unrolled: 1-line block ×3, first 2 shown]
	s_delay_alu instid0(VALU_DEP_2) | instskip(NEXT) | instid1(VALU_DEP_2)
	v_sub_f32_e32 v45, v45, v47
	v_sub_f32_e32 v49, v49, v52
	s_delay_alu instid0(VALU_DEP_1) | instskip(NEXT) | instid1(VALU_DEP_1)
	v_add_f32_e32 v5, v5, v49
	v_add_f32_e32 v5, v45, v5
	s_delay_alu instid0(VALU_DEP_1) | instskip(NEXT) | instid1(VALU_DEP_1)
	v_add_f32_e32 v45, v53, v5
	v_mul_f32_e32 v47, v44, v45
	s_delay_alu instid0(VALU_DEP_1) | instskip(NEXT) | instid1(VALU_DEP_1)
	v_mul_f32_e32 v49, v48, v47
	v_fma_f32 v48, v47, v48, -v49
	s_delay_alu instid0(VALU_DEP_1) | instskip(SKIP_1) | instid1(VALU_DEP_2)
	v_fmac_f32_e32 v48, v47, v46
	v_sub_f32_e32 v52, v53, v45
	v_add_f32_e32 v46, v49, v48
	s_delay_alu instid0(VALU_DEP_2) | instskip(NEXT) | instid1(VALU_DEP_2)
	v_add_f32_e32 v5, v5, v52
	v_sub_f32_e32 v51, v45, v46
	v_sub_f32_e32 v49, v46, v49
	s_delay_alu instid0(VALU_DEP_2) | instskip(NEXT) | instid1(VALU_DEP_1)
	v_sub_f32_e32 v45, v45, v51
	v_sub_f32_e32 v45, v45, v46
	s_delay_alu instid0(VALU_DEP_3) | instskip(NEXT) | instid1(VALU_DEP_2)
	v_sub_f32_e32 v46, v49, v48
	v_add_f32_e32 v5, v5, v45
	v_add_f32_e32 v45, v50, v47
	s_delay_alu instid0(VALU_DEP_1) | instskip(NEXT) | instid1(VALU_DEP_1)
	v_dual_add_f32 v5, v46, v5 :: v_dual_sub_f32 v46, v45, v50
	v_add_f32_e32 v5, v51, v5
	s_delay_alu instid0(VALU_DEP_1) | instskip(NEXT) | instid1(VALU_DEP_1)
	v_dual_sub_f32 v46, v47, v46 :: v_dual_mul_f32 v5, v44, v5
	v_add_f32_e32 v5, v46, v5
	s_delay_alu instid0(VALU_DEP_1) | instskip(NEXT) | instid1(VALU_DEP_1)
	v_add_f32_e32 v44, v45, v5
	v_mul_f32_e32 v46, v44, v44
	s_wait_alu 0xfffe
	s_delay_alu instid0(VALU_DEP_1) | instskip(SKIP_2) | instid1(VALU_DEP_3)
	v_fmaak_f32 v47, s15, v46, 0x3ecc95a3
	v_mul_f32_e32 v48, v44, v46
	v_cmp_neq_f32_e64 s15, 0x7f800000, v43
	v_fmaak_f32 v46, v46, v47, 0x3f2aaada
	v_ldexp_f32 v47, v44, 1
	v_sub_f32_e32 v44, v44, v45
	s_delay_alu instid0(VALU_DEP_3) | instskip(SKIP_1) | instid1(VALU_DEP_3)
	v_mul_f32_e32 v46, v48, v46
	v_mul_f32_e32 v48, 0x3f317218, v4
	v_sub_f32_e32 v5, v5, v44
	s_delay_alu instid0(VALU_DEP_3) | instskip(NEXT) | instid1(VALU_DEP_2)
	v_add_f32_e32 v45, v47, v46
	v_ldexp_f32 v5, v5, 1
	s_delay_alu instid0(VALU_DEP_2) | instskip(SKIP_1) | instid1(VALU_DEP_2)
	v_sub_f32_e32 v44, v45, v47
	v_fma_f32 v47, 0x3f317218, v4, -v48
	v_sub_f32_e32 v44, v46, v44
	s_delay_alu instid0(VALU_DEP_1) | instskip(NEXT) | instid1(VALU_DEP_1)
	v_dual_fmamk_f32 v4, v4, 0xb102e308, v47 :: v_dual_add_f32 v5, v5, v44
	v_add_f32_e32 v44, v48, v4
	s_delay_alu instid0(VALU_DEP_2) | instskip(NEXT) | instid1(VALU_DEP_2)
	v_add_f32_e32 v46, v45, v5
	v_sub_f32_e32 v48, v44, v48
	s_delay_alu instid0(VALU_DEP_2) | instskip(NEXT) | instid1(VALU_DEP_2)
	v_add_f32_e32 v47, v44, v46
	v_dual_sub_f32 v45, v46, v45 :: v_dual_sub_f32 v4, v4, v48
	s_delay_alu instid0(VALU_DEP_2) | instskip(NEXT) | instid1(VALU_DEP_2)
	v_sub_f32_e32 v49, v47, v44
	v_sub_f32_e32 v5, v5, v45
	s_delay_alu instid0(VALU_DEP_2) | instskip(SKIP_1) | instid1(VALU_DEP_3)
	v_sub_f32_e32 v50, v47, v49
	v_sub_f32_e32 v45, v46, v49
	v_add_f32_e32 v46, v4, v5
	s_delay_alu instid0(VALU_DEP_3) | instskip(NEXT) | instid1(VALU_DEP_1)
	v_sub_f32_e32 v44, v44, v50
	v_add_f32_e32 v44, v45, v44
	s_delay_alu instid0(VALU_DEP_3) | instskip(NEXT) | instid1(VALU_DEP_2)
	v_sub_f32_e32 v45, v46, v4
	v_add_f32_e32 v44, v46, v44
	s_delay_alu instid0(VALU_DEP_2) | instskip(NEXT) | instid1(VALU_DEP_1)
	v_sub_f32_e32 v46, v46, v45
	v_dual_sub_f32 v5, v5, v45 :: v_dual_sub_f32 v4, v4, v46
	s_delay_alu instid0(VALU_DEP_1) | instskip(NEXT) | instid1(VALU_DEP_4)
	v_add_f32_e32 v4, v5, v4
	v_add_f32_e32 v48, v47, v44
	s_delay_alu instid0(VALU_DEP_1) | instskip(NEXT) | instid1(VALU_DEP_1)
	v_sub_f32_e32 v45, v48, v47
	v_sub_f32_e32 v5, v44, v45
	s_delay_alu instid0(VALU_DEP_1) | instskip(NEXT) | instid1(VALU_DEP_1)
	v_add_f32_e32 v4, v4, v5
	v_add_f32_e32 v4, v48, v4
	s_wait_alu 0xf1ff
	s_delay_alu instid0(VALU_DEP_1) | instskip(SKIP_2) | instid1(VALU_DEP_1)
	v_cndmask_b32_e64 v4, 0x7f800000, v4, s15
	v_cmp_gt_f32_e64 s15, 0x33800000, |v43|
	s_wait_alu 0xf1ff
	v_cndmask_b32_e64 v4, v4, v43, s15
	s_delay_alu instid0(VALU_DEP_1)
	v_add_f32_e32 v4, v3, v4
.LBB508_96:
	s_wait_alu 0xfffe
	s_or_b32 exec_lo, exec_lo, s16
	ds_load_u16 v5, v2 offset:6
	v_bfe_u32 v3, v4, 16, 1
	v_cmp_o_f32_e64 s15, v4, v4
	s_delay_alu instid0(VALU_DEP_2) | instskip(NEXT) | instid1(VALU_DEP_1)
	v_add3_u32 v3, v4, v3, 0x7fff
	v_lshrrev_b32_e32 v3, 16, v3
	s_wait_alu 0xf1ff
	s_delay_alu instid0(VALU_DEP_1)
	v_cndmask_b32_e64 v43, 0x7fc0, v3, s15
	s_wait_dscnt 0x0
	v_lshlrev_b32_e32 v3, 16, v5
	ds_store_b16 v2, v43 offset:4
	v_max_num_f32_e32 v44, v3, v3
	v_lshlrev_b32_e32 v4, 16, v43
	s_delay_alu instid0(VALU_DEP_1) | instskip(NEXT) | instid1(VALU_DEP_1)
	v_max_num_f32_e32 v5, v4, v4
	v_min_num_f32_e32 v45, v5, v44
	v_max_num_f32_e32 v5, v5, v44
	v_cmp_u_f32_e64 s15, v4, v4
	s_wait_alu 0xf1ff
	s_delay_alu instid0(VALU_DEP_1) | instskip(NEXT) | instid1(VALU_DEP_3)
	v_cndmask_b32_e64 v44, v45, v4, s15
	v_cndmask_b32_e64 v45, v5, v4, s15
	v_cmp_u_f32_e64 s15, v3, v3
	s_wait_alu 0xf1ff
	s_delay_alu instid0(VALU_DEP_1) | instskip(NEXT) | instid1(VALU_DEP_3)
	v_cndmask_b32_e64 v5, v44, v3, s15
	v_cndmask_b32_e64 v3, v45, v3, s15
	s_delay_alu instid0(VALU_DEP_2) | instskip(NEXT) | instid1(VALU_DEP_2)
	v_cmp_class_f32_e64 s16, v5, 0x1f8
	v_cmp_neq_f32_e64 s15, v5, v3
	s_or_b32 s15, s15, s16
	s_wait_alu 0xfffe
	s_and_saveexec_b32 s16, s15
	s_cbranch_execz .LBB508_98
; %bb.97:
	v_sub_f32_e32 v4, v5, v3
	s_delay_alu instid0(VALU_DEP_1) | instskip(SKIP_1) | instid1(VALU_DEP_2)
	v_mul_f32_e32 v5, 0x3fb8aa3b, v4
	v_cmp_ngt_f32_e64 s15, 0xc2ce8ed0, v4
	v_fma_f32 v43, 0x3fb8aa3b, v4, -v5
	v_rndne_f32_e32 v44, v5
	s_delay_alu instid0(VALU_DEP_2) | instskip(NEXT) | instid1(VALU_DEP_2)
	v_fmamk_f32 v43, v4, 0x32a5705f, v43
	v_sub_f32_e32 v5, v5, v44
	s_delay_alu instid0(VALU_DEP_1) | instskip(SKIP_1) | instid1(VALU_DEP_2)
	v_add_f32_e32 v5, v5, v43
	v_cvt_i32_f32_e32 v43, v44
	v_exp_f32_e32 v5, v5
	s_delay_alu instid0(TRANS32_DEP_1) | instskip(SKIP_1) | instid1(VALU_DEP_1)
	v_ldexp_f32 v5, v5, v43
	s_wait_alu 0xf1ff
	v_cndmask_b32_e64 v5, 0, v5, s15
	v_cmp_nlt_f32_e64 s15, 0x42b17218, v4
	s_wait_alu 0xf1ff
	s_delay_alu instid0(VALU_DEP_1) | instskip(NEXT) | instid1(VALU_DEP_1)
	v_cndmask_b32_e64 v43, 0x7f800000, v5, s15
	v_add_f32_e32 v44, 1.0, v43
	s_delay_alu instid0(VALU_DEP_1) | instskip(NEXT) | instid1(VALU_DEP_1)
	v_cvt_f64_f32_e32 v[4:5], v44
	v_frexp_exp_i32_f64_e32 v4, v[4:5]
	v_frexp_mant_f32_e32 v5, v44
	s_delay_alu instid0(VALU_DEP_1) | instskip(SKIP_1) | instid1(VALU_DEP_1)
	v_cmp_gt_f32_e64 s15, 0x3f2aaaab, v5
	v_add_f32_e32 v5, -1.0, v44
	v_sub_f32_e32 v46, v5, v44
	s_delay_alu instid0(VALU_DEP_1)
	v_add_f32_e32 v46, 1.0, v46
	s_wait_alu 0xf1ff
	v_subrev_co_ci_u32_e64 v4, null, 0, v4, s15
	s_mov_b32 s15, 0x3e9b6dac
	v_sub_nc_u32_e32 v45, 0, v4
	v_cvt_f32_i32_e32 v4, v4
	s_delay_alu instid0(VALU_DEP_2) | instskip(NEXT) | instid1(VALU_DEP_1)
	v_ldexp_f32 v44, v44, v45
	v_add_f32_e32 v47, 1.0, v44
	v_sub_f32_e32 v5, v43, v5
	s_delay_alu instid0(VALU_DEP_1) | instskip(NEXT) | instid1(VALU_DEP_1)
	v_add_f32_e32 v5, v5, v46
	v_ldexp_f32 v5, v5, v45
	v_add_f32_e32 v45, -1.0, v44
	s_delay_alu instid0(VALU_DEP_1) | instskip(SKIP_1) | instid1(VALU_DEP_1)
	v_add_f32_e32 v48, 1.0, v45
	v_add_f32_e32 v46, -1.0, v47
	v_sub_f32_e32 v46, v44, v46
	s_delay_alu instid0(VALU_DEP_3) | instskip(NEXT) | instid1(VALU_DEP_2)
	v_sub_f32_e32 v44, v44, v48
	v_add_f32_e32 v46, v5, v46
	s_delay_alu instid0(VALU_DEP_1) | instskip(NEXT) | instid1(VALU_DEP_1)
	v_dual_add_f32 v5, v5, v44 :: v_dual_add_f32 v48, v47, v46
	v_rcp_f32_e32 v44, v48
	v_sub_f32_e32 v47, v47, v48
	s_delay_alu instid0(VALU_DEP_1) | instskip(NEXT) | instid1(VALU_DEP_1)
	v_dual_add_f32 v49, v45, v5 :: v_dual_add_f32 v46, v46, v47
	v_sub_f32_e32 v45, v45, v49
	s_delay_alu instid0(TRANS32_DEP_1) | instskip(NEXT) | instid1(VALU_DEP_2)
	v_mul_f32_e32 v50, v49, v44
	v_add_f32_e32 v5, v5, v45
	s_delay_alu instid0(VALU_DEP_2) | instskip(NEXT) | instid1(VALU_DEP_1)
	v_mul_f32_e32 v51, v48, v50
	v_fma_f32 v47, v50, v48, -v51
	s_delay_alu instid0(VALU_DEP_1) | instskip(NEXT) | instid1(VALU_DEP_1)
	v_fmac_f32_e32 v47, v50, v46
	v_add_f32_e32 v52, v51, v47
	s_delay_alu instid0(VALU_DEP_1) | instskip(SKIP_1) | instid1(VALU_DEP_2)
	v_sub_f32_e32 v53, v49, v52
	v_sub_f32_e32 v45, v52, v51
	;; [unrolled: 1-line block ×3, first 2 shown]
	s_delay_alu instid0(VALU_DEP_2) | instskip(NEXT) | instid1(VALU_DEP_2)
	v_sub_f32_e32 v45, v45, v47
	v_sub_f32_e32 v49, v49, v52
	s_delay_alu instid0(VALU_DEP_1) | instskip(NEXT) | instid1(VALU_DEP_1)
	v_add_f32_e32 v5, v5, v49
	v_add_f32_e32 v5, v45, v5
	s_delay_alu instid0(VALU_DEP_1) | instskip(NEXT) | instid1(VALU_DEP_1)
	v_add_f32_e32 v45, v53, v5
	v_mul_f32_e32 v47, v44, v45
	s_delay_alu instid0(VALU_DEP_1) | instskip(NEXT) | instid1(VALU_DEP_1)
	v_mul_f32_e32 v49, v48, v47
	v_fma_f32 v48, v47, v48, -v49
	s_delay_alu instid0(VALU_DEP_1) | instskip(SKIP_1) | instid1(VALU_DEP_2)
	v_fmac_f32_e32 v48, v47, v46
	v_sub_f32_e32 v52, v53, v45
	v_add_f32_e32 v46, v49, v48
	s_delay_alu instid0(VALU_DEP_2) | instskip(NEXT) | instid1(VALU_DEP_2)
	v_add_f32_e32 v5, v5, v52
	v_sub_f32_e32 v51, v45, v46
	v_sub_f32_e32 v49, v46, v49
	s_delay_alu instid0(VALU_DEP_2) | instskip(NEXT) | instid1(VALU_DEP_1)
	v_sub_f32_e32 v45, v45, v51
	v_sub_f32_e32 v45, v45, v46
	s_delay_alu instid0(VALU_DEP_3) | instskip(NEXT) | instid1(VALU_DEP_2)
	v_sub_f32_e32 v46, v49, v48
	v_add_f32_e32 v5, v5, v45
	v_add_f32_e32 v45, v50, v47
	s_delay_alu instid0(VALU_DEP_1) | instskip(NEXT) | instid1(VALU_DEP_1)
	v_dual_add_f32 v5, v46, v5 :: v_dual_sub_f32 v46, v45, v50
	v_add_f32_e32 v5, v51, v5
	s_delay_alu instid0(VALU_DEP_1) | instskip(NEXT) | instid1(VALU_DEP_1)
	v_dual_sub_f32 v46, v47, v46 :: v_dual_mul_f32 v5, v44, v5
	v_add_f32_e32 v5, v46, v5
	s_delay_alu instid0(VALU_DEP_1) | instskip(NEXT) | instid1(VALU_DEP_1)
	v_add_f32_e32 v44, v45, v5
	v_mul_f32_e32 v46, v44, v44
	s_wait_alu 0xfffe
	s_delay_alu instid0(VALU_DEP_1) | instskip(SKIP_2) | instid1(VALU_DEP_3)
	v_fmaak_f32 v47, s15, v46, 0x3ecc95a3
	v_mul_f32_e32 v48, v44, v46
	v_cmp_neq_f32_e64 s15, 0x7f800000, v43
	v_fmaak_f32 v46, v46, v47, 0x3f2aaada
	v_ldexp_f32 v47, v44, 1
	v_sub_f32_e32 v44, v44, v45
	s_delay_alu instid0(VALU_DEP_3) | instskip(SKIP_1) | instid1(VALU_DEP_3)
	v_mul_f32_e32 v46, v48, v46
	v_mul_f32_e32 v48, 0x3f317218, v4
	v_sub_f32_e32 v5, v5, v44
	s_delay_alu instid0(VALU_DEP_3) | instskip(NEXT) | instid1(VALU_DEP_2)
	v_add_f32_e32 v45, v47, v46
	v_ldexp_f32 v5, v5, 1
	s_delay_alu instid0(VALU_DEP_2) | instskip(SKIP_1) | instid1(VALU_DEP_2)
	v_sub_f32_e32 v44, v45, v47
	v_fma_f32 v47, 0x3f317218, v4, -v48
	v_sub_f32_e32 v44, v46, v44
	s_delay_alu instid0(VALU_DEP_1) | instskip(NEXT) | instid1(VALU_DEP_1)
	v_dual_fmamk_f32 v4, v4, 0xb102e308, v47 :: v_dual_add_f32 v5, v5, v44
	v_add_f32_e32 v44, v48, v4
	s_delay_alu instid0(VALU_DEP_2) | instskip(NEXT) | instid1(VALU_DEP_2)
	v_add_f32_e32 v46, v45, v5
	v_sub_f32_e32 v48, v44, v48
	s_delay_alu instid0(VALU_DEP_2) | instskip(NEXT) | instid1(VALU_DEP_2)
	v_add_f32_e32 v47, v44, v46
	v_dual_sub_f32 v45, v46, v45 :: v_dual_sub_f32 v4, v4, v48
	s_delay_alu instid0(VALU_DEP_2) | instskip(NEXT) | instid1(VALU_DEP_2)
	v_sub_f32_e32 v49, v47, v44
	v_sub_f32_e32 v5, v5, v45
	s_delay_alu instid0(VALU_DEP_2) | instskip(SKIP_1) | instid1(VALU_DEP_3)
	v_sub_f32_e32 v50, v47, v49
	v_sub_f32_e32 v45, v46, v49
	v_add_f32_e32 v46, v4, v5
	s_delay_alu instid0(VALU_DEP_3) | instskip(NEXT) | instid1(VALU_DEP_1)
	v_sub_f32_e32 v44, v44, v50
	v_add_f32_e32 v44, v45, v44
	s_delay_alu instid0(VALU_DEP_3) | instskip(NEXT) | instid1(VALU_DEP_2)
	v_sub_f32_e32 v45, v46, v4
	v_add_f32_e32 v44, v46, v44
	s_delay_alu instid0(VALU_DEP_2) | instskip(NEXT) | instid1(VALU_DEP_1)
	v_sub_f32_e32 v46, v46, v45
	v_dual_sub_f32 v5, v5, v45 :: v_dual_sub_f32 v4, v4, v46
	s_delay_alu instid0(VALU_DEP_1) | instskip(NEXT) | instid1(VALU_DEP_4)
	v_add_f32_e32 v4, v5, v4
	v_add_f32_e32 v48, v47, v44
	s_delay_alu instid0(VALU_DEP_1) | instskip(NEXT) | instid1(VALU_DEP_1)
	v_sub_f32_e32 v45, v48, v47
	v_sub_f32_e32 v5, v44, v45
	s_delay_alu instid0(VALU_DEP_1) | instskip(NEXT) | instid1(VALU_DEP_1)
	v_add_f32_e32 v4, v4, v5
	v_add_f32_e32 v4, v48, v4
	s_wait_alu 0xf1ff
	s_delay_alu instid0(VALU_DEP_1) | instskip(SKIP_2) | instid1(VALU_DEP_1)
	v_cndmask_b32_e64 v4, 0x7f800000, v4, s15
	v_cmp_gt_f32_e64 s15, 0x33800000, |v43|
	s_wait_alu 0xf1ff
	v_cndmask_b32_e64 v4, v4, v43, s15
	s_delay_alu instid0(VALU_DEP_1)
	v_add_f32_e32 v4, v3, v4
.LBB508_98:
	s_wait_alu 0xfffe
	s_or_b32 exec_lo, exec_lo, s16
	ds_load_u16 v5, v2 offset:8
	v_bfe_u32 v3, v4, 16, 1
	v_cmp_o_f32_e64 s15, v4, v4
	s_delay_alu instid0(VALU_DEP_2) | instskip(NEXT) | instid1(VALU_DEP_1)
	v_add3_u32 v3, v4, v3, 0x7fff
	v_lshrrev_b32_e32 v3, 16, v3
	s_wait_alu 0xf1ff
	s_delay_alu instid0(VALU_DEP_1)
	v_cndmask_b32_e64 v43, 0x7fc0, v3, s15
	s_wait_dscnt 0x0
	v_lshlrev_b32_e32 v3, 16, v5
	ds_store_b16 v2, v43 offset:6
	v_max_num_f32_e32 v44, v3, v3
	v_lshlrev_b32_e32 v4, 16, v43
	s_delay_alu instid0(VALU_DEP_1) | instskip(NEXT) | instid1(VALU_DEP_1)
	v_max_num_f32_e32 v5, v4, v4
	v_min_num_f32_e32 v45, v5, v44
	v_max_num_f32_e32 v5, v5, v44
	v_cmp_u_f32_e64 s15, v4, v4
	s_wait_alu 0xf1ff
	s_delay_alu instid0(VALU_DEP_1) | instskip(NEXT) | instid1(VALU_DEP_3)
	v_cndmask_b32_e64 v44, v45, v4, s15
	v_cndmask_b32_e64 v45, v5, v4, s15
	v_cmp_u_f32_e64 s15, v3, v3
	s_wait_alu 0xf1ff
	s_delay_alu instid0(VALU_DEP_1) | instskip(NEXT) | instid1(VALU_DEP_3)
	v_cndmask_b32_e64 v5, v44, v3, s15
	v_cndmask_b32_e64 v3, v45, v3, s15
	s_delay_alu instid0(VALU_DEP_2) | instskip(NEXT) | instid1(VALU_DEP_2)
	v_cmp_class_f32_e64 s16, v5, 0x1f8
	v_cmp_neq_f32_e64 s15, v5, v3
	s_or_b32 s15, s15, s16
	s_wait_alu 0xfffe
	s_and_saveexec_b32 s16, s15
	s_cbranch_execz .LBB508_100
; %bb.99:
	v_sub_f32_e32 v4, v5, v3
	s_delay_alu instid0(VALU_DEP_1) | instskip(SKIP_1) | instid1(VALU_DEP_2)
	v_mul_f32_e32 v5, 0x3fb8aa3b, v4
	v_cmp_ngt_f32_e64 s15, 0xc2ce8ed0, v4
	v_fma_f32 v43, 0x3fb8aa3b, v4, -v5
	v_rndne_f32_e32 v44, v5
	s_delay_alu instid0(VALU_DEP_2) | instskip(NEXT) | instid1(VALU_DEP_2)
	v_fmamk_f32 v43, v4, 0x32a5705f, v43
	v_sub_f32_e32 v5, v5, v44
	s_delay_alu instid0(VALU_DEP_1) | instskip(SKIP_1) | instid1(VALU_DEP_2)
	v_add_f32_e32 v5, v5, v43
	v_cvt_i32_f32_e32 v43, v44
	v_exp_f32_e32 v5, v5
	s_delay_alu instid0(TRANS32_DEP_1) | instskip(SKIP_1) | instid1(VALU_DEP_1)
	v_ldexp_f32 v5, v5, v43
	s_wait_alu 0xf1ff
	v_cndmask_b32_e64 v5, 0, v5, s15
	v_cmp_nlt_f32_e64 s15, 0x42b17218, v4
	s_wait_alu 0xf1ff
	s_delay_alu instid0(VALU_DEP_1) | instskip(NEXT) | instid1(VALU_DEP_1)
	v_cndmask_b32_e64 v43, 0x7f800000, v5, s15
	v_add_f32_e32 v44, 1.0, v43
	s_delay_alu instid0(VALU_DEP_1) | instskip(NEXT) | instid1(VALU_DEP_1)
	v_cvt_f64_f32_e32 v[4:5], v44
	v_frexp_exp_i32_f64_e32 v4, v[4:5]
	v_frexp_mant_f32_e32 v5, v44
	s_delay_alu instid0(VALU_DEP_1) | instskip(SKIP_1) | instid1(VALU_DEP_1)
	v_cmp_gt_f32_e64 s15, 0x3f2aaaab, v5
	v_add_f32_e32 v5, -1.0, v44
	v_sub_f32_e32 v46, v5, v44
	s_delay_alu instid0(VALU_DEP_1)
	v_add_f32_e32 v46, 1.0, v46
	s_wait_alu 0xf1ff
	v_subrev_co_ci_u32_e64 v4, null, 0, v4, s15
	s_mov_b32 s15, 0x3e9b6dac
	v_sub_nc_u32_e32 v45, 0, v4
	v_cvt_f32_i32_e32 v4, v4
	s_delay_alu instid0(VALU_DEP_2) | instskip(NEXT) | instid1(VALU_DEP_1)
	v_ldexp_f32 v44, v44, v45
	v_add_f32_e32 v47, 1.0, v44
	v_sub_f32_e32 v5, v43, v5
	s_delay_alu instid0(VALU_DEP_1) | instskip(NEXT) | instid1(VALU_DEP_1)
	v_add_f32_e32 v5, v5, v46
	v_ldexp_f32 v5, v5, v45
	v_add_f32_e32 v45, -1.0, v44
	s_delay_alu instid0(VALU_DEP_1) | instskip(SKIP_1) | instid1(VALU_DEP_1)
	v_add_f32_e32 v48, 1.0, v45
	v_add_f32_e32 v46, -1.0, v47
	v_sub_f32_e32 v46, v44, v46
	s_delay_alu instid0(VALU_DEP_3) | instskip(NEXT) | instid1(VALU_DEP_2)
	v_sub_f32_e32 v44, v44, v48
	v_add_f32_e32 v46, v5, v46
	s_delay_alu instid0(VALU_DEP_1) | instskip(NEXT) | instid1(VALU_DEP_1)
	v_dual_add_f32 v5, v5, v44 :: v_dual_add_f32 v48, v47, v46
	v_rcp_f32_e32 v44, v48
	v_sub_f32_e32 v47, v47, v48
	s_delay_alu instid0(VALU_DEP_1) | instskip(NEXT) | instid1(VALU_DEP_1)
	v_dual_add_f32 v49, v45, v5 :: v_dual_add_f32 v46, v46, v47
	v_sub_f32_e32 v45, v45, v49
	s_delay_alu instid0(TRANS32_DEP_1) | instskip(NEXT) | instid1(VALU_DEP_2)
	v_mul_f32_e32 v50, v49, v44
	v_add_f32_e32 v5, v5, v45
	s_delay_alu instid0(VALU_DEP_2) | instskip(NEXT) | instid1(VALU_DEP_1)
	v_mul_f32_e32 v51, v48, v50
	v_fma_f32 v47, v50, v48, -v51
	s_delay_alu instid0(VALU_DEP_1) | instskip(NEXT) | instid1(VALU_DEP_1)
	v_fmac_f32_e32 v47, v50, v46
	v_add_f32_e32 v52, v51, v47
	s_delay_alu instid0(VALU_DEP_1) | instskip(SKIP_1) | instid1(VALU_DEP_2)
	v_sub_f32_e32 v53, v49, v52
	v_sub_f32_e32 v45, v52, v51
	;; [unrolled: 1-line block ×3, first 2 shown]
	s_delay_alu instid0(VALU_DEP_2) | instskip(NEXT) | instid1(VALU_DEP_2)
	v_sub_f32_e32 v45, v45, v47
	v_sub_f32_e32 v49, v49, v52
	s_delay_alu instid0(VALU_DEP_1) | instskip(NEXT) | instid1(VALU_DEP_1)
	v_add_f32_e32 v5, v5, v49
	v_add_f32_e32 v5, v45, v5
	s_delay_alu instid0(VALU_DEP_1) | instskip(NEXT) | instid1(VALU_DEP_1)
	v_add_f32_e32 v45, v53, v5
	v_mul_f32_e32 v47, v44, v45
	s_delay_alu instid0(VALU_DEP_1) | instskip(NEXT) | instid1(VALU_DEP_1)
	v_mul_f32_e32 v49, v48, v47
	v_fma_f32 v48, v47, v48, -v49
	s_delay_alu instid0(VALU_DEP_1) | instskip(SKIP_1) | instid1(VALU_DEP_2)
	v_fmac_f32_e32 v48, v47, v46
	v_sub_f32_e32 v52, v53, v45
	v_add_f32_e32 v46, v49, v48
	s_delay_alu instid0(VALU_DEP_2) | instskip(NEXT) | instid1(VALU_DEP_2)
	v_add_f32_e32 v5, v5, v52
	v_sub_f32_e32 v51, v45, v46
	v_sub_f32_e32 v49, v46, v49
	s_delay_alu instid0(VALU_DEP_2) | instskip(NEXT) | instid1(VALU_DEP_1)
	v_sub_f32_e32 v45, v45, v51
	v_sub_f32_e32 v45, v45, v46
	s_delay_alu instid0(VALU_DEP_3) | instskip(NEXT) | instid1(VALU_DEP_2)
	v_sub_f32_e32 v46, v49, v48
	v_add_f32_e32 v5, v5, v45
	v_add_f32_e32 v45, v50, v47
	s_delay_alu instid0(VALU_DEP_1) | instskip(NEXT) | instid1(VALU_DEP_1)
	v_dual_add_f32 v5, v46, v5 :: v_dual_sub_f32 v46, v45, v50
	v_add_f32_e32 v5, v51, v5
	s_delay_alu instid0(VALU_DEP_1) | instskip(NEXT) | instid1(VALU_DEP_1)
	v_dual_sub_f32 v46, v47, v46 :: v_dual_mul_f32 v5, v44, v5
	v_add_f32_e32 v5, v46, v5
	s_delay_alu instid0(VALU_DEP_1) | instskip(NEXT) | instid1(VALU_DEP_1)
	v_add_f32_e32 v44, v45, v5
	v_mul_f32_e32 v46, v44, v44
	s_wait_alu 0xfffe
	s_delay_alu instid0(VALU_DEP_1) | instskip(SKIP_2) | instid1(VALU_DEP_3)
	v_fmaak_f32 v47, s15, v46, 0x3ecc95a3
	v_mul_f32_e32 v48, v44, v46
	v_cmp_neq_f32_e64 s15, 0x7f800000, v43
	v_fmaak_f32 v46, v46, v47, 0x3f2aaada
	v_ldexp_f32 v47, v44, 1
	v_sub_f32_e32 v44, v44, v45
	s_delay_alu instid0(VALU_DEP_3) | instskip(SKIP_1) | instid1(VALU_DEP_3)
	v_mul_f32_e32 v46, v48, v46
	v_mul_f32_e32 v48, 0x3f317218, v4
	v_sub_f32_e32 v5, v5, v44
	s_delay_alu instid0(VALU_DEP_3) | instskip(NEXT) | instid1(VALU_DEP_2)
	v_add_f32_e32 v45, v47, v46
	v_ldexp_f32 v5, v5, 1
	s_delay_alu instid0(VALU_DEP_2) | instskip(SKIP_1) | instid1(VALU_DEP_2)
	v_sub_f32_e32 v44, v45, v47
	v_fma_f32 v47, 0x3f317218, v4, -v48
	v_sub_f32_e32 v44, v46, v44
	s_delay_alu instid0(VALU_DEP_1) | instskip(NEXT) | instid1(VALU_DEP_1)
	v_dual_fmamk_f32 v4, v4, 0xb102e308, v47 :: v_dual_add_f32 v5, v5, v44
	v_add_f32_e32 v44, v48, v4
	s_delay_alu instid0(VALU_DEP_2) | instskip(NEXT) | instid1(VALU_DEP_2)
	v_add_f32_e32 v46, v45, v5
	v_sub_f32_e32 v48, v44, v48
	s_delay_alu instid0(VALU_DEP_2) | instskip(NEXT) | instid1(VALU_DEP_2)
	v_add_f32_e32 v47, v44, v46
	v_dual_sub_f32 v45, v46, v45 :: v_dual_sub_f32 v4, v4, v48
	s_delay_alu instid0(VALU_DEP_2) | instskip(NEXT) | instid1(VALU_DEP_2)
	v_sub_f32_e32 v49, v47, v44
	v_sub_f32_e32 v5, v5, v45
	s_delay_alu instid0(VALU_DEP_2) | instskip(SKIP_1) | instid1(VALU_DEP_3)
	v_sub_f32_e32 v50, v47, v49
	v_sub_f32_e32 v45, v46, v49
	v_add_f32_e32 v46, v4, v5
	s_delay_alu instid0(VALU_DEP_3) | instskip(NEXT) | instid1(VALU_DEP_1)
	v_sub_f32_e32 v44, v44, v50
	v_add_f32_e32 v44, v45, v44
	s_delay_alu instid0(VALU_DEP_3) | instskip(NEXT) | instid1(VALU_DEP_2)
	v_sub_f32_e32 v45, v46, v4
	v_add_f32_e32 v44, v46, v44
	s_delay_alu instid0(VALU_DEP_2) | instskip(NEXT) | instid1(VALU_DEP_1)
	v_sub_f32_e32 v46, v46, v45
	v_dual_sub_f32 v5, v5, v45 :: v_dual_sub_f32 v4, v4, v46
	s_delay_alu instid0(VALU_DEP_1) | instskip(NEXT) | instid1(VALU_DEP_4)
	v_add_f32_e32 v4, v5, v4
	v_add_f32_e32 v48, v47, v44
	s_delay_alu instid0(VALU_DEP_1) | instskip(NEXT) | instid1(VALU_DEP_1)
	v_sub_f32_e32 v45, v48, v47
	v_sub_f32_e32 v5, v44, v45
	s_delay_alu instid0(VALU_DEP_1) | instskip(NEXT) | instid1(VALU_DEP_1)
	v_add_f32_e32 v4, v4, v5
	v_add_f32_e32 v4, v48, v4
	s_wait_alu 0xf1ff
	s_delay_alu instid0(VALU_DEP_1) | instskip(SKIP_2) | instid1(VALU_DEP_1)
	v_cndmask_b32_e64 v4, 0x7f800000, v4, s15
	v_cmp_gt_f32_e64 s15, 0x33800000, |v43|
	s_wait_alu 0xf1ff
	v_cndmask_b32_e64 v4, v4, v43, s15
	s_delay_alu instid0(VALU_DEP_1)
	v_add_f32_e32 v4, v3, v4
.LBB508_100:
	s_wait_alu 0xfffe
	s_or_b32 exec_lo, exec_lo, s16
	ds_load_u16 v5, v2 offset:10
	v_bfe_u32 v3, v4, 16, 1
	v_cmp_o_f32_e64 s15, v4, v4
	s_delay_alu instid0(VALU_DEP_2) | instskip(NEXT) | instid1(VALU_DEP_1)
	v_add3_u32 v3, v4, v3, 0x7fff
	v_lshrrev_b32_e32 v3, 16, v3
	s_wait_alu 0xf1ff
	s_delay_alu instid0(VALU_DEP_1)
	v_cndmask_b32_e64 v43, 0x7fc0, v3, s15
	s_wait_dscnt 0x0
	v_lshlrev_b32_e32 v3, 16, v5
	ds_store_b16 v2, v43 offset:8
	v_max_num_f32_e32 v44, v3, v3
	v_lshlrev_b32_e32 v4, 16, v43
	s_delay_alu instid0(VALU_DEP_1) | instskip(NEXT) | instid1(VALU_DEP_1)
	v_max_num_f32_e32 v5, v4, v4
	v_min_num_f32_e32 v45, v5, v44
	v_max_num_f32_e32 v5, v5, v44
	v_cmp_u_f32_e64 s15, v4, v4
	s_wait_alu 0xf1ff
	s_delay_alu instid0(VALU_DEP_1) | instskip(NEXT) | instid1(VALU_DEP_3)
	v_cndmask_b32_e64 v44, v45, v4, s15
	v_cndmask_b32_e64 v45, v5, v4, s15
	v_cmp_u_f32_e64 s15, v3, v3
	s_wait_alu 0xf1ff
	s_delay_alu instid0(VALU_DEP_1) | instskip(NEXT) | instid1(VALU_DEP_3)
	v_cndmask_b32_e64 v5, v44, v3, s15
	v_cndmask_b32_e64 v3, v45, v3, s15
	s_delay_alu instid0(VALU_DEP_2) | instskip(NEXT) | instid1(VALU_DEP_2)
	v_cmp_class_f32_e64 s16, v5, 0x1f8
	v_cmp_neq_f32_e64 s15, v5, v3
	s_or_b32 s15, s15, s16
	s_wait_alu 0xfffe
	s_and_saveexec_b32 s16, s15
	s_cbranch_execz .LBB508_102
; %bb.101:
	v_sub_f32_e32 v4, v5, v3
	s_delay_alu instid0(VALU_DEP_1) | instskip(SKIP_1) | instid1(VALU_DEP_2)
	v_mul_f32_e32 v5, 0x3fb8aa3b, v4
	v_cmp_ngt_f32_e64 s15, 0xc2ce8ed0, v4
	v_fma_f32 v43, 0x3fb8aa3b, v4, -v5
	v_rndne_f32_e32 v44, v5
	s_delay_alu instid0(VALU_DEP_2) | instskip(NEXT) | instid1(VALU_DEP_2)
	v_fmamk_f32 v43, v4, 0x32a5705f, v43
	v_sub_f32_e32 v5, v5, v44
	s_delay_alu instid0(VALU_DEP_1) | instskip(SKIP_1) | instid1(VALU_DEP_2)
	v_add_f32_e32 v5, v5, v43
	v_cvt_i32_f32_e32 v43, v44
	v_exp_f32_e32 v5, v5
	s_delay_alu instid0(TRANS32_DEP_1) | instskip(SKIP_1) | instid1(VALU_DEP_1)
	v_ldexp_f32 v5, v5, v43
	s_wait_alu 0xf1ff
	v_cndmask_b32_e64 v5, 0, v5, s15
	v_cmp_nlt_f32_e64 s15, 0x42b17218, v4
	s_wait_alu 0xf1ff
	s_delay_alu instid0(VALU_DEP_1) | instskip(NEXT) | instid1(VALU_DEP_1)
	v_cndmask_b32_e64 v43, 0x7f800000, v5, s15
	v_add_f32_e32 v44, 1.0, v43
	s_delay_alu instid0(VALU_DEP_1) | instskip(NEXT) | instid1(VALU_DEP_1)
	v_cvt_f64_f32_e32 v[4:5], v44
	v_frexp_exp_i32_f64_e32 v4, v[4:5]
	v_frexp_mant_f32_e32 v5, v44
	s_delay_alu instid0(VALU_DEP_1) | instskip(SKIP_1) | instid1(VALU_DEP_1)
	v_cmp_gt_f32_e64 s15, 0x3f2aaaab, v5
	v_add_f32_e32 v5, -1.0, v44
	v_sub_f32_e32 v46, v5, v44
	s_delay_alu instid0(VALU_DEP_1)
	v_add_f32_e32 v46, 1.0, v46
	s_wait_alu 0xf1ff
	v_subrev_co_ci_u32_e64 v4, null, 0, v4, s15
	s_mov_b32 s15, 0x3e9b6dac
	v_sub_nc_u32_e32 v45, 0, v4
	v_cvt_f32_i32_e32 v4, v4
	s_delay_alu instid0(VALU_DEP_2) | instskip(NEXT) | instid1(VALU_DEP_1)
	v_ldexp_f32 v44, v44, v45
	v_add_f32_e32 v47, 1.0, v44
	v_sub_f32_e32 v5, v43, v5
	s_delay_alu instid0(VALU_DEP_1) | instskip(NEXT) | instid1(VALU_DEP_1)
	v_add_f32_e32 v5, v5, v46
	v_ldexp_f32 v5, v5, v45
	v_add_f32_e32 v45, -1.0, v44
	s_delay_alu instid0(VALU_DEP_1) | instskip(SKIP_1) | instid1(VALU_DEP_1)
	v_add_f32_e32 v48, 1.0, v45
	v_add_f32_e32 v46, -1.0, v47
	v_sub_f32_e32 v46, v44, v46
	s_delay_alu instid0(VALU_DEP_3) | instskip(NEXT) | instid1(VALU_DEP_2)
	v_sub_f32_e32 v44, v44, v48
	v_add_f32_e32 v46, v5, v46
	s_delay_alu instid0(VALU_DEP_1) | instskip(NEXT) | instid1(VALU_DEP_1)
	v_dual_add_f32 v5, v5, v44 :: v_dual_add_f32 v48, v47, v46
	v_rcp_f32_e32 v44, v48
	v_sub_f32_e32 v47, v47, v48
	s_delay_alu instid0(VALU_DEP_1) | instskip(NEXT) | instid1(VALU_DEP_1)
	v_dual_add_f32 v49, v45, v5 :: v_dual_add_f32 v46, v46, v47
	v_sub_f32_e32 v45, v45, v49
	s_delay_alu instid0(TRANS32_DEP_1) | instskip(NEXT) | instid1(VALU_DEP_2)
	v_mul_f32_e32 v50, v49, v44
	v_add_f32_e32 v5, v5, v45
	s_delay_alu instid0(VALU_DEP_2) | instskip(NEXT) | instid1(VALU_DEP_1)
	v_mul_f32_e32 v51, v48, v50
	v_fma_f32 v47, v50, v48, -v51
	s_delay_alu instid0(VALU_DEP_1) | instskip(NEXT) | instid1(VALU_DEP_1)
	v_fmac_f32_e32 v47, v50, v46
	v_add_f32_e32 v52, v51, v47
	s_delay_alu instid0(VALU_DEP_1) | instskip(SKIP_1) | instid1(VALU_DEP_2)
	v_sub_f32_e32 v53, v49, v52
	v_sub_f32_e32 v45, v52, v51
	;; [unrolled: 1-line block ×3, first 2 shown]
	s_delay_alu instid0(VALU_DEP_2) | instskip(NEXT) | instid1(VALU_DEP_2)
	v_sub_f32_e32 v45, v45, v47
	v_sub_f32_e32 v49, v49, v52
	s_delay_alu instid0(VALU_DEP_1) | instskip(NEXT) | instid1(VALU_DEP_1)
	v_add_f32_e32 v5, v5, v49
	v_add_f32_e32 v5, v45, v5
	s_delay_alu instid0(VALU_DEP_1) | instskip(NEXT) | instid1(VALU_DEP_1)
	v_add_f32_e32 v45, v53, v5
	v_mul_f32_e32 v47, v44, v45
	s_delay_alu instid0(VALU_DEP_1) | instskip(NEXT) | instid1(VALU_DEP_1)
	v_mul_f32_e32 v49, v48, v47
	v_fma_f32 v48, v47, v48, -v49
	s_delay_alu instid0(VALU_DEP_1) | instskip(SKIP_1) | instid1(VALU_DEP_2)
	v_fmac_f32_e32 v48, v47, v46
	v_sub_f32_e32 v52, v53, v45
	v_add_f32_e32 v46, v49, v48
	s_delay_alu instid0(VALU_DEP_2) | instskip(NEXT) | instid1(VALU_DEP_2)
	v_add_f32_e32 v5, v5, v52
	v_sub_f32_e32 v51, v45, v46
	v_sub_f32_e32 v49, v46, v49
	s_delay_alu instid0(VALU_DEP_2) | instskip(NEXT) | instid1(VALU_DEP_1)
	v_sub_f32_e32 v45, v45, v51
	v_sub_f32_e32 v45, v45, v46
	s_delay_alu instid0(VALU_DEP_3) | instskip(NEXT) | instid1(VALU_DEP_2)
	v_sub_f32_e32 v46, v49, v48
	v_add_f32_e32 v5, v5, v45
	v_add_f32_e32 v45, v50, v47
	s_delay_alu instid0(VALU_DEP_1) | instskip(NEXT) | instid1(VALU_DEP_1)
	v_dual_add_f32 v5, v46, v5 :: v_dual_sub_f32 v46, v45, v50
	v_add_f32_e32 v5, v51, v5
	s_delay_alu instid0(VALU_DEP_1) | instskip(NEXT) | instid1(VALU_DEP_1)
	v_dual_sub_f32 v46, v47, v46 :: v_dual_mul_f32 v5, v44, v5
	v_add_f32_e32 v5, v46, v5
	s_delay_alu instid0(VALU_DEP_1) | instskip(NEXT) | instid1(VALU_DEP_1)
	v_add_f32_e32 v44, v45, v5
	v_mul_f32_e32 v46, v44, v44
	s_wait_alu 0xfffe
	s_delay_alu instid0(VALU_DEP_1) | instskip(SKIP_2) | instid1(VALU_DEP_3)
	v_fmaak_f32 v47, s15, v46, 0x3ecc95a3
	v_mul_f32_e32 v48, v44, v46
	v_cmp_neq_f32_e64 s15, 0x7f800000, v43
	v_fmaak_f32 v46, v46, v47, 0x3f2aaada
	v_ldexp_f32 v47, v44, 1
	v_sub_f32_e32 v44, v44, v45
	s_delay_alu instid0(VALU_DEP_3) | instskip(SKIP_1) | instid1(VALU_DEP_3)
	v_mul_f32_e32 v46, v48, v46
	v_mul_f32_e32 v48, 0x3f317218, v4
	v_sub_f32_e32 v5, v5, v44
	s_delay_alu instid0(VALU_DEP_3) | instskip(NEXT) | instid1(VALU_DEP_2)
	v_add_f32_e32 v45, v47, v46
	v_ldexp_f32 v5, v5, 1
	s_delay_alu instid0(VALU_DEP_2) | instskip(SKIP_1) | instid1(VALU_DEP_2)
	v_sub_f32_e32 v44, v45, v47
	v_fma_f32 v47, 0x3f317218, v4, -v48
	v_sub_f32_e32 v44, v46, v44
	s_delay_alu instid0(VALU_DEP_1) | instskip(NEXT) | instid1(VALU_DEP_1)
	v_dual_fmamk_f32 v4, v4, 0xb102e308, v47 :: v_dual_add_f32 v5, v5, v44
	v_add_f32_e32 v44, v48, v4
	s_delay_alu instid0(VALU_DEP_2) | instskip(NEXT) | instid1(VALU_DEP_2)
	v_add_f32_e32 v46, v45, v5
	v_sub_f32_e32 v48, v44, v48
	s_delay_alu instid0(VALU_DEP_2) | instskip(NEXT) | instid1(VALU_DEP_2)
	v_add_f32_e32 v47, v44, v46
	v_dual_sub_f32 v45, v46, v45 :: v_dual_sub_f32 v4, v4, v48
	s_delay_alu instid0(VALU_DEP_2) | instskip(NEXT) | instid1(VALU_DEP_2)
	v_sub_f32_e32 v49, v47, v44
	v_sub_f32_e32 v5, v5, v45
	s_delay_alu instid0(VALU_DEP_2) | instskip(SKIP_1) | instid1(VALU_DEP_3)
	v_sub_f32_e32 v50, v47, v49
	v_sub_f32_e32 v45, v46, v49
	v_add_f32_e32 v46, v4, v5
	s_delay_alu instid0(VALU_DEP_3) | instskip(NEXT) | instid1(VALU_DEP_1)
	v_sub_f32_e32 v44, v44, v50
	v_add_f32_e32 v44, v45, v44
	s_delay_alu instid0(VALU_DEP_3) | instskip(NEXT) | instid1(VALU_DEP_2)
	v_sub_f32_e32 v45, v46, v4
	v_add_f32_e32 v44, v46, v44
	s_delay_alu instid0(VALU_DEP_2) | instskip(NEXT) | instid1(VALU_DEP_1)
	v_sub_f32_e32 v46, v46, v45
	v_dual_sub_f32 v5, v5, v45 :: v_dual_sub_f32 v4, v4, v46
	s_delay_alu instid0(VALU_DEP_1) | instskip(NEXT) | instid1(VALU_DEP_4)
	v_add_f32_e32 v4, v5, v4
	v_add_f32_e32 v48, v47, v44
	s_delay_alu instid0(VALU_DEP_1) | instskip(NEXT) | instid1(VALU_DEP_1)
	v_sub_f32_e32 v45, v48, v47
	v_sub_f32_e32 v5, v44, v45
	s_delay_alu instid0(VALU_DEP_1) | instskip(NEXT) | instid1(VALU_DEP_1)
	v_add_f32_e32 v4, v4, v5
	v_add_f32_e32 v4, v48, v4
	s_wait_alu 0xf1ff
	s_delay_alu instid0(VALU_DEP_1) | instskip(SKIP_2) | instid1(VALU_DEP_1)
	v_cndmask_b32_e64 v4, 0x7f800000, v4, s15
	v_cmp_gt_f32_e64 s15, 0x33800000, |v43|
	s_wait_alu 0xf1ff
	v_cndmask_b32_e64 v4, v4, v43, s15
	s_delay_alu instid0(VALU_DEP_1)
	v_add_f32_e32 v4, v3, v4
.LBB508_102:
	s_wait_alu 0xfffe
	s_or_b32 exec_lo, exec_lo, s16
	ds_load_u16 v5, v2 offset:12
	v_bfe_u32 v3, v4, 16, 1
	v_cmp_o_f32_e64 s15, v4, v4
	s_delay_alu instid0(VALU_DEP_2) | instskip(NEXT) | instid1(VALU_DEP_1)
	v_add3_u32 v3, v4, v3, 0x7fff
	v_lshrrev_b32_e32 v3, 16, v3
	s_wait_alu 0xf1ff
	s_delay_alu instid0(VALU_DEP_1)
	v_cndmask_b32_e64 v43, 0x7fc0, v3, s15
	s_wait_dscnt 0x0
	v_lshlrev_b32_e32 v3, 16, v5
	ds_store_b16 v2, v43 offset:10
	v_max_num_f32_e32 v44, v3, v3
	v_lshlrev_b32_e32 v4, 16, v43
	s_delay_alu instid0(VALU_DEP_1) | instskip(NEXT) | instid1(VALU_DEP_1)
	v_max_num_f32_e32 v5, v4, v4
	v_min_num_f32_e32 v45, v5, v44
	v_max_num_f32_e32 v5, v5, v44
	v_cmp_u_f32_e64 s15, v4, v4
	s_wait_alu 0xf1ff
	s_delay_alu instid0(VALU_DEP_1) | instskip(NEXT) | instid1(VALU_DEP_3)
	v_cndmask_b32_e64 v44, v45, v4, s15
	v_cndmask_b32_e64 v45, v5, v4, s15
	v_cmp_u_f32_e64 s15, v3, v3
	s_wait_alu 0xf1ff
	s_delay_alu instid0(VALU_DEP_1) | instskip(NEXT) | instid1(VALU_DEP_3)
	v_cndmask_b32_e64 v5, v44, v3, s15
	v_cndmask_b32_e64 v3, v45, v3, s15
	s_delay_alu instid0(VALU_DEP_2) | instskip(NEXT) | instid1(VALU_DEP_2)
	v_cmp_class_f32_e64 s16, v5, 0x1f8
	v_cmp_neq_f32_e64 s15, v5, v3
	s_or_b32 s15, s15, s16
	s_wait_alu 0xfffe
	s_and_saveexec_b32 s16, s15
	s_cbranch_execz .LBB508_104
; %bb.103:
	v_sub_f32_e32 v4, v5, v3
	s_delay_alu instid0(VALU_DEP_1) | instskip(SKIP_1) | instid1(VALU_DEP_2)
	v_mul_f32_e32 v5, 0x3fb8aa3b, v4
	v_cmp_ngt_f32_e64 s15, 0xc2ce8ed0, v4
	v_fma_f32 v43, 0x3fb8aa3b, v4, -v5
	v_rndne_f32_e32 v44, v5
	s_delay_alu instid0(VALU_DEP_2) | instskip(NEXT) | instid1(VALU_DEP_2)
	v_fmamk_f32 v43, v4, 0x32a5705f, v43
	v_sub_f32_e32 v5, v5, v44
	s_delay_alu instid0(VALU_DEP_1) | instskip(SKIP_1) | instid1(VALU_DEP_2)
	v_add_f32_e32 v5, v5, v43
	v_cvt_i32_f32_e32 v43, v44
	v_exp_f32_e32 v5, v5
	s_delay_alu instid0(TRANS32_DEP_1) | instskip(SKIP_1) | instid1(VALU_DEP_1)
	v_ldexp_f32 v5, v5, v43
	s_wait_alu 0xf1ff
	v_cndmask_b32_e64 v5, 0, v5, s15
	v_cmp_nlt_f32_e64 s15, 0x42b17218, v4
	s_wait_alu 0xf1ff
	s_delay_alu instid0(VALU_DEP_1) | instskip(NEXT) | instid1(VALU_DEP_1)
	v_cndmask_b32_e64 v43, 0x7f800000, v5, s15
	v_add_f32_e32 v44, 1.0, v43
	s_delay_alu instid0(VALU_DEP_1) | instskip(NEXT) | instid1(VALU_DEP_1)
	v_cvt_f64_f32_e32 v[4:5], v44
	v_frexp_exp_i32_f64_e32 v4, v[4:5]
	v_frexp_mant_f32_e32 v5, v44
	s_delay_alu instid0(VALU_DEP_1) | instskip(SKIP_1) | instid1(VALU_DEP_1)
	v_cmp_gt_f32_e64 s15, 0x3f2aaaab, v5
	v_add_f32_e32 v5, -1.0, v44
	v_sub_f32_e32 v46, v5, v44
	s_delay_alu instid0(VALU_DEP_1)
	v_add_f32_e32 v46, 1.0, v46
	s_wait_alu 0xf1ff
	v_subrev_co_ci_u32_e64 v4, null, 0, v4, s15
	s_mov_b32 s15, 0x3e9b6dac
	v_sub_nc_u32_e32 v45, 0, v4
	v_cvt_f32_i32_e32 v4, v4
	s_delay_alu instid0(VALU_DEP_2) | instskip(NEXT) | instid1(VALU_DEP_1)
	v_ldexp_f32 v44, v44, v45
	v_add_f32_e32 v47, 1.0, v44
	v_sub_f32_e32 v5, v43, v5
	s_delay_alu instid0(VALU_DEP_1) | instskip(NEXT) | instid1(VALU_DEP_1)
	v_add_f32_e32 v5, v5, v46
	v_ldexp_f32 v5, v5, v45
	v_add_f32_e32 v45, -1.0, v44
	s_delay_alu instid0(VALU_DEP_1) | instskip(SKIP_1) | instid1(VALU_DEP_1)
	v_add_f32_e32 v48, 1.0, v45
	v_add_f32_e32 v46, -1.0, v47
	v_sub_f32_e32 v46, v44, v46
	s_delay_alu instid0(VALU_DEP_3) | instskip(NEXT) | instid1(VALU_DEP_2)
	v_sub_f32_e32 v44, v44, v48
	v_add_f32_e32 v46, v5, v46
	s_delay_alu instid0(VALU_DEP_1) | instskip(NEXT) | instid1(VALU_DEP_1)
	v_dual_add_f32 v5, v5, v44 :: v_dual_add_f32 v48, v47, v46
	v_rcp_f32_e32 v44, v48
	v_sub_f32_e32 v47, v47, v48
	s_delay_alu instid0(VALU_DEP_1) | instskip(NEXT) | instid1(VALU_DEP_1)
	v_dual_add_f32 v49, v45, v5 :: v_dual_add_f32 v46, v46, v47
	v_sub_f32_e32 v45, v45, v49
	s_delay_alu instid0(TRANS32_DEP_1) | instskip(NEXT) | instid1(VALU_DEP_2)
	v_mul_f32_e32 v50, v49, v44
	v_add_f32_e32 v5, v5, v45
	s_delay_alu instid0(VALU_DEP_2) | instskip(NEXT) | instid1(VALU_DEP_1)
	v_mul_f32_e32 v51, v48, v50
	v_fma_f32 v47, v50, v48, -v51
	s_delay_alu instid0(VALU_DEP_1) | instskip(NEXT) | instid1(VALU_DEP_1)
	v_fmac_f32_e32 v47, v50, v46
	v_add_f32_e32 v52, v51, v47
	s_delay_alu instid0(VALU_DEP_1) | instskip(SKIP_1) | instid1(VALU_DEP_2)
	v_sub_f32_e32 v53, v49, v52
	v_sub_f32_e32 v45, v52, v51
	;; [unrolled: 1-line block ×3, first 2 shown]
	s_delay_alu instid0(VALU_DEP_2) | instskip(NEXT) | instid1(VALU_DEP_2)
	v_sub_f32_e32 v45, v45, v47
	v_sub_f32_e32 v49, v49, v52
	s_delay_alu instid0(VALU_DEP_1) | instskip(NEXT) | instid1(VALU_DEP_1)
	v_add_f32_e32 v5, v5, v49
	v_add_f32_e32 v5, v45, v5
	s_delay_alu instid0(VALU_DEP_1) | instskip(NEXT) | instid1(VALU_DEP_1)
	v_add_f32_e32 v45, v53, v5
	v_mul_f32_e32 v47, v44, v45
	s_delay_alu instid0(VALU_DEP_1) | instskip(NEXT) | instid1(VALU_DEP_1)
	v_mul_f32_e32 v49, v48, v47
	v_fma_f32 v48, v47, v48, -v49
	s_delay_alu instid0(VALU_DEP_1) | instskip(SKIP_1) | instid1(VALU_DEP_2)
	v_fmac_f32_e32 v48, v47, v46
	v_sub_f32_e32 v52, v53, v45
	v_add_f32_e32 v46, v49, v48
	s_delay_alu instid0(VALU_DEP_2) | instskip(NEXT) | instid1(VALU_DEP_2)
	v_add_f32_e32 v5, v5, v52
	v_sub_f32_e32 v51, v45, v46
	v_sub_f32_e32 v49, v46, v49
	s_delay_alu instid0(VALU_DEP_2) | instskip(NEXT) | instid1(VALU_DEP_1)
	v_sub_f32_e32 v45, v45, v51
	v_sub_f32_e32 v45, v45, v46
	s_delay_alu instid0(VALU_DEP_3) | instskip(NEXT) | instid1(VALU_DEP_2)
	v_sub_f32_e32 v46, v49, v48
	v_add_f32_e32 v5, v5, v45
	v_add_f32_e32 v45, v50, v47
	s_delay_alu instid0(VALU_DEP_1) | instskip(NEXT) | instid1(VALU_DEP_1)
	v_dual_add_f32 v5, v46, v5 :: v_dual_sub_f32 v46, v45, v50
	v_add_f32_e32 v5, v51, v5
	s_delay_alu instid0(VALU_DEP_1) | instskip(NEXT) | instid1(VALU_DEP_1)
	v_dual_sub_f32 v46, v47, v46 :: v_dual_mul_f32 v5, v44, v5
	v_add_f32_e32 v5, v46, v5
	s_delay_alu instid0(VALU_DEP_1) | instskip(NEXT) | instid1(VALU_DEP_1)
	v_add_f32_e32 v44, v45, v5
	v_mul_f32_e32 v46, v44, v44
	s_wait_alu 0xfffe
	s_delay_alu instid0(VALU_DEP_1) | instskip(SKIP_2) | instid1(VALU_DEP_3)
	v_fmaak_f32 v47, s15, v46, 0x3ecc95a3
	v_mul_f32_e32 v48, v44, v46
	v_cmp_neq_f32_e64 s15, 0x7f800000, v43
	v_fmaak_f32 v46, v46, v47, 0x3f2aaada
	v_ldexp_f32 v47, v44, 1
	v_sub_f32_e32 v44, v44, v45
	s_delay_alu instid0(VALU_DEP_3) | instskip(SKIP_1) | instid1(VALU_DEP_3)
	v_mul_f32_e32 v46, v48, v46
	v_mul_f32_e32 v48, 0x3f317218, v4
	v_sub_f32_e32 v5, v5, v44
	s_delay_alu instid0(VALU_DEP_3) | instskip(NEXT) | instid1(VALU_DEP_2)
	v_add_f32_e32 v45, v47, v46
	v_ldexp_f32 v5, v5, 1
	s_delay_alu instid0(VALU_DEP_2) | instskip(SKIP_1) | instid1(VALU_DEP_2)
	v_sub_f32_e32 v44, v45, v47
	v_fma_f32 v47, 0x3f317218, v4, -v48
	v_sub_f32_e32 v44, v46, v44
	s_delay_alu instid0(VALU_DEP_1) | instskip(NEXT) | instid1(VALU_DEP_1)
	v_dual_fmamk_f32 v4, v4, 0xb102e308, v47 :: v_dual_add_f32 v5, v5, v44
	v_add_f32_e32 v44, v48, v4
	s_delay_alu instid0(VALU_DEP_2) | instskip(NEXT) | instid1(VALU_DEP_2)
	v_add_f32_e32 v46, v45, v5
	v_sub_f32_e32 v48, v44, v48
	s_delay_alu instid0(VALU_DEP_2) | instskip(NEXT) | instid1(VALU_DEP_2)
	v_add_f32_e32 v47, v44, v46
	v_dual_sub_f32 v45, v46, v45 :: v_dual_sub_f32 v4, v4, v48
	s_delay_alu instid0(VALU_DEP_2) | instskip(NEXT) | instid1(VALU_DEP_2)
	v_sub_f32_e32 v49, v47, v44
	v_sub_f32_e32 v5, v5, v45
	s_delay_alu instid0(VALU_DEP_2) | instskip(SKIP_1) | instid1(VALU_DEP_3)
	v_sub_f32_e32 v50, v47, v49
	v_sub_f32_e32 v45, v46, v49
	v_add_f32_e32 v46, v4, v5
	s_delay_alu instid0(VALU_DEP_3) | instskip(NEXT) | instid1(VALU_DEP_1)
	v_sub_f32_e32 v44, v44, v50
	v_add_f32_e32 v44, v45, v44
	s_delay_alu instid0(VALU_DEP_3) | instskip(NEXT) | instid1(VALU_DEP_2)
	v_sub_f32_e32 v45, v46, v4
	v_add_f32_e32 v44, v46, v44
	s_delay_alu instid0(VALU_DEP_2) | instskip(NEXT) | instid1(VALU_DEP_1)
	v_sub_f32_e32 v46, v46, v45
	v_dual_sub_f32 v5, v5, v45 :: v_dual_sub_f32 v4, v4, v46
	s_delay_alu instid0(VALU_DEP_1) | instskip(NEXT) | instid1(VALU_DEP_4)
	v_add_f32_e32 v4, v5, v4
	v_add_f32_e32 v48, v47, v44
	s_delay_alu instid0(VALU_DEP_1) | instskip(NEXT) | instid1(VALU_DEP_1)
	v_sub_f32_e32 v45, v48, v47
	v_sub_f32_e32 v5, v44, v45
	s_delay_alu instid0(VALU_DEP_1) | instskip(NEXT) | instid1(VALU_DEP_1)
	v_add_f32_e32 v4, v4, v5
	v_add_f32_e32 v4, v48, v4
	s_wait_alu 0xf1ff
	s_delay_alu instid0(VALU_DEP_1) | instskip(SKIP_2) | instid1(VALU_DEP_1)
	v_cndmask_b32_e64 v4, 0x7f800000, v4, s15
	v_cmp_gt_f32_e64 s15, 0x33800000, |v43|
	s_wait_alu 0xf1ff
	v_cndmask_b32_e64 v4, v4, v43, s15
	s_delay_alu instid0(VALU_DEP_1)
	v_add_f32_e32 v4, v3, v4
.LBB508_104:
	s_wait_alu 0xfffe
	s_or_b32 exec_lo, exec_lo, s16
	ds_load_u16 v5, v2 offset:14
	v_bfe_u32 v3, v4, 16, 1
	v_cmp_o_f32_e64 s15, v4, v4
	s_delay_alu instid0(VALU_DEP_2) | instskip(NEXT) | instid1(VALU_DEP_1)
	v_add3_u32 v3, v4, v3, 0x7fff
	v_lshrrev_b32_e32 v3, 16, v3
	s_wait_alu 0xf1ff
	s_delay_alu instid0(VALU_DEP_1)
	v_cndmask_b32_e64 v43, 0x7fc0, v3, s15
	s_wait_dscnt 0x0
	v_lshlrev_b32_e32 v3, 16, v5
	ds_store_b16 v2, v43 offset:12
	v_max_num_f32_e32 v44, v3, v3
	v_lshlrev_b32_e32 v4, 16, v43
	s_delay_alu instid0(VALU_DEP_1) | instskip(NEXT) | instid1(VALU_DEP_1)
	v_max_num_f32_e32 v5, v4, v4
	v_min_num_f32_e32 v45, v5, v44
	v_max_num_f32_e32 v5, v5, v44
	v_cmp_u_f32_e64 s15, v4, v4
	s_wait_alu 0xf1ff
	s_delay_alu instid0(VALU_DEP_1) | instskip(NEXT) | instid1(VALU_DEP_3)
	v_cndmask_b32_e64 v44, v45, v4, s15
	v_cndmask_b32_e64 v45, v5, v4, s15
	v_cmp_u_f32_e64 s15, v3, v3
	s_wait_alu 0xf1ff
	s_delay_alu instid0(VALU_DEP_1) | instskip(NEXT) | instid1(VALU_DEP_3)
	v_cndmask_b32_e64 v5, v44, v3, s15
	v_cndmask_b32_e64 v3, v45, v3, s15
	s_delay_alu instid0(VALU_DEP_2) | instskip(NEXT) | instid1(VALU_DEP_2)
	v_cmp_class_f32_e64 s16, v5, 0x1f8
	v_cmp_neq_f32_e64 s15, v5, v3
	s_or_b32 s15, s15, s16
	s_wait_alu 0xfffe
	s_and_saveexec_b32 s16, s15
	s_cbranch_execz .LBB508_106
; %bb.105:
	v_sub_f32_e32 v4, v5, v3
	s_delay_alu instid0(VALU_DEP_1) | instskip(SKIP_1) | instid1(VALU_DEP_2)
	v_mul_f32_e32 v5, 0x3fb8aa3b, v4
	v_cmp_ngt_f32_e64 s15, 0xc2ce8ed0, v4
	v_fma_f32 v43, 0x3fb8aa3b, v4, -v5
	v_rndne_f32_e32 v44, v5
	s_delay_alu instid0(VALU_DEP_2) | instskip(NEXT) | instid1(VALU_DEP_2)
	v_fmamk_f32 v43, v4, 0x32a5705f, v43
	v_sub_f32_e32 v5, v5, v44
	s_delay_alu instid0(VALU_DEP_1) | instskip(SKIP_1) | instid1(VALU_DEP_2)
	v_add_f32_e32 v5, v5, v43
	v_cvt_i32_f32_e32 v43, v44
	v_exp_f32_e32 v5, v5
	s_delay_alu instid0(TRANS32_DEP_1) | instskip(SKIP_1) | instid1(VALU_DEP_1)
	v_ldexp_f32 v5, v5, v43
	s_wait_alu 0xf1ff
	v_cndmask_b32_e64 v5, 0, v5, s15
	v_cmp_nlt_f32_e64 s15, 0x42b17218, v4
	s_wait_alu 0xf1ff
	s_delay_alu instid0(VALU_DEP_1) | instskip(NEXT) | instid1(VALU_DEP_1)
	v_cndmask_b32_e64 v43, 0x7f800000, v5, s15
	v_add_f32_e32 v44, 1.0, v43
	s_delay_alu instid0(VALU_DEP_1) | instskip(NEXT) | instid1(VALU_DEP_1)
	v_cvt_f64_f32_e32 v[4:5], v44
	v_frexp_exp_i32_f64_e32 v4, v[4:5]
	v_frexp_mant_f32_e32 v5, v44
	s_delay_alu instid0(VALU_DEP_1) | instskip(SKIP_1) | instid1(VALU_DEP_1)
	v_cmp_gt_f32_e64 s15, 0x3f2aaaab, v5
	v_add_f32_e32 v5, -1.0, v44
	v_sub_f32_e32 v46, v5, v44
	s_delay_alu instid0(VALU_DEP_1)
	v_add_f32_e32 v46, 1.0, v46
	s_wait_alu 0xf1ff
	v_subrev_co_ci_u32_e64 v4, null, 0, v4, s15
	s_mov_b32 s15, 0x3e9b6dac
	v_sub_nc_u32_e32 v45, 0, v4
	v_cvt_f32_i32_e32 v4, v4
	s_delay_alu instid0(VALU_DEP_2) | instskip(NEXT) | instid1(VALU_DEP_1)
	v_ldexp_f32 v44, v44, v45
	v_add_f32_e32 v47, 1.0, v44
	v_sub_f32_e32 v5, v43, v5
	s_delay_alu instid0(VALU_DEP_1) | instskip(NEXT) | instid1(VALU_DEP_1)
	v_add_f32_e32 v5, v5, v46
	v_ldexp_f32 v5, v5, v45
	v_add_f32_e32 v45, -1.0, v44
	s_delay_alu instid0(VALU_DEP_1) | instskip(SKIP_1) | instid1(VALU_DEP_1)
	v_add_f32_e32 v48, 1.0, v45
	v_add_f32_e32 v46, -1.0, v47
	v_sub_f32_e32 v46, v44, v46
	s_delay_alu instid0(VALU_DEP_3) | instskip(NEXT) | instid1(VALU_DEP_2)
	v_sub_f32_e32 v44, v44, v48
	v_add_f32_e32 v46, v5, v46
	s_delay_alu instid0(VALU_DEP_1) | instskip(NEXT) | instid1(VALU_DEP_1)
	v_dual_add_f32 v5, v5, v44 :: v_dual_add_f32 v48, v47, v46
	v_rcp_f32_e32 v44, v48
	v_sub_f32_e32 v47, v47, v48
	s_delay_alu instid0(VALU_DEP_1) | instskip(NEXT) | instid1(VALU_DEP_1)
	v_dual_add_f32 v49, v45, v5 :: v_dual_add_f32 v46, v46, v47
	v_sub_f32_e32 v45, v45, v49
	s_delay_alu instid0(TRANS32_DEP_1) | instskip(NEXT) | instid1(VALU_DEP_2)
	v_mul_f32_e32 v50, v49, v44
	v_add_f32_e32 v5, v5, v45
	s_delay_alu instid0(VALU_DEP_2) | instskip(NEXT) | instid1(VALU_DEP_1)
	v_mul_f32_e32 v51, v48, v50
	v_fma_f32 v47, v50, v48, -v51
	s_delay_alu instid0(VALU_DEP_1) | instskip(NEXT) | instid1(VALU_DEP_1)
	v_fmac_f32_e32 v47, v50, v46
	v_add_f32_e32 v52, v51, v47
	s_delay_alu instid0(VALU_DEP_1) | instskip(SKIP_1) | instid1(VALU_DEP_2)
	v_sub_f32_e32 v53, v49, v52
	v_sub_f32_e32 v45, v52, v51
	;; [unrolled: 1-line block ×3, first 2 shown]
	s_delay_alu instid0(VALU_DEP_2) | instskip(NEXT) | instid1(VALU_DEP_2)
	v_sub_f32_e32 v45, v45, v47
	v_sub_f32_e32 v49, v49, v52
	s_delay_alu instid0(VALU_DEP_1) | instskip(NEXT) | instid1(VALU_DEP_1)
	v_add_f32_e32 v5, v5, v49
	v_add_f32_e32 v5, v45, v5
	s_delay_alu instid0(VALU_DEP_1) | instskip(NEXT) | instid1(VALU_DEP_1)
	v_add_f32_e32 v45, v53, v5
	v_mul_f32_e32 v47, v44, v45
	s_delay_alu instid0(VALU_DEP_1) | instskip(NEXT) | instid1(VALU_DEP_1)
	v_mul_f32_e32 v49, v48, v47
	v_fma_f32 v48, v47, v48, -v49
	s_delay_alu instid0(VALU_DEP_1) | instskip(SKIP_1) | instid1(VALU_DEP_2)
	v_fmac_f32_e32 v48, v47, v46
	v_sub_f32_e32 v52, v53, v45
	v_add_f32_e32 v46, v49, v48
	s_delay_alu instid0(VALU_DEP_2) | instskip(NEXT) | instid1(VALU_DEP_2)
	v_add_f32_e32 v5, v5, v52
	v_sub_f32_e32 v51, v45, v46
	v_sub_f32_e32 v49, v46, v49
	s_delay_alu instid0(VALU_DEP_2) | instskip(NEXT) | instid1(VALU_DEP_1)
	v_sub_f32_e32 v45, v45, v51
	v_sub_f32_e32 v45, v45, v46
	s_delay_alu instid0(VALU_DEP_3) | instskip(NEXT) | instid1(VALU_DEP_2)
	v_sub_f32_e32 v46, v49, v48
	v_add_f32_e32 v5, v5, v45
	v_add_f32_e32 v45, v50, v47
	s_delay_alu instid0(VALU_DEP_1) | instskip(NEXT) | instid1(VALU_DEP_1)
	v_dual_add_f32 v5, v46, v5 :: v_dual_sub_f32 v46, v45, v50
	v_add_f32_e32 v5, v51, v5
	s_delay_alu instid0(VALU_DEP_1) | instskip(NEXT) | instid1(VALU_DEP_1)
	v_dual_sub_f32 v46, v47, v46 :: v_dual_mul_f32 v5, v44, v5
	v_add_f32_e32 v5, v46, v5
	s_delay_alu instid0(VALU_DEP_1) | instskip(NEXT) | instid1(VALU_DEP_1)
	v_add_f32_e32 v44, v45, v5
	v_mul_f32_e32 v46, v44, v44
	s_wait_alu 0xfffe
	s_delay_alu instid0(VALU_DEP_1) | instskip(SKIP_2) | instid1(VALU_DEP_3)
	v_fmaak_f32 v47, s15, v46, 0x3ecc95a3
	v_mul_f32_e32 v48, v44, v46
	v_cmp_neq_f32_e64 s15, 0x7f800000, v43
	v_fmaak_f32 v46, v46, v47, 0x3f2aaada
	v_ldexp_f32 v47, v44, 1
	v_sub_f32_e32 v44, v44, v45
	s_delay_alu instid0(VALU_DEP_3) | instskip(SKIP_1) | instid1(VALU_DEP_3)
	v_mul_f32_e32 v46, v48, v46
	v_mul_f32_e32 v48, 0x3f317218, v4
	v_sub_f32_e32 v5, v5, v44
	s_delay_alu instid0(VALU_DEP_3) | instskip(NEXT) | instid1(VALU_DEP_2)
	v_add_f32_e32 v45, v47, v46
	v_ldexp_f32 v5, v5, 1
	s_delay_alu instid0(VALU_DEP_2) | instskip(SKIP_1) | instid1(VALU_DEP_2)
	v_sub_f32_e32 v44, v45, v47
	v_fma_f32 v47, 0x3f317218, v4, -v48
	v_sub_f32_e32 v44, v46, v44
	s_delay_alu instid0(VALU_DEP_1) | instskip(NEXT) | instid1(VALU_DEP_1)
	v_dual_fmamk_f32 v4, v4, 0xb102e308, v47 :: v_dual_add_f32 v5, v5, v44
	v_add_f32_e32 v44, v48, v4
	s_delay_alu instid0(VALU_DEP_2) | instskip(NEXT) | instid1(VALU_DEP_2)
	v_add_f32_e32 v46, v45, v5
	v_sub_f32_e32 v48, v44, v48
	s_delay_alu instid0(VALU_DEP_2) | instskip(NEXT) | instid1(VALU_DEP_2)
	v_add_f32_e32 v47, v44, v46
	v_dual_sub_f32 v45, v46, v45 :: v_dual_sub_f32 v4, v4, v48
	s_delay_alu instid0(VALU_DEP_2) | instskip(NEXT) | instid1(VALU_DEP_2)
	v_sub_f32_e32 v49, v47, v44
	v_sub_f32_e32 v5, v5, v45
	s_delay_alu instid0(VALU_DEP_2) | instskip(SKIP_1) | instid1(VALU_DEP_3)
	v_sub_f32_e32 v50, v47, v49
	v_sub_f32_e32 v45, v46, v49
	v_add_f32_e32 v46, v4, v5
	s_delay_alu instid0(VALU_DEP_3) | instskip(NEXT) | instid1(VALU_DEP_1)
	v_sub_f32_e32 v44, v44, v50
	v_add_f32_e32 v44, v45, v44
	s_delay_alu instid0(VALU_DEP_3) | instskip(NEXT) | instid1(VALU_DEP_2)
	v_sub_f32_e32 v45, v46, v4
	v_add_f32_e32 v44, v46, v44
	s_delay_alu instid0(VALU_DEP_2) | instskip(NEXT) | instid1(VALU_DEP_1)
	v_sub_f32_e32 v46, v46, v45
	v_dual_sub_f32 v5, v5, v45 :: v_dual_sub_f32 v4, v4, v46
	s_delay_alu instid0(VALU_DEP_1) | instskip(NEXT) | instid1(VALU_DEP_4)
	v_add_f32_e32 v4, v5, v4
	v_add_f32_e32 v48, v47, v44
	s_delay_alu instid0(VALU_DEP_1) | instskip(NEXT) | instid1(VALU_DEP_1)
	v_sub_f32_e32 v45, v48, v47
	v_sub_f32_e32 v5, v44, v45
	s_delay_alu instid0(VALU_DEP_1) | instskip(NEXT) | instid1(VALU_DEP_1)
	v_add_f32_e32 v4, v4, v5
	v_add_f32_e32 v4, v48, v4
	s_wait_alu 0xf1ff
	s_delay_alu instid0(VALU_DEP_1) | instskip(SKIP_2) | instid1(VALU_DEP_1)
	v_cndmask_b32_e64 v4, 0x7f800000, v4, s15
	v_cmp_gt_f32_e64 s15, 0x33800000, |v43|
	s_wait_alu 0xf1ff
	v_cndmask_b32_e64 v4, v4, v43, s15
	s_delay_alu instid0(VALU_DEP_1)
	v_add_f32_e32 v4, v3, v4
.LBB508_106:
	s_wait_alu 0xfffe
	s_or_b32 exec_lo, exec_lo, s16
	s_delay_alu instid0(VALU_DEP_1) | instskip(SKIP_1) | instid1(VALU_DEP_2)
	v_bfe_u32 v3, v4, 16, 1
	v_cmp_o_f32_e64 s15, v4, v4
	v_add3_u32 v3, v4, v3, 0x7fff
	s_delay_alu instid0(VALU_DEP_1) | instskip(SKIP_1) | instid1(VALU_DEP_1)
	v_lshrrev_b32_e32 v3, 16, v3
	s_wait_alu 0xf1ff
	v_cndmask_b32_e64 v3, 0x7fc0, v3, s15
	ds_store_b16 v2, v3 offset:14
.LBB508_107:
	s_wait_alu 0xfffe
	s_or_b32 exec_lo, exec_lo, s17
	s_wait_loadcnt_dscnt 0x0
	s_barrier_signal -1
	s_barrier_wait -1
	global_inv scope:SCOPE_SE
	s_and_saveexec_b32 s15, s2
	s_cbranch_execz .LBB508_109
; %bb.108:
	v_add_nc_u32_e32 v2, -1, v0
	s_delay_alu instid0(VALU_DEP_1) | instskip(NEXT) | instid1(VALU_DEP_1)
	v_lshrrev_b32_e32 v3, 4, v2
	v_and_b32_e32 v3, 0xffffffe, v3
	s_delay_alu instid0(VALU_DEP_1)
	v_lshl_add_u32 v2, v2, 1, v3
	ds_load_u16 v42, v2
.LBB508_109:
	s_wait_alu 0xfffe
	s_or_b32 exec_lo, exec_lo, s15
	s_and_saveexec_b32 s36, vcc_lo
	s_cbranch_execz .LBB508_173
; %bb.110:
	v_mov_b32_e32 v4, 0
	v_mbcnt_lo_u32_b32 v44, -1, 0
	s_mov_b32 s17, 0
	ds_load_u16 v43, v4 offset:524
	v_cmp_eq_u32_e64 s15, 0, v44
	s_and_saveexec_b32 s37, s15
	s_cbranch_execz .LBB508_112
; %bb.111:
	s_add_co_i32 s16, s33, 32
	s_wait_dscnt 0x0
	v_or_b32_e32 v2, 0x10000, v43
	s_wait_alu 0xfffe
	s_lshl_b64 s[16:17], s[16:17], 2
	s_wait_alu 0xfffe
	s_add_nc_u64 s[16:17], s[28:29], s[16:17]
	global_store_b32 v4, v2, s[16:17] scope:SCOPE_DEV
.LBB508_112:
	s_or_b32 exec_lo, exec_lo, s37
	v_xad_u32 v2, v44, -1, s33
	s_mov_b32 s16, exec_lo
	s_delay_alu instid0(VALU_DEP_1) | instskip(NEXT) | instid1(VALU_DEP_1)
	v_add_nc_u32_e32 v3, 32, v2
	v_lshlrev_b64_e32 v[3:4], 2, v[3:4]
	s_delay_alu instid0(VALU_DEP_1) | instskip(SKIP_1) | instid1(VALU_DEP_2)
	v_add_co_u32 v3, vcc_lo, s28, v3
	s_wait_alu 0xfffd
	v_add_co_ci_u32_e64 v4, null, s29, v4, vcc_lo
	global_load_b32 v5, v[3:4], off scope:SCOPE_DEV
	s_wait_loadcnt 0x0
	v_lshrrev_b32_e32 v45, 16, v5
	s_delay_alu instid0(VALU_DEP_1) | instskip(NEXT) | instid1(VALU_DEP_1)
	v_and_b32_e32 v46, 0xff, v45
	v_cmpx_eq_u16_e32 0, v46
	s_cbranch_execz .LBB508_116
; %bb.113:
	s_mov_b32 s17, 0
.LBB508_114:                            ; =>This Inner Loop Header: Depth=1
	global_load_b32 v5, v[3:4], off scope:SCOPE_DEV
	s_wait_loadcnt 0x0
	v_lshrrev_b32_e32 v45, 16, v5
	s_delay_alu instid0(VALU_DEP_1) | instskip(NEXT) | instid1(VALU_DEP_1)
	v_and_b32_e32 v46, 0xff, v45
	v_cmp_ne_u16_e32 vcc_lo, 0, v46
	s_wait_alu 0xfffe
	s_or_b32 s17, vcc_lo, s17
	s_wait_alu 0xfffe
	s_and_not1_b32 exec_lo, exec_lo, s17
	s_cbranch_execnz .LBB508_114
; %bb.115:
	s_or_b32 exec_lo, exec_lo, s17
.LBB508_116:
	s_wait_alu 0xfffe
	s_or_b32 exec_lo, exec_lo, s16
	v_cmp_ne_u32_e32 vcc_lo, 31, v44
	v_and_b32_e32 v4, 0xffff, v5
	v_and_b32_e32 v47, 0xff, v45
	s_mov_b32 s16, exec_lo
	s_wait_alu 0xfffd
	v_add_co_ci_u32_e64 v3, null, 0, v44, vcc_lo
	s_delay_alu instid0(VALU_DEP_2) | instskip(SKIP_1) | instid1(VALU_DEP_3)
	v_cmp_eq_u16_e32 vcc_lo, 2, v47
	v_lshlrev_b32_e64 v47, v44, -1
	v_lshlrev_b32_e32 v46, 2, v3
	s_wait_alu 0xfffd
	s_delay_alu instid0(VALU_DEP_2) | instskip(SKIP_2) | instid1(VALU_DEP_1)
	v_and_or_b32 v3, vcc_lo, v47, 0x80000000
	ds_bpermute_b32 v48, v46, v4
	v_ctz_i32_b32_e32 v3, v3
	v_cmpx_lt_u32_e64 v44, v3
	s_cbranch_execz .LBB508_120
; %bb.117:
	s_wait_dscnt 0x0
	v_lshlrev_b32_e32 v5, 16, v48
	s_delay_alu instid0(VALU_DEP_1) | instskip(SKIP_1) | instid1(VALU_DEP_2)
	v_dual_max_num_f32 v49, v5, v5 :: v_dual_lshlrev_b32 v4, 16, v4
	v_cmp_u_f32_e32 vcc_lo, v5, v5
	v_max_num_f32_e32 v48, v4, v4
	s_delay_alu instid0(VALU_DEP_1) | instskip(SKIP_1) | instid1(VALU_DEP_1)
	v_min_num_f32_e32 v50, v49, v48
	s_wait_alu 0xfffd
	v_dual_max_num_f32 v48, v49, v48 :: v_dual_cndmask_b32 v49, v50, v5
	s_delay_alu instid0(VALU_DEP_1) | instskip(SKIP_2) | instid1(VALU_DEP_3)
	v_cndmask_b32_e32 v50, v48, v5, vcc_lo
	v_cmp_u_f32_e32 vcc_lo, v4, v4
	s_wait_alu 0xfffd
	v_cndmask_b32_e32 v48, v49, v4, vcc_lo
	s_delay_alu instid0(VALU_DEP_3) | instskip(NEXT) | instid1(VALU_DEP_2)
	v_cndmask_b32_e32 v4, v50, v4, vcc_lo
	v_cmp_class_f32_e64 s17, v48, 0x1f8
	s_delay_alu instid0(VALU_DEP_2) | instskip(SKIP_1) | instid1(SALU_CYCLE_1)
	v_cmp_neq_f32_e32 vcc_lo, v48, v4
	s_or_b32 s37, vcc_lo, s17
	s_and_saveexec_b32 s17, s37
	s_cbranch_execz .LBB508_119
; %bb.118:
	v_sub_f32_e32 v5, v48, v4
	s_mov_b32 s37, 0x3e9b6dac
	s_delay_alu instid0(VALU_DEP_1) | instskip(SKIP_1) | instid1(VALU_DEP_2)
	v_mul_f32_e32 v48, 0x3fb8aa3b, v5
	v_cmp_ngt_f32_e32 vcc_lo, 0xc2ce8ed0, v5
	v_fma_f32 v49, 0x3fb8aa3b, v5, -v48
	v_rndne_f32_e32 v50, v48
	s_delay_alu instid0(VALU_DEP_1) | instskip(NEXT) | instid1(VALU_DEP_1)
	v_dual_fmamk_f32 v49, v5, 0x32a5705f, v49 :: v_dual_sub_f32 v48, v48, v50
	v_add_f32_e32 v48, v48, v49
	v_cvt_i32_f32_e32 v49, v50
	s_delay_alu instid0(VALU_DEP_2) | instskip(NEXT) | instid1(TRANS32_DEP_1)
	v_exp_f32_e32 v48, v48
	v_ldexp_f32 v48, v48, v49
	s_wait_alu 0xfffd
	s_delay_alu instid0(VALU_DEP_1) | instskip(SKIP_2) | instid1(VALU_DEP_2)
	v_cndmask_b32_e32 v48, 0, v48, vcc_lo
	v_cmp_nlt_f32_e32 vcc_lo, 0x42b17218, v5
	s_wait_alu 0xfffd
	v_cndmask_b32_e32 v5, 0x7f800000, v48, vcc_lo
	s_delay_alu instid0(VALU_DEP_1) | instskip(NEXT) | instid1(VALU_DEP_1)
	v_add_f32_e32 v50, 1.0, v5
	v_cvt_f64_f32_e32 v[48:49], v50
	s_delay_alu instid0(VALU_DEP_1) | instskip(SKIP_1) | instid1(VALU_DEP_1)
	v_frexp_exp_i32_f64_e32 v48, v[48:49]
	v_frexp_mant_f32_e32 v49, v50
	v_cmp_gt_f32_e32 vcc_lo, 0x3f2aaaab, v49
	v_add_f32_e32 v49, -1.0, v50
	s_delay_alu instid0(VALU_DEP_1) | instskip(NEXT) | instid1(VALU_DEP_1)
	v_sub_f32_e32 v52, v49, v50
	v_dual_sub_f32 v49, v5, v49 :: v_dual_add_f32 v52, 1.0, v52
	s_delay_alu instid0(VALU_DEP_1) | instskip(SKIP_2) | instid1(VALU_DEP_1)
	v_add_f32_e32 v49, v49, v52
	s_wait_alu 0xfffd
	v_subrev_co_ci_u32_e64 v48, null, 0, v48, vcc_lo
	v_sub_nc_u32_e32 v51, 0, v48
	v_cvt_f32_i32_e32 v48, v48
	s_delay_alu instid0(VALU_DEP_2) | instskip(SKIP_1) | instid1(VALU_DEP_2)
	v_ldexp_f32 v50, v50, v51
	v_ldexp_f32 v49, v49, v51
	v_add_f32_e32 v53, 1.0, v50
	s_delay_alu instid0(VALU_DEP_1) | instskip(NEXT) | instid1(VALU_DEP_1)
	v_dual_add_f32 v51, -1.0, v50 :: v_dual_add_f32 v52, -1.0, v53
	v_add_f32_e32 v54, 1.0, v51
	v_cmp_neq_f32_e32 vcc_lo, 0x7f800000, v5
	s_delay_alu instid0(VALU_DEP_3) | instskip(NEXT) | instid1(VALU_DEP_3)
	v_sub_f32_e32 v52, v50, v52
	v_sub_f32_e32 v50, v50, v54
	s_delay_alu instid0(VALU_DEP_2) | instskip(NEXT) | instid1(VALU_DEP_2)
	v_add_f32_e32 v52, v49, v52
	v_add_f32_e32 v49, v49, v50
	s_delay_alu instid0(VALU_DEP_1) | instskip(NEXT) | instid1(VALU_DEP_1)
	v_dual_add_f32 v55, v51, v49 :: v_dual_add_f32 v54, v53, v52
	v_sub_f32_e32 v51, v51, v55
	s_delay_alu instid0(VALU_DEP_2) | instskip(SKIP_1) | instid1(VALU_DEP_1)
	v_rcp_f32_e32 v50, v54
	v_sub_f32_e32 v53, v53, v54
	v_dual_add_f32 v49, v49, v51 :: v_dual_add_f32 v52, v52, v53
	s_delay_alu instid0(TRANS32_DEP_1) | instskip(NEXT) | instid1(VALU_DEP_1)
	v_mul_f32_e32 v56, v55, v50
	v_mul_f32_e32 v57, v54, v56
	s_delay_alu instid0(VALU_DEP_1) | instskip(NEXT) | instid1(VALU_DEP_1)
	v_fma_f32 v53, v56, v54, -v57
	v_fmac_f32_e32 v53, v56, v52
	s_delay_alu instid0(VALU_DEP_1) | instskip(NEXT) | instid1(VALU_DEP_1)
	v_add_f32_e32 v58, v57, v53
	v_sub_f32_e32 v59, v55, v58
	s_delay_alu instid0(VALU_DEP_1) | instskip(SKIP_1) | instid1(VALU_DEP_2)
	v_sub_f32_e32 v55, v55, v59
	v_sub_f32_e32 v51, v58, v57
	;; [unrolled: 1-line block ×3, first 2 shown]
	s_delay_alu instid0(VALU_DEP_2) | instskip(NEXT) | instid1(VALU_DEP_2)
	v_sub_f32_e32 v51, v51, v53
	v_add_f32_e32 v49, v49, v55
	s_delay_alu instid0(VALU_DEP_1) | instskip(NEXT) | instid1(VALU_DEP_1)
	v_add_f32_e32 v49, v51, v49
	v_add_f32_e32 v51, v59, v49
	s_delay_alu instid0(VALU_DEP_1) | instskip(NEXT) | instid1(VALU_DEP_1)
	v_mul_f32_e32 v53, v50, v51
	v_dual_sub_f32 v58, v59, v51 :: v_dual_mul_f32 v55, v54, v53
	s_delay_alu instid0(VALU_DEP_1) | instskip(NEXT) | instid1(VALU_DEP_2)
	v_add_f32_e32 v49, v49, v58
	v_fma_f32 v54, v53, v54, -v55
	s_delay_alu instid0(VALU_DEP_1) | instskip(NEXT) | instid1(VALU_DEP_1)
	v_fmac_f32_e32 v54, v53, v52
	v_add_f32_e32 v52, v55, v54
	s_delay_alu instid0(VALU_DEP_1) | instskip(SKIP_1) | instid1(VALU_DEP_2)
	v_sub_f32_e32 v57, v51, v52
	v_sub_f32_e32 v55, v52, v55
	v_sub_f32_e32 v51, v51, v57
	s_delay_alu instid0(VALU_DEP_1) | instskip(NEXT) | instid1(VALU_DEP_1)
	v_sub_f32_e32 v51, v51, v52
	v_dual_sub_f32 v52, v55, v54 :: v_dual_add_f32 v49, v49, v51
	v_add_f32_e32 v51, v56, v53
	s_delay_alu instid0(VALU_DEP_1) | instskip(NEXT) | instid1(VALU_DEP_1)
	v_dual_add_f32 v49, v52, v49 :: v_dual_sub_f32 v52, v51, v56
	v_add_f32_e32 v49, v57, v49
	s_delay_alu instid0(VALU_DEP_1) | instskip(NEXT) | instid1(VALU_DEP_1)
	v_dual_sub_f32 v52, v53, v52 :: v_dual_mul_f32 v49, v50, v49
	v_add_f32_e32 v49, v52, v49
	s_delay_alu instid0(VALU_DEP_1) | instskip(NEXT) | instid1(VALU_DEP_1)
	v_add_f32_e32 v50, v51, v49
	v_mul_f32_e32 v52, v50, v50
	s_delay_alu instid0(VALU_DEP_1) | instskip(SKIP_1) | instid1(VALU_DEP_2)
	v_fmaak_f32 v53, s37, v52, 0x3ecc95a3
	v_mul_f32_e32 v54, v50, v52
	v_fmaak_f32 v52, v52, v53, 0x3f2aaada
	v_ldexp_f32 v53, v50, 1
	v_sub_f32_e32 v50, v50, v51
	s_delay_alu instid0(VALU_DEP_3) | instskip(NEXT) | instid1(VALU_DEP_2)
	v_mul_f32_e32 v52, v54, v52
	v_dual_mul_f32 v54, 0x3f317218, v48 :: v_dual_sub_f32 v49, v49, v50
	s_delay_alu instid0(VALU_DEP_2) | instskip(NEXT) | instid1(VALU_DEP_2)
	v_add_f32_e32 v51, v53, v52
	v_ldexp_f32 v49, v49, 1
	s_delay_alu instid0(VALU_DEP_2) | instskip(NEXT) | instid1(VALU_DEP_4)
	v_sub_f32_e32 v50, v51, v53
	v_fma_f32 v53, 0x3f317218, v48, -v54
	s_delay_alu instid0(VALU_DEP_2) | instskip(NEXT) | instid1(VALU_DEP_1)
	v_sub_f32_e32 v50, v52, v50
	v_dual_fmamk_f32 v48, v48, 0xb102e308, v53 :: v_dual_add_f32 v49, v49, v50
	s_delay_alu instid0(VALU_DEP_1) | instskip(NEXT) | instid1(VALU_DEP_1)
	v_add_f32_e32 v50, v54, v48
	v_sub_f32_e32 v54, v50, v54
	s_delay_alu instid0(VALU_DEP_1) | instskip(NEXT) | instid1(VALU_DEP_4)
	v_sub_f32_e32 v48, v48, v54
	v_add_f32_e32 v52, v51, v49
	s_delay_alu instid0(VALU_DEP_1) | instskip(NEXT) | instid1(VALU_DEP_1)
	v_sub_f32_e32 v51, v52, v51
	v_sub_f32_e32 v49, v49, v51
	v_add_f32_e32 v53, v50, v52
	s_delay_alu instid0(VALU_DEP_1) | instskip(NEXT) | instid1(VALU_DEP_1)
	v_sub_f32_e32 v55, v53, v50
	v_sub_f32_e32 v51, v52, v55
	s_delay_alu instid0(VALU_DEP_4) | instskip(SKIP_1) | instid1(VALU_DEP_1)
	v_add_f32_e32 v52, v48, v49
	v_sub_f32_e32 v56, v53, v55
	v_sub_f32_e32 v50, v50, v56
	s_delay_alu instid0(VALU_DEP_1) | instskip(NEXT) | instid1(VALU_DEP_1)
	v_dual_add_f32 v50, v51, v50 :: v_dual_sub_f32 v51, v52, v48
	v_dual_add_f32 v50, v52, v50 :: v_dual_sub_f32 v49, v49, v51
	v_sub_f32_e32 v52, v52, v51
	s_delay_alu instid0(VALU_DEP_2) | instskip(NEXT) | instid1(VALU_DEP_1)
	v_add_f32_e32 v54, v53, v50
	v_dual_sub_f32 v48, v48, v52 :: v_dual_sub_f32 v51, v54, v53
	s_delay_alu instid0(VALU_DEP_1) | instskip(NEXT) | instid1(VALU_DEP_1)
	v_dual_add_f32 v48, v49, v48 :: v_dual_sub_f32 v49, v50, v51
	v_add_f32_e32 v48, v48, v49
	s_delay_alu instid0(VALU_DEP_1) | instskip(SKIP_1) | instid1(VALU_DEP_1)
	v_add_f32_e32 v48, v54, v48
	s_wait_alu 0xfffd
	v_cndmask_b32_e32 v48, 0x7f800000, v48, vcc_lo
	v_cmp_gt_f32_e64 vcc_lo, 0x33800000, |v5|
	s_wait_alu 0xfffd
	s_delay_alu instid0(VALU_DEP_2) | instskip(NEXT) | instid1(VALU_DEP_1)
	v_cndmask_b32_e32 v5, v48, v5, vcc_lo
	v_add_f32_e32 v5, v4, v5
.LBB508_119:
	s_wait_alu 0xfffe
	s_or_b32 exec_lo, exec_lo, s17
	s_delay_alu instid0(VALU_DEP_1) | instskip(SKIP_1) | instid1(VALU_DEP_2)
	v_bfe_u32 v4, v5, 16, 1
	v_cmp_o_f32_e32 vcc_lo, v5, v5
	v_add3_u32 v4, v5, v4, 0x7fff
	s_delay_alu instid0(VALU_DEP_1) | instskip(SKIP_1) | instid1(VALU_DEP_1)
	v_lshrrev_b32_e32 v4, 16, v4
	s_wait_alu 0xfffd
	v_cndmask_b32_e32 v5, 0x7fc0, v4, vcc_lo
	s_delay_alu instid0(VALU_DEP_1)
	v_and_b32_e32 v4, 0xffff, v5
.LBB508_120:
	s_wait_alu 0xfffe
	s_or_b32 exec_lo, exec_lo, s16
	v_cmp_gt_u32_e32 vcc_lo, 30, v44
	v_add_nc_u32_e32 v49, 2, v44
	s_mov_b32 s16, exec_lo
	s_wait_dscnt 0x0
	s_wait_alu 0xfffd
	v_cndmask_b32_e64 v48, 0, 2, vcc_lo
	s_delay_alu instid0(VALU_DEP_1)
	v_add_lshl_u32 v48, v48, v44, 2
	ds_bpermute_b32 v50, v48, v4
	v_cmpx_le_u32_e64 v49, v3
	s_cbranch_execz .LBB508_124
; %bb.121:
	s_wait_dscnt 0x0
	v_lshlrev_b32_e32 v5, 16, v50
	s_delay_alu instid0(VALU_DEP_1) | instskip(NEXT) | instid1(VALU_DEP_1)
	v_dual_max_num_f32 v51, v5, v5 :: v_dual_lshlrev_b32 v4, 16, v4
	v_max_num_f32_e32 v50, v4, v4
	v_cmp_u_f32_e32 vcc_lo, v5, v5
	s_delay_alu instid0(VALU_DEP_2) | instskip(SKIP_1) | instid1(VALU_DEP_1)
	v_min_num_f32_e32 v52, v51, v50
	s_wait_alu 0xfffd
	v_dual_max_num_f32 v50, v51, v50 :: v_dual_cndmask_b32 v51, v52, v5
	s_delay_alu instid0(VALU_DEP_1) | instskip(SKIP_2) | instid1(VALU_DEP_3)
	v_cndmask_b32_e32 v52, v50, v5, vcc_lo
	v_cmp_u_f32_e32 vcc_lo, v4, v4
	s_wait_alu 0xfffd
	v_cndmask_b32_e32 v50, v51, v4, vcc_lo
	s_delay_alu instid0(VALU_DEP_3) | instskip(NEXT) | instid1(VALU_DEP_2)
	v_cndmask_b32_e32 v4, v52, v4, vcc_lo
	v_cmp_class_f32_e64 s17, v50, 0x1f8
	s_delay_alu instid0(VALU_DEP_2)
	v_cmp_neq_f32_e32 vcc_lo, v50, v4
	s_or_b32 s37, vcc_lo, s17
	s_wait_alu 0xfffe
	s_and_saveexec_b32 s17, s37
	s_cbranch_execz .LBB508_123
; %bb.122:
	v_sub_f32_e32 v5, v50, v4
	s_mov_b32 s37, 0x3e9b6dac
	s_delay_alu instid0(VALU_DEP_1) | instskip(SKIP_1) | instid1(VALU_DEP_2)
	v_mul_f32_e32 v50, 0x3fb8aa3b, v5
	v_cmp_ngt_f32_e32 vcc_lo, 0xc2ce8ed0, v5
	v_fma_f32 v51, 0x3fb8aa3b, v5, -v50
	v_rndne_f32_e32 v52, v50
	s_delay_alu instid0(VALU_DEP_1) | instskip(NEXT) | instid1(VALU_DEP_1)
	v_dual_fmamk_f32 v51, v5, 0x32a5705f, v51 :: v_dual_sub_f32 v50, v50, v52
	v_add_f32_e32 v50, v50, v51
	v_cvt_i32_f32_e32 v51, v52
	s_delay_alu instid0(VALU_DEP_2) | instskip(NEXT) | instid1(TRANS32_DEP_1)
	v_exp_f32_e32 v50, v50
	v_ldexp_f32 v50, v50, v51
	s_wait_alu 0xfffd
	s_delay_alu instid0(VALU_DEP_1) | instskip(SKIP_2) | instid1(VALU_DEP_2)
	v_cndmask_b32_e32 v50, 0, v50, vcc_lo
	v_cmp_nlt_f32_e32 vcc_lo, 0x42b17218, v5
	s_wait_alu 0xfffd
	v_cndmask_b32_e32 v5, 0x7f800000, v50, vcc_lo
	s_delay_alu instid0(VALU_DEP_1) | instskip(NEXT) | instid1(VALU_DEP_1)
	v_add_f32_e32 v52, 1.0, v5
	v_cvt_f64_f32_e32 v[50:51], v52
	s_delay_alu instid0(VALU_DEP_1) | instskip(SKIP_1) | instid1(VALU_DEP_1)
	v_frexp_exp_i32_f64_e32 v50, v[50:51]
	v_frexp_mant_f32_e32 v51, v52
	v_cmp_gt_f32_e32 vcc_lo, 0x3f2aaaab, v51
	v_add_f32_e32 v51, -1.0, v52
	s_delay_alu instid0(VALU_DEP_1) | instskip(SKIP_3) | instid1(VALU_DEP_2)
	v_dual_sub_f32 v54, v51, v52 :: v_dual_sub_f32 v51, v5, v51
	s_wait_alu 0xfffd
	v_subrev_co_ci_u32_e64 v50, null, 0, v50, vcc_lo
	v_cmp_neq_f32_e32 vcc_lo, 0x7f800000, v5
	v_sub_nc_u32_e32 v53, 0, v50
	v_cvt_f32_i32_e32 v50, v50
	s_delay_alu instid0(VALU_DEP_2) | instskip(NEXT) | instid1(VALU_DEP_1)
	v_ldexp_f32 v52, v52, v53
	v_dual_add_f32 v54, 1.0, v54 :: v_dual_add_f32 v55, 1.0, v52
	s_delay_alu instid0(VALU_DEP_1) | instskip(NEXT) | instid1(VALU_DEP_1)
	v_dual_add_f32 v51, v51, v54 :: v_dual_add_f32 v54, -1.0, v55
	v_ldexp_f32 v51, v51, v53
	s_delay_alu instid0(VALU_DEP_2) | instskip(NEXT) | instid1(VALU_DEP_1)
	v_dual_add_f32 v53, -1.0, v52 :: v_dual_sub_f32 v54, v52, v54
	v_add_f32_e32 v56, 1.0, v53
	s_delay_alu instid0(VALU_DEP_2) | instskip(NEXT) | instid1(VALU_DEP_2)
	v_add_f32_e32 v54, v51, v54
	v_sub_f32_e32 v52, v52, v56
	s_delay_alu instid0(VALU_DEP_1) | instskip(NEXT) | instid1(VALU_DEP_1)
	v_add_f32_e32 v51, v51, v52
	v_dual_add_f32 v57, v53, v51 :: v_dual_add_f32 v56, v55, v54
	s_delay_alu instid0(VALU_DEP_1) | instskip(NEXT) | instid1(VALU_DEP_2)
	v_sub_f32_e32 v53, v53, v57
	v_rcp_f32_e32 v52, v56
	v_sub_f32_e32 v55, v55, v56
	s_delay_alu instid0(VALU_DEP_1) | instskip(NEXT) | instid1(TRANS32_DEP_1)
	v_dual_add_f32 v51, v51, v53 :: v_dual_add_f32 v54, v54, v55
	v_mul_f32_e32 v58, v57, v52
	s_delay_alu instid0(VALU_DEP_1) | instskip(NEXT) | instid1(VALU_DEP_1)
	v_mul_f32_e32 v59, v56, v58
	v_fma_f32 v55, v58, v56, -v59
	s_delay_alu instid0(VALU_DEP_1) | instskip(NEXT) | instid1(VALU_DEP_1)
	v_fmac_f32_e32 v55, v58, v54
	v_add_f32_e32 v60, v59, v55
	s_delay_alu instid0(VALU_DEP_1) | instskip(NEXT) | instid1(VALU_DEP_1)
	v_sub_f32_e32 v61, v57, v60
	v_sub_f32_e32 v57, v57, v61
	;; [unrolled: 1-line block ×3, first 2 shown]
	s_delay_alu instid0(VALU_DEP_2) | instskip(NEXT) | instid1(VALU_DEP_2)
	v_sub_f32_e32 v57, v57, v60
	v_sub_f32_e32 v53, v53, v55
	s_delay_alu instid0(VALU_DEP_2) | instskip(NEXT) | instid1(VALU_DEP_1)
	v_add_f32_e32 v51, v51, v57
	v_add_f32_e32 v51, v53, v51
	s_delay_alu instid0(VALU_DEP_1) | instskip(NEXT) | instid1(VALU_DEP_1)
	v_add_f32_e32 v53, v61, v51
	v_mul_f32_e32 v55, v52, v53
	s_delay_alu instid0(VALU_DEP_1) | instskip(NEXT) | instid1(VALU_DEP_1)
	v_dual_sub_f32 v60, v61, v53 :: v_dual_mul_f32 v57, v56, v55
	v_add_f32_e32 v51, v51, v60
	s_delay_alu instid0(VALU_DEP_2) | instskip(NEXT) | instid1(VALU_DEP_1)
	v_fma_f32 v56, v55, v56, -v57
	v_fmac_f32_e32 v56, v55, v54
	s_delay_alu instid0(VALU_DEP_1) | instskip(NEXT) | instid1(VALU_DEP_1)
	v_add_f32_e32 v54, v57, v56
	v_sub_f32_e32 v59, v53, v54
	v_sub_f32_e32 v57, v54, v57
	s_delay_alu instid0(VALU_DEP_2) | instskip(NEXT) | instid1(VALU_DEP_1)
	v_sub_f32_e32 v53, v53, v59
	v_sub_f32_e32 v53, v53, v54
	s_delay_alu instid0(VALU_DEP_1) | instskip(SKIP_1) | instid1(VALU_DEP_1)
	v_dual_sub_f32 v54, v57, v56 :: v_dual_add_f32 v51, v51, v53
	v_add_f32_e32 v53, v58, v55
	v_dual_add_f32 v51, v54, v51 :: v_dual_sub_f32 v54, v53, v58
	s_delay_alu instid0(VALU_DEP_1) | instskip(NEXT) | instid1(VALU_DEP_1)
	v_add_f32_e32 v51, v59, v51
	v_dual_sub_f32 v54, v55, v54 :: v_dual_mul_f32 v51, v52, v51
	s_delay_alu instid0(VALU_DEP_1) | instskip(NEXT) | instid1(VALU_DEP_1)
	v_add_f32_e32 v51, v54, v51
	v_add_f32_e32 v52, v53, v51
	s_delay_alu instid0(VALU_DEP_1) | instskip(SKIP_1) | instid1(VALU_DEP_1)
	v_mul_f32_e32 v54, v52, v52
	s_wait_alu 0xfffe
	v_fmaak_f32 v55, s37, v54, 0x3ecc95a3
	v_mul_f32_e32 v56, v52, v54
	s_delay_alu instid0(VALU_DEP_2) | instskip(SKIP_2) | instid1(VALU_DEP_3)
	v_fmaak_f32 v54, v54, v55, 0x3f2aaada
	v_ldexp_f32 v55, v52, 1
	v_sub_f32_e32 v52, v52, v53
	v_mul_f32_e32 v54, v56, v54
	s_delay_alu instid0(VALU_DEP_2) | instskip(NEXT) | instid1(VALU_DEP_2)
	v_dual_mul_f32 v56, 0x3f317218, v50 :: v_dual_sub_f32 v51, v51, v52
	v_add_f32_e32 v53, v55, v54
	s_delay_alu instid0(VALU_DEP_2) | instskip(NEXT) | instid1(VALU_DEP_2)
	v_ldexp_f32 v51, v51, 1
	v_sub_f32_e32 v52, v53, v55
	s_delay_alu instid0(VALU_DEP_4) | instskip(NEXT) | instid1(VALU_DEP_2)
	v_fma_f32 v55, 0x3f317218, v50, -v56
	v_sub_f32_e32 v52, v54, v52
	s_delay_alu instid0(VALU_DEP_1) | instskip(NEXT) | instid1(VALU_DEP_1)
	v_dual_fmamk_f32 v50, v50, 0xb102e308, v55 :: v_dual_add_f32 v51, v51, v52
	v_add_f32_e32 v52, v56, v50
	s_delay_alu instid0(VALU_DEP_1) | instskip(NEXT) | instid1(VALU_DEP_1)
	v_sub_f32_e32 v56, v52, v56
	v_sub_f32_e32 v50, v50, v56
	s_delay_alu instid0(VALU_DEP_4) | instskip(NEXT) | instid1(VALU_DEP_1)
	v_add_f32_e32 v54, v53, v51
	v_sub_f32_e32 v53, v54, v53
	s_delay_alu instid0(VALU_DEP_1) | instskip(SKIP_1) | instid1(VALU_DEP_1)
	v_sub_f32_e32 v51, v51, v53
	v_add_f32_e32 v55, v52, v54
	v_sub_f32_e32 v57, v55, v52
	s_delay_alu instid0(VALU_DEP_1) | instskip(NEXT) | instid1(VALU_DEP_4)
	v_sub_f32_e32 v53, v54, v57
	v_add_f32_e32 v54, v50, v51
	v_sub_f32_e32 v58, v55, v57
	s_delay_alu instid0(VALU_DEP_1) | instskip(NEXT) | instid1(VALU_DEP_1)
	v_sub_f32_e32 v52, v52, v58
	v_dual_add_f32 v52, v53, v52 :: v_dual_sub_f32 v53, v54, v50
	s_delay_alu instid0(VALU_DEP_1) | instskip(SKIP_1) | instid1(VALU_DEP_2)
	v_dual_add_f32 v52, v54, v52 :: v_dual_sub_f32 v51, v51, v53
	v_sub_f32_e32 v54, v54, v53
	v_add_f32_e32 v56, v55, v52
	s_delay_alu instid0(VALU_DEP_1) | instskip(NEXT) | instid1(VALU_DEP_1)
	v_dual_sub_f32 v50, v50, v54 :: v_dual_sub_f32 v53, v56, v55
	v_dual_add_f32 v50, v51, v50 :: v_dual_sub_f32 v51, v52, v53
	s_delay_alu instid0(VALU_DEP_1) | instskip(NEXT) | instid1(VALU_DEP_1)
	v_add_f32_e32 v50, v50, v51
	v_add_f32_e32 v50, v56, v50
	s_wait_alu 0xfffd
	s_delay_alu instid0(VALU_DEP_1) | instskip(SKIP_2) | instid1(VALU_DEP_2)
	v_cndmask_b32_e32 v50, 0x7f800000, v50, vcc_lo
	v_cmp_gt_f32_e64 vcc_lo, 0x33800000, |v5|
	s_wait_alu 0xfffd
	v_cndmask_b32_e32 v5, v50, v5, vcc_lo
	s_delay_alu instid0(VALU_DEP_1)
	v_add_f32_e32 v5, v4, v5
.LBB508_123:
	s_wait_alu 0xfffe
	s_or_b32 exec_lo, exec_lo, s17
	s_delay_alu instid0(VALU_DEP_1) | instskip(SKIP_1) | instid1(VALU_DEP_2)
	v_bfe_u32 v4, v5, 16, 1
	v_cmp_o_f32_e32 vcc_lo, v5, v5
	v_add3_u32 v4, v5, v4, 0x7fff
	s_delay_alu instid0(VALU_DEP_1) | instskip(SKIP_1) | instid1(VALU_DEP_1)
	v_lshrrev_b32_e32 v4, 16, v4
	s_wait_alu 0xfffd
	v_cndmask_b32_e32 v5, 0x7fc0, v4, vcc_lo
	s_delay_alu instid0(VALU_DEP_1)
	v_and_b32_e32 v4, 0xffff, v5
.LBB508_124:
	s_wait_alu 0xfffe
	s_or_b32 exec_lo, exec_lo, s16
	v_cmp_gt_u32_e32 vcc_lo, 28, v44
	v_add_nc_u32_e32 v51, 4, v44
	s_mov_b32 s16, exec_lo
	s_wait_dscnt 0x0
	s_wait_alu 0xfffd
	v_cndmask_b32_e64 v50, 0, 4, vcc_lo
	s_delay_alu instid0(VALU_DEP_1)
	v_add_lshl_u32 v50, v50, v44, 2
	ds_bpermute_b32 v52, v50, v4
	v_cmpx_le_u32_e64 v51, v3
	s_cbranch_execz .LBB508_128
; %bb.125:
	s_wait_dscnt 0x0
	v_lshlrev_b32_e32 v5, 16, v52
	s_delay_alu instid0(VALU_DEP_1) | instskip(SKIP_1) | instid1(VALU_DEP_2)
	v_dual_max_num_f32 v53, v5, v5 :: v_dual_lshlrev_b32 v4, 16, v4
	v_cmp_u_f32_e32 vcc_lo, v5, v5
	v_max_num_f32_e32 v52, v4, v4
	s_delay_alu instid0(VALU_DEP_1) | instskip(SKIP_1) | instid1(VALU_DEP_1)
	v_min_num_f32_e32 v54, v53, v52
	s_wait_alu 0xfffd
	v_dual_max_num_f32 v52, v53, v52 :: v_dual_cndmask_b32 v53, v54, v5
	s_delay_alu instid0(VALU_DEP_1) | instskip(SKIP_2) | instid1(VALU_DEP_3)
	v_cndmask_b32_e32 v54, v52, v5, vcc_lo
	v_cmp_u_f32_e32 vcc_lo, v4, v4
	s_wait_alu 0xfffd
	v_cndmask_b32_e32 v52, v53, v4, vcc_lo
	s_delay_alu instid0(VALU_DEP_3) | instskip(NEXT) | instid1(VALU_DEP_2)
	v_cndmask_b32_e32 v4, v54, v4, vcc_lo
	v_cmp_class_f32_e64 s17, v52, 0x1f8
	s_delay_alu instid0(VALU_DEP_2)
	v_cmp_neq_f32_e32 vcc_lo, v52, v4
	s_or_b32 s37, vcc_lo, s17
	s_wait_alu 0xfffe
	s_and_saveexec_b32 s17, s37
	s_cbranch_execz .LBB508_127
; %bb.126:
	v_sub_f32_e32 v5, v52, v4
	s_mov_b32 s37, 0x3e9b6dac
	s_delay_alu instid0(VALU_DEP_1) | instskip(SKIP_1) | instid1(VALU_DEP_2)
	v_mul_f32_e32 v52, 0x3fb8aa3b, v5
	v_cmp_ngt_f32_e32 vcc_lo, 0xc2ce8ed0, v5
	v_fma_f32 v53, 0x3fb8aa3b, v5, -v52
	v_rndne_f32_e32 v54, v52
	s_delay_alu instid0(VALU_DEP_1) | instskip(NEXT) | instid1(VALU_DEP_1)
	v_dual_fmamk_f32 v53, v5, 0x32a5705f, v53 :: v_dual_sub_f32 v52, v52, v54
	v_add_f32_e32 v52, v52, v53
	v_cvt_i32_f32_e32 v53, v54
	s_delay_alu instid0(VALU_DEP_2) | instskip(NEXT) | instid1(TRANS32_DEP_1)
	v_exp_f32_e32 v52, v52
	v_ldexp_f32 v52, v52, v53
	s_wait_alu 0xfffd
	s_delay_alu instid0(VALU_DEP_1) | instskip(SKIP_2) | instid1(VALU_DEP_2)
	v_cndmask_b32_e32 v52, 0, v52, vcc_lo
	v_cmp_nlt_f32_e32 vcc_lo, 0x42b17218, v5
	s_wait_alu 0xfffd
	v_cndmask_b32_e32 v5, 0x7f800000, v52, vcc_lo
	s_delay_alu instid0(VALU_DEP_1) | instskip(NEXT) | instid1(VALU_DEP_1)
	v_add_f32_e32 v54, 1.0, v5
	v_cvt_f64_f32_e32 v[52:53], v54
	s_delay_alu instid0(VALU_DEP_1) | instskip(SKIP_1) | instid1(VALU_DEP_1)
	v_frexp_exp_i32_f64_e32 v52, v[52:53]
	v_frexp_mant_f32_e32 v53, v54
	v_cmp_gt_f32_e32 vcc_lo, 0x3f2aaaab, v53
	v_add_f32_e32 v53, -1.0, v54
	s_delay_alu instid0(VALU_DEP_1) | instskip(NEXT) | instid1(VALU_DEP_1)
	v_sub_f32_e32 v56, v53, v54
	v_dual_sub_f32 v53, v5, v53 :: v_dual_add_f32 v56, 1.0, v56
	s_delay_alu instid0(VALU_DEP_1) | instskip(SKIP_2) | instid1(VALU_DEP_1)
	v_add_f32_e32 v53, v53, v56
	s_wait_alu 0xfffd
	v_subrev_co_ci_u32_e64 v52, null, 0, v52, vcc_lo
	v_sub_nc_u32_e32 v55, 0, v52
	v_cvt_f32_i32_e32 v52, v52
	s_delay_alu instid0(VALU_DEP_2) | instskip(SKIP_1) | instid1(VALU_DEP_2)
	v_ldexp_f32 v54, v54, v55
	v_ldexp_f32 v53, v53, v55
	v_add_f32_e32 v57, 1.0, v54
	s_delay_alu instid0(VALU_DEP_1) | instskip(NEXT) | instid1(VALU_DEP_1)
	v_dual_add_f32 v55, -1.0, v54 :: v_dual_add_f32 v56, -1.0, v57
	v_add_f32_e32 v58, 1.0, v55
	v_cmp_neq_f32_e32 vcc_lo, 0x7f800000, v5
	s_delay_alu instid0(VALU_DEP_3) | instskip(NEXT) | instid1(VALU_DEP_3)
	v_sub_f32_e32 v56, v54, v56
	v_sub_f32_e32 v54, v54, v58
	s_delay_alu instid0(VALU_DEP_2) | instskip(NEXT) | instid1(VALU_DEP_2)
	v_add_f32_e32 v56, v53, v56
	v_add_f32_e32 v53, v53, v54
	s_delay_alu instid0(VALU_DEP_1) | instskip(NEXT) | instid1(VALU_DEP_1)
	v_dual_add_f32 v59, v55, v53 :: v_dual_add_f32 v58, v57, v56
	v_sub_f32_e32 v55, v55, v59
	s_delay_alu instid0(VALU_DEP_2) | instskip(SKIP_1) | instid1(VALU_DEP_1)
	v_rcp_f32_e32 v54, v58
	v_sub_f32_e32 v57, v57, v58
	v_dual_add_f32 v53, v53, v55 :: v_dual_add_f32 v56, v56, v57
	s_delay_alu instid0(TRANS32_DEP_1) | instskip(NEXT) | instid1(VALU_DEP_1)
	v_mul_f32_e32 v60, v59, v54
	v_mul_f32_e32 v61, v58, v60
	s_delay_alu instid0(VALU_DEP_1) | instskip(NEXT) | instid1(VALU_DEP_1)
	v_fma_f32 v57, v60, v58, -v61
	v_fmac_f32_e32 v57, v60, v56
	s_delay_alu instid0(VALU_DEP_1) | instskip(NEXT) | instid1(VALU_DEP_1)
	v_add_f32_e32 v62, v61, v57
	v_sub_f32_e32 v63, v59, v62
	s_delay_alu instid0(VALU_DEP_1) | instskip(SKIP_1) | instid1(VALU_DEP_2)
	v_sub_f32_e32 v59, v59, v63
	v_sub_f32_e32 v55, v62, v61
	;; [unrolled: 1-line block ×3, first 2 shown]
	s_delay_alu instid0(VALU_DEP_2) | instskip(NEXT) | instid1(VALU_DEP_2)
	v_sub_f32_e32 v55, v55, v57
	v_add_f32_e32 v53, v53, v59
	s_delay_alu instid0(VALU_DEP_1) | instskip(NEXT) | instid1(VALU_DEP_1)
	v_add_f32_e32 v53, v55, v53
	v_add_f32_e32 v55, v63, v53
	s_delay_alu instid0(VALU_DEP_1) | instskip(NEXT) | instid1(VALU_DEP_1)
	v_mul_f32_e32 v57, v54, v55
	v_dual_sub_f32 v62, v63, v55 :: v_dual_mul_f32 v59, v58, v57
	s_delay_alu instid0(VALU_DEP_1) | instskip(NEXT) | instid1(VALU_DEP_2)
	v_add_f32_e32 v53, v53, v62
	v_fma_f32 v58, v57, v58, -v59
	s_delay_alu instid0(VALU_DEP_1) | instskip(NEXT) | instid1(VALU_DEP_1)
	v_fmac_f32_e32 v58, v57, v56
	v_add_f32_e32 v56, v59, v58
	s_delay_alu instid0(VALU_DEP_1) | instskip(SKIP_1) | instid1(VALU_DEP_2)
	v_sub_f32_e32 v61, v55, v56
	v_sub_f32_e32 v59, v56, v59
	;; [unrolled: 1-line block ×3, first 2 shown]
	s_delay_alu instid0(VALU_DEP_1) | instskip(NEXT) | instid1(VALU_DEP_1)
	v_sub_f32_e32 v55, v55, v56
	v_dual_sub_f32 v56, v59, v58 :: v_dual_add_f32 v53, v53, v55
	v_add_f32_e32 v55, v60, v57
	s_delay_alu instid0(VALU_DEP_1) | instskip(NEXT) | instid1(VALU_DEP_1)
	v_dual_add_f32 v53, v56, v53 :: v_dual_sub_f32 v56, v55, v60
	v_add_f32_e32 v53, v61, v53
	s_delay_alu instid0(VALU_DEP_1) | instskip(NEXT) | instid1(VALU_DEP_1)
	v_dual_sub_f32 v56, v57, v56 :: v_dual_mul_f32 v53, v54, v53
	v_add_f32_e32 v53, v56, v53
	s_delay_alu instid0(VALU_DEP_1) | instskip(NEXT) | instid1(VALU_DEP_1)
	v_add_f32_e32 v54, v55, v53
	v_mul_f32_e32 v56, v54, v54
	s_wait_alu 0xfffe
	s_delay_alu instid0(VALU_DEP_1) | instskip(SKIP_1) | instid1(VALU_DEP_2)
	v_fmaak_f32 v57, s37, v56, 0x3ecc95a3
	v_mul_f32_e32 v58, v54, v56
	v_fmaak_f32 v56, v56, v57, 0x3f2aaada
	v_ldexp_f32 v57, v54, 1
	v_sub_f32_e32 v54, v54, v55
	s_delay_alu instid0(VALU_DEP_3) | instskip(NEXT) | instid1(VALU_DEP_2)
	v_mul_f32_e32 v56, v58, v56
	v_dual_mul_f32 v58, 0x3f317218, v52 :: v_dual_sub_f32 v53, v53, v54
	s_delay_alu instid0(VALU_DEP_2) | instskip(NEXT) | instid1(VALU_DEP_2)
	v_add_f32_e32 v55, v57, v56
	v_ldexp_f32 v53, v53, 1
	s_delay_alu instid0(VALU_DEP_2) | instskip(NEXT) | instid1(VALU_DEP_4)
	v_sub_f32_e32 v54, v55, v57
	v_fma_f32 v57, 0x3f317218, v52, -v58
	s_delay_alu instid0(VALU_DEP_2) | instskip(NEXT) | instid1(VALU_DEP_1)
	v_sub_f32_e32 v54, v56, v54
	v_dual_fmamk_f32 v52, v52, 0xb102e308, v57 :: v_dual_add_f32 v53, v53, v54
	s_delay_alu instid0(VALU_DEP_1) | instskip(NEXT) | instid1(VALU_DEP_1)
	v_add_f32_e32 v54, v58, v52
	v_sub_f32_e32 v58, v54, v58
	s_delay_alu instid0(VALU_DEP_1) | instskip(NEXT) | instid1(VALU_DEP_4)
	v_sub_f32_e32 v52, v52, v58
	v_add_f32_e32 v56, v55, v53
	s_delay_alu instid0(VALU_DEP_1) | instskip(NEXT) | instid1(VALU_DEP_1)
	v_sub_f32_e32 v55, v56, v55
	v_sub_f32_e32 v53, v53, v55
	v_add_f32_e32 v57, v54, v56
	s_delay_alu instid0(VALU_DEP_1) | instskip(NEXT) | instid1(VALU_DEP_1)
	v_sub_f32_e32 v59, v57, v54
	v_sub_f32_e32 v55, v56, v59
	s_delay_alu instid0(VALU_DEP_4) | instskip(SKIP_1) | instid1(VALU_DEP_1)
	v_add_f32_e32 v56, v52, v53
	v_sub_f32_e32 v60, v57, v59
	v_sub_f32_e32 v54, v54, v60
	s_delay_alu instid0(VALU_DEP_1) | instskip(NEXT) | instid1(VALU_DEP_1)
	v_dual_add_f32 v54, v55, v54 :: v_dual_sub_f32 v55, v56, v52
	v_dual_add_f32 v54, v56, v54 :: v_dual_sub_f32 v53, v53, v55
	v_sub_f32_e32 v56, v56, v55
	s_delay_alu instid0(VALU_DEP_2) | instskip(NEXT) | instid1(VALU_DEP_1)
	v_add_f32_e32 v58, v57, v54
	v_dual_sub_f32 v52, v52, v56 :: v_dual_sub_f32 v55, v58, v57
	s_delay_alu instid0(VALU_DEP_1) | instskip(NEXT) | instid1(VALU_DEP_1)
	v_dual_add_f32 v52, v53, v52 :: v_dual_sub_f32 v53, v54, v55
	v_add_f32_e32 v52, v52, v53
	s_delay_alu instid0(VALU_DEP_1) | instskip(SKIP_1) | instid1(VALU_DEP_1)
	v_add_f32_e32 v52, v58, v52
	s_wait_alu 0xfffd
	v_cndmask_b32_e32 v52, 0x7f800000, v52, vcc_lo
	v_cmp_gt_f32_e64 vcc_lo, 0x33800000, |v5|
	s_wait_alu 0xfffd
	s_delay_alu instid0(VALU_DEP_2) | instskip(NEXT) | instid1(VALU_DEP_1)
	v_cndmask_b32_e32 v5, v52, v5, vcc_lo
	v_add_f32_e32 v5, v4, v5
.LBB508_127:
	s_wait_alu 0xfffe
	s_or_b32 exec_lo, exec_lo, s17
	s_delay_alu instid0(VALU_DEP_1) | instskip(SKIP_1) | instid1(VALU_DEP_2)
	v_bfe_u32 v4, v5, 16, 1
	v_cmp_o_f32_e32 vcc_lo, v5, v5
	v_add3_u32 v4, v5, v4, 0x7fff
	s_delay_alu instid0(VALU_DEP_1) | instskip(SKIP_1) | instid1(VALU_DEP_1)
	v_lshrrev_b32_e32 v4, 16, v4
	s_wait_alu 0xfffd
	v_cndmask_b32_e32 v5, 0x7fc0, v4, vcc_lo
	s_delay_alu instid0(VALU_DEP_1)
	v_and_b32_e32 v4, 0xffff, v5
.LBB508_128:
	s_wait_alu 0xfffe
	s_or_b32 exec_lo, exec_lo, s16
	v_cmp_gt_u32_e32 vcc_lo, 24, v44
	v_add_nc_u32_e32 v53, 8, v44
	s_mov_b32 s16, exec_lo
	s_wait_dscnt 0x0
	s_wait_alu 0xfffd
	v_cndmask_b32_e64 v52, 0, 8, vcc_lo
	s_delay_alu instid0(VALU_DEP_1)
	v_add_lshl_u32 v52, v52, v44, 2
	ds_bpermute_b32 v54, v52, v4
	v_cmpx_le_u32_e64 v53, v3
	s_cbranch_execz .LBB508_132
; %bb.129:
	s_wait_dscnt 0x0
	v_lshlrev_b32_e32 v5, 16, v54
	s_delay_alu instid0(VALU_DEP_1) | instskip(NEXT) | instid1(VALU_DEP_1)
	v_dual_max_num_f32 v55, v5, v5 :: v_dual_lshlrev_b32 v4, 16, v4
	v_max_num_f32_e32 v54, v4, v4
	v_cmp_u_f32_e32 vcc_lo, v5, v5
	s_delay_alu instid0(VALU_DEP_2) | instskip(SKIP_1) | instid1(VALU_DEP_1)
	v_min_num_f32_e32 v56, v55, v54
	s_wait_alu 0xfffd
	v_dual_max_num_f32 v54, v55, v54 :: v_dual_cndmask_b32 v55, v56, v5
	s_delay_alu instid0(VALU_DEP_1) | instskip(SKIP_2) | instid1(VALU_DEP_3)
	v_cndmask_b32_e32 v56, v54, v5, vcc_lo
	v_cmp_u_f32_e32 vcc_lo, v4, v4
	s_wait_alu 0xfffd
	v_cndmask_b32_e32 v54, v55, v4, vcc_lo
	s_delay_alu instid0(VALU_DEP_3) | instskip(NEXT) | instid1(VALU_DEP_2)
	v_cndmask_b32_e32 v4, v56, v4, vcc_lo
	v_cmp_class_f32_e64 s17, v54, 0x1f8
	s_delay_alu instid0(VALU_DEP_2)
	v_cmp_neq_f32_e32 vcc_lo, v54, v4
	s_or_b32 s37, vcc_lo, s17
	s_wait_alu 0xfffe
	s_and_saveexec_b32 s17, s37
	s_cbranch_execz .LBB508_131
; %bb.130:
	v_sub_f32_e32 v5, v54, v4
	s_mov_b32 s37, 0x3e9b6dac
	s_delay_alu instid0(VALU_DEP_1) | instskip(SKIP_1) | instid1(VALU_DEP_2)
	v_mul_f32_e32 v54, 0x3fb8aa3b, v5
	v_cmp_ngt_f32_e32 vcc_lo, 0xc2ce8ed0, v5
	v_fma_f32 v55, 0x3fb8aa3b, v5, -v54
	v_rndne_f32_e32 v56, v54
	s_delay_alu instid0(VALU_DEP_1) | instskip(NEXT) | instid1(VALU_DEP_1)
	v_dual_fmamk_f32 v55, v5, 0x32a5705f, v55 :: v_dual_sub_f32 v54, v54, v56
	v_add_f32_e32 v54, v54, v55
	v_cvt_i32_f32_e32 v55, v56
	s_delay_alu instid0(VALU_DEP_2) | instskip(NEXT) | instid1(TRANS32_DEP_1)
	v_exp_f32_e32 v54, v54
	v_ldexp_f32 v54, v54, v55
	s_wait_alu 0xfffd
	s_delay_alu instid0(VALU_DEP_1) | instskip(SKIP_2) | instid1(VALU_DEP_2)
	v_cndmask_b32_e32 v54, 0, v54, vcc_lo
	v_cmp_nlt_f32_e32 vcc_lo, 0x42b17218, v5
	s_wait_alu 0xfffd
	v_cndmask_b32_e32 v5, 0x7f800000, v54, vcc_lo
	s_delay_alu instid0(VALU_DEP_1) | instskip(NEXT) | instid1(VALU_DEP_1)
	v_add_f32_e32 v56, 1.0, v5
	v_cvt_f64_f32_e32 v[54:55], v56
	s_delay_alu instid0(VALU_DEP_1) | instskip(SKIP_1) | instid1(VALU_DEP_1)
	v_frexp_exp_i32_f64_e32 v54, v[54:55]
	v_frexp_mant_f32_e32 v55, v56
	v_cmp_gt_f32_e32 vcc_lo, 0x3f2aaaab, v55
	v_add_f32_e32 v55, -1.0, v56
	s_delay_alu instid0(VALU_DEP_1) | instskip(SKIP_3) | instid1(VALU_DEP_2)
	v_dual_sub_f32 v58, v55, v56 :: v_dual_sub_f32 v55, v5, v55
	s_wait_alu 0xfffd
	v_subrev_co_ci_u32_e64 v54, null, 0, v54, vcc_lo
	v_cmp_neq_f32_e32 vcc_lo, 0x7f800000, v5
	v_sub_nc_u32_e32 v57, 0, v54
	v_cvt_f32_i32_e32 v54, v54
	s_delay_alu instid0(VALU_DEP_2) | instskip(NEXT) | instid1(VALU_DEP_1)
	v_ldexp_f32 v56, v56, v57
	v_dual_add_f32 v58, 1.0, v58 :: v_dual_add_f32 v59, 1.0, v56
	s_delay_alu instid0(VALU_DEP_1) | instskip(NEXT) | instid1(VALU_DEP_1)
	v_dual_add_f32 v55, v55, v58 :: v_dual_add_f32 v58, -1.0, v59
	v_ldexp_f32 v55, v55, v57
	s_delay_alu instid0(VALU_DEP_2) | instskip(NEXT) | instid1(VALU_DEP_1)
	v_dual_add_f32 v57, -1.0, v56 :: v_dual_sub_f32 v58, v56, v58
	v_add_f32_e32 v60, 1.0, v57
	s_delay_alu instid0(VALU_DEP_2) | instskip(NEXT) | instid1(VALU_DEP_2)
	v_add_f32_e32 v58, v55, v58
	v_sub_f32_e32 v56, v56, v60
	s_delay_alu instid0(VALU_DEP_1) | instskip(NEXT) | instid1(VALU_DEP_1)
	v_add_f32_e32 v55, v55, v56
	v_dual_add_f32 v61, v57, v55 :: v_dual_add_f32 v60, v59, v58
	s_delay_alu instid0(VALU_DEP_1) | instskip(NEXT) | instid1(VALU_DEP_2)
	v_sub_f32_e32 v57, v57, v61
	v_rcp_f32_e32 v56, v60
	v_sub_f32_e32 v59, v59, v60
	s_delay_alu instid0(VALU_DEP_1) | instskip(NEXT) | instid1(TRANS32_DEP_1)
	v_dual_add_f32 v55, v55, v57 :: v_dual_add_f32 v58, v58, v59
	v_mul_f32_e32 v62, v61, v56
	s_delay_alu instid0(VALU_DEP_1) | instskip(NEXT) | instid1(VALU_DEP_1)
	v_mul_f32_e32 v63, v60, v62
	v_fma_f32 v59, v62, v60, -v63
	s_delay_alu instid0(VALU_DEP_1) | instskip(NEXT) | instid1(VALU_DEP_1)
	v_fmac_f32_e32 v59, v62, v58
	v_add_f32_e32 v64, v63, v59
	s_delay_alu instid0(VALU_DEP_1) | instskip(NEXT) | instid1(VALU_DEP_1)
	v_sub_f32_e32 v65, v61, v64
	v_sub_f32_e32 v61, v61, v65
	;; [unrolled: 1-line block ×3, first 2 shown]
	s_delay_alu instid0(VALU_DEP_2) | instskip(NEXT) | instid1(VALU_DEP_2)
	v_sub_f32_e32 v61, v61, v64
	v_sub_f32_e32 v57, v57, v59
	s_delay_alu instid0(VALU_DEP_2) | instskip(NEXT) | instid1(VALU_DEP_1)
	v_add_f32_e32 v55, v55, v61
	v_add_f32_e32 v55, v57, v55
	s_delay_alu instid0(VALU_DEP_1) | instskip(NEXT) | instid1(VALU_DEP_1)
	v_add_f32_e32 v57, v65, v55
	v_mul_f32_e32 v59, v56, v57
	s_delay_alu instid0(VALU_DEP_1) | instskip(NEXT) | instid1(VALU_DEP_1)
	v_dual_sub_f32 v64, v65, v57 :: v_dual_mul_f32 v61, v60, v59
	v_add_f32_e32 v55, v55, v64
	s_delay_alu instid0(VALU_DEP_2) | instskip(NEXT) | instid1(VALU_DEP_1)
	v_fma_f32 v60, v59, v60, -v61
	v_fmac_f32_e32 v60, v59, v58
	s_delay_alu instid0(VALU_DEP_1) | instskip(NEXT) | instid1(VALU_DEP_1)
	v_add_f32_e32 v58, v61, v60
	v_sub_f32_e32 v63, v57, v58
	v_sub_f32_e32 v61, v58, v61
	s_delay_alu instid0(VALU_DEP_2) | instskip(NEXT) | instid1(VALU_DEP_1)
	v_sub_f32_e32 v57, v57, v63
	v_sub_f32_e32 v57, v57, v58
	s_delay_alu instid0(VALU_DEP_1) | instskip(SKIP_1) | instid1(VALU_DEP_1)
	v_dual_sub_f32 v58, v61, v60 :: v_dual_add_f32 v55, v55, v57
	v_add_f32_e32 v57, v62, v59
	v_dual_add_f32 v55, v58, v55 :: v_dual_sub_f32 v58, v57, v62
	s_delay_alu instid0(VALU_DEP_1) | instskip(NEXT) | instid1(VALU_DEP_1)
	v_add_f32_e32 v55, v63, v55
	v_dual_sub_f32 v58, v59, v58 :: v_dual_mul_f32 v55, v56, v55
	s_delay_alu instid0(VALU_DEP_1) | instskip(NEXT) | instid1(VALU_DEP_1)
	v_add_f32_e32 v55, v58, v55
	v_add_f32_e32 v56, v57, v55
	s_delay_alu instid0(VALU_DEP_1) | instskip(SKIP_1) | instid1(VALU_DEP_1)
	v_mul_f32_e32 v58, v56, v56
	s_wait_alu 0xfffe
	v_fmaak_f32 v59, s37, v58, 0x3ecc95a3
	v_mul_f32_e32 v60, v56, v58
	s_delay_alu instid0(VALU_DEP_2) | instskip(SKIP_2) | instid1(VALU_DEP_3)
	v_fmaak_f32 v58, v58, v59, 0x3f2aaada
	v_ldexp_f32 v59, v56, 1
	v_sub_f32_e32 v56, v56, v57
	v_mul_f32_e32 v58, v60, v58
	s_delay_alu instid0(VALU_DEP_2) | instskip(NEXT) | instid1(VALU_DEP_2)
	v_dual_mul_f32 v60, 0x3f317218, v54 :: v_dual_sub_f32 v55, v55, v56
	v_add_f32_e32 v57, v59, v58
	s_delay_alu instid0(VALU_DEP_2) | instskip(NEXT) | instid1(VALU_DEP_2)
	v_ldexp_f32 v55, v55, 1
	v_sub_f32_e32 v56, v57, v59
	s_delay_alu instid0(VALU_DEP_4) | instskip(NEXT) | instid1(VALU_DEP_2)
	v_fma_f32 v59, 0x3f317218, v54, -v60
	v_sub_f32_e32 v56, v58, v56
	s_delay_alu instid0(VALU_DEP_1) | instskip(NEXT) | instid1(VALU_DEP_1)
	v_dual_fmamk_f32 v54, v54, 0xb102e308, v59 :: v_dual_add_f32 v55, v55, v56
	v_add_f32_e32 v56, v60, v54
	s_delay_alu instid0(VALU_DEP_1) | instskip(NEXT) | instid1(VALU_DEP_1)
	v_sub_f32_e32 v60, v56, v60
	v_sub_f32_e32 v54, v54, v60
	s_delay_alu instid0(VALU_DEP_4) | instskip(NEXT) | instid1(VALU_DEP_1)
	v_add_f32_e32 v58, v57, v55
	v_sub_f32_e32 v57, v58, v57
	s_delay_alu instid0(VALU_DEP_1) | instskip(SKIP_1) | instid1(VALU_DEP_1)
	v_sub_f32_e32 v55, v55, v57
	v_add_f32_e32 v59, v56, v58
	v_sub_f32_e32 v61, v59, v56
	s_delay_alu instid0(VALU_DEP_1) | instskip(NEXT) | instid1(VALU_DEP_4)
	v_sub_f32_e32 v57, v58, v61
	v_add_f32_e32 v58, v54, v55
	v_sub_f32_e32 v62, v59, v61
	s_delay_alu instid0(VALU_DEP_1) | instskip(NEXT) | instid1(VALU_DEP_1)
	v_sub_f32_e32 v56, v56, v62
	v_dual_add_f32 v56, v57, v56 :: v_dual_sub_f32 v57, v58, v54
	s_delay_alu instid0(VALU_DEP_1) | instskip(SKIP_1) | instid1(VALU_DEP_2)
	v_dual_add_f32 v56, v58, v56 :: v_dual_sub_f32 v55, v55, v57
	v_sub_f32_e32 v58, v58, v57
	v_add_f32_e32 v60, v59, v56
	s_delay_alu instid0(VALU_DEP_1) | instskip(NEXT) | instid1(VALU_DEP_1)
	v_dual_sub_f32 v54, v54, v58 :: v_dual_sub_f32 v57, v60, v59
	v_dual_add_f32 v54, v55, v54 :: v_dual_sub_f32 v55, v56, v57
	s_delay_alu instid0(VALU_DEP_1) | instskip(NEXT) | instid1(VALU_DEP_1)
	v_add_f32_e32 v54, v54, v55
	v_add_f32_e32 v54, v60, v54
	s_wait_alu 0xfffd
	s_delay_alu instid0(VALU_DEP_1) | instskip(SKIP_2) | instid1(VALU_DEP_2)
	v_cndmask_b32_e32 v54, 0x7f800000, v54, vcc_lo
	v_cmp_gt_f32_e64 vcc_lo, 0x33800000, |v5|
	s_wait_alu 0xfffd
	v_cndmask_b32_e32 v5, v54, v5, vcc_lo
	s_delay_alu instid0(VALU_DEP_1)
	v_add_f32_e32 v5, v4, v5
.LBB508_131:
	s_wait_alu 0xfffe
	s_or_b32 exec_lo, exec_lo, s17
	s_delay_alu instid0(VALU_DEP_1) | instskip(SKIP_1) | instid1(VALU_DEP_2)
	v_bfe_u32 v4, v5, 16, 1
	v_cmp_o_f32_e32 vcc_lo, v5, v5
	v_add3_u32 v4, v5, v4, 0x7fff
	s_delay_alu instid0(VALU_DEP_1) | instskip(SKIP_1) | instid1(VALU_DEP_1)
	v_lshrrev_b32_e32 v4, 16, v4
	s_wait_alu 0xfffd
	v_cndmask_b32_e32 v5, 0x7fc0, v4, vcc_lo
	s_delay_alu instid0(VALU_DEP_1)
	v_and_b32_e32 v4, 0xffff, v5
.LBB508_132:
	s_wait_alu 0xfffe
	s_or_b32 exec_lo, exec_lo, s16
	v_lshl_or_b32 v55, v44, 2, 64
	v_add_nc_u32_e32 v56, 16, v44
	s_mov_b32 s16, exec_lo
	s_wait_dscnt 0x0
	ds_bpermute_b32 v54, v55, v4
	v_cmpx_le_u32_e64 v56, v3
	s_cbranch_execz .LBB508_136
; %bb.133:
	v_lshlrev_b32_e32 v3, 16, v4
	s_wait_dscnt 0x0
	s_delay_alu instid0(VALU_DEP_1) | instskip(NEXT) | instid1(VALU_DEP_1)
	v_dual_max_num_f32 v5, v3, v3 :: v_dual_lshlrev_b32 v4, 16, v54
	v_max_num_f32_e32 v54, v4, v4
	v_cmp_u_f32_e32 vcc_lo, v4, v4
	s_delay_alu instid0(VALU_DEP_2) | instskip(SKIP_1) | instid1(VALU_DEP_1)
	v_min_num_f32_e32 v57, v54, v5
	s_wait_alu 0xfffd
	v_dual_max_num_f32 v5, v54, v5 :: v_dual_cndmask_b32 v54, v57, v4
	s_delay_alu instid0(VALU_DEP_1) | instskip(SKIP_2) | instid1(VALU_DEP_3)
	v_cndmask_b32_e32 v57, v5, v4, vcc_lo
	v_cmp_u_f32_e32 vcc_lo, v3, v3
	s_wait_alu 0xfffd
	v_cndmask_b32_e32 v5, v54, v3, vcc_lo
	s_delay_alu instid0(VALU_DEP_3) | instskip(NEXT) | instid1(VALU_DEP_2)
	v_cndmask_b32_e32 v3, v57, v3, vcc_lo
	v_cmp_class_f32_e64 s17, v5, 0x1f8
	s_delay_alu instid0(VALU_DEP_2)
	v_cmp_neq_f32_e32 vcc_lo, v5, v3
	s_or_b32 s37, vcc_lo, s17
	s_wait_alu 0xfffe
	s_and_saveexec_b32 s17, s37
	s_cbranch_execz .LBB508_135
; %bb.134:
	v_sub_f32_e32 v4, v5, v3
	s_mov_b32 s37, 0x3e9b6dac
	s_delay_alu instid0(VALU_DEP_1) | instskip(SKIP_1) | instid1(VALU_DEP_2)
	v_mul_f32_e32 v5, 0x3fb8aa3b, v4
	v_cmp_ngt_f32_e32 vcc_lo, 0xc2ce8ed0, v4
	v_fma_f32 v54, 0x3fb8aa3b, v4, -v5
	v_rndne_f32_e32 v57, v5
	s_delay_alu instid0(VALU_DEP_1) | instskip(NEXT) | instid1(VALU_DEP_1)
	v_dual_fmamk_f32 v54, v4, 0x32a5705f, v54 :: v_dual_sub_f32 v5, v5, v57
	v_add_f32_e32 v5, v5, v54
	v_cvt_i32_f32_e32 v54, v57
	s_delay_alu instid0(VALU_DEP_2) | instskip(NEXT) | instid1(TRANS32_DEP_1)
	v_exp_f32_e32 v5, v5
	v_ldexp_f32 v5, v5, v54
	s_wait_alu 0xfffd
	s_delay_alu instid0(VALU_DEP_1) | instskip(SKIP_2) | instid1(VALU_DEP_2)
	v_cndmask_b32_e32 v5, 0, v5, vcc_lo
	v_cmp_nlt_f32_e32 vcc_lo, 0x42b17218, v4
	s_wait_alu 0xfffd
	v_cndmask_b32_e32 v54, 0x7f800000, v5, vcc_lo
	s_delay_alu instid0(VALU_DEP_1) | instskip(NEXT) | instid1(VALU_DEP_1)
	v_add_f32_e32 v57, 1.0, v54
	v_cvt_f64_f32_e32 v[4:5], v57
	s_delay_alu instid0(VALU_DEP_1) | instskip(SKIP_1) | instid1(VALU_DEP_1)
	v_frexp_exp_i32_f64_e32 v4, v[4:5]
	v_frexp_mant_f32_e32 v5, v57
	v_cmp_gt_f32_e32 vcc_lo, 0x3f2aaaab, v5
	v_add_f32_e32 v5, -1.0, v57
	s_delay_alu instid0(VALU_DEP_1) | instskip(NEXT) | instid1(VALU_DEP_1)
	v_sub_f32_e32 v59, v5, v57
	v_add_f32_e32 v59, 1.0, v59
	v_sub_f32_e32 v5, v54, v5
	s_wait_alu 0xfffd
	v_subrev_co_ci_u32_e64 v4, null, 0, v4, vcc_lo
	v_cmp_neq_f32_e32 vcc_lo, 0x7f800000, v54
	s_delay_alu instid0(VALU_DEP_2) | instskip(SKIP_1) | instid1(VALU_DEP_2)
	v_sub_nc_u32_e32 v58, 0, v4
	v_cvt_f32_i32_e32 v4, v4
	v_ldexp_f32 v57, v57, v58
	s_delay_alu instid0(VALU_DEP_1) | instskip(NEXT) | instid1(VALU_DEP_1)
	v_dual_add_f32 v60, 1.0, v57 :: v_dual_add_f32 v5, v5, v59
	v_add_f32_e32 v59, -1.0, v60
	s_delay_alu instid0(VALU_DEP_2) | instskip(NEXT) | instid1(VALU_DEP_2)
	v_ldexp_f32 v5, v5, v58
	v_dual_add_f32 v58, -1.0, v57 :: v_dual_sub_f32 v59, v57, v59
	s_delay_alu instid0(VALU_DEP_1) | instskip(NEXT) | instid1(VALU_DEP_2)
	v_add_f32_e32 v61, 1.0, v58
	v_add_f32_e32 v59, v5, v59
	s_delay_alu instid0(VALU_DEP_2) | instskip(NEXT) | instid1(VALU_DEP_2)
	v_sub_f32_e32 v57, v57, v61
	v_add_f32_e32 v61, v60, v59
	s_delay_alu instid0(VALU_DEP_2) | instskip(NEXT) | instid1(VALU_DEP_2)
	v_add_f32_e32 v5, v5, v57
	v_rcp_f32_e32 v57, v61
	v_sub_f32_e32 v60, v60, v61
	s_delay_alu instid0(VALU_DEP_1) | instskip(NEXT) | instid1(VALU_DEP_1)
	v_dual_add_f32 v62, v58, v5 :: v_dual_add_f32 v59, v59, v60
	v_sub_f32_e32 v58, v58, v62
	s_delay_alu instid0(TRANS32_DEP_1) | instskip(NEXT) | instid1(VALU_DEP_2)
	v_mul_f32_e32 v63, v62, v57
	v_add_f32_e32 v5, v5, v58
	s_delay_alu instid0(VALU_DEP_2) | instskip(NEXT) | instid1(VALU_DEP_1)
	v_mul_f32_e32 v64, v61, v63
	v_fma_f32 v60, v63, v61, -v64
	s_delay_alu instid0(VALU_DEP_1) | instskip(NEXT) | instid1(VALU_DEP_1)
	v_fmac_f32_e32 v60, v63, v59
	v_add_f32_e32 v65, v64, v60
	s_delay_alu instid0(VALU_DEP_1) | instskip(SKIP_1) | instid1(VALU_DEP_2)
	v_sub_f32_e32 v66, v62, v65
	v_sub_f32_e32 v58, v65, v64
	;; [unrolled: 1-line block ×3, first 2 shown]
	s_delay_alu instid0(VALU_DEP_2) | instskip(NEXT) | instid1(VALU_DEP_2)
	v_sub_f32_e32 v58, v58, v60
	v_sub_f32_e32 v62, v62, v65
	s_delay_alu instid0(VALU_DEP_1) | instskip(NEXT) | instid1(VALU_DEP_1)
	v_add_f32_e32 v5, v5, v62
	v_add_f32_e32 v5, v58, v5
	s_delay_alu instid0(VALU_DEP_1) | instskip(NEXT) | instid1(VALU_DEP_1)
	v_add_f32_e32 v58, v66, v5
	v_mul_f32_e32 v60, v57, v58
	s_delay_alu instid0(VALU_DEP_1) | instskip(NEXT) | instid1(VALU_DEP_1)
	v_dual_sub_f32 v65, v66, v58 :: v_dual_mul_f32 v62, v61, v60
	v_add_f32_e32 v5, v5, v65
	s_delay_alu instid0(VALU_DEP_2) | instskip(NEXT) | instid1(VALU_DEP_1)
	v_fma_f32 v61, v60, v61, -v62
	v_fmac_f32_e32 v61, v60, v59
	s_delay_alu instid0(VALU_DEP_1) | instskip(NEXT) | instid1(VALU_DEP_1)
	v_add_f32_e32 v59, v62, v61
	v_sub_f32_e32 v64, v58, v59
	v_sub_f32_e32 v62, v59, v62
	s_delay_alu instid0(VALU_DEP_2) | instskip(NEXT) | instid1(VALU_DEP_1)
	v_sub_f32_e32 v58, v58, v64
	v_sub_f32_e32 v58, v58, v59
	s_delay_alu instid0(VALU_DEP_1) | instskip(NEXT) | instid1(VALU_DEP_4)
	v_dual_add_f32 v5, v5, v58 :: v_dual_add_f32 v58, v63, v60
	v_sub_f32_e32 v59, v62, v61
	s_delay_alu instid0(VALU_DEP_1) | instskip(NEXT) | instid1(VALU_DEP_3)
	v_add_f32_e32 v5, v59, v5
	v_sub_f32_e32 v59, v58, v63
	s_delay_alu instid0(VALU_DEP_2) | instskip(NEXT) | instid1(VALU_DEP_2)
	v_add_f32_e32 v5, v64, v5
	v_sub_f32_e32 v59, v60, v59
	s_delay_alu instid0(VALU_DEP_2) | instskip(NEXT) | instid1(VALU_DEP_1)
	v_mul_f32_e32 v5, v57, v5
	v_add_f32_e32 v5, v59, v5
	s_delay_alu instid0(VALU_DEP_1) | instskip(NEXT) | instid1(VALU_DEP_1)
	v_add_f32_e32 v57, v58, v5
	v_mul_f32_e32 v59, v57, v57
	s_wait_alu 0xfffe
	s_delay_alu instid0(VALU_DEP_1) | instskip(SKIP_1) | instid1(VALU_DEP_2)
	v_fmaak_f32 v60, s37, v59, 0x3ecc95a3
	v_mul_f32_e32 v61, v57, v59
	v_fmaak_f32 v59, v59, v60, 0x3f2aaada
	v_ldexp_f32 v60, v57, 1
	v_sub_f32_e32 v57, v57, v58
	s_delay_alu instid0(VALU_DEP_3) | instskip(SKIP_1) | instid1(VALU_DEP_2)
	v_mul_f32_e32 v59, v61, v59
	v_mul_f32_e32 v61, 0x3f317218, v4
	v_dual_sub_f32 v5, v5, v57 :: v_dual_add_f32 v58, v60, v59
	s_delay_alu instid0(VALU_DEP_1) | instskip(NEXT) | instid1(VALU_DEP_2)
	v_ldexp_f32 v5, v5, 1
	v_sub_f32_e32 v57, v58, v60
	s_delay_alu instid0(VALU_DEP_4) | instskip(NEXT) | instid1(VALU_DEP_1)
	v_fma_f32 v60, 0x3f317218, v4, -v61
	v_dual_sub_f32 v57, v59, v57 :: v_dual_fmamk_f32 v4, v4, 0xb102e308, v60
	s_delay_alu instid0(VALU_DEP_1) | instskip(NEXT) | instid1(VALU_DEP_2)
	v_add_f32_e32 v5, v5, v57
	v_add_f32_e32 v57, v61, v4
	s_delay_alu instid0(VALU_DEP_2) | instskip(NEXT) | instid1(VALU_DEP_2)
	v_add_f32_e32 v59, v58, v5
	v_sub_f32_e32 v61, v57, v61
	s_delay_alu instid0(VALU_DEP_2) | instskip(SKIP_1) | instid1(VALU_DEP_3)
	v_add_f32_e32 v60, v57, v59
	v_sub_f32_e32 v58, v59, v58
	v_sub_f32_e32 v4, v4, v61
	s_delay_alu instid0(VALU_DEP_2) | instskip(NEXT) | instid1(VALU_DEP_1)
	v_dual_sub_f32 v62, v60, v57 :: v_dual_sub_f32 v5, v5, v58
	v_sub_f32_e32 v63, v60, v62
	s_delay_alu instid0(VALU_DEP_2) | instskip(NEXT) | instid1(VALU_DEP_2)
	v_dual_sub_f32 v58, v59, v62 :: v_dual_add_f32 v59, v4, v5
	v_sub_f32_e32 v57, v57, v63
	s_delay_alu instid0(VALU_DEP_1) | instskip(NEXT) | instid1(VALU_DEP_1)
	v_dual_add_f32 v57, v58, v57 :: v_dual_sub_f32 v58, v59, v4
	v_add_f32_e32 v57, v59, v57
	s_delay_alu instid0(VALU_DEP_2) | instskip(SKIP_1) | instid1(VALU_DEP_3)
	v_sub_f32_e32 v59, v59, v58
	v_sub_f32_e32 v5, v5, v58
	v_add_f32_e32 v61, v60, v57
	s_delay_alu instid0(VALU_DEP_3) | instskip(NEXT) | instid1(VALU_DEP_2)
	v_sub_f32_e32 v4, v4, v59
	v_sub_f32_e32 v58, v61, v60
	s_delay_alu instid0(VALU_DEP_2) | instskip(NEXT) | instid1(VALU_DEP_2)
	v_add_f32_e32 v4, v5, v4
	v_sub_f32_e32 v5, v57, v58
	s_delay_alu instid0(VALU_DEP_1) | instskip(NEXT) | instid1(VALU_DEP_1)
	v_add_f32_e32 v4, v4, v5
	v_add_f32_e32 v4, v61, v4
	s_wait_alu 0xfffd
	s_delay_alu instid0(VALU_DEP_1) | instskip(SKIP_2) | instid1(VALU_DEP_2)
	v_cndmask_b32_e32 v4, 0x7f800000, v4, vcc_lo
	v_cmp_gt_f32_e64 vcc_lo, 0x33800000, |v54|
	s_wait_alu 0xfffd
	v_cndmask_b32_e32 v4, v4, v54, vcc_lo
	s_delay_alu instid0(VALU_DEP_1)
	v_add_f32_e32 v4, v3, v4
.LBB508_135:
	s_wait_alu 0xfffe
	s_or_b32 exec_lo, exec_lo, s17
	s_delay_alu instid0(VALU_DEP_1) | instskip(SKIP_1) | instid1(VALU_DEP_2)
	v_bfe_u32 v3, v4, 16, 1
	v_cmp_o_f32_e32 vcc_lo, v4, v4
	v_add3_u32 v3, v4, v3, 0x7fff
	s_delay_alu instid0(VALU_DEP_1) | instskip(SKIP_1) | instid1(VALU_DEP_1)
	v_lshrrev_b32_e32 v3, 16, v3
	s_wait_alu 0xfffd
	v_cndmask_b32_e32 v5, 0x7fc0, v3, vcc_lo
.LBB508_136:
	s_wait_alu 0xfffe
	s_or_b32 exec_lo, exec_lo, s16
	v_mov_b32_e32 v3, 0
	s_mov_b32 s16, 0x3e9b6dac
	s_branch .LBB508_139
.LBB508_137:                            ;   in Loop: Header=BB508_139 Depth=1
	s_wait_alu 0xfffe
	s_or_b32 exec_lo, exec_lo, s17
	s_delay_alu instid0(VALU_DEP_1) | instskip(SKIP_3) | instid1(VALU_DEP_3)
	v_bfe_u32 v4, v5, 16, 1
	v_cmp_o_f32_e32 vcc_lo, v5, v5
	v_subrev_nc_u32_e32 v2, 32, v2
	s_mov_b32 s17, 0
	v_add3_u32 v4, v5, v4, 0x7fff
	s_delay_alu instid0(VALU_DEP_1) | instskip(SKIP_1) | instid1(VALU_DEP_1)
	v_lshrrev_b32_e32 v4, 16, v4
	s_wait_alu 0xfffd
	v_cndmask_b32_e32 v5, 0x7fc0, v4, vcc_lo
.LBB508_138:                            ;   in Loop: Header=BB508_139 Depth=1
	s_wait_alu 0xfffe
	s_and_b32 vcc_lo, exec_lo, s17
	s_wait_alu 0xfffe
	s_cbranch_vccnz .LBB508_167
.LBB508_139:                            ; =>This Loop Header: Depth=1
                                        ;     Child Loop BB508_142 Depth 2
	v_and_b32_e32 v4, 0xff, v45
	s_wait_dscnt 0x0
	v_mov_b32_e32 v54, v5
	s_mov_b32 s17, -1
                                        ; implicit-def: $vgpr5
                                        ; implicit-def: $vgpr45
	s_delay_alu instid0(VALU_DEP_2)
	v_cmp_ne_u16_e32 vcc_lo, 2, v4
	s_cmp_lg_u32 vcc_lo, exec_lo
	s_cbranch_scc1 .LBB508_138
; %bb.140:                              ;   in Loop: Header=BB508_139 Depth=1
	v_lshlrev_b64_e32 v[4:5], 2, v[2:3]
	s_mov_b32 s17, exec_lo
	s_delay_alu instid0(VALU_DEP_1) | instskip(SKIP_1) | instid1(VALU_DEP_2)
	v_add_co_u32 v4, vcc_lo, s28, v4
	s_wait_alu 0xfffd
	v_add_co_ci_u32_e64 v5, null, s29, v5, vcc_lo
	global_load_b32 v57, v[4:5], off scope:SCOPE_DEV
	s_wait_loadcnt 0x0
	v_lshrrev_b32_e32 v45, 16, v57
	s_delay_alu instid0(VALU_DEP_1) | instskip(NEXT) | instid1(VALU_DEP_1)
	v_and_b32_e32 v58, 0xff, v45
	v_cmpx_eq_u16_e32 0, v58
	s_cbranch_execz .LBB508_144
; %bb.141:                              ;   in Loop: Header=BB508_139 Depth=1
	s_mov_b32 s37, 0
.LBB508_142:                            ;   Parent Loop BB508_139 Depth=1
                                        ; =>  This Inner Loop Header: Depth=2
	global_load_b32 v57, v[4:5], off scope:SCOPE_DEV
	s_wait_loadcnt 0x0
	v_lshrrev_b32_e32 v45, 16, v57
	s_delay_alu instid0(VALU_DEP_1) | instskip(NEXT) | instid1(VALU_DEP_1)
	v_and_b32_e32 v58, 0xff, v45
	v_cmp_ne_u16_e32 vcc_lo, 0, v58
	s_wait_alu 0xfffe
	s_or_b32 s37, vcc_lo, s37
	s_wait_alu 0xfffe
	s_and_not1_b32 exec_lo, exec_lo, s37
	s_cbranch_execnz .LBB508_142
; %bb.143:                              ;   in Loop: Header=BB508_139 Depth=1
	s_or_b32 exec_lo, exec_lo, s37
.LBB508_144:                            ;   in Loop: Header=BB508_139 Depth=1
	s_wait_alu 0xfffe
	s_or_b32 exec_lo, exec_lo, s17
	v_and_b32_e32 v5, 0xffff, v57
	v_and_b32_e32 v4, 0xff, v45
	s_mov_b32 s17, exec_lo
	ds_bpermute_b32 v58, v46, v5
	v_cmp_eq_u16_e32 vcc_lo, 2, v4
	s_wait_alu 0xfffd
	v_and_or_b32 v4, vcc_lo, v47, 0x80000000
	s_delay_alu instid0(VALU_DEP_1) | instskip(NEXT) | instid1(VALU_DEP_1)
	v_ctz_i32_b32_e32 v4, v4
	v_cmpx_lt_u32_e64 v44, v4
	s_cbranch_execz .LBB508_148
; %bb.145:                              ;   in Loop: Header=BB508_139 Depth=1
	s_wait_dscnt 0x0
	v_lshlrev_b32_e32 v57, 16, v58
	s_delay_alu instid0(VALU_DEP_1) | instskip(SKIP_1) | instid1(VALU_DEP_1)
	v_max_num_f32_e32 v59, v57, v57
	v_lshlrev_b32_e32 v5, 16, v5
	v_max_num_f32_e32 v58, v5, v5
	v_cmp_u_f32_e32 vcc_lo, v57, v57
	s_delay_alu instid0(VALU_DEP_2) | instskip(SKIP_1) | instid1(VALU_DEP_1)
	v_min_num_f32_e32 v60, v59, v58
	s_wait_alu 0xfffd
	v_dual_max_num_f32 v58, v59, v58 :: v_dual_cndmask_b32 v59, v60, v57
	s_delay_alu instid0(VALU_DEP_1) | instskip(SKIP_2) | instid1(VALU_DEP_3)
	v_cndmask_b32_e32 v60, v58, v57, vcc_lo
	v_cmp_u_f32_e32 vcc_lo, v5, v5
	s_wait_alu 0xfffd
	v_cndmask_b32_e32 v58, v59, v5, vcc_lo
	s_delay_alu instid0(VALU_DEP_3) | instskip(NEXT) | instid1(VALU_DEP_2)
	v_cndmask_b32_e32 v5, v60, v5, vcc_lo
	v_cmp_class_f32_e64 s37, v58, 0x1f8
	s_delay_alu instid0(VALU_DEP_2) | instskip(SKIP_1) | instid1(SALU_CYCLE_1)
	v_cmp_neq_f32_e32 vcc_lo, v58, v5
	s_or_b32 s38, vcc_lo, s37
	s_and_saveexec_b32 s37, s38
	s_cbranch_execz .LBB508_147
; %bb.146:                              ;   in Loop: Header=BB508_139 Depth=1
	v_sub_f32_e32 v57, v58, v5
	s_delay_alu instid0(VALU_DEP_1) | instskip(SKIP_1) | instid1(VALU_DEP_2)
	v_mul_f32_e32 v58, 0x3fb8aa3b, v57
	v_cmp_ngt_f32_e32 vcc_lo, 0xc2ce8ed0, v57
	v_fma_f32 v59, 0x3fb8aa3b, v57, -v58
	v_rndne_f32_e32 v60, v58
	s_delay_alu instid0(VALU_DEP_1) | instskip(NEXT) | instid1(VALU_DEP_1)
	v_dual_fmac_f32 v59, 0x32a5705f, v57 :: v_dual_sub_f32 v58, v58, v60
	v_add_f32_e32 v58, v58, v59
	v_cvt_i32_f32_e32 v59, v60
	s_delay_alu instid0(VALU_DEP_2) | instskip(NEXT) | instid1(TRANS32_DEP_1)
	v_exp_f32_e32 v58, v58
	v_ldexp_f32 v58, v58, v59
	s_wait_alu 0xfffd
	s_delay_alu instid0(VALU_DEP_1) | instskip(SKIP_2) | instid1(VALU_DEP_2)
	v_cndmask_b32_e32 v58, 0, v58, vcc_lo
	v_cmp_nlt_f32_e32 vcc_lo, 0x42b17218, v57
	s_wait_alu 0xfffd
	v_cndmask_b32_e32 v59, 0x7f800000, v58, vcc_lo
	s_delay_alu instid0(VALU_DEP_1) | instskip(NEXT) | instid1(VALU_DEP_1)
	v_add_f32_e32 v60, 1.0, v59
	v_cvt_f64_f32_e32 v[57:58], v60
	s_delay_alu instid0(VALU_DEP_1) | instskip(SKIP_1) | instid1(VALU_DEP_1)
	v_frexp_exp_i32_f64_e32 v57, v[57:58]
	v_frexp_mant_f32_e32 v58, v60
	v_cmp_gt_f32_e32 vcc_lo, 0x3f2aaaab, v58
	v_add_f32_e32 v58, -1.0, v60
	s_delay_alu instid0(VALU_DEP_1) | instskip(SKIP_4) | instid1(VALU_DEP_2)
	v_sub_f32_e32 v62, v58, v60
	v_sub_f32_e32 v58, v59, v58
	s_wait_alu 0xfffd
	v_subrev_co_ci_u32_e64 v57, null, 0, v57, vcc_lo
	v_cmp_neq_f32_e32 vcc_lo, 0x7f800000, v59
	v_sub_nc_u32_e32 v61, 0, v57
	v_cvt_f32_i32_e32 v57, v57
	s_delay_alu instid0(VALU_DEP_2) | instskip(NEXT) | instid1(VALU_DEP_1)
	v_ldexp_f32 v60, v60, v61
	v_dual_add_f32 v63, 1.0, v60 :: v_dual_add_f32 v62, 1.0, v62
	s_delay_alu instid0(VALU_DEP_1) | instskip(NEXT) | instid1(VALU_DEP_2)
	v_add_f32_e32 v58, v58, v62
	v_add_f32_e32 v62, -1.0, v63
	s_delay_alu instid0(VALU_DEP_2) | instskip(NEXT) | instid1(VALU_DEP_2)
	v_ldexp_f32 v58, v58, v61
	v_dual_add_f32 v61, -1.0, v60 :: v_dual_sub_f32 v62, v60, v62
	s_delay_alu instid0(VALU_DEP_1) | instskip(NEXT) | instid1(VALU_DEP_2)
	v_add_f32_e32 v64, 1.0, v61
	v_add_f32_e32 v62, v58, v62
	s_delay_alu instid0(VALU_DEP_2) | instskip(NEXT) | instid1(VALU_DEP_2)
	v_sub_f32_e32 v60, v60, v64
	v_add_f32_e32 v64, v63, v62
	s_delay_alu instid0(VALU_DEP_2) | instskip(NEXT) | instid1(VALU_DEP_2)
	v_add_f32_e32 v58, v58, v60
	v_rcp_f32_e32 v60, v64
	v_sub_f32_e32 v63, v63, v64
	s_delay_alu instid0(VALU_DEP_1) | instskip(NEXT) | instid1(VALU_DEP_1)
	v_dual_add_f32 v65, v61, v58 :: v_dual_add_f32 v62, v62, v63
	v_sub_f32_e32 v61, v61, v65
	s_delay_alu instid0(TRANS32_DEP_1) | instskip(NEXT) | instid1(VALU_DEP_1)
	v_mul_f32_e32 v66, v65, v60
	v_dual_add_f32 v58, v58, v61 :: v_dual_mul_f32 v67, v64, v66
	s_delay_alu instid0(VALU_DEP_1) | instskip(NEXT) | instid1(VALU_DEP_1)
	v_fma_f32 v63, v66, v64, -v67
	v_fmac_f32_e32 v63, v66, v62
	s_delay_alu instid0(VALU_DEP_1) | instskip(NEXT) | instid1(VALU_DEP_1)
	v_add_f32_e32 v68, v67, v63
	v_sub_f32_e32 v69, v65, v68
	v_sub_f32_e32 v61, v68, v67
	s_delay_alu instid0(VALU_DEP_2) | instskip(NEXT) | instid1(VALU_DEP_2)
	v_sub_f32_e32 v65, v65, v69
	v_sub_f32_e32 v61, v61, v63
	s_delay_alu instid0(VALU_DEP_2) | instskip(NEXT) | instid1(VALU_DEP_1)
	v_sub_f32_e32 v65, v65, v68
	v_add_f32_e32 v58, v58, v65
	s_delay_alu instid0(VALU_DEP_1) | instskip(NEXT) | instid1(VALU_DEP_1)
	v_add_f32_e32 v58, v61, v58
	v_add_f32_e32 v61, v69, v58
	s_delay_alu instid0(VALU_DEP_1) | instskip(NEXT) | instid1(VALU_DEP_1)
	v_mul_f32_e32 v63, v60, v61
	v_dual_sub_f32 v68, v69, v61 :: v_dual_mul_f32 v65, v64, v63
	s_delay_alu instid0(VALU_DEP_1) | instskip(NEXT) | instid1(VALU_DEP_2)
	v_add_f32_e32 v58, v58, v68
	v_fma_f32 v64, v63, v64, -v65
	s_delay_alu instid0(VALU_DEP_1) | instskip(NEXT) | instid1(VALU_DEP_1)
	v_fmac_f32_e32 v64, v63, v62
	v_add_f32_e32 v62, v65, v64
	s_delay_alu instid0(VALU_DEP_1) | instskip(SKIP_1) | instid1(VALU_DEP_2)
	v_sub_f32_e32 v67, v61, v62
	v_sub_f32_e32 v65, v62, v65
	;; [unrolled: 1-line block ×3, first 2 shown]
	s_delay_alu instid0(VALU_DEP_1) | instskip(NEXT) | instid1(VALU_DEP_3)
	v_sub_f32_e32 v61, v61, v62
	v_sub_f32_e32 v62, v65, v64
	s_delay_alu instid0(VALU_DEP_2) | instskip(SKIP_1) | instid1(VALU_DEP_2)
	v_add_f32_e32 v58, v58, v61
	v_add_f32_e32 v61, v66, v63
	v_add_f32_e32 v58, v62, v58
	s_delay_alu instid0(VALU_DEP_2) | instskip(NEXT) | instid1(VALU_DEP_2)
	v_sub_f32_e32 v62, v61, v66
	v_add_f32_e32 v58, v67, v58
	s_delay_alu instid0(VALU_DEP_2) | instskip(NEXT) | instid1(VALU_DEP_2)
	v_sub_f32_e32 v62, v63, v62
	v_mul_f32_e32 v58, v60, v58
	s_delay_alu instid0(VALU_DEP_1) | instskip(NEXT) | instid1(VALU_DEP_1)
	v_add_f32_e32 v58, v62, v58
	v_add_f32_e32 v60, v61, v58
	s_delay_alu instid0(VALU_DEP_1) | instskip(NEXT) | instid1(VALU_DEP_1)
	v_mul_f32_e32 v62, v60, v60
	v_fmaak_f32 v63, s16, v62, 0x3ecc95a3
	v_mul_f32_e32 v64, v60, v62
	s_delay_alu instid0(VALU_DEP_2) | instskip(SKIP_2) | instid1(VALU_DEP_3)
	v_fmaak_f32 v62, v62, v63, 0x3f2aaada
	v_ldexp_f32 v63, v60, 1
	v_sub_f32_e32 v60, v60, v61
	v_mul_f32_e32 v62, v64, v62
	v_mul_f32_e32 v64, 0x3f317218, v57
	s_delay_alu instid0(VALU_DEP_2) | instskip(NEXT) | instid1(VALU_DEP_1)
	v_dual_sub_f32 v58, v58, v60 :: v_dual_add_f32 v61, v63, v62
	v_ldexp_f32 v58, v58, 1
	s_delay_alu instid0(VALU_DEP_2) | instskip(NEXT) | instid1(VALU_DEP_4)
	v_sub_f32_e32 v60, v61, v63
	v_fma_f32 v63, 0x3f317218, v57, -v64
	s_delay_alu instid0(VALU_DEP_1) | instskip(NEXT) | instid1(VALU_DEP_1)
	v_dual_sub_f32 v60, v62, v60 :: v_dual_fmac_f32 v63, 0xb102e308, v57
	v_dual_add_f32 v57, v58, v60 :: v_dual_add_f32 v58, v64, v63
	s_delay_alu instid0(VALU_DEP_1) | instskip(NEXT) | instid1(VALU_DEP_2)
	v_add_f32_e32 v60, v61, v57
	v_sub_f32_e32 v64, v58, v64
	s_delay_alu instid0(VALU_DEP_2) | instskip(NEXT) | instid1(VALU_DEP_2)
	v_dual_add_f32 v62, v58, v60 :: v_dual_sub_f32 v61, v60, v61
	v_sub_f32_e32 v63, v63, v64
	s_delay_alu instid0(VALU_DEP_2) | instskip(NEXT) | instid1(VALU_DEP_3)
	v_sub_f32_e32 v65, v62, v58
	v_sub_f32_e32 v57, v57, v61
	s_delay_alu instid0(VALU_DEP_2) | instskip(SKIP_1) | instid1(VALU_DEP_2)
	v_sub_f32_e32 v66, v62, v65
	v_sub_f32_e32 v60, v60, v65
	v_dual_add_f32 v61, v63, v57 :: v_dual_sub_f32 v58, v58, v66
	s_delay_alu instid0(VALU_DEP_1) | instskip(NEXT) | instid1(VALU_DEP_2)
	v_add_f32_e32 v58, v60, v58
	v_sub_f32_e32 v60, v61, v63
	s_delay_alu instid0(VALU_DEP_2) | instskip(NEXT) | instid1(VALU_DEP_2)
	v_add_f32_e32 v58, v61, v58
	v_sub_f32_e32 v61, v61, v60
	s_delay_alu instid0(VALU_DEP_2) | instskip(NEXT) | instid1(VALU_DEP_1)
	v_dual_sub_f32 v57, v57, v60 :: v_dual_add_f32 v64, v62, v58
	v_dual_sub_f32 v61, v63, v61 :: v_dual_sub_f32 v60, v64, v62
	s_delay_alu instid0(VALU_DEP_1) | instskip(NEXT) | instid1(VALU_DEP_1)
	v_dual_add_f32 v57, v57, v61 :: v_dual_sub_f32 v58, v58, v60
	v_add_f32_e32 v57, v57, v58
	s_delay_alu instid0(VALU_DEP_1) | instskip(SKIP_1) | instid1(VALU_DEP_1)
	v_add_f32_e32 v57, v64, v57
	s_wait_alu 0xfffd
	v_cndmask_b32_e32 v57, 0x7f800000, v57, vcc_lo
	v_cmp_gt_f32_e64 vcc_lo, 0x33800000, |v59|
	s_wait_alu 0xfffd
	s_delay_alu instid0(VALU_DEP_2) | instskip(NEXT) | instid1(VALU_DEP_1)
	v_cndmask_b32_e32 v57, v57, v59, vcc_lo
	v_add_f32_e32 v57, v5, v57
.LBB508_147:                            ;   in Loop: Header=BB508_139 Depth=1
	s_wait_alu 0xfffe
	s_or_b32 exec_lo, exec_lo, s37
	s_delay_alu instid0(VALU_DEP_1) | instskip(SKIP_1) | instid1(VALU_DEP_2)
	v_bfe_u32 v5, v57, 16, 1
	v_cmp_o_f32_e32 vcc_lo, v57, v57
	v_add3_u32 v5, v57, v5, 0x7fff
	s_delay_alu instid0(VALU_DEP_1) | instskip(SKIP_1) | instid1(VALU_DEP_1)
	v_lshrrev_b32_e32 v5, 16, v5
	s_wait_alu 0xfffd
	v_cndmask_b32_e32 v57, 0x7fc0, v5, vcc_lo
	s_delay_alu instid0(VALU_DEP_1)
	v_and_b32_e32 v5, 0xffff, v57
.LBB508_148:                            ;   in Loop: Header=BB508_139 Depth=1
	s_wait_alu 0xfffe
	s_or_b32 exec_lo, exec_lo, s17
	s_wait_dscnt 0x0
	ds_bpermute_b32 v58, v48, v5
	s_mov_b32 s17, exec_lo
	v_cmpx_le_u32_e64 v49, v4
	s_cbranch_execz .LBB508_152
; %bb.149:                              ;   in Loop: Header=BB508_139 Depth=1
	s_wait_dscnt 0x0
	v_lshlrev_b32_e32 v57, 16, v58
	s_delay_alu instid0(VALU_DEP_1) | instskip(SKIP_1) | instid1(VALU_DEP_1)
	v_max_num_f32_e32 v59, v57, v57
	v_lshlrev_b32_e32 v5, 16, v5
	v_max_num_f32_e32 v58, v5, v5
	v_cmp_u_f32_e32 vcc_lo, v57, v57
	s_delay_alu instid0(VALU_DEP_2) | instskip(SKIP_1) | instid1(VALU_DEP_1)
	v_min_num_f32_e32 v60, v59, v58
	s_wait_alu 0xfffd
	v_dual_max_num_f32 v58, v59, v58 :: v_dual_cndmask_b32 v59, v60, v57
	s_delay_alu instid0(VALU_DEP_1) | instskip(SKIP_2) | instid1(VALU_DEP_3)
	v_cndmask_b32_e32 v60, v58, v57, vcc_lo
	v_cmp_u_f32_e32 vcc_lo, v5, v5
	s_wait_alu 0xfffd
	v_cndmask_b32_e32 v58, v59, v5, vcc_lo
	s_delay_alu instid0(VALU_DEP_3) | instskip(NEXT) | instid1(VALU_DEP_2)
	v_cndmask_b32_e32 v5, v60, v5, vcc_lo
	v_cmp_class_f32_e64 s37, v58, 0x1f8
	s_delay_alu instid0(VALU_DEP_2) | instskip(SKIP_1) | instid1(SALU_CYCLE_1)
	v_cmp_neq_f32_e32 vcc_lo, v58, v5
	s_or_b32 s38, vcc_lo, s37
	s_and_saveexec_b32 s37, s38
	s_cbranch_execz .LBB508_151
; %bb.150:                              ;   in Loop: Header=BB508_139 Depth=1
	v_sub_f32_e32 v57, v58, v5
	s_delay_alu instid0(VALU_DEP_1) | instskip(SKIP_1) | instid1(VALU_DEP_2)
	v_mul_f32_e32 v58, 0x3fb8aa3b, v57
	v_cmp_ngt_f32_e32 vcc_lo, 0xc2ce8ed0, v57
	v_fma_f32 v59, 0x3fb8aa3b, v57, -v58
	v_rndne_f32_e32 v60, v58
	s_delay_alu instid0(VALU_DEP_1) | instskip(NEXT) | instid1(VALU_DEP_1)
	v_dual_fmac_f32 v59, 0x32a5705f, v57 :: v_dual_sub_f32 v58, v58, v60
	v_add_f32_e32 v58, v58, v59
	v_cvt_i32_f32_e32 v59, v60
	s_delay_alu instid0(VALU_DEP_2) | instskip(NEXT) | instid1(TRANS32_DEP_1)
	v_exp_f32_e32 v58, v58
	v_ldexp_f32 v58, v58, v59
	s_wait_alu 0xfffd
	s_delay_alu instid0(VALU_DEP_1) | instskip(SKIP_2) | instid1(VALU_DEP_2)
	v_cndmask_b32_e32 v58, 0, v58, vcc_lo
	v_cmp_nlt_f32_e32 vcc_lo, 0x42b17218, v57
	s_wait_alu 0xfffd
	v_cndmask_b32_e32 v59, 0x7f800000, v58, vcc_lo
	s_delay_alu instid0(VALU_DEP_1) | instskip(NEXT) | instid1(VALU_DEP_1)
	v_add_f32_e32 v60, 1.0, v59
	v_cvt_f64_f32_e32 v[57:58], v60
	s_delay_alu instid0(VALU_DEP_1) | instskip(SKIP_1) | instid1(VALU_DEP_1)
	v_frexp_exp_i32_f64_e32 v57, v[57:58]
	v_frexp_mant_f32_e32 v58, v60
	v_cmp_gt_f32_e32 vcc_lo, 0x3f2aaaab, v58
	v_add_f32_e32 v58, -1.0, v60
	s_delay_alu instid0(VALU_DEP_1) | instskip(SKIP_4) | instid1(VALU_DEP_2)
	v_sub_f32_e32 v62, v58, v60
	v_sub_f32_e32 v58, v59, v58
	s_wait_alu 0xfffd
	v_subrev_co_ci_u32_e64 v57, null, 0, v57, vcc_lo
	v_cmp_neq_f32_e32 vcc_lo, 0x7f800000, v59
	v_sub_nc_u32_e32 v61, 0, v57
	v_cvt_f32_i32_e32 v57, v57
	s_delay_alu instid0(VALU_DEP_2) | instskip(NEXT) | instid1(VALU_DEP_1)
	v_ldexp_f32 v60, v60, v61
	v_dual_add_f32 v63, 1.0, v60 :: v_dual_add_f32 v62, 1.0, v62
	s_delay_alu instid0(VALU_DEP_1) | instskip(NEXT) | instid1(VALU_DEP_2)
	v_add_f32_e32 v58, v58, v62
	v_add_f32_e32 v62, -1.0, v63
	s_delay_alu instid0(VALU_DEP_2) | instskip(NEXT) | instid1(VALU_DEP_2)
	v_ldexp_f32 v58, v58, v61
	v_dual_add_f32 v61, -1.0, v60 :: v_dual_sub_f32 v62, v60, v62
	s_delay_alu instid0(VALU_DEP_1) | instskip(NEXT) | instid1(VALU_DEP_2)
	v_add_f32_e32 v64, 1.0, v61
	v_add_f32_e32 v62, v58, v62
	s_delay_alu instid0(VALU_DEP_2) | instskip(NEXT) | instid1(VALU_DEP_2)
	v_sub_f32_e32 v60, v60, v64
	v_add_f32_e32 v64, v63, v62
	s_delay_alu instid0(VALU_DEP_2) | instskip(NEXT) | instid1(VALU_DEP_2)
	v_add_f32_e32 v58, v58, v60
	v_rcp_f32_e32 v60, v64
	v_sub_f32_e32 v63, v63, v64
	s_delay_alu instid0(VALU_DEP_1) | instskip(NEXT) | instid1(VALU_DEP_1)
	v_dual_add_f32 v65, v61, v58 :: v_dual_add_f32 v62, v62, v63
	v_sub_f32_e32 v61, v61, v65
	s_delay_alu instid0(TRANS32_DEP_1) | instskip(NEXT) | instid1(VALU_DEP_1)
	v_mul_f32_e32 v66, v65, v60
	v_dual_add_f32 v58, v58, v61 :: v_dual_mul_f32 v67, v64, v66
	s_delay_alu instid0(VALU_DEP_1) | instskip(NEXT) | instid1(VALU_DEP_1)
	v_fma_f32 v63, v66, v64, -v67
	v_fmac_f32_e32 v63, v66, v62
	s_delay_alu instid0(VALU_DEP_1) | instskip(NEXT) | instid1(VALU_DEP_1)
	v_add_f32_e32 v68, v67, v63
	v_sub_f32_e32 v69, v65, v68
	v_sub_f32_e32 v61, v68, v67
	s_delay_alu instid0(VALU_DEP_2) | instskip(NEXT) | instid1(VALU_DEP_2)
	v_sub_f32_e32 v65, v65, v69
	v_sub_f32_e32 v61, v61, v63
	s_delay_alu instid0(VALU_DEP_2) | instskip(NEXT) | instid1(VALU_DEP_1)
	v_sub_f32_e32 v65, v65, v68
	v_add_f32_e32 v58, v58, v65
	s_delay_alu instid0(VALU_DEP_1) | instskip(NEXT) | instid1(VALU_DEP_1)
	v_add_f32_e32 v58, v61, v58
	v_add_f32_e32 v61, v69, v58
	s_delay_alu instid0(VALU_DEP_1) | instskip(NEXT) | instid1(VALU_DEP_1)
	v_mul_f32_e32 v63, v60, v61
	v_dual_sub_f32 v68, v69, v61 :: v_dual_mul_f32 v65, v64, v63
	s_delay_alu instid0(VALU_DEP_1) | instskip(NEXT) | instid1(VALU_DEP_2)
	v_add_f32_e32 v58, v58, v68
	v_fma_f32 v64, v63, v64, -v65
	s_delay_alu instid0(VALU_DEP_1) | instskip(NEXT) | instid1(VALU_DEP_1)
	v_fmac_f32_e32 v64, v63, v62
	v_add_f32_e32 v62, v65, v64
	s_delay_alu instid0(VALU_DEP_1) | instskip(SKIP_1) | instid1(VALU_DEP_2)
	v_sub_f32_e32 v67, v61, v62
	v_sub_f32_e32 v65, v62, v65
	v_sub_f32_e32 v61, v61, v67
	s_delay_alu instid0(VALU_DEP_1) | instskip(NEXT) | instid1(VALU_DEP_3)
	v_sub_f32_e32 v61, v61, v62
	v_sub_f32_e32 v62, v65, v64
	s_delay_alu instid0(VALU_DEP_2) | instskip(SKIP_1) | instid1(VALU_DEP_2)
	v_add_f32_e32 v58, v58, v61
	v_add_f32_e32 v61, v66, v63
	v_add_f32_e32 v58, v62, v58
	s_delay_alu instid0(VALU_DEP_2) | instskip(NEXT) | instid1(VALU_DEP_2)
	v_sub_f32_e32 v62, v61, v66
	v_add_f32_e32 v58, v67, v58
	s_delay_alu instid0(VALU_DEP_2) | instskip(NEXT) | instid1(VALU_DEP_2)
	v_sub_f32_e32 v62, v63, v62
	v_mul_f32_e32 v58, v60, v58
	s_delay_alu instid0(VALU_DEP_1) | instskip(NEXT) | instid1(VALU_DEP_1)
	v_add_f32_e32 v58, v62, v58
	v_add_f32_e32 v60, v61, v58
	s_delay_alu instid0(VALU_DEP_1) | instskip(NEXT) | instid1(VALU_DEP_1)
	v_mul_f32_e32 v62, v60, v60
	v_fmaak_f32 v63, s16, v62, 0x3ecc95a3
	v_mul_f32_e32 v64, v60, v62
	s_delay_alu instid0(VALU_DEP_2) | instskip(SKIP_2) | instid1(VALU_DEP_3)
	v_fmaak_f32 v62, v62, v63, 0x3f2aaada
	v_ldexp_f32 v63, v60, 1
	v_sub_f32_e32 v60, v60, v61
	v_mul_f32_e32 v62, v64, v62
	v_mul_f32_e32 v64, 0x3f317218, v57
	s_delay_alu instid0(VALU_DEP_2) | instskip(NEXT) | instid1(VALU_DEP_1)
	v_dual_sub_f32 v58, v58, v60 :: v_dual_add_f32 v61, v63, v62
	v_ldexp_f32 v58, v58, 1
	s_delay_alu instid0(VALU_DEP_2) | instskip(NEXT) | instid1(VALU_DEP_4)
	v_sub_f32_e32 v60, v61, v63
	v_fma_f32 v63, 0x3f317218, v57, -v64
	s_delay_alu instid0(VALU_DEP_1) | instskip(NEXT) | instid1(VALU_DEP_1)
	v_dual_sub_f32 v60, v62, v60 :: v_dual_fmac_f32 v63, 0xb102e308, v57
	v_dual_add_f32 v57, v58, v60 :: v_dual_add_f32 v58, v64, v63
	s_delay_alu instid0(VALU_DEP_1) | instskip(NEXT) | instid1(VALU_DEP_2)
	v_add_f32_e32 v60, v61, v57
	v_sub_f32_e32 v64, v58, v64
	s_delay_alu instid0(VALU_DEP_2) | instskip(NEXT) | instid1(VALU_DEP_2)
	v_dual_add_f32 v62, v58, v60 :: v_dual_sub_f32 v61, v60, v61
	v_sub_f32_e32 v63, v63, v64
	s_delay_alu instid0(VALU_DEP_2) | instskip(NEXT) | instid1(VALU_DEP_3)
	v_sub_f32_e32 v65, v62, v58
	v_sub_f32_e32 v57, v57, v61
	s_delay_alu instid0(VALU_DEP_2) | instskip(SKIP_1) | instid1(VALU_DEP_2)
	v_sub_f32_e32 v66, v62, v65
	v_sub_f32_e32 v60, v60, v65
	v_dual_add_f32 v61, v63, v57 :: v_dual_sub_f32 v58, v58, v66
	s_delay_alu instid0(VALU_DEP_1) | instskip(NEXT) | instid1(VALU_DEP_2)
	v_add_f32_e32 v58, v60, v58
	v_sub_f32_e32 v60, v61, v63
	s_delay_alu instid0(VALU_DEP_2) | instskip(NEXT) | instid1(VALU_DEP_2)
	v_add_f32_e32 v58, v61, v58
	v_sub_f32_e32 v61, v61, v60
	s_delay_alu instid0(VALU_DEP_2) | instskip(NEXT) | instid1(VALU_DEP_1)
	v_dual_sub_f32 v57, v57, v60 :: v_dual_add_f32 v64, v62, v58
	v_dual_sub_f32 v61, v63, v61 :: v_dual_sub_f32 v60, v64, v62
	s_delay_alu instid0(VALU_DEP_1) | instskip(NEXT) | instid1(VALU_DEP_1)
	v_dual_add_f32 v57, v57, v61 :: v_dual_sub_f32 v58, v58, v60
	v_add_f32_e32 v57, v57, v58
	s_delay_alu instid0(VALU_DEP_1) | instskip(SKIP_1) | instid1(VALU_DEP_1)
	v_add_f32_e32 v57, v64, v57
	s_wait_alu 0xfffd
	v_cndmask_b32_e32 v57, 0x7f800000, v57, vcc_lo
	v_cmp_gt_f32_e64 vcc_lo, 0x33800000, |v59|
	s_wait_alu 0xfffd
	s_delay_alu instid0(VALU_DEP_2) | instskip(NEXT) | instid1(VALU_DEP_1)
	v_cndmask_b32_e32 v57, v57, v59, vcc_lo
	v_add_f32_e32 v57, v5, v57
.LBB508_151:                            ;   in Loop: Header=BB508_139 Depth=1
	s_wait_alu 0xfffe
	s_or_b32 exec_lo, exec_lo, s37
	s_delay_alu instid0(VALU_DEP_1) | instskip(SKIP_1) | instid1(VALU_DEP_2)
	v_bfe_u32 v5, v57, 16, 1
	v_cmp_o_f32_e32 vcc_lo, v57, v57
	v_add3_u32 v5, v57, v5, 0x7fff
	s_delay_alu instid0(VALU_DEP_1) | instskip(SKIP_1) | instid1(VALU_DEP_1)
	v_lshrrev_b32_e32 v5, 16, v5
	s_wait_alu 0xfffd
	v_cndmask_b32_e32 v57, 0x7fc0, v5, vcc_lo
	s_delay_alu instid0(VALU_DEP_1)
	v_and_b32_e32 v5, 0xffff, v57
.LBB508_152:                            ;   in Loop: Header=BB508_139 Depth=1
	s_wait_alu 0xfffe
	s_or_b32 exec_lo, exec_lo, s17
	s_wait_dscnt 0x0
	ds_bpermute_b32 v58, v50, v5
	s_mov_b32 s17, exec_lo
	v_cmpx_le_u32_e64 v51, v4
	s_cbranch_execz .LBB508_156
; %bb.153:                              ;   in Loop: Header=BB508_139 Depth=1
	s_wait_dscnt 0x0
	v_lshlrev_b32_e32 v57, 16, v58
	s_delay_alu instid0(VALU_DEP_1) | instskip(SKIP_1) | instid1(VALU_DEP_1)
	v_max_num_f32_e32 v59, v57, v57
	v_lshlrev_b32_e32 v5, 16, v5
	v_max_num_f32_e32 v58, v5, v5
	v_cmp_u_f32_e32 vcc_lo, v57, v57
	s_delay_alu instid0(VALU_DEP_2) | instskip(SKIP_1) | instid1(VALU_DEP_1)
	v_min_num_f32_e32 v60, v59, v58
	s_wait_alu 0xfffd
	v_dual_max_num_f32 v58, v59, v58 :: v_dual_cndmask_b32 v59, v60, v57
	s_delay_alu instid0(VALU_DEP_1) | instskip(SKIP_2) | instid1(VALU_DEP_3)
	v_cndmask_b32_e32 v60, v58, v57, vcc_lo
	v_cmp_u_f32_e32 vcc_lo, v5, v5
	s_wait_alu 0xfffd
	v_cndmask_b32_e32 v58, v59, v5, vcc_lo
	s_delay_alu instid0(VALU_DEP_3) | instskip(NEXT) | instid1(VALU_DEP_2)
	v_cndmask_b32_e32 v5, v60, v5, vcc_lo
	v_cmp_class_f32_e64 s37, v58, 0x1f8
	s_delay_alu instid0(VALU_DEP_2) | instskip(SKIP_1) | instid1(SALU_CYCLE_1)
	v_cmp_neq_f32_e32 vcc_lo, v58, v5
	s_or_b32 s38, vcc_lo, s37
	s_and_saveexec_b32 s37, s38
	s_cbranch_execz .LBB508_155
; %bb.154:                              ;   in Loop: Header=BB508_139 Depth=1
	v_sub_f32_e32 v57, v58, v5
	s_delay_alu instid0(VALU_DEP_1) | instskip(SKIP_1) | instid1(VALU_DEP_2)
	v_mul_f32_e32 v58, 0x3fb8aa3b, v57
	v_cmp_ngt_f32_e32 vcc_lo, 0xc2ce8ed0, v57
	v_fma_f32 v59, 0x3fb8aa3b, v57, -v58
	v_rndne_f32_e32 v60, v58
	s_delay_alu instid0(VALU_DEP_1) | instskip(NEXT) | instid1(VALU_DEP_1)
	v_dual_fmac_f32 v59, 0x32a5705f, v57 :: v_dual_sub_f32 v58, v58, v60
	v_add_f32_e32 v58, v58, v59
	v_cvt_i32_f32_e32 v59, v60
	s_delay_alu instid0(VALU_DEP_2) | instskip(NEXT) | instid1(TRANS32_DEP_1)
	v_exp_f32_e32 v58, v58
	v_ldexp_f32 v58, v58, v59
	s_wait_alu 0xfffd
	s_delay_alu instid0(VALU_DEP_1) | instskip(SKIP_2) | instid1(VALU_DEP_2)
	v_cndmask_b32_e32 v58, 0, v58, vcc_lo
	v_cmp_nlt_f32_e32 vcc_lo, 0x42b17218, v57
	s_wait_alu 0xfffd
	v_cndmask_b32_e32 v59, 0x7f800000, v58, vcc_lo
	s_delay_alu instid0(VALU_DEP_1) | instskip(NEXT) | instid1(VALU_DEP_1)
	v_add_f32_e32 v60, 1.0, v59
	v_cvt_f64_f32_e32 v[57:58], v60
	s_delay_alu instid0(VALU_DEP_1) | instskip(SKIP_1) | instid1(VALU_DEP_1)
	v_frexp_exp_i32_f64_e32 v57, v[57:58]
	v_frexp_mant_f32_e32 v58, v60
	v_cmp_gt_f32_e32 vcc_lo, 0x3f2aaaab, v58
	v_add_f32_e32 v58, -1.0, v60
	s_delay_alu instid0(VALU_DEP_1) | instskip(SKIP_4) | instid1(VALU_DEP_2)
	v_sub_f32_e32 v62, v58, v60
	v_sub_f32_e32 v58, v59, v58
	s_wait_alu 0xfffd
	v_subrev_co_ci_u32_e64 v57, null, 0, v57, vcc_lo
	v_cmp_neq_f32_e32 vcc_lo, 0x7f800000, v59
	v_sub_nc_u32_e32 v61, 0, v57
	v_cvt_f32_i32_e32 v57, v57
	s_delay_alu instid0(VALU_DEP_2) | instskip(NEXT) | instid1(VALU_DEP_1)
	v_ldexp_f32 v60, v60, v61
	v_dual_add_f32 v63, 1.0, v60 :: v_dual_add_f32 v62, 1.0, v62
	s_delay_alu instid0(VALU_DEP_1) | instskip(NEXT) | instid1(VALU_DEP_2)
	v_add_f32_e32 v58, v58, v62
	v_add_f32_e32 v62, -1.0, v63
	s_delay_alu instid0(VALU_DEP_2) | instskip(NEXT) | instid1(VALU_DEP_2)
	v_ldexp_f32 v58, v58, v61
	v_dual_add_f32 v61, -1.0, v60 :: v_dual_sub_f32 v62, v60, v62
	s_delay_alu instid0(VALU_DEP_1) | instskip(NEXT) | instid1(VALU_DEP_2)
	v_add_f32_e32 v64, 1.0, v61
	v_add_f32_e32 v62, v58, v62
	s_delay_alu instid0(VALU_DEP_2) | instskip(NEXT) | instid1(VALU_DEP_2)
	v_sub_f32_e32 v60, v60, v64
	v_add_f32_e32 v64, v63, v62
	s_delay_alu instid0(VALU_DEP_2) | instskip(NEXT) | instid1(VALU_DEP_2)
	v_add_f32_e32 v58, v58, v60
	v_rcp_f32_e32 v60, v64
	v_sub_f32_e32 v63, v63, v64
	s_delay_alu instid0(VALU_DEP_1) | instskip(NEXT) | instid1(VALU_DEP_1)
	v_dual_add_f32 v65, v61, v58 :: v_dual_add_f32 v62, v62, v63
	v_sub_f32_e32 v61, v61, v65
	s_delay_alu instid0(TRANS32_DEP_1) | instskip(NEXT) | instid1(VALU_DEP_1)
	v_mul_f32_e32 v66, v65, v60
	v_dual_add_f32 v58, v58, v61 :: v_dual_mul_f32 v67, v64, v66
	s_delay_alu instid0(VALU_DEP_1) | instskip(NEXT) | instid1(VALU_DEP_1)
	v_fma_f32 v63, v66, v64, -v67
	v_fmac_f32_e32 v63, v66, v62
	s_delay_alu instid0(VALU_DEP_1) | instskip(NEXT) | instid1(VALU_DEP_1)
	v_add_f32_e32 v68, v67, v63
	v_sub_f32_e32 v69, v65, v68
	v_sub_f32_e32 v61, v68, v67
	s_delay_alu instid0(VALU_DEP_2) | instskip(NEXT) | instid1(VALU_DEP_2)
	v_sub_f32_e32 v65, v65, v69
	v_sub_f32_e32 v61, v61, v63
	s_delay_alu instid0(VALU_DEP_2) | instskip(NEXT) | instid1(VALU_DEP_1)
	v_sub_f32_e32 v65, v65, v68
	v_add_f32_e32 v58, v58, v65
	s_delay_alu instid0(VALU_DEP_1) | instskip(NEXT) | instid1(VALU_DEP_1)
	v_add_f32_e32 v58, v61, v58
	v_add_f32_e32 v61, v69, v58
	s_delay_alu instid0(VALU_DEP_1) | instskip(NEXT) | instid1(VALU_DEP_1)
	v_mul_f32_e32 v63, v60, v61
	v_dual_sub_f32 v68, v69, v61 :: v_dual_mul_f32 v65, v64, v63
	s_delay_alu instid0(VALU_DEP_1) | instskip(NEXT) | instid1(VALU_DEP_2)
	v_add_f32_e32 v58, v58, v68
	v_fma_f32 v64, v63, v64, -v65
	s_delay_alu instid0(VALU_DEP_1) | instskip(NEXT) | instid1(VALU_DEP_1)
	v_fmac_f32_e32 v64, v63, v62
	v_add_f32_e32 v62, v65, v64
	s_delay_alu instid0(VALU_DEP_1) | instskip(SKIP_1) | instid1(VALU_DEP_2)
	v_sub_f32_e32 v67, v61, v62
	v_sub_f32_e32 v65, v62, v65
	v_sub_f32_e32 v61, v61, v67
	s_delay_alu instid0(VALU_DEP_1) | instskip(NEXT) | instid1(VALU_DEP_3)
	v_sub_f32_e32 v61, v61, v62
	v_sub_f32_e32 v62, v65, v64
	s_delay_alu instid0(VALU_DEP_2) | instskip(SKIP_1) | instid1(VALU_DEP_2)
	v_add_f32_e32 v58, v58, v61
	v_add_f32_e32 v61, v66, v63
	;; [unrolled: 1-line block ×3, first 2 shown]
	s_delay_alu instid0(VALU_DEP_2) | instskip(NEXT) | instid1(VALU_DEP_2)
	v_sub_f32_e32 v62, v61, v66
	v_add_f32_e32 v58, v67, v58
	s_delay_alu instid0(VALU_DEP_2) | instskip(NEXT) | instid1(VALU_DEP_2)
	v_sub_f32_e32 v62, v63, v62
	v_mul_f32_e32 v58, v60, v58
	s_delay_alu instid0(VALU_DEP_1) | instskip(NEXT) | instid1(VALU_DEP_1)
	v_add_f32_e32 v58, v62, v58
	v_add_f32_e32 v60, v61, v58
	s_delay_alu instid0(VALU_DEP_1) | instskip(NEXT) | instid1(VALU_DEP_1)
	v_mul_f32_e32 v62, v60, v60
	v_fmaak_f32 v63, s16, v62, 0x3ecc95a3
	v_mul_f32_e32 v64, v60, v62
	s_delay_alu instid0(VALU_DEP_2) | instskip(SKIP_2) | instid1(VALU_DEP_3)
	v_fmaak_f32 v62, v62, v63, 0x3f2aaada
	v_ldexp_f32 v63, v60, 1
	v_sub_f32_e32 v60, v60, v61
	v_mul_f32_e32 v62, v64, v62
	v_mul_f32_e32 v64, 0x3f317218, v57
	s_delay_alu instid0(VALU_DEP_2) | instskip(NEXT) | instid1(VALU_DEP_1)
	v_dual_sub_f32 v58, v58, v60 :: v_dual_add_f32 v61, v63, v62
	v_ldexp_f32 v58, v58, 1
	s_delay_alu instid0(VALU_DEP_2) | instskip(NEXT) | instid1(VALU_DEP_4)
	v_sub_f32_e32 v60, v61, v63
	v_fma_f32 v63, 0x3f317218, v57, -v64
	s_delay_alu instid0(VALU_DEP_1) | instskip(NEXT) | instid1(VALU_DEP_1)
	v_dual_sub_f32 v60, v62, v60 :: v_dual_fmac_f32 v63, 0xb102e308, v57
	v_dual_add_f32 v57, v58, v60 :: v_dual_add_f32 v58, v64, v63
	s_delay_alu instid0(VALU_DEP_1) | instskip(NEXT) | instid1(VALU_DEP_2)
	v_add_f32_e32 v60, v61, v57
	v_sub_f32_e32 v64, v58, v64
	s_delay_alu instid0(VALU_DEP_2) | instskip(NEXT) | instid1(VALU_DEP_2)
	v_dual_add_f32 v62, v58, v60 :: v_dual_sub_f32 v61, v60, v61
	v_sub_f32_e32 v63, v63, v64
	s_delay_alu instid0(VALU_DEP_2) | instskip(NEXT) | instid1(VALU_DEP_3)
	v_sub_f32_e32 v65, v62, v58
	v_sub_f32_e32 v57, v57, v61
	s_delay_alu instid0(VALU_DEP_2) | instskip(SKIP_1) | instid1(VALU_DEP_2)
	v_sub_f32_e32 v66, v62, v65
	v_sub_f32_e32 v60, v60, v65
	v_dual_add_f32 v61, v63, v57 :: v_dual_sub_f32 v58, v58, v66
	s_delay_alu instid0(VALU_DEP_1) | instskip(NEXT) | instid1(VALU_DEP_2)
	v_add_f32_e32 v58, v60, v58
	v_sub_f32_e32 v60, v61, v63
	s_delay_alu instid0(VALU_DEP_2) | instskip(NEXT) | instid1(VALU_DEP_2)
	v_add_f32_e32 v58, v61, v58
	v_sub_f32_e32 v61, v61, v60
	s_delay_alu instid0(VALU_DEP_2) | instskip(NEXT) | instid1(VALU_DEP_1)
	v_dual_sub_f32 v57, v57, v60 :: v_dual_add_f32 v64, v62, v58
	v_dual_sub_f32 v61, v63, v61 :: v_dual_sub_f32 v60, v64, v62
	s_delay_alu instid0(VALU_DEP_1) | instskip(NEXT) | instid1(VALU_DEP_1)
	v_dual_add_f32 v57, v57, v61 :: v_dual_sub_f32 v58, v58, v60
	v_add_f32_e32 v57, v57, v58
	s_delay_alu instid0(VALU_DEP_1) | instskip(SKIP_1) | instid1(VALU_DEP_1)
	v_add_f32_e32 v57, v64, v57
	s_wait_alu 0xfffd
	v_cndmask_b32_e32 v57, 0x7f800000, v57, vcc_lo
	v_cmp_gt_f32_e64 vcc_lo, 0x33800000, |v59|
	s_wait_alu 0xfffd
	s_delay_alu instid0(VALU_DEP_2) | instskip(NEXT) | instid1(VALU_DEP_1)
	v_cndmask_b32_e32 v57, v57, v59, vcc_lo
	v_add_f32_e32 v57, v5, v57
.LBB508_155:                            ;   in Loop: Header=BB508_139 Depth=1
	s_wait_alu 0xfffe
	s_or_b32 exec_lo, exec_lo, s37
	s_delay_alu instid0(VALU_DEP_1) | instskip(SKIP_1) | instid1(VALU_DEP_2)
	v_bfe_u32 v5, v57, 16, 1
	v_cmp_o_f32_e32 vcc_lo, v57, v57
	v_add3_u32 v5, v57, v5, 0x7fff
	s_delay_alu instid0(VALU_DEP_1) | instskip(SKIP_1) | instid1(VALU_DEP_1)
	v_lshrrev_b32_e32 v5, 16, v5
	s_wait_alu 0xfffd
	v_cndmask_b32_e32 v57, 0x7fc0, v5, vcc_lo
	s_delay_alu instid0(VALU_DEP_1)
	v_and_b32_e32 v5, 0xffff, v57
.LBB508_156:                            ;   in Loop: Header=BB508_139 Depth=1
	s_wait_alu 0xfffe
	s_or_b32 exec_lo, exec_lo, s17
	s_wait_dscnt 0x0
	ds_bpermute_b32 v58, v52, v5
	s_mov_b32 s17, exec_lo
	v_cmpx_le_u32_e64 v53, v4
	s_cbranch_execz .LBB508_160
; %bb.157:                              ;   in Loop: Header=BB508_139 Depth=1
	s_wait_dscnt 0x0
	v_lshlrev_b32_e32 v57, 16, v58
	s_delay_alu instid0(VALU_DEP_1) | instskip(SKIP_1) | instid1(VALU_DEP_1)
	v_max_num_f32_e32 v59, v57, v57
	v_lshlrev_b32_e32 v5, 16, v5
	v_max_num_f32_e32 v58, v5, v5
	v_cmp_u_f32_e32 vcc_lo, v57, v57
	s_delay_alu instid0(VALU_DEP_2) | instskip(SKIP_1) | instid1(VALU_DEP_1)
	v_min_num_f32_e32 v60, v59, v58
	s_wait_alu 0xfffd
	v_dual_max_num_f32 v58, v59, v58 :: v_dual_cndmask_b32 v59, v60, v57
	s_delay_alu instid0(VALU_DEP_1) | instskip(SKIP_2) | instid1(VALU_DEP_3)
	v_cndmask_b32_e32 v60, v58, v57, vcc_lo
	v_cmp_u_f32_e32 vcc_lo, v5, v5
	s_wait_alu 0xfffd
	v_cndmask_b32_e32 v58, v59, v5, vcc_lo
	s_delay_alu instid0(VALU_DEP_3) | instskip(NEXT) | instid1(VALU_DEP_2)
	v_cndmask_b32_e32 v5, v60, v5, vcc_lo
	v_cmp_class_f32_e64 s37, v58, 0x1f8
	s_delay_alu instid0(VALU_DEP_2) | instskip(SKIP_1) | instid1(SALU_CYCLE_1)
	v_cmp_neq_f32_e32 vcc_lo, v58, v5
	s_or_b32 s38, vcc_lo, s37
	s_and_saveexec_b32 s37, s38
	s_cbranch_execz .LBB508_159
; %bb.158:                              ;   in Loop: Header=BB508_139 Depth=1
	v_sub_f32_e32 v57, v58, v5
	s_delay_alu instid0(VALU_DEP_1) | instskip(SKIP_1) | instid1(VALU_DEP_2)
	v_mul_f32_e32 v58, 0x3fb8aa3b, v57
	v_cmp_ngt_f32_e32 vcc_lo, 0xc2ce8ed0, v57
	v_fma_f32 v59, 0x3fb8aa3b, v57, -v58
	v_rndne_f32_e32 v60, v58
	s_delay_alu instid0(VALU_DEP_1) | instskip(NEXT) | instid1(VALU_DEP_1)
	v_dual_fmac_f32 v59, 0x32a5705f, v57 :: v_dual_sub_f32 v58, v58, v60
	v_add_f32_e32 v58, v58, v59
	v_cvt_i32_f32_e32 v59, v60
	s_delay_alu instid0(VALU_DEP_2) | instskip(NEXT) | instid1(TRANS32_DEP_1)
	v_exp_f32_e32 v58, v58
	v_ldexp_f32 v58, v58, v59
	s_wait_alu 0xfffd
	s_delay_alu instid0(VALU_DEP_1) | instskip(SKIP_2) | instid1(VALU_DEP_2)
	v_cndmask_b32_e32 v58, 0, v58, vcc_lo
	v_cmp_nlt_f32_e32 vcc_lo, 0x42b17218, v57
	s_wait_alu 0xfffd
	v_cndmask_b32_e32 v59, 0x7f800000, v58, vcc_lo
	s_delay_alu instid0(VALU_DEP_1) | instskip(NEXT) | instid1(VALU_DEP_1)
	v_add_f32_e32 v60, 1.0, v59
	v_cvt_f64_f32_e32 v[57:58], v60
	s_delay_alu instid0(VALU_DEP_1) | instskip(SKIP_1) | instid1(VALU_DEP_1)
	v_frexp_exp_i32_f64_e32 v57, v[57:58]
	v_frexp_mant_f32_e32 v58, v60
	v_cmp_gt_f32_e32 vcc_lo, 0x3f2aaaab, v58
	v_add_f32_e32 v58, -1.0, v60
	s_delay_alu instid0(VALU_DEP_1) | instskip(SKIP_4) | instid1(VALU_DEP_2)
	v_sub_f32_e32 v62, v58, v60
	v_sub_f32_e32 v58, v59, v58
	s_wait_alu 0xfffd
	v_subrev_co_ci_u32_e64 v57, null, 0, v57, vcc_lo
	v_cmp_neq_f32_e32 vcc_lo, 0x7f800000, v59
	v_sub_nc_u32_e32 v61, 0, v57
	v_cvt_f32_i32_e32 v57, v57
	s_delay_alu instid0(VALU_DEP_2) | instskip(NEXT) | instid1(VALU_DEP_1)
	v_ldexp_f32 v60, v60, v61
	v_dual_add_f32 v63, 1.0, v60 :: v_dual_add_f32 v62, 1.0, v62
	s_delay_alu instid0(VALU_DEP_1) | instskip(NEXT) | instid1(VALU_DEP_2)
	v_add_f32_e32 v58, v58, v62
	v_add_f32_e32 v62, -1.0, v63
	s_delay_alu instid0(VALU_DEP_2) | instskip(NEXT) | instid1(VALU_DEP_2)
	v_ldexp_f32 v58, v58, v61
	v_dual_add_f32 v61, -1.0, v60 :: v_dual_sub_f32 v62, v60, v62
	s_delay_alu instid0(VALU_DEP_1) | instskip(NEXT) | instid1(VALU_DEP_2)
	v_add_f32_e32 v64, 1.0, v61
	v_add_f32_e32 v62, v58, v62
	s_delay_alu instid0(VALU_DEP_2) | instskip(NEXT) | instid1(VALU_DEP_2)
	v_sub_f32_e32 v60, v60, v64
	v_add_f32_e32 v64, v63, v62
	s_delay_alu instid0(VALU_DEP_2) | instskip(NEXT) | instid1(VALU_DEP_2)
	v_add_f32_e32 v58, v58, v60
	v_rcp_f32_e32 v60, v64
	v_sub_f32_e32 v63, v63, v64
	s_delay_alu instid0(VALU_DEP_1) | instskip(NEXT) | instid1(VALU_DEP_1)
	v_dual_add_f32 v65, v61, v58 :: v_dual_add_f32 v62, v62, v63
	v_sub_f32_e32 v61, v61, v65
	s_delay_alu instid0(TRANS32_DEP_1) | instskip(NEXT) | instid1(VALU_DEP_1)
	v_mul_f32_e32 v66, v65, v60
	v_dual_add_f32 v58, v58, v61 :: v_dual_mul_f32 v67, v64, v66
	s_delay_alu instid0(VALU_DEP_1) | instskip(NEXT) | instid1(VALU_DEP_1)
	v_fma_f32 v63, v66, v64, -v67
	v_fmac_f32_e32 v63, v66, v62
	s_delay_alu instid0(VALU_DEP_1) | instskip(NEXT) | instid1(VALU_DEP_1)
	v_add_f32_e32 v68, v67, v63
	v_sub_f32_e32 v69, v65, v68
	v_sub_f32_e32 v61, v68, v67
	s_delay_alu instid0(VALU_DEP_2) | instskip(NEXT) | instid1(VALU_DEP_2)
	v_sub_f32_e32 v65, v65, v69
	v_sub_f32_e32 v61, v61, v63
	s_delay_alu instid0(VALU_DEP_2) | instskip(NEXT) | instid1(VALU_DEP_1)
	v_sub_f32_e32 v65, v65, v68
	v_add_f32_e32 v58, v58, v65
	s_delay_alu instid0(VALU_DEP_1) | instskip(NEXT) | instid1(VALU_DEP_1)
	v_add_f32_e32 v58, v61, v58
	v_add_f32_e32 v61, v69, v58
	s_delay_alu instid0(VALU_DEP_1) | instskip(NEXT) | instid1(VALU_DEP_1)
	v_mul_f32_e32 v63, v60, v61
	v_dual_sub_f32 v68, v69, v61 :: v_dual_mul_f32 v65, v64, v63
	s_delay_alu instid0(VALU_DEP_1) | instskip(NEXT) | instid1(VALU_DEP_2)
	v_add_f32_e32 v58, v58, v68
	v_fma_f32 v64, v63, v64, -v65
	s_delay_alu instid0(VALU_DEP_1) | instskip(NEXT) | instid1(VALU_DEP_1)
	v_fmac_f32_e32 v64, v63, v62
	v_add_f32_e32 v62, v65, v64
	s_delay_alu instid0(VALU_DEP_1) | instskip(SKIP_1) | instid1(VALU_DEP_2)
	v_sub_f32_e32 v67, v61, v62
	v_sub_f32_e32 v65, v62, v65
	;; [unrolled: 1-line block ×3, first 2 shown]
	s_delay_alu instid0(VALU_DEP_1) | instskip(NEXT) | instid1(VALU_DEP_3)
	v_sub_f32_e32 v61, v61, v62
	v_sub_f32_e32 v62, v65, v64
	s_delay_alu instid0(VALU_DEP_2) | instskip(SKIP_1) | instid1(VALU_DEP_2)
	v_add_f32_e32 v58, v58, v61
	v_add_f32_e32 v61, v66, v63
	;; [unrolled: 1-line block ×3, first 2 shown]
	s_delay_alu instid0(VALU_DEP_2) | instskip(NEXT) | instid1(VALU_DEP_2)
	v_sub_f32_e32 v62, v61, v66
	v_add_f32_e32 v58, v67, v58
	s_delay_alu instid0(VALU_DEP_2) | instskip(NEXT) | instid1(VALU_DEP_2)
	v_sub_f32_e32 v62, v63, v62
	v_mul_f32_e32 v58, v60, v58
	s_delay_alu instid0(VALU_DEP_1) | instskip(NEXT) | instid1(VALU_DEP_1)
	v_add_f32_e32 v58, v62, v58
	v_add_f32_e32 v60, v61, v58
	s_delay_alu instid0(VALU_DEP_1) | instskip(NEXT) | instid1(VALU_DEP_1)
	v_mul_f32_e32 v62, v60, v60
	v_fmaak_f32 v63, s16, v62, 0x3ecc95a3
	v_mul_f32_e32 v64, v60, v62
	s_delay_alu instid0(VALU_DEP_2) | instskip(SKIP_2) | instid1(VALU_DEP_3)
	v_fmaak_f32 v62, v62, v63, 0x3f2aaada
	v_ldexp_f32 v63, v60, 1
	v_sub_f32_e32 v60, v60, v61
	v_mul_f32_e32 v62, v64, v62
	v_mul_f32_e32 v64, 0x3f317218, v57
	s_delay_alu instid0(VALU_DEP_2) | instskip(NEXT) | instid1(VALU_DEP_1)
	v_dual_sub_f32 v58, v58, v60 :: v_dual_add_f32 v61, v63, v62
	v_ldexp_f32 v58, v58, 1
	s_delay_alu instid0(VALU_DEP_2) | instskip(NEXT) | instid1(VALU_DEP_4)
	v_sub_f32_e32 v60, v61, v63
	v_fma_f32 v63, 0x3f317218, v57, -v64
	s_delay_alu instid0(VALU_DEP_1) | instskip(NEXT) | instid1(VALU_DEP_1)
	v_dual_sub_f32 v60, v62, v60 :: v_dual_fmac_f32 v63, 0xb102e308, v57
	v_dual_add_f32 v57, v58, v60 :: v_dual_add_f32 v58, v64, v63
	s_delay_alu instid0(VALU_DEP_1) | instskip(NEXT) | instid1(VALU_DEP_2)
	v_add_f32_e32 v60, v61, v57
	v_sub_f32_e32 v64, v58, v64
	s_delay_alu instid0(VALU_DEP_2) | instskip(NEXT) | instid1(VALU_DEP_2)
	v_dual_add_f32 v62, v58, v60 :: v_dual_sub_f32 v61, v60, v61
	v_sub_f32_e32 v63, v63, v64
	s_delay_alu instid0(VALU_DEP_2) | instskip(NEXT) | instid1(VALU_DEP_3)
	v_sub_f32_e32 v65, v62, v58
	v_sub_f32_e32 v57, v57, v61
	s_delay_alu instid0(VALU_DEP_2) | instskip(SKIP_1) | instid1(VALU_DEP_2)
	v_sub_f32_e32 v66, v62, v65
	v_sub_f32_e32 v60, v60, v65
	v_dual_add_f32 v61, v63, v57 :: v_dual_sub_f32 v58, v58, v66
	s_delay_alu instid0(VALU_DEP_1) | instskip(NEXT) | instid1(VALU_DEP_2)
	v_add_f32_e32 v58, v60, v58
	v_sub_f32_e32 v60, v61, v63
	s_delay_alu instid0(VALU_DEP_2) | instskip(NEXT) | instid1(VALU_DEP_2)
	v_add_f32_e32 v58, v61, v58
	v_sub_f32_e32 v61, v61, v60
	s_delay_alu instid0(VALU_DEP_2) | instskip(NEXT) | instid1(VALU_DEP_1)
	v_dual_sub_f32 v57, v57, v60 :: v_dual_add_f32 v64, v62, v58
	v_dual_sub_f32 v61, v63, v61 :: v_dual_sub_f32 v60, v64, v62
	s_delay_alu instid0(VALU_DEP_1) | instskip(NEXT) | instid1(VALU_DEP_1)
	v_dual_add_f32 v57, v57, v61 :: v_dual_sub_f32 v58, v58, v60
	v_add_f32_e32 v57, v57, v58
	s_delay_alu instid0(VALU_DEP_1) | instskip(SKIP_1) | instid1(VALU_DEP_1)
	v_add_f32_e32 v57, v64, v57
	s_wait_alu 0xfffd
	v_cndmask_b32_e32 v57, 0x7f800000, v57, vcc_lo
	v_cmp_gt_f32_e64 vcc_lo, 0x33800000, |v59|
	s_wait_alu 0xfffd
	s_delay_alu instid0(VALU_DEP_2) | instskip(NEXT) | instid1(VALU_DEP_1)
	v_cndmask_b32_e32 v57, v57, v59, vcc_lo
	v_add_f32_e32 v57, v5, v57
.LBB508_159:                            ;   in Loop: Header=BB508_139 Depth=1
	s_wait_alu 0xfffe
	s_or_b32 exec_lo, exec_lo, s37
	s_delay_alu instid0(VALU_DEP_1) | instskip(SKIP_1) | instid1(VALU_DEP_2)
	v_bfe_u32 v5, v57, 16, 1
	v_cmp_o_f32_e32 vcc_lo, v57, v57
	v_add3_u32 v5, v57, v5, 0x7fff
	s_delay_alu instid0(VALU_DEP_1) | instskip(SKIP_1) | instid1(VALU_DEP_1)
	v_lshrrev_b32_e32 v5, 16, v5
	s_wait_alu 0xfffd
	v_cndmask_b32_e32 v57, 0x7fc0, v5, vcc_lo
	s_delay_alu instid0(VALU_DEP_1)
	v_and_b32_e32 v5, 0xffff, v57
.LBB508_160:                            ;   in Loop: Header=BB508_139 Depth=1
	s_wait_alu 0xfffe
	s_or_b32 exec_lo, exec_lo, s17
	s_wait_dscnt 0x0
	ds_bpermute_b32 v58, v55, v5
	s_mov_b32 s17, exec_lo
	v_cmpx_le_u32_e64 v56, v4
	s_cbranch_execz .LBB508_164
; %bb.161:                              ;   in Loop: Header=BB508_139 Depth=1
	v_lshlrev_b32_e32 v4, 16, v5
	s_wait_dscnt 0x0
	v_lshlrev_b32_e32 v5, 16, v58
	s_delay_alu instid0(VALU_DEP_1) | instskip(SKIP_1) | instid1(VALU_DEP_2)
	v_dual_max_num_f32 v57, v4, v4 :: v_dual_max_num_f32 v58, v5, v5
	v_cmp_u_f32_e32 vcc_lo, v5, v5
	v_min_num_f32_e32 v59, v58, v57
	v_max_num_f32_e32 v57, v58, v57
	s_wait_alu 0xfffd
	s_delay_alu instid0(VALU_DEP_2) | instskip(NEXT) | instid1(VALU_DEP_2)
	v_cndmask_b32_e32 v58, v59, v5, vcc_lo
	v_cndmask_b32_e32 v59, v57, v5, vcc_lo
	v_cmp_u_f32_e32 vcc_lo, v4, v4
	s_wait_alu 0xfffd
	s_delay_alu instid0(VALU_DEP_3) | instskip(NEXT) | instid1(VALU_DEP_3)
	v_cndmask_b32_e32 v57, v58, v4, vcc_lo
	v_cndmask_b32_e32 v4, v59, v4, vcc_lo
	s_delay_alu instid0(VALU_DEP_2) | instskip(NEXT) | instid1(VALU_DEP_2)
	v_cmp_class_f32_e64 s37, v57, 0x1f8
	v_cmp_neq_f32_e32 vcc_lo, v57, v4
	s_or_b32 s38, vcc_lo, s37
	s_delay_alu instid0(SALU_CYCLE_1)
	s_and_saveexec_b32 s37, s38
	s_cbranch_execz .LBB508_163
; %bb.162:                              ;   in Loop: Header=BB508_139 Depth=1
	v_sub_f32_e32 v5, v57, v4
	s_delay_alu instid0(VALU_DEP_1) | instskip(SKIP_1) | instid1(VALU_DEP_2)
	v_mul_f32_e32 v57, 0x3fb8aa3b, v5
	v_cmp_ngt_f32_e32 vcc_lo, 0xc2ce8ed0, v5
	v_fma_f32 v58, 0x3fb8aa3b, v5, -v57
	v_rndne_f32_e32 v59, v57
	s_delay_alu instid0(VALU_DEP_1) | instskip(NEXT) | instid1(VALU_DEP_1)
	v_dual_fmac_f32 v58, 0x32a5705f, v5 :: v_dual_sub_f32 v57, v57, v59
	v_add_f32_e32 v57, v57, v58
	v_cvt_i32_f32_e32 v58, v59
	s_delay_alu instid0(VALU_DEP_2) | instskip(NEXT) | instid1(TRANS32_DEP_1)
	v_exp_f32_e32 v57, v57
	v_ldexp_f32 v57, v57, v58
	s_wait_alu 0xfffd
	s_delay_alu instid0(VALU_DEP_1) | instskip(SKIP_2) | instid1(VALU_DEP_2)
	v_cndmask_b32_e32 v57, 0, v57, vcc_lo
	v_cmp_nlt_f32_e32 vcc_lo, 0x42b17218, v5
	s_wait_alu 0xfffd
	v_cndmask_b32_e32 v5, 0x7f800000, v57, vcc_lo
	s_delay_alu instid0(VALU_DEP_1) | instskip(NEXT) | instid1(VALU_DEP_1)
	v_add_f32_e32 v59, 1.0, v5
	v_cvt_f64_f32_e32 v[57:58], v59
	s_delay_alu instid0(VALU_DEP_1) | instskip(SKIP_1) | instid1(VALU_DEP_1)
	v_frexp_exp_i32_f64_e32 v57, v[57:58]
	v_frexp_mant_f32_e32 v58, v59
	v_cmp_gt_f32_e32 vcc_lo, 0x3f2aaaab, v58
	v_add_f32_e32 v58, -1.0, v59
	s_delay_alu instid0(VALU_DEP_1) | instskip(SKIP_2) | instid1(VALU_DEP_1)
	v_dual_sub_f32 v61, v58, v59 :: v_dual_sub_f32 v58, v5, v58
	s_wait_alu 0xfffd
	v_subrev_co_ci_u32_e64 v57, null, 0, v57, vcc_lo
	v_sub_nc_u32_e32 v60, 0, v57
	v_cvt_f32_i32_e32 v57, v57
	s_delay_alu instid0(VALU_DEP_2) | instskip(NEXT) | instid1(VALU_DEP_1)
	v_ldexp_f32 v59, v59, v60
	v_dual_add_f32 v62, 1.0, v59 :: v_dual_add_f32 v61, 1.0, v61
	s_delay_alu instid0(VALU_DEP_1) | instskip(NEXT) | instid1(VALU_DEP_1)
	v_dual_add_f32 v58, v58, v61 :: v_dual_add_f32 v61, -1.0, v62
	v_ldexp_f32 v58, v58, v60
	s_delay_alu instid0(VALU_DEP_2) | instskip(NEXT) | instid1(VALU_DEP_1)
	v_dual_add_f32 v60, -1.0, v59 :: v_dual_sub_f32 v61, v59, v61
	v_add_f32_e32 v63, 1.0, v60
	s_delay_alu instid0(VALU_DEP_2) | instskip(NEXT) | instid1(VALU_DEP_2)
	v_add_f32_e32 v61, v58, v61
	v_sub_f32_e32 v59, v59, v63
	s_delay_alu instid0(VALU_DEP_1) | instskip(SKIP_1) | instid1(VALU_DEP_2)
	v_add_f32_e32 v58, v58, v59
	v_cmp_neq_f32_e32 vcc_lo, 0x7f800000, v5
	v_add_f32_e32 v64, v60, v58
	s_delay_alu instid0(VALU_DEP_1) | instskip(NEXT) | instid1(VALU_DEP_1)
	v_dual_sub_f32 v60, v60, v64 :: v_dual_add_f32 v63, v62, v61
	v_add_f32_e32 v58, v58, v60
	s_delay_alu instid0(VALU_DEP_2) | instskip(SKIP_1) | instid1(VALU_DEP_1)
	v_rcp_f32_e32 v59, v63
	v_sub_f32_e32 v62, v62, v63
	v_add_f32_e32 v61, v61, v62
	s_delay_alu instid0(TRANS32_DEP_1) | instskip(NEXT) | instid1(VALU_DEP_1)
	v_mul_f32_e32 v65, v64, v59
	v_mul_f32_e32 v66, v63, v65
	s_delay_alu instid0(VALU_DEP_1) | instskip(NEXT) | instid1(VALU_DEP_1)
	v_fma_f32 v62, v65, v63, -v66
	v_fmac_f32_e32 v62, v65, v61
	s_delay_alu instid0(VALU_DEP_1) | instskip(NEXT) | instid1(VALU_DEP_1)
	v_add_f32_e32 v67, v66, v62
	v_sub_f32_e32 v68, v64, v67
	v_sub_f32_e32 v60, v67, v66
	s_delay_alu instid0(VALU_DEP_2) | instskip(NEXT) | instid1(VALU_DEP_1)
	v_sub_f32_e32 v64, v64, v68
	v_sub_f32_e32 v64, v64, v67
	s_delay_alu instid0(VALU_DEP_3) | instskip(NEXT) | instid1(VALU_DEP_2)
	v_sub_f32_e32 v60, v60, v62
	v_add_f32_e32 v58, v58, v64
	s_delay_alu instid0(VALU_DEP_1) | instskip(NEXT) | instid1(VALU_DEP_1)
	v_add_f32_e32 v58, v60, v58
	v_add_f32_e32 v60, v68, v58
	s_delay_alu instid0(VALU_DEP_1) | instskip(NEXT) | instid1(VALU_DEP_1)
	v_mul_f32_e32 v62, v59, v60
	v_dual_sub_f32 v67, v68, v60 :: v_dual_mul_f32 v64, v63, v62
	s_delay_alu instid0(VALU_DEP_1) | instskip(NEXT) | instid1(VALU_DEP_2)
	v_add_f32_e32 v58, v58, v67
	v_fma_f32 v63, v62, v63, -v64
	s_delay_alu instid0(VALU_DEP_1) | instskip(NEXT) | instid1(VALU_DEP_1)
	v_fmac_f32_e32 v63, v62, v61
	v_add_f32_e32 v61, v64, v63
	s_delay_alu instid0(VALU_DEP_1) | instskip(NEXT) | instid1(VALU_DEP_1)
	v_sub_f32_e32 v66, v60, v61
	v_sub_f32_e32 v60, v60, v66
	s_delay_alu instid0(VALU_DEP_1) | instskip(NEXT) | instid1(VALU_DEP_1)
	v_sub_f32_e32 v60, v60, v61
	v_add_f32_e32 v58, v58, v60
	v_add_f32_e32 v60, v65, v62
	v_sub_f32_e32 v64, v61, v64
	s_delay_alu instid0(VALU_DEP_1) | instskip(NEXT) | instid1(VALU_DEP_1)
	v_sub_f32_e32 v61, v64, v63
	v_dual_add_f32 v58, v61, v58 :: v_dual_sub_f32 v61, v60, v65
	s_delay_alu instid0(VALU_DEP_1) | instskip(NEXT) | instid1(VALU_DEP_1)
	v_add_f32_e32 v58, v66, v58
	v_dual_sub_f32 v61, v62, v61 :: v_dual_mul_f32 v58, v59, v58
	s_delay_alu instid0(VALU_DEP_1) | instskip(NEXT) | instid1(VALU_DEP_1)
	v_add_f32_e32 v58, v61, v58
	v_add_f32_e32 v59, v60, v58
	s_delay_alu instid0(VALU_DEP_1) | instskip(NEXT) | instid1(VALU_DEP_1)
	v_mul_f32_e32 v61, v59, v59
	v_fmaak_f32 v62, s16, v61, 0x3ecc95a3
	v_mul_f32_e32 v63, v59, v61
	s_delay_alu instid0(VALU_DEP_2) | instskip(SKIP_1) | instid1(VALU_DEP_2)
	v_fmaak_f32 v61, v61, v62, 0x3f2aaada
	v_ldexp_f32 v62, v59, 1
	v_mul_f32_e32 v61, v63, v61
	v_mul_f32_e32 v63, 0x3f317218, v57
	s_delay_alu instid0(VALU_DEP_2) | instskip(NEXT) | instid1(VALU_DEP_1)
	v_dual_sub_f32 v59, v59, v60 :: v_dual_add_f32 v60, v62, v61
	v_dual_sub_f32 v58, v58, v59 :: v_dual_sub_f32 v59, v60, v62
	s_delay_alu instid0(VALU_DEP_3) | instskip(NEXT) | instid1(VALU_DEP_2)
	v_fma_f32 v62, 0x3f317218, v57, -v63
	v_ldexp_f32 v58, v58, 1
	s_delay_alu instid0(VALU_DEP_2) | instskip(NEXT) | instid1(VALU_DEP_1)
	v_dual_sub_f32 v59, v61, v59 :: v_dual_fmac_f32 v62, 0xb102e308, v57
	v_dual_add_f32 v57, v58, v59 :: v_dual_add_f32 v58, v63, v62
	s_delay_alu instid0(VALU_DEP_1) | instskip(NEXT) | instid1(VALU_DEP_1)
	v_add_f32_e32 v59, v60, v57
	v_add_f32_e32 v61, v58, v59
	s_delay_alu instid0(VALU_DEP_1) | instskip(NEXT) | instid1(VALU_DEP_1)
	v_sub_f32_e32 v64, v61, v58
	v_sub_f32_e32 v65, v61, v64
	v_sub_f32_e32 v60, v59, v60
	s_delay_alu instid0(VALU_DEP_1) | instskip(SKIP_1) | instid1(VALU_DEP_1)
	v_sub_f32_e32 v57, v57, v60
	v_sub_f32_e32 v63, v58, v63
	v_dual_sub_f32 v59, v59, v64 :: v_dual_sub_f32 v62, v62, v63
	s_delay_alu instid0(VALU_DEP_1) | instskip(SKIP_1) | instid1(VALU_DEP_1)
	v_add_f32_e32 v60, v62, v57
	v_sub_f32_e32 v58, v58, v65
	v_add_f32_e32 v58, v59, v58
	s_delay_alu instid0(VALU_DEP_3) | instskip(NEXT) | instid1(VALU_DEP_1)
	v_sub_f32_e32 v59, v60, v62
	v_dual_sub_f32 v57, v57, v59 :: v_dual_add_f32 v58, v60, v58
	s_delay_alu instid0(VALU_DEP_1) | instskip(NEXT) | instid1(VALU_DEP_1)
	v_dual_sub_f32 v60, v60, v59 :: v_dual_add_f32 v63, v61, v58
	v_dual_sub_f32 v59, v63, v61 :: v_dual_sub_f32 v60, v62, v60
	s_delay_alu instid0(VALU_DEP_1) | instskip(NEXT) | instid1(VALU_DEP_1)
	v_dual_sub_f32 v58, v58, v59 :: v_dual_add_f32 v57, v57, v60
	v_add_f32_e32 v57, v57, v58
	s_delay_alu instid0(VALU_DEP_1) | instskip(SKIP_1) | instid1(VALU_DEP_1)
	v_add_f32_e32 v57, v63, v57
	s_wait_alu 0xfffd
	v_cndmask_b32_e32 v57, 0x7f800000, v57, vcc_lo
	v_cmp_gt_f32_e64 vcc_lo, 0x33800000, |v5|
	s_wait_alu 0xfffd
	s_delay_alu instid0(VALU_DEP_2) | instskip(NEXT) | instid1(VALU_DEP_1)
	v_cndmask_b32_e32 v5, v57, v5, vcc_lo
	v_add_f32_e32 v5, v4, v5
.LBB508_163:                            ;   in Loop: Header=BB508_139 Depth=1
	s_wait_alu 0xfffe
	s_or_b32 exec_lo, exec_lo, s37
	s_delay_alu instid0(VALU_DEP_1) | instskip(SKIP_1) | instid1(VALU_DEP_2)
	v_bfe_u32 v4, v5, 16, 1
	v_cmp_o_f32_e32 vcc_lo, v5, v5
	v_add3_u32 v4, v5, v4, 0x7fff
	s_delay_alu instid0(VALU_DEP_1) | instskip(SKIP_1) | instid1(VALU_DEP_1)
	v_lshrrev_b32_e32 v4, 16, v4
	s_wait_alu 0xfffd
	v_cndmask_b32_e32 v57, 0x7fc0, v4, vcc_lo
.LBB508_164:                            ;   in Loop: Header=BB508_139 Depth=1
	s_wait_alu 0xfffe
	s_or_b32 exec_lo, exec_lo, s17
	s_delay_alu instid0(VALU_DEP_1) | instskip(SKIP_1) | instid1(VALU_DEP_1)
	v_lshlrev_b32_e32 v5, 16, v57
	s_wait_dscnt 0x0
	v_max_num_f32_e32 v58, v5, v5
	v_lshlrev_b32_e32 v4, 16, v54
	v_cmp_u_f32_e32 vcc_lo, v5, v5
	s_delay_alu instid0(VALU_DEP_2) | instskip(NEXT) | instid1(VALU_DEP_1)
	v_max_num_f32_e32 v57, v4, v4
	v_min_num_f32_e32 v59, v58, v57
	v_max_num_f32_e32 v57, v58, v57
	s_wait_alu 0xfffd
	s_delay_alu instid0(VALU_DEP_2) | instskip(NEXT) | instid1(VALU_DEP_2)
	v_cndmask_b32_e32 v58, v59, v5, vcc_lo
	v_cndmask_b32_e32 v59, v57, v5, vcc_lo
	v_cmp_u_f32_e32 vcc_lo, v4, v4
	s_wait_alu 0xfffd
	s_delay_alu instid0(VALU_DEP_3) | instskip(NEXT) | instid1(VALU_DEP_3)
	v_cndmask_b32_e32 v57, v58, v4, vcc_lo
	v_cndmask_b32_e32 v4, v59, v4, vcc_lo
	s_delay_alu instid0(VALU_DEP_2) | instskip(NEXT) | instid1(VALU_DEP_2)
	v_cmp_class_f32_e64 s17, v57, 0x1f8
	v_cmp_neq_f32_e32 vcc_lo, v57, v4
	s_or_b32 s37, vcc_lo, s17
	s_wait_alu 0xfffe
	s_and_saveexec_b32 s17, s37
	s_cbranch_execz .LBB508_137
; %bb.165:                              ;   in Loop: Header=BB508_139 Depth=1
	v_sub_f32_e32 v5, v57, v4
	s_delay_alu instid0(VALU_DEP_1) | instskip(SKIP_1) | instid1(VALU_DEP_2)
	v_mul_f32_e32 v57, 0x3fb8aa3b, v5
	v_cmp_ngt_f32_e32 vcc_lo, 0xc2ce8ed0, v5
	v_fma_f32 v58, 0x3fb8aa3b, v5, -v57
	v_rndne_f32_e32 v59, v57
	s_delay_alu instid0(VALU_DEP_1) | instskip(NEXT) | instid1(VALU_DEP_1)
	v_dual_fmac_f32 v58, 0x32a5705f, v5 :: v_dual_sub_f32 v57, v57, v59
	v_add_f32_e32 v57, v57, v58
	v_cvt_i32_f32_e32 v58, v59
	s_delay_alu instid0(VALU_DEP_2) | instskip(NEXT) | instid1(TRANS32_DEP_1)
	v_exp_f32_e32 v57, v57
	v_ldexp_f32 v57, v57, v58
	s_wait_alu 0xfffd
	s_delay_alu instid0(VALU_DEP_1) | instskip(SKIP_2) | instid1(VALU_DEP_2)
	v_cndmask_b32_e32 v57, 0, v57, vcc_lo
	v_cmp_nlt_f32_e32 vcc_lo, 0x42b17218, v5
	s_wait_alu 0xfffd
	v_cndmask_b32_e32 v5, 0x7f800000, v57, vcc_lo
	s_delay_alu instid0(VALU_DEP_1) | instskip(NEXT) | instid1(VALU_DEP_1)
	v_add_f32_e32 v59, 1.0, v5
	v_cvt_f64_f32_e32 v[57:58], v59
	s_delay_alu instid0(VALU_DEP_1) | instskip(SKIP_1) | instid1(VALU_DEP_1)
	v_frexp_exp_i32_f64_e32 v57, v[57:58]
	v_frexp_mant_f32_e32 v58, v59
	v_cmp_gt_f32_e32 vcc_lo, 0x3f2aaaab, v58
	v_add_f32_e32 v58, -1.0, v59
	s_delay_alu instid0(VALU_DEP_1) | instskip(SKIP_2) | instid1(VALU_DEP_1)
	v_dual_sub_f32 v61, v58, v59 :: v_dual_sub_f32 v58, v5, v58
	s_wait_alu 0xfffd
	v_subrev_co_ci_u32_e64 v57, null, 0, v57, vcc_lo
	v_sub_nc_u32_e32 v60, 0, v57
	v_cvt_f32_i32_e32 v57, v57
	s_delay_alu instid0(VALU_DEP_2) | instskip(NEXT) | instid1(VALU_DEP_1)
	v_ldexp_f32 v59, v59, v60
	v_dual_add_f32 v62, 1.0, v59 :: v_dual_add_f32 v61, 1.0, v61
	s_delay_alu instid0(VALU_DEP_1) | instskip(NEXT) | instid1(VALU_DEP_1)
	v_dual_add_f32 v58, v58, v61 :: v_dual_add_f32 v61, -1.0, v62
	v_ldexp_f32 v58, v58, v60
	s_delay_alu instid0(VALU_DEP_2) | instskip(NEXT) | instid1(VALU_DEP_1)
	v_dual_add_f32 v60, -1.0, v59 :: v_dual_sub_f32 v61, v59, v61
	v_add_f32_e32 v63, 1.0, v60
	s_delay_alu instid0(VALU_DEP_2) | instskip(NEXT) | instid1(VALU_DEP_2)
	v_add_f32_e32 v61, v58, v61
	v_sub_f32_e32 v59, v59, v63
	s_delay_alu instid0(VALU_DEP_1) | instskip(SKIP_1) | instid1(VALU_DEP_2)
	v_add_f32_e32 v58, v58, v59
	v_cmp_neq_f32_e32 vcc_lo, 0x7f800000, v5
	v_add_f32_e32 v64, v60, v58
	s_delay_alu instid0(VALU_DEP_1) | instskip(NEXT) | instid1(VALU_DEP_1)
	v_dual_sub_f32 v60, v60, v64 :: v_dual_add_f32 v63, v62, v61
	v_add_f32_e32 v58, v58, v60
	s_delay_alu instid0(VALU_DEP_2) | instskip(SKIP_1) | instid1(VALU_DEP_1)
	v_rcp_f32_e32 v59, v63
	v_sub_f32_e32 v62, v62, v63
	v_add_f32_e32 v61, v61, v62
	s_delay_alu instid0(TRANS32_DEP_1) | instskip(NEXT) | instid1(VALU_DEP_1)
	v_mul_f32_e32 v65, v64, v59
	v_mul_f32_e32 v66, v63, v65
	s_delay_alu instid0(VALU_DEP_1) | instskip(NEXT) | instid1(VALU_DEP_1)
	v_fma_f32 v62, v65, v63, -v66
	v_fmac_f32_e32 v62, v65, v61
	s_delay_alu instid0(VALU_DEP_1) | instskip(NEXT) | instid1(VALU_DEP_1)
	v_add_f32_e32 v67, v66, v62
	v_sub_f32_e32 v68, v64, v67
	v_sub_f32_e32 v60, v67, v66
	s_delay_alu instid0(VALU_DEP_2) | instskip(NEXT) | instid1(VALU_DEP_1)
	v_sub_f32_e32 v64, v64, v68
	v_sub_f32_e32 v64, v64, v67
	s_delay_alu instid0(VALU_DEP_3) | instskip(NEXT) | instid1(VALU_DEP_2)
	v_sub_f32_e32 v60, v60, v62
	v_add_f32_e32 v58, v58, v64
	s_delay_alu instid0(VALU_DEP_1) | instskip(NEXT) | instid1(VALU_DEP_1)
	v_add_f32_e32 v58, v60, v58
	v_add_f32_e32 v60, v68, v58
	s_delay_alu instid0(VALU_DEP_1) | instskip(NEXT) | instid1(VALU_DEP_1)
	v_mul_f32_e32 v62, v59, v60
	v_dual_sub_f32 v67, v68, v60 :: v_dual_mul_f32 v64, v63, v62
	s_delay_alu instid0(VALU_DEP_1) | instskip(NEXT) | instid1(VALU_DEP_2)
	v_add_f32_e32 v58, v58, v67
	v_fma_f32 v63, v62, v63, -v64
	s_delay_alu instid0(VALU_DEP_1) | instskip(NEXT) | instid1(VALU_DEP_1)
	v_fmac_f32_e32 v63, v62, v61
	v_add_f32_e32 v61, v64, v63
	s_delay_alu instid0(VALU_DEP_1) | instskip(NEXT) | instid1(VALU_DEP_1)
	v_sub_f32_e32 v66, v60, v61
	v_sub_f32_e32 v60, v60, v66
	s_delay_alu instid0(VALU_DEP_1) | instskip(NEXT) | instid1(VALU_DEP_1)
	v_sub_f32_e32 v60, v60, v61
	v_add_f32_e32 v58, v58, v60
	v_add_f32_e32 v60, v65, v62
	v_sub_f32_e32 v64, v61, v64
	s_delay_alu instid0(VALU_DEP_1) | instskip(NEXT) | instid1(VALU_DEP_1)
	v_sub_f32_e32 v61, v64, v63
	v_dual_add_f32 v58, v61, v58 :: v_dual_sub_f32 v61, v60, v65
	s_delay_alu instid0(VALU_DEP_1) | instskip(NEXT) | instid1(VALU_DEP_1)
	v_add_f32_e32 v58, v66, v58
	v_dual_sub_f32 v61, v62, v61 :: v_dual_mul_f32 v58, v59, v58
	s_delay_alu instid0(VALU_DEP_1) | instskip(NEXT) | instid1(VALU_DEP_1)
	v_add_f32_e32 v58, v61, v58
	v_add_f32_e32 v59, v60, v58
	s_delay_alu instid0(VALU_DEP_1) | instskip(NEXT) | instid1(VALU_DEP_1)
	v_mul_f32_e32 v61, v59, v59
	v_fmaak_f32 v62, s16, v61, 0x3ecc95a3
	v_mul_f32_e32 v63, v59, v61
	s_delay_alu instid0(VALU_DEP_2) | instskip(SKIP_1) | instid1(VALU_DEP_2)
	v_fmaak_f32 v61, v61, v62, 0x3f2aaada
	v_ldexp_f32 v62, v59, 1
	v_mul_f32_e32 v61, v63, v61
	v_mul_f32_e32 v63, 0x3f317218, v57
	s_delay_alu instid0(VALU_DEP_2) | instskip(NEXT) | instid1(VALU_DEP_1)
	v_dual_sub_f32 v59, v59, v60 :: v_dual_add_f32 v60, v62, v61
	v_dual_sub_f32 v58, v58, v59 :: v_dual_sub_f32 v59, v60, v62
	s_delay_alu instid0(VALU_DEP_3) | instskip(NEXT) | instid1(VALU_DEP_2)
	v_fma_f32 v62, 0x3f317218, v57, -v63
	v_ldexp_f32 v58, v58, 1
	s_delay_alu instid0(VALU_DEP_2) | instskip(NEXT) | instid1(VALU_DEP_1)
	v_dual_sub_f32 v59, v61, v59 :: v_dual_fmac_f32 v62, 0xb102e308, v57
	v_dual_add_f32 v57, v58, v59 :: v_dual_add_f32 v58, v63, v62
	s_delay_alu instid0(VALU_DEP_1) | instskip(NEXT) | instid1(VALU_DEP_1)
	v_add_f32_e32 v59, v60, v57
	v_add_f32_e32 v61, v58, v59
	s_delay_alu instid0(VALU_DEP_1) | instskip(NEXT) | instid1(VALU_DEP_1)
	v_sub_f32_e32 v64, v61, v58
	v_sub_f32_e32 v65, v61, v64
	;; [unrolled: 1-line block ×3, first 2 shown]
	s_delay_alu instid0(VALU_DEP_1) | instskip(SKIP_1) | instid1(VALU_DEP_1)
	v_sub_f32_e32 v57, v57, v60
	v_sub_f32_e32 v63, v58, v63
	v_dual_sub_f32 v59, v59, v64 :: v_dual_sub_f32 v62, v62, v63
	s_delay_alu instid0(VALU_DEP_1) | instskip(SKIP_1) | instid1(VALU_DEP_1)
	v_add_f32_e32 v60, v62, v57
	v_sub_f32_e32 v58, v58, v65
	v_add_f32_e32 v58, v59, v58
	s_delay_alu instid0(VALU_DEP_3) | instskip(NEXT) | instid1(VALU_DEP_1)
	v_sub_f32_e32 v59, v60, v62
	v_dual_sub_f32 v57, v57, v59 :: v_dual_add_f32 v58, v60, v58
	s_delay_alu instid0(VALU_DEP_1) | instskip(NEXT) | instid1(VALU_DEP_1)
	v_dual_sub_f32 v60, v60, v59 :: v_dual_add_f32 v63, v61, v58
	v_dual_sub_f32 v59, v63, v61 :: v_dual_sub_f32 v60, v62, v60
	s_delay_alu instid0(VALU_DEP_1) | instskip(NEXT) | instid1(VALU_DEP_1)
	v_dual_sub_f32 v58, v58, v59 :: v_dual_add_f32 v57, v57, v60
	v_add_f32_e32 v57, v57, v58
	s_delay_alu instid0(VALU_DEP_1) | instskip(SKIP_1) | instid1(VALU_DEP_1)
	v_add_f32_e32 v57, v63, v57
	s_wait_alu 0xfffd
	v_cndmask_b32_e32 v57, 0x7f800000, v57, vcc_lo
	v_cmp_gt_f32_e64 vcc_lo, 0x33800000, |v5|
	s_wait_alu 0xfffd
	s_delay_alu instid0(VALU_DEP_2) | instskip(NEXT) | instid1(VALU_DEP_1)
	v_cndmask_b32_e32 v5, v57, v5, vcc_lo
	v_add_f32_e32 v5, v4, v5
	s_branch .LBB508_137
.LBB508_166:
                                        ; implicit-def: $vgpr3
                                        ; implicit-def: $vgpr40
                                        ; implicit-def: $vgpr5
                                        ; implicit-def: $vgpr19
                                        ; implicit-def: $vgpr4
                                        ; implicit-def: $vgpr27
                                        ; implicit-def: $vgpr2
                                        ; implicit-def: $vgpr20
                                        ; implicit-def: $vgpr21
                                        ; implicit-def: $vgpr22
                                        ; implicit-def: $vgpr23
                                        ; implicit-def: $vgpr24
	s_cbranch_execnz .LBB508_202
	s_branch .LBB508_309
.LBB508_167:
	s_and_saveexec_b32 s16, s15
	s_cbranch_execz .LBB508_171
; %bb.168:
	v_lshlrev_b32_e32 v3, 16, v54
	s_delay_alu instid0(VALU_DEP_1) | instskip(SKIP_1) | instid1(VALU_DEP_1)
	v_max_num_f32_e32 v5, v3, v3
	v_lshlrev_b32_e32 v2, 16, v43
	v_max_num_f32_e32 v4, v2, v2
	s_delay_alu instid0(VALU_DEP_1) | instskip(SKIP_3) | instid1(VALU_DEP_3)
	v_min_num_f32_e32 v43, v5, v4
	v_max_num_f32_e32 v4, v5, v4
	v_cmp_u_f32_e32 vcc_lo, v3, v3
	s_wait_alu 0xfffd
	v_cndmask_b32_e32 v5, v43, v3, vcc_lo
	s_delay_alu instid0(VALU_DEP_3) | instskip(SKIP_2) | instid1(VALU_DEP_3)
	v_cndmask_b32_e32 v43, v4, v3, vcc_lo
	v_cmp_u_f32_e32 vcc_lo, v2, v2
	s_wait_alu 0xfffd
	v_cndmask_b32_e32 v4, v5, v2, vcc_lo
	s_delay_alu instid0(VALU_DEP_3) | instskip(NEXT) | instid1(VALU_DEP_2)
	v_cndmask_b32_e32 v2, v43, v2, vcc_lo
	v_cmp_class_f32_e64 s15, v4, 0x1f8
	s_delay_alu instid0(VALU_DEP_2)
	v_cmp_neq_f32_e32 vcc_lo, v4, v2
	s_or_b32 s17, vcc_lo, s15
	s_wait_alu 0xfffe
	s_and_saveexec_b32 s15, s17
	s_cbranch_execz .LBB508_170
; %bb.169:
	v_sub_f32_e32 v3, v4, v2
	s_mov_b32 s17, 0x3e9b6dac
	s_delay_alu instid0(VALU_DEP_1) | instskip(SKIP_1) | instid1(VALU_DEP_2)
	v_mul_f32_e32 v4, 0x3fb8aa3b, v3
	v_cmp_ngt_f32_e32 vcc_lo, 0xc2ce8ed0, v3
	v_fma_f32 v5, 0x3fb8aa3b, v3, -v4
	v_rndne_f32_e32 v43, v4
	s_delay_alu instid0(VALU_DEP_1) | instskip(NEXT) | instid1(VALU_DEP_1)
	v_dual_fmamk_f32 v5, v3, 0x32a5705f, v5 :: v_dual_sub_f32 v4, v4, v43
	v_add_f32_e32 v4, v4, v5
	v_cvt_i32_f32_e32 v5, v43
	s_delay_alu instid0(VALU_DEP_2) | instskip(NEXT) | instid1(TRANS32_DEP_1)
	v_exp_f32_e32 v4, v4
	v_ldexp_f32 v4, v4, v5
	s_wait_alu 0xfffd
	s_delay_alu instid0(VALU_DEP_1) | instskip(SKIP_2) | instid1(VALU_DEP_2)
	v_cndmask_b32_e32 v4, 0, v4, vcc_lo
	v_cmp_nlt_f32_e32 vcc_lo, 0x42b17218, v3
	s_wait_alu 0xfffd
	v_cndmask_b32_e32 v5, 0x7f800000, v4, vcc_lo
	s_delay_alu instid0(VALU_DEP_1) | instskip(NEXT) | instid1(VALU_DEP_1)
	v_add_f32_e32 v43, 1.0, v5
	v_cvt_f64_f32_e32 v[3:4], v43
	s_delay_alu instid0(VALU_DEP_1) | instskip(SKIP_1) | instid1(VALU_DEP_1)
	v_frexp_exp_i32_f64_e32 v3, v[3:4]
	v_frexp_mant_f32_e32 v4, v43
	v_cmp_gt_f32_e32 vcc_lo, 0x3f2aaaab, v4
	v_add_f32_e32 v4, -1.0, v43
	s_delay_alu instid0(VALU_DEP_1) | instskip(SKIP_3) | instid1(VALU_DEP_2)
	v_dual_sub_f32 v45, v4, v43 :: v_dual_sub_f32 v4, v5, v4
	s_wait_alu 0xfffd
	v_subrev_co_ci_u32_e64 v3, null, 0, v3, vcc_lo
	v_cmp_neq_f32_e32 vcc_lo, 0x7f800000, v5
	v_sub_nc_u32_e32 v44, 0, v3
	v_cvt_f32_i32_e32 v3, v3
	s_delay_alu instid0(VALU_DEP_2) | instskip(NEXT) | instid1(VALU_DEP_1)
	v_ldexp_f32 v43, v43, v44
	v_dual_add_f32 v45, 1.0, v45 :: v_dual_add_f32 v46, 1.0, v43
	s_delay_alu instid0(VALU_DEP_1) | instskip(NEXT) | instid1(VALU_DEP_1)
	v_dual_add_f32 v4, v4, v45 :: v_dual_add_f32 v45, -1.0, v46
	v_ldexp_f32 v4, v4, v44
	s_delay_alu instid0(VALU_DEP_2) | instskip(NEXT) | instid1(VALU_DEP_1)
	v_dual_add_f32 v44, -1.0, v43 :: v_dual_sub_f32 v45, v43, v45
	v_add_f32_e32 v47, 1.0, v44
	s_delay_alu instid0(VALU_DEP_2) | instskip(NEXT) | instid1(VALU_DEP_2)
	v_add_f32_e32 v45, v4, v45
	v_sub_f32_e32 v43, v43, v47
	s_delay_alu instid0(VALU_DEP_1) | instskip(NEXT) | instid1(VALU_DEP_1)
	v_dual_add_f32 v47, v46, v45 :: v_dual_add_f32 v4, v4, v43
	v_rcp_f32_e32 v43, v47
	v_sub_f32_e32 v46, v46, v47
	s_delay_alu instid0(VALU_DEP_1) | instskip(NEXT) | instid1(VALU_DEP_1)
	v_dual_add_f32 v48, v44, v4 :: v_dual_add_f32 v45, v45, v46
	v_sub_f32_e32 v44, v44, v48
	s_delay_alu instid0(TRANS32_DEP_1) | instskip(NEXT) | instid1(VALU_DEP_2)
	v_mul_f32_e32 v49, v48, v43
	v_add_f32_e32 v4, v4, v44
	s_delay_alu instid0(VALU_DEP_2) | instskip(NEXT) | instid1(VALU_DEP_1)
	v_mul_f32_e32 v50, v47, v49
	v_fma_f32 v46, v49, v47, -v50
	s_delay_alu instid0(VALU_DEP_1) | instskip(NEXT) | instid1(VALU_DEP_1)
	v_fmac_f32_e32 v46, v49, v45
	v_add_f32_e32 v51, v50, v46
	s_delay_alu instid0(VALU_DEP_1) | instskip(SKIP_1) | instid1(VALU_DEP_2)
	v_sub_f32_e32 v52, v48, v51
	v_sub_f32_e32 v44, v51, v50
	;; [unrolled: 1-line block ×3, first 2 shown]
	s_delay_alu instid0(VALU_DEP_2) | instskip(NEXT) | instid1(VALU_DEP_2)
	v_sub_f32_e32 v44, v44, v46
	v_sub_f32_e32 v48, v48, v51
	s_delay_alu instid0(VALU_DEP_1) | instskip(NEXT) | instid1(VALU_DEP_1)
	v_add_f32_e32 v4, v4, v48
	v_add_f32_e32 v4, v44, v4
	s_delay_alu instid0(VALU_DEP_1) | instskip(NEXT) | instid1(VALU_DEP_1)
	v_add_f32_e32 v44, v52, v4
	v_mul_f32_e32 v46, v43, v44
	s_delay_alu instid0(VALU_DEP_1) | instskip(NEXT) | instid1(VALU_DEP_1)
	v_mul_f32_e32 v48, v47, v46
	v_fma_f32 v47, v46, v47, -v48
	s_delay_alu instid0(VALU_DEP_1) | instskip(SKIP_1) | instid1(VALU_DEP_2)
	v_fmac_f32_e32 v47, v46, v45
	v_sub_f32_e32 v51, v52, v44
	v_add_f32_e32 v45, v48, v47
	s_delay_alu instid0(VALU_DEP_2) | instskip(NEXT) | instid1(VALU_DEP_2)
	v_add_f32_e32 v4, v4, v51
	v_sub_f32_e32 v50, v44, v45
	v_sub_f32_e32 v48, v45, v48
	s_delay_alu instid0(VALU_DEP_2) | instskip(NEXT) | instid1(VALU_DEP_1)
	v_sub_f32_e32 v44, v44, v50
	v_sub_f32_e32 v44, v44, v45
	s_delay_alu instid0(VALU_DEP_3) | instskip(NEXT) | instid1(VALU_DEP_2)
	v_sub_f32_e32 v45, v48, v47
	v_add_f32_e32 v4, v4, v44
	v_add_f32_e32 v44, v49, v46
	s_delay_alu instid0(VALU_DEP_1) | instskip(NEXT) | instid1(VALU_DEP_1)
	v_dual_add_f32 v4, v45, v4 :: v_dual_sub_f32 v45, v44, v49
	v_add_f32_e32 v4, v50, v4
	s_delay_alu instid0(VALU_DEP_1) | instskip(NEXT) | instid1(VALU_DEP_1)
	v_dual_sub_f32 v45, v46, v45 :: v_dual_mul_f32 v4, v43, v4
	v_add_f32_e32 v4, v45, v4
	s_delay_alu instid0(VALU_DEP_1) | instskip(NEXT) | instid1(VALU_DEP_1)
	v_add_f32_e32 v43, v44, v4
	v_mul_f32_e32 v45, v43, v43
	s_wait_alu 0xfffe
	s_delay_alu instid0(VALU_DEP_1) | instskip(SKIP_1) | instid1(VALU_DEP_2)
	v_fmaak_f32 v46, s17, v45, 0x3ecc95a3
	v_mul_f32_e32 v47, v43, v45
	v_fmaak_f32 v45, v45, v46, 0x3f2aaada
	v_ldexp_f32 v46, v43, 1
	v_sub_f32_e32 v43, v43, v44
	s_delay_alu instid0(VALU_DEP_3) | instskip(SKIP_1) | instid1(VALU_DEP_3)
	v_mul_f32_e32 v45, v47, v45
	v_mul_f32_e32 v47, 0x3f317218, v3
	v_sub_f32_e32 v4, v4, v43
	s_delay_alu instid0(VALU_DEP_3) | instskip(NEXT) | instid1(VALU_DEP_2)
	v_add_f32_e32 v44, v46, v45
	v_ldexp_f32 v4, v4, 1
	s_delay_alu instid0(VALU_DEP_2) | instskip(SKIP_1) | instid1(VALU_DEP_2)
	v_sub_f32_e32 v43, v44, v46
	v_fma_f32 v46, 0x3f317218, v3, -v47
	v_sub_f32_e32 v43, v45, v43
	s_delay_alu instid0(VALU_DEP_1) | instskip(NEXT) | instid1(VALU_DEP_1)
	v_dual_fmamk_f32 v3, v3, 0xb102e308, v46 :: v_dual_add_f32 v4, v4, v43
	v_add_f32_e32 v43, v47, v3
	s_delay_alu instid0(VALU_DEP_2) | instskip(NEXT) | instid1(VALU_DEP_2)
	v_add_f32_e32 v45, v44, v4
	v_sub_f32_e32 v47, v43, v47
	s_delay_alu instid0(VALU_DEP_2) | instskip(NEXT) | instid1(VALU_DEP_2)
	v_add_f32_e32 v46, v43, v45
	v_sub_f32_e32 v3, v3, v47
	s_delay_alu instid0(VALU_DEP_2) | instskip(SKIP_1) | instid1(VALU_DEP_2)
	v_sub_f32_e32 v48, v46, v43
	v_sub_f32_e32 v44, v45, v44
	;; [unrolled: 1-line block ×3, first 2 shown]
	s_delay_alu instid0(VALU_DEP_2) | instskip(NEXT) | instid1(VALU_DEP_2)
	v_sub_f32_e32 v4, v4, v44
	v_dual_sub_f32 v44, v45, v48 :: v_dual_sub_f32 v43, v43, v49
	s_delay_alu instid0(VALU_DEP_2) | instskip(NEXT) | instid1(VALU_DEP_2)
	v_add_f32_e32 v45, v3, v4
	v_add_f32_e32 v43, v44, v43
	s_delay_alu instid0(VALU_DEP_2) | instskip(NEXT) | instid1(VALU_DEP_2)
	v_sub_f32_e32 v44, v45, v3
	v_add_f32_e32 v43, v45, v43
	s_delay_alu instid0(VALU_DEP_2) | instskip(NEXT) | instid1(VALU_DEP_2)
	v_sub_f32_e32 v45, v45, v44
	v_dual_sub_f32 v4, v4, v44 :: v_dual_add_f32 v47, v46, v43
	s_delay_alu instid0(VALU_DEP_2) | instskip(NEXT) | instid1(VALU_DEP_1)
	v_sub_f32_e32 v3, v3, v45
	v_dual_sub_f32 v44, v47, v46 :: v_dual_add_f32 v3, v4, v3
	s_delay_alu instid0(VALU_DEP_1) | instskip(NEXT) | instid1(VALU_DEP_1)
	v_sub_f32_e32 v4, v43, v44
	v_add_f32_e32 v3, v3, v4
	s_delay_alu instid0(VALU_DEP_1) | instskip(SKIP_1) | instid1(VALU_DEP_1)
	v_add_f32_e32 v3, v47, v3
	s_wait_alu 0xfffd
	v_cndmask_b32_e32 v3, 0x7f800000, v3, vcc_lo
	v_cmp_gt_f32_e64 vcc_lo, 0x33800000, |v5|
	s_wait_alu 0xfffd
	s_delay_alu instid0(VALU_DEP_2) | instskip(NEXT) | instid1(VALU_DEP_1)
	v_cndmask_b32_e32 v3, v3, v5, vcc_lo
	v_add_f32_e32 v3, v2, v3
.LBB508_170:
	s_wait_alu 0xfffe
	s_or_b32 exec_lo, exec_lo, s15
	s_delay_alu instid0(VALU_DEP_1)
	v_bfe_u32 v2, v3, 16, 1
	v_cmp_o_f32_e32 vcc_lo, v3, v3
	s_add_co_i32 s38, s33, 32
	s_mov_b32 s39, 0
	v_mov_b32_e32 v4, 0
	v_add3_u32 v2, v3, v2, 0x7fff
	s_lshl_b64 s[38:39], s[38:39], 2
	s_delay_alu instid0(SALU_CYCLE_1) | instskip(NEXT) | instid1(VALU_DEP_1)
	s_add_nc_u64 s[38:39], s[28:29], s[38:39]
	v_lshrrev_b32_e32 v2, 16, v2
	s_delay_alu instid0(VALU_DEP_1) | instskip(SKIP_1) | instid1(VALU_DEP_1)
	v_or_b32_e32 v2, 0x20000, v2
	s_wait_alu 0xfffd
	v_cndmask_b32_e32 v2, 0x27fc0, v2, vcc_lo
	global_store_b32 v4, v2, s[38:39] scope:SCOPE_DEV
.LBB508_171:
	s_wait_alu 0xfffe
	s_or_b32 exec_lo, exec_lo, s16
	s_delay_alu instid0(SALU_CYCLE_1)
	s_and_b32 exec_lo, exec_lo, s3
; %bb.172:
	v_mov_b32_e32 v2, 0
	ds_store_b16 v2, v54
.LBB508_173:
	s_or_b32 exec_lo, exec_lo, s36
	v_mov_b32_e32 v2, 0
	s_wait_storecnt 0x0
	s_wait_loadcnt_dscnt 0x0
	s_barrier_signal -1
	s_barrier_wait -1
	global_inv scope:SCOPE_SE
	ds_load_u16 v2, v2
	s_and_saveexec_b32 s15, s2
	s_cbranch_execz .LBB508_177
; %bb.174:
	v_lshlrev_b32_e32 v4, 16, v42
	s_delay_alu instid0(VALU_DEP_1) | instskip(NEXT) | instid1(VALU_DEP_1)
	v_max_num_f32_e32 v3, v4, v4
	v_min_num_f32_e32 v5, v3, v41
	v_max_num_f32_e32 v3, v3, v41
	v_cmp_u_f32_e32 vcc_lo, v4, v4
	s_wait_alu 0xfffd
	s_delay_alu instid0(VALU_DEP_3) | instskip(NEXT) | instid1(VALU_DEP_3)
	v_cndmask_b32_e32 v5, v5, v4, vcc_lo
	v_cndmask_b32_e32 v3, v3, v4, vcc_lo
	s_delay_alu instid0(VALU_DEP_2) | instskip(NEXT) | instid1(VALU_DEP_2)
	v_cndmask_b32_e64 v5, v5, v40, s14
	v_cndmask_b32_e64 v3, v3, v40, s14
	s_delay_alu instid0(VALU_DEP_2) | instskip(NEXT) | instid1(VALU_DEP_2)
	v_cmp_class_f32_e64 s14, v5, 0x1f8
	v_cmp_neq_f32_e32 vcc_lo, v5, v3
	s_or_b32 s16, vcc_lo, s14
	s_wait_alu 0xfffe
	s_and_saveexec_b32 s14, s16
	s_cbranch_execz .LBB508_176
; %bb.175:
	v_sub_f32_e32 v4, v5, v3
	s_mov_b32 s16, 0x3e9b6dac
	s_delay_alu instid0(VALU_DEP_1) | instskip(SKIP_1) | instid1(VALU_DEP_2)
	v_mul_f32_e32 v5, 0x3fb8aa3b, v4
	v_cmp_ngt_f32_e32 vcc_lo, 0xc2ce8ed0, v4
	v_fma_f32 v40, 0x3fb8aa3b, v4, -v5
	v_rndne_f32_e32 v41, v5
	s_delay_alu instid0(VALU_DEP_1) | instskip(NEXT) | instid1(VALU_DEP_1)
	v_dual_fmamk_f32 v40, v4, 0x32a5705f, v40 :: v_dual_sub_f32 v5, v5, v41
	v_add_f32_e32 v5, v5, v40
	v_cvt_i32_f32_e32 v40, v41
	s_delay_alu instid0(VALU_DEP_2) | instskip(NEXT) | instid1(TRANS32_DEP_1)
	v_exp_f32_e32 v5, v5
	v_ldexp_f32 v5, v5, v40
	s_wait_alu 0xfffd
	s_delay_alu instid0(VALU_DEP_1) | instskip(SKIP_2) | instid1(VALU_DEP_2)
	v_cndmask_b32_e32 v5, 0, v5, vcc_lo
	v_cmp_nlt_f32_e32 vcc_lo, 0x42b17218, v4
	s_wait_alu 0xfffd
	v_cndmask_b32_e32 v40, 0x7f800000, v5, vcc_lo
	s_delay_alu instid0(VALU_DEP_1) | instskip(NEXT) | instid1(VALU_DEP_1)
	v_add_f32_e32 v41, 1.0, v40
	v_cvt_f64_f32_e32 v[4:5], v41
	s_delay_alu instid0(VALU_DEP_1) | instskip(SKIP_1) | instid1(VALU_DEP_1)
	v_frexp_exp_i32_f64_e32 v4, v[4:5]
	v_frexp_mant_f32_e32 v5, v41
	v_cmp_gt_f32_e32 vcc_lo, 0x3f2aaaab, v5
	v_add_f32_e32 v5, -1.0, v41
	s_delay_alu instid0(VALU_DEP_1) | instskip(NEXT) | instid1(VALU_DEP_1)
	v_sub_f32_e32 v43, v5, v41
	v_add_f32_e32 v43, 1.0, v43
	v_sub_f32_e32 v5, v40, v5
	s_wait_alu 0xfffd
	v_subrev_co_ci_u32_e64 v4, null, 0, v4, vcc_lo
	v_cmp_neq_f32_e32 vcc_lo, 0x7f800000, v40
	s_delay_alu instid0(VALU_DEP_2) | instskip(SKIP_1) | instid1(VALU_DEP_2)
	v_sub_nc_u32_e32 v42, 0, v4
	v_cvt_f32_i32_e32 v4, v4
	v_ldexp_f32 v41, v41, v42
	s_delay_alu instid0(VALU_DEP_1) | instskip(NEXT) | instid1(VALU_DEP_1)
	v_dual_add_f32 v44, 1.0, v41 :: v_dual_add_f32 v5, v5, v43
	v_add_f32_e32 v43, -1.0, v44
	s_delay_alu instid0(VALU_DEP_2) | instskip(NEXT) | instid1(VALU_DEP_2)
	v_ldexp_f32 v5, v5, v42
	v_dual_add_f32 v42, -1.0, v41 :: v_dual_sub_f32 v43, v41, v43
	s_delay_alu instid0(VALU_DEP_1) | instskip(NEXT) | instid1(VALU_DEP_2)
	v_add_f32_e32 v45, 1.0, v42
	v_add_f32_e32 v43, v5, v43
	s_delay_alu instid0(VALU_DEP_2) | instskip(NEXT) | instid1(VALU_DEP_2)
	v_sub_f32_e32 v41, v41, v45
	v_add_f32_e32 v45, v44, v43
	s_delay_alu instid0(VALU_DEP_2) | instskip(NEXT) | instid1(VALU_DEP_2)
	v_add_f32_e32 v5, v5, v41
	v_rcp_f32_e32 v41, v45
	v_sub_f32_e32 v44, v44, v45
	s_delay_alu instid0(VALU_DEP_1) | instskip(NEXT) | instid1(VALU_DEP_1)
	v_dual_add_f32 v46, v42, v5 :: v_dual_add_f32 v43, v43, v44
	v_sub_f32_e32 v42, v42, v46
	s_delay_alu instid0(TRANS32_DEP_1) | instskip(NEXT) | instid1(VALU_DEP_2)
	v_mul_f32_e32 v47, v46, v41
	v_add_f32_e32 v5, v5, v42
	s_delay_alu instid0(VALU_DEP_2) | instskip(NEXT) | instid1(VALU_DEP_1)
	v_mul_f32_e32 v48, v45, v47
	v_fma_f32 v44, v47, v45, -v48
	s_delay_alu instid0(VALU_DEP_1) | instskip(NEXT) | instid1(VALU_DEP_1)
	v_fmac_f32_e32 v44, v47, v43
	v_add_f32_e32 v49, v48, v44
	s_delay_alu instid0(VALU_DEP_1) | instskip(SKIP_1) | instid1(VALU_DEP_2)
	v_sub_f32_e32 v50, v46, v49
	v_sub_f32_e32 v42, v49, v48
	;; [unrolled: 1-line block ×3, first 2 shown]
	s_delay_alu instid0(VALU_DEP_2) | instskip(NEXT) | instid1(VALU_DEP_2)
	v_sub_f32_e32 v42, v42, v44
	v_sub_f32_e32 v46, v46, v49
	s_delay_alu instid0(VALU_DEP_1) | instskip(NEXT) | instid1(VALU_DEP_1)
	v_add_f32_e32 v5, v5, v46
	v_add_f32_e32 v5, v42, v5
	s_delay_alu instid0(VALU_DEP_1) | instskip(NEXT) | instid1(VALU_DEP_1)
	v_add_f32_e32 v42, v50, v5
	v_mul_f32_e32 v44, v41, v42
	s_delay_alu instid0(VALU_DEP_1) | instskip(NEXT) | instid1(VALU_DEP_1)
	v_dual_sub_f32 v49, v50, v42 :: v_dual_mul_f32 v46, v45, v44
	v_add_f32_e32 v5, v5, v49
	s_delay_alu instid0(VALU_DEP_2) | instskip(NEXT) | instid1(VALU_DEP_1)
	v_fma_f32 v45, v44, v45, -v46
	v_fmac_f32_e32 v45, v44, v43
	s_delay_alu instid0(VALU_DEP_1) | instskip(NEXT) | instid1(VALU_DEP_1)
	v_add_f32_e32 v43, v46, v45
	v_sub_f32_e32 v48, v42, v43
	v_sub_f32_e32 v46, v43, v46
	s_delay_alu instid0(VALU_DEP_2) | instskip(NEXT) | instid1(VALU_DEP_1)
	v_sub_f32_e32 v42, v42, v48
	v_sub_f32_e32 v42, v42, v43
	s_delay_alu instid0(VALU_DEP_1) | instskip(NEXT) | instid1(VALU_DEP_4)
	v_dual_add_f32 v5, v5, v42 :: v_dual_add_f32 v42, v47, v44
	v_sub_f32_e32 v43, v46, v45
	s_delay_alu instid0(VALU_DEP_1) | instskip(NEXT) | instid1(VALU_DEP_3)
	v_add_f32_e32 v5, v43, v5
	v_sub_f32_e32 v43, v42, v47
	s_delay_alu instid0(VALU_DEP_2) | instskip(NEXT) | instid1(VALU_DEP_2)
	v_add_f32_e32 v5, v48, v5
	v_sub_f32_e32 v43, v44, v43
	s_delay_alu instid0(VALU_DEP_2) | instskip(NEXT) | instid1(VALU_DEP_1)
	v_mul_f32_e32 v5, v41, v5
	v_add_f32_e32 v5, v43, v5
	s_delay_alu instid0(VALU_DEP_1) | instskip(NEXT) | instid1(VALU_DEP_1)
	v_add_f32_e32 v41, v42, v5
	v_mul_f32_e32 v43, v41, v41
	s_wait_alu 0xfffe
	s_delay_alu instid0(VALU_DEP_1) | instskip(SKIP_1) | instid1(VALU_DEP_2)
	v_fmaak_f32 v44, s16, v43, 0x3ecc95a3
	v_mul_f32_e32 v45, v41, v43
	v_fmaak_f32 v43, v43, v44, 0x3f2aaada
	v_ldexp_f32 v44, v41, 1
	v_sub_f32_e32 v41, v41, v42
	s_delay_alu instid0(VALU_DEP_3) | instskip(SKIP_1) | instid1(VALU_DEP_2)
	v_mul_f32_e32 v43, v45, v43
	v_mul_f32_e32 v45, 0x3f317218, v4
	v_dual_sub_f32 v5, v5, v41 :: v_dual_add_f32 v42, v44, v43
	s_delay_alu instid0(VALU_DEP_1) | instskip(NEXT) | instid1(VALU_DEP_2)
	v_ldexp_f32 v5, v5, 1
	v_sub_f32_e32 v41, v42, v44
	s_delay_alu instid0(VALU_DEP_4) | instskip(NEXT) | instid1(VALU_DEP_1)
	v_fma_f32 v44, 0x3f317218, v4, -v45
	v_dual_sub_f32 v41, v43, v41 :: v_dual_fmamk_f32 v4, v4, 0xb102e308, v44
	s_delay_alu instid0(VALU_DEP_1) | instskip(NEXT) | instid1(VALU_DEP_2)
	v_add_f32_e32 v5, v5, v41
	v_add_f32_e32 v41, v45, v4
	s_delay_alu instid0(VALU_DEP_2) | instskip(NEXT) | instid1(VALU_DEP_2)
	v_add_f32_e32 v43, v42, v5
	v_sub_f32_e32 v45, v41, v45
	s_delay_alu instid0(VALU_DEP_2) | instskip(SKIP_1) | instid1(VALU_DEP_3)
	v_add_f32_e32 v44, v41, v43
	v_sub_f32_e32 v42, v43, v42
	v_sub_f32_e32 v4, v4, v45
	s_delay_alu instid0(VALU_DEP_2) | instskip(NEXT) | instid1(VALU_DEP_1)
	v_dual_sub_f32 v46, v44, v41 :: v_dual_sub_f32 v5, v5, v42
	v_sub_f32_e32 v47, v44, v46
	s_delay_alu instid0(VALU_DEP_2) | instskip(NEXT) | instid1(VALU_DEP_2)
	v_dual_sub_f32 v42, v43, v46 :: v_dual_add_f32 v43, v4, v5
	v_sub_f32_e32 v41, v41, v47
	s_delay_alu instid0(VALU_DEP_1) | instskip(NEXT) | instid1(VALU_DEP_1)
	v_dual_add_f32 v41, v42, v41 :: v_dual_sub_f32 v42, v43, v4
	v_add_f32_e32 v41, v43, v41
	s_delay_alu instid0(VALU_DEP_2) | instskip(SKIP_1) | instid1(VALU_DEP_3)
	v_sub_f32_e32 v43, v43, v42
	v_sub_f32_e32 v5, v5, v42
	v_add_f32_e32 v45, v44, v41
	s_delay_alu instid0(VALU_DEP_3) | instskip(NEXT) | instid1(VALU_DEP_2)
	v_sub_f32_e32 v4, v4, v43
	v_sub_f32_e32 v42, v45, v44
	s_delay_alu instid0(VALU_DEP_2) | instskip(NEXT) | instid1(VALU_DEP_2)
	v_add_f32_e32 v4, v5, v4
	v_sub_f32_e32 v5, v41, v42
	s_delay_alu instid0(VALU_DEP_1) | instskip(NEXT) | instid1(VALU_DEP_1)
	v_add_f32_e32 v4, v4, v5
	v_add_f32_e32 v4, v45, v4
	s_wait_alu 0xfffd
	s_delay_alu instid0(VALU_DEP_1) | instskip(SKIP_2) | instid1(VALU_DEP_2)
	v_cndmask_b32_e32 v4, 0x7f800000, v4, vcc_lo
	v_cmp_gt_f32_e64 vcc_lo, 0x33800000, |v40|
	s_wait_alu 0xfffd
	v_cndmask_b32_e32 v4, v4, v40, vcc_lo
	s_delay_alu instid0(VALU_DEP_1)
	v_add_f32_e32 v4, v3, v4
.LBB508_176:
	s_wait_alu 0xfffe
	s_or_b32 exec_lo, exec_lo, s14
	s_delay_alu instid0(VALU_DEP_1) | instskip(SKIP_1) | instid1(VALU_DEP_2)
	v_bfe_u32 v3, v4, 16, 1
	v_cmp_o_f32_e32 vcc_lo, v4, v4
	v_add3_u32 v3, v4, v3, 0x7fff
	s_delay_alu instid0(VALU_DEP_1) | instskip(SKIP_1) | instid1(VALU_DEP_1)
	v_and_b32_e32 v3, 0xffff0000, v3
	s_wait_alu 0xfffd
	v_cndmask_b32_e32 v40, 0x7fc00000, v3, vcc_lo
.LBB508_177:
	s_wait_alu 0xfffe
	s_or_b32 exec_lo, exec_lo, s15
	s_wait_dscnt 0x0
	s_delay_alu instid0(VALU_DEP_1) | instskip(NEXT) | instid1(VALU_DEP_1)
	v_dual_max_num_f32 v2, v40, v40 :: v_dual_lshlrev_b32 v3, 16, v2
	v_max_num_f32_e32 v4, v3, v3
	v_cmp_u_f32_e32 vcc_lo, v3, v3
	s_delay_alu instid0(VALU_DEP_2) | instskip(SKIP_2) | instid1(VALU_DEP_1)
	v_min_num_f32_e32 v5, v4, v2
	v_max_num_f32_e32 v2, v4, v2
	s_wait_alu 0xfffd
	v_cndmask_b32_e32 v2, v2, v3, vcc_lo
	s_delay_alu instid0(VALU_DEP_3) | instskip(SKIP_2) | instid1(VALU_DEP_2)
	v_cndmask_b32_e32 v4, v5, v3, vcc_lo
	v_cmp_u_f32_e32 vcc_lo, v40, v40
	s_wait_alu 0xfffd
	v_cndmask_b32_e32 v4, v4, v40, vcc_lo
	v_cndmask_b32_e32 v2, v2, v40, vcc_lo
	s_delay_alu instid0(VALU_DEP_2) | instskip(NEXT) | instid1(VALU_DEP_2)
	v_cmp_class_f32_e64 s14, v4, 0x1f8
	v_cmp_neq_f32_e32 vcc_lo, v4, v2
	s_or_b32 s15, vcc_lo, s14
	s_wait_alu 0xfffe
	s_and_saveexec_b32 s14, s15
	s_cbranch_execz .LBB508_179
; %bb.178:
	v_sub_f32_e32 v3, v4, v2
	s_mov_b32 s15, 0x3e9b6dac
	s_delay_alu instid0(VALU_DEP_1) | instskip(SKIP_1) | instid1(VALU_DEP_2)
	v_mul_f32_e32 v4, 0x3fb8aa3b, v3
	v_cmp_ngt_f32_e32 vcc_lo, 0xc2ce8ed0, v3
	v_fma_f32 v5, 0x3fb8aa3b, v3, -v4
	v_rndne_f32_e32 v40, v4
	s_delay_alu instid0(VALU_DEP_1) | instskip(NEXT) | instid1(VALU_DEP_1)
	v_dual_fmamk_f32 v5, v3, 0x32a5705f, v5 :: v_dual_sub_f32 v4, v4, v40
	v_add_f32_e32 v4, v4, v5
	v_cvt_i32_f32_e32 v5, v40
	s_delay_alu instid0(VALU_DEP_2) | instskip(NEXT) | instid1(TRANS32_DEP_1)
	v_exp_f32_e32 v4, v4
	v_ldexp_f32 v4, v4, v5
	s_wait_alu 0xfffd
	s_delay_alu instid0(VALU_DEP_1) | instskip(SKIP_2) | instid1(VALU_DEP_2)
	v_cndmask_b32_e32 v4, 0, v4, vcc_lo
	v_cmp_nlt_f32_e32 vcc_lo, 0x42b17218, v3
	s_wait_alu 0xfffd
	v_cndmask_b32_e32 v5, 0x7f800000, v4, vcc_lo
	s_delay_alu instid0(VALU_DEP_1) | instskip(NEXT) | instid1(VALU_DEP_1)
	v_add_f32_e32 v40, 1.0, v5
	v_cvt_f64_f32_e32 v[3:4], v40
	s_delay_alu instid0(VALU_DEP_1) | instskip(SKIP_1) | instid1(VALU_DEP_1)
	v_frexp_exp_i32_f64_e32 v3, v[3:4]
	v_frexp_mant_f32_e32 v4, v40
	v_cmp_gt_f32_e32 vcc_lo, 0x3f2aaaab, v4
	v_add_f32_e32 v4, -1.0, v40
	s_delay_alu instid0(VALU_DEP_1) | instskip(NEXT) | instid1(VALU_DEP_1)
	v_sub_f32_e32 v42, v4, v40
	v_add_f32_e32 v42, 1.0, v42
	v_sub_f32_e32 v4, v5, v4
	s_wait_alu 0xfffd
	v_subrev_co_ci_u32_e64 v3, null, 0, v3, vcc_lo
	v_cmp_neq_f32_e32 vcc_lo, 0x7f800000, v5
	s_delay_alu instid0(VALU_DEP_2) | instskip(SKIP_1) | instid1(VALU_DEP_2)
	v_sub_nc_u32_e32 v41, 0, v3
	v_cvt_f32_i32_e32 v3, v3
	v_ldexp_f32 v40, v40, v41
	s_delay_alu instid0(VALU_DEP_1) | instskip(NEXT) | instid1(VALU_DEP_1)
	v_dual_add_f32 v43, 1.0, v40 :: v_dual_add_f32 v4, v4, v42
	v_add_f32_e32 v42, -1.0, v43
	s_delay_alu instid0(VALU_DEP_2) | instskip(NEXT) | instid1(VALU_DEP_2)
	v_ldexp_f32 v4, v4, v41
	v_dual_add_f32 v41, -1.0, v40 :: v_dual_sub_f32 v42, v40, v42
	s_delay_alu instid0(VALU_DEP_1) | instskip(NEXT) | instid1(VALU_DEP_2)
	v_add_f32_e32 v44, 1.0, v41
	v_add_f32_e32 v42, v4, v42
	s_delay_alu instid0(VALU_DEP_2) | instskip(NEXT) | instid1(VALU_DEP_2)
	v_sub_f32_e32 v40, v40, v44
	v_add_f32_e32 v44, v43, v42
	s_delay_alu instid0(VALU_DEP_2) | instskip(NEXT) | instid1(VALU_DEP_2)
	v_add_f32_e32 v4, v4, v40
	v_rcp_f32_e32 v40, v44
	v_sub_f32_e32 v43, v43, v44
	s_delay_alu instid0(VALU_DEP_1) | instskip(NEXT) | instid1(VALU_DEP_1)
	v_dual_add_f32 v45, v41, v4 :: v_dual_add_f32 v42, v42, v43
	v_sub_f32_e32 v41, v41, v45
	s_delay_alu instid0(TRANS32_DEP_1) | instskip(NEXT) | instid1(VALU_DEP_2)
	v_mul_f32_e32 v46, v45, v40
	v_add_f32_e32 v4, v4, v41
	s_delay_alu instid0(VALU_DEP_2) | instskip(NEXT) | instid1(VALU_DEP_1)
	v_mul_f32_e32 v47, v44, v46
	v_fma_f32 v43, v46, v44, -v47
	s_delay_alu instid0(VALU_DEP_1) | instskip(NEXT) | instid1(VALU_DEP_1)
	v_fmac_f32_e32 v43, v46, v42
	v_add_f32_e32 v48, v47, v43
	s_delay_alu instid0(VALU_DEP_1) | instskip(SKIP_1) | instid1(VALU_DEP_2)
	v_sub_f32_e32 v49, v45, v48
	v_sub_f32_e32 v41, v48, v47
	;; [unrolled: 1-line block ×3, first 2 shown]
	s_delay_alu instid0(VALU_DEP_2) | instskip(NEXT) | instid1(VALU_DEP_2)
	v_sub_f32_e32 v41, v41, v43
	v_sub_f32_e32 v45, v45, v48
	s_delay_alu instid0(VALU_DEP_1) | instskip(NEXT) | instid1(VALU_DEP_1)
	v_add_f32_e32 v4, v4, v45
	v_add_f32_e32 v4, v41, v4
	s_delay_alu instid0(VALU_DEP_1) | instskip(NEXT) | instid1(VALU_DEP_1)
	v_add_f32_e32 v41, v49, v4
	v_mul_f32_e32 v43, v40, v41
	s_delay_alu instid0(VALU_DEP_1) | instskip(NEXT) | instid1(VALU_DEP_1)
	v_dual_sub_f32 v48, v49, v41 :: v_dual_mul_f32 v45, v44, v43
	v_add_f32_e32 v4, v4, v48
	s_delay_alu instid0(VALU_DEP_2) | instskip(NEXT) | instid1(VALU_DEP_1)
	v_fma_f32 v44, v43, v44, -v45
	v_fmac_f32_e32 v44, v43, v42
	s_delay_alu instid0(VALU_DEP_1) | instskip(NEXT) | instid1(VALU_DEP_1)
	v_add_f32_e32 v42, v45, v44
	v_sub_f32_e32 v47, v41, v42
	v_sub_f32_e32 v45, v42, v45
	s_delay_alu instid0(VALU_DEP_2) | instskip(NEXT) | instid1(VALU_DEP_1)
	v_sub_f32_e32 v41, v41, v47
	v_sub_f32_e32 v41, v41, v42
	s_delay_alu instid0(VALU_DEP_1) | instskip(NEXT) | instid1(VALU_DEP_4)
	v_dual_add_f32 v4, v4, v41 :: v_dual_add_f32 v41, v46, v43
	v_sub_f32_e32 v42, v45, v44
	s_delay_alu instid0(VALU_DEP_1) | instskip(NEXT) | instid1(VALU_DEP_3)
	v_add_f32_e32 v4, v42, v4
	v_sub_f32_e32 v42, v41, v46
	s_delay_alu instid0(VALU_DEP_2) | instskip(NEXT) | instid1(VALU_DEP_2)
	v_add_f32_e32 v4, v47, v4
	v_sub_f32_e32 v42, v43, v42
	s_delay_alu instid0(VALU_DEP_2) | instskip(NEXT) | instid1(VALU_DEP_1)
	v_mul_f32_e32 v4, v40, v4
	v_add_f32_e32 v4, v42, v4
	s_delay_alu instid0(VALU_DEP_1) | instskip(NEXT) | instid1(VALU_DEP_1)
	v_add_f32_e32 v40, v41, v4
	v_mul_f32_e32 v42, v40, v40
	s_wait_alu 0xfffe
	s_delay_alu instid0(VALU_DEP_1) | instskip(SKIP_1) | instid1(VALU_DEP_2)
	v_fmaak_f32 v43, s15, v42, 0x3ecc95a3
	v_mul_f32_e32 v44, v40, v42
	v_fmaak_f32 v42, v42, v43, 0x3f2aaada
	v_ldexp_f32 v43, v40, 1
	v_sub_f32_e32 v40, v40, v41
	s_delay_alu instid0(VALU_DEP_3) | instskip(SKIP_1) | instid1(VALU_DEP_2)
	v_mul_f32_e32 v42, v44, v42
	v_mul_f32_e32 v44, 0x3f317218, v3
	v_dual_sub_f32 v4, v4, v40 :: v_dual_add_f32 v41, v43, v42
	s_delay_alu instid0(VALU_DEP_1) | instskip(NEXT) | instid1(VALU_DEP_2)
	v_ldexp_f32 v4, v4, 1
	v_sub_f32_e32 v40, v41, v43
	s_delay_alu instid0(VALU_DEP_4) | instskip(NEXT) | instid1(VALU_DEP_1)
	v_fma_f32 v43, 0x3f317218, v3, -v44
	v_dual_sub_f32 v40, v42, v40 :: v_dual_fmamk_f32 v3, v3, 0xb102e308, v43
	s_delay_alu instid0(VALU_DEP_1) | instskip(NEXT) | instid1(VALU_DEP_2)
	v_add_f32_e32 v4, v4, v40
	v_add_f32_e32 v40, v44, v3
	s_delay_alu instid0(VALU_DEP_2) | instskip(NEXT) | instid1(VALU_DEP_2)
	v_add_f32_e32 v42, v41, v4
	v_sub_f32_e32 v44, v40, v44
	s_delay_alu instid0(VALU_DEP_2) | instskip(SKIP_1) | instid1(VALU_DEP_3)
	v_add_f32_e32 v43, v40, v42
	v_sub_f32_e32 v41, v42, v41
	v_sub_f32_e32 v3, v3, v44
	s_delay_alu instid0(VALU_DEP_2) | instskip(NEXT) | instid1(VALU_DEP_1)
	v_dual_sub_f32 v45, v43, v40 :: v_dual_sub_f32 v4, v4, v41
	v_sub_f32_e32 v46, v43, v45
	s_delay_alu instid0(VALU_DEP_2) | instskip(NEXT) | instid1(VALU_DEP_2)
	v_dual_sub_f32 v41, v42, v45 :: v_dual_add_f32 v42, v3, v4
	v_sub_f32_e32 v40, v40, v46
	s_delay_alu instid0(VALU_DEP_1) | instskip(NEXT) | instid1(VALU_DEP_1)
	v_dual_add_f32 v40, v41, v40 :: v_dual_sub_f32 v41, v42, v3
	v_add_f32_e32 v40, v42, v40
	s_delay_alu instid0(VALU_DEP_2) | instskip(SKIP_1) | instid1(VALU_DEP_3)
	v_sub_f32_e32 v42, v42, v41
	v_sub_f32_e32 v4, v4, v41
	v_add_f32_e32 v44, v43, v40
	s_delay_alu instid0(VALU_DEP_3) | instskip(NEXT) | instid1(VALU_DEP_2)
	v_sub_f32_e32 v3, v3, v42
	v_sub_f32_e32 v41, v44, v43
	s_delay_alu instid0(VALU_DEP_2) | instskip(NEXT) | instid1(VALU_DEP_2)
	v_add_f32_e32 v3, v4, v3
	v_sub_f32_e32 v4, v40, v41
	s_delay_alu instid0(VALU_DEP_1) | instskip(NEXT) | instid1(VALU_DEP_1)
	v_add_f32_e32 v3, v3, v4
	v_add_f32_e32 v3, v44, v3
	s_wait_alu 0xfffd
	s_delay_alu instid0(VALU_DEP_1) | instskip(SKIP_2) | instid1(VALU_DEP_2)
	v_cndmask_b32_e32 v3, 0x7f800000, v3, vcc_lo
	v_cmp_gt_f32_e64 vcc_lo, 0x33800000, |v5|
	s_wait_alu 0xfffd
	v_cndmask_b32_e32 v3, v3, v5, vcc_lo
	s_delay_alu instid0(VALU_DEP_1)
	v_add_f32_e32 v3, v2, v3
.LBB508_179:
	s_wait_alu 0xfffe
	s_or_b32 exec_lo, exec_lo, s14
	s_delay_alu instid0(VALU_DEP_1) | instskip(SKIP_1) | instid1(VALU_DEP_2)
	v_bfe_u32 v2, v3, 16, 1
	v_cmp_o_f32_e32 vcc_lo, v3, v3
	v_add3_u32 v2, v3, v2, 0x7fff
	s_delay_alu instid0(VALU_DEP_1) | instskip(SKIP_1) | instid1(VALU_DEP_1)
	v_lshrrev_b32_e32 v2, 16, v2
	s_wait_alu 0xfffd
	v_cndmask_b32_e32 v3, 0x7fc0, v2, vcc_lo
	s_delay_alu instid0(VALU_DEP_1) | instskip(NEXT) | instid1(VALU_DEP_1)
	v_lshlrev_b32_e32 v4, 16, v3
	v_max_num_f32_e32 v2, v4, v4
	s_delay_alu instid0(VALU_DEP_1) | instskip(SKIP_3) | instid1(VALU_DEP_3)
	v_min_num_f32_e32 v5, v2, v20
	v_max_num_f32_e32 v2, v2, v20
	v_cmp_u_f32_e32 vcc_lo, v4, v4
	s_wait_alu 0xfffd
	v_cndmask_b32_e32 v5, v5, v4, vcc_lo
	s_delay_alu instid0(VALU_DEP_3) | instskip(NEXT) | instid1(VALU_DEP_2)
	v_cndmask_b32_e32 v2, v2, v4, vcc_lo
	v_cndmask_b32_e64 v5, v5, v6, s1
	s_delay_alu instid0(VALU_DEP_2) | instskip(NEXT) | instid1(VALU_DEP_2)
	v_cndmask_b32_e64 v2, v2, v6, s1
	v_cmp_class_f32_e64 s1, v5, 0x1f8
	s_delay_alu instid0(VALU_DEP_2)
	v_cmp_neq_f32_e32 vcc_lo, v5, v2
	s_or_b32 s14, vcc_lo, s1
	s_wait_alu 0xfffe
	s_and_saveexec_b32 s1, s14
	s_cbranch_execz .LBB508_181
; %bb.180:
	v_sub_f32_e32 v4, v5, v2
	s_mov_b32 s14, 0x3e9b6dac
	s_delay_alu instid0(VALU_DEP_1) | instskip(SKIP_1) | instid1(VALU_DEP_2)
	v_mul_f32_e32 v5, 0x3fb8aa3b, v4
	v_cmp_ngt_f32_e32 vcc_lo, 0xc2ce8ed0, v4
	v_fma_f32 v20, 0x3fb8aa3b, v4, -v5
	v_rndne_f32_e32 v40, v5
	s_delay_alu instid0(VALU_DEP_1) | instskip(NEXT) | instid1(VALU_DEP_1)
	v_dual_fmamk_f32 v20, v4, 0x32a5705f, v20 :: v_dual_sub_f32 v5, v5, v40
	v_add_f32_e32 v5, v5, v20
	v_cvt_i32_f32_e32 v20, v40
	s_delay_alu instid0(VALU_DEP_2) | instskip(NEXT) | instid1(TRANS32_DEP_1)
	v_exp_f32_e32 v5, v5
	v_ldexp_f32 v5, v5, v20
	s_wait_alu 0xfffd
	s_delay_alu instid0(VALU_DEP_1) | instskip(SKIP_2) | instid1(VALU_DEP_2)
	v_cndmask_b32_e32 v5, 0, v5, vcc_lo
	v_cmp_nlt_f32_e32 vcc_lo, 0x42b17218, v4
	s_wait_alu 0xfffd
	v_cndmask_b32_e32 v20, 0x7f800000, v5, vcc_lo
	s_delay_alu instid0(VALU_DEP_1) | instskip(NEXT) | instid1(VALU_DEP_1)
	v_add_f32_e32 v40, 1.0, v20
	v_cvt_f64_f32_e32 v[4:5], v40
	s_delay_alu instid0(VALU_DEP_1) | instskip(SKIP_1) | instid1(VALU_DEP_1)
	v_frexp_exp_i32_f64_e32 v4, v[4:5]
	v_frexp_mant_f32_e32 v5, v40
	v_cmp_gt_f32_e32 vcc_lo, 0x3f2aaaab, v5
	v_add_f32_e32 v5, -1.0, v40
	s_delay_alu instid0(VALU_DEP_1) | instskip(NEXT) | instid1(VALU_DEP_1)
	v_dual_sub_f32 v42, v5, v40 :: v_dual_sub_f32 v5, v20, v5
	v_add_f32_e32 v42, 1.0, v42
	s_delay_alu instid0(VALU_DEP_1) | instskip(SKIP_3) | instid1(VALU_DEP_2)
	v_add_f32_e32 v5, v5, v42
	s_wait_alu 0xfffd
	v_subrev_co_ci_u32_e64 v4, null, 0, v4, vcc_lo
	v_cmp_neq_f32_e32 vcc_lo, 0x7f800000, v20
	v_sub_nc_u32_e32 v41, 0, v4
	v_cvt_f32_i32_e32 v4, v4
	s_delay_alu instid0(VALU_DEP_2) | instskip(SKIP_1) | instid1(VALU_DEP_2)
	v_ldexp_f32 v40, v40, v41
	v_ldexp_f32 v5, v5, v41
	v_add_f32_e32 v43, 1.0, v40
	s_delay_alu instid0(VALU_DEP_1) | instskip(NEXT) | instid1(VALU_DEP_1)
	v_add_f32_e32 v42, -1.0, v43
	v_dual_sub_f32 v42, v40, v42 :: v_dual_add_f32 v41, -1.0, v40
	s_delay_alu instid0(VALU_DEP_1) | instskip(NEXT) | instid1(VALU_DEP_2)
	v_add_f32_e32 v42, v5, v42
	v_add_f32_e32 v44, 1.0, v41
	s_delay_alu instid0(VALU_DEP_1) | instskip(NEXT) | instid1(VALU_DEP_1)
	v_sub_f32_e32 v40, v40, v44
	v_dual_add_f32 v44, v43, v42 :: v_dual_add_f32 v5, v5, v40
	s_delay_alu instid0(VALU_DEP_1) | instskip(SKIP_1) | instid1(VALU_DEP_1)
	v_rcp_f32_e32 v40, v44
	v_sub_f32_e32 v43, v43, v44
	v_dual_add_f32 v45, v41, v5 :: v_dual_add_f32 v42, v42, v43
	s_delay_alu instid0(VALU_DEP_1) | instskip(NEXT) | instid1(TRANS32_DEP_1)
	v_sub_f32_e32 v41, v41, v45
	v_mul_f32_e32 v46, v45, v40
	s_delay_alu instid0(VALU_DEP_2) | instskip(NEXT) | instid1(VALU_DEP_2)
	v_add_f32_e32 v5, v5, v41
	v_mul_f32_e32 v47, v44, v46
	s_delay_alu instid0(VALU_DEP_1) | instskip(NEXT) | instid1(VALU_DEP_1)
	v_fma_f32 v43, v46, v44, -v47
	v_fmac_f32_e32 v43, v46, v42
	s_delay_alu instid0(VALU_DEP_1) | instskip(NEXT) | instid1(VALU_DEP_1)
	v_add_f32_e32 v48, v47, v43
	v_sub_f32_e32 v49, v45, v48
	v_sub_f32_e32 v41, v48, v47
	s_delay_alu instid0(VALU_DEP_2) | instskip(NEXT) | instid1(VALU_DEP_2)
	v_sub_f32_e32 v45, v45, v49
	v_sub_f32_e32 v41, v41, v43
	s_delay_alu instid0(VALU_DEP_2) | instskip(NEXT) | instid1(VALU_DEP_1)
	v_sub_f32_e32 v45, v45, v48
	v_add_f32_e32 v5, v5, v45
	s_delay_alu instid0(VALU_DEP_1) | instskip(NEXT) | instid1(VALU_DEP_1)
	v_add_f32_e32 v5, v41, v5
	v_add_f32_e32 v41, v49, v5
	s_delay_alu instid0(VALU_DEP_1) | instskip(NEXT) | instid1(VALU_DEP_1)
	v_mul_f32_e32 v43, v40, v41
	v_dual_sub_f32 v48, v49, v41 :: v_dual_mul_f32 v45, v44, v43
	s_delay_alu instid0(VALU_DEP_1) | instskip(NEXT) | instid1(VALU_DEP_2)
	v_add_f32_e32 v5, v5, v48
	v_fma_f32 v44, v43, v44, -v45
	s_delay_alu instid0(VALU_DEP_1) | instskip(NEXT) | instid1(VALU_DEP_1)
	v_fmac_f32_e32 v44, v43, v42
	v_add_f32_e32 v42, v45, v44
	s_delay_alu instid0(VALU_DEP_1) | instskip(SKIP_1) | instid1(VALU_DEP_2)
	v_sub_f32_e32 v47, v41, v42
	v_sub_f32_e32 v45, v42, v45
	;; [unrolled: 1-line block ×3, first 2 shown]
	s_delay_alu instid0(VALU_DEP_1) | instskip(NEXT) | instid1(VALU_DEP_3)
	v_sub_f32_e32 v41, v41, v42
	v_sub_f32_e32 v42, v45, v44
	s_delay_alu instid0(VALU_DEP_2) | instskip(SKIP_1) | instid1(VALU_DEP_1)
	v_add_f32_e32 v5, v5, v41
	v_add_f32_e32 v41, v46, v43
	v_dual_add_f32 v5, v42, v5 :: v_dual_sub_f32 v42, v41, v46
	s_delay_alu instid0(VALU_DEP_1) | instskip(NEXT) | instid1(VALU_DEP_1)
	v_add_f32_e32 v5, v47, v5
	v_dual_sub_f32 v42, v43, v42 :: v_dual_mul_f32 v5, v40, v5
	s_delay_alu instid0(VALU_DEP_1) | instskip(NEXT) | instid1(VALU_DEP_1)
	v_add_f32_e32 v5, v42, v5
	v_add_f32_e32 v40, v41, v5
	s_delay_alu instid0(VALU_DEP_1) | instskip(SKIP_1) | instid1(VALU_DEP_1)
	v_mul_f32_e32 v42, v40, v40
	s_wait_alu 0xfffe
	v_fmaak_f32 v43, s14, v42, 0x3ecc95a3
	v_mul_f32_e32 v44, v40, v42
	s_delay_alu instid0(VALU_DEP_2) | instskip(SKIP_2) | instid1(VALU_DEP_3)
	v_fmaak_f32 v42, v42, v43, 0x3f2aaada
	v_ldexp_f32 v43, v40, 1
	v_sub_f32_e32 v40, v40, v41
	v_mul_f32_e32 v42, v44, v42
	v_mul_f32_e32 v44, 0x3f317218, v4
	s_delay_alu instid0(VALU_DEP_3) | instskip(NEXT) | instid1(VALU_DEP_3)
	v_sub_f32_e32 v5, v5, v40
	v_add_f32_e32 v41, v43, v42
	s_delay_alu instid0(VALU_DEP_2) | instskip(NEXT) | instid1(VALU_DEP_2)
	v_ldexp_f32 v5, v5, 1
	v_sub_f32_e32 v40, v41, v43
	v_fma_f32 v43, 0x3f317218, v4, -v44
	s_delay_alu instid0(VALU_DEP_2) | instskip(NEXT) | instid1(VALU_DEP_1)
	v_sub_f32_e32 v40, v42, v40
	v_dual_fmamk_f32 v4, v4, 0xb102e308, v43 :: v_dual_add_f32 v5, v5, v40
	s_delay_alu instid0(VALU_DEP_1) | instskip(NEXT) | instid1(VALU_DEP_2)
	v_add_f32_e32 v40, v44, v4
	v_add_f32_e32 v42, v41, v5
	s_delay_alu instid0(VALU_DEP_2) | instskip(NEXT) | instid1(VALU_DEP_2)
	v_sub_f32_e32 v44, v40, v44
	v_add_f32_e32 v43, v40, v42
	s_delay_alu instid0(VALU_DEP_2) | instskip(NEXT) | instid1(VALU_DEP_2)
	v_sub_f32_e32 v4, v4, v44
	v_sub_f32_e32 v45, v43, v40
	;; [unrolled: 1-line block ×3, first 2 shown]
	s_delay_alu instid0(VALU_DEP_2) | instskip(NEXT) | instid1(VALU_DEP_2)
	v_sub_f32_e32 v46, v43, v45
	v_sub_f32_e32 v5, v5, v41
	s_delay_alu instid0(VALU_DEP_2) | instskip(NEXT) | instid1(VALU_DEP_2)
	v_dual_sub_f32 v41, v42, v45 :: v_dual_sub_f32 v40, v40, v46
	v_add_f32_e32 v42, v4, v5
	s_delay_alu instid0(VALU_DEP_2) | instskip(NEXT) | instid1(VALU_DEP_2)
	v_add_f32_e32 v40, v41, v40
	v_sub_f32_e32 v41, v42, v4
	s_delay_alu instid0(VALU_DEP_2) | instskip(NEXT) | instid1(VALU_DEP_2)
	v_add_f32_e32 v40, v42, v40
	v_sub_f32_e32 v42, v42, v41
	s_delay_alu instid0(VALU_DEP_2) | instskip(NEXT) | instid1(VALU_DEP_2)
	v_dual_sub_f32 v5, v5, v41 :: v_dual_add_f32 v44, v43, v40
	v_sub_f32_e32 v4, v4, v42
	s_delay_alu instid0(VALU_DEP_1) | instskip(NEXT) | instid1(VALU_DEP_1)
	v_dual_sub_f32 v41, v44, v43 :: v_dual_add_f32 v4, v5, v4
	v_sub_f32_e32 v5, v40, v41
	s_delay_alu instid0(VALU_DEP_1) | instskip(NEXT) | instid1(VALU_DEP_1)
	v_add_f32_e32 v4, v4, v5
	v_add_f32_e32 v4, v44, v4
	s_wait_alu 0xfffd
	s_delay_alu instid0(VALU_DEP_1) | instskip(SKIP_2) | instid1(VALU_DEP_2)
	v_cndmask_b32_e32 v4, 0x7f800000, v4, vcc_lo
	v_cmp_gt_f32_e64 vcc_lo, 0x33800000, |v20|
	s_wait_alu 0xfffd
	v_cndmask_b32_e32 v4, v4, v20, vcc_lo
	s_delay_alu instid0(VALU_DEP_1)
	v_add_f32_e32 v4, v2, v4
.LBB508_181:
	s_wait_alu 0xfffe
	s_or_b32 exec_lo, exec_lo, s1
	s_delay_alu instid0(VALU_DEP_1) | instskip(SKIP_1) | instid1(VALU_DEP_2)
	v_bfe_u32 v2, v4, 16, 1
	v_cmp_o_f32_e32 vcc_lo, v4, v4
	v_add3_u32 v2, v4, v2, 0x7fff
	s_delay_alu instid0(VALU_DEP_1) | instskip(SKIP_1) | instid1(VALU_DEP_1)
	v_lshrrev_b32_e32 v2, 16, v2
	s_wait_alu 0xfffd
	v_cndmask_b32_e32 v40, 0x7fc0, v2, vcc_lo
	s_delay_alu instid0(VALU_DEP_1) | instskip(NEXT) | instid1(VALU_DEP_1)
	v_lshlrev_b32_e32 v4, 16, v40
	v_max_num_f32_e32 v2, v4, v4
	v_cmp_u_f32_e32 vcc_lo, v4, v4
	s_delay_alu instid0(VALU_DEP_2) | instskip(SKIP_1) | instid1(VALU_DEP_1)
	v_min_num_f32_e32 v5, v2, v23
	s_wait_alu 0xfffd
	v_dual_max_num_f32 v2, v2, v23 :: v_dual_cndmask_b32 v5, v5, v4
	s_delay_alu instid0(VALU_DEP_1) | instskip(NEXT) | instid1(VALU_DEP_2)
	v_cndmask_b32_e32 v2, v2, v4, vcc_lo
	v_cndmask_b32_e64 v5, v5, v19, s4
	s_delay_alu instid0(VALU_DEP_2) | instskip(NEXT) | instid1(VALU_DEP_2)
	v_cndmask_b32_e64 v2, v2, v19, s4
	v_cmp_class_f32_e64 s1, v5, 0x1f8
	s_delay_alu instid0(VALU_DEP_2)
	v_cmp_neq_f32_e32 vcc_lo, v5, v2
	s_or_b32 s4, vcc_lo, s1
	s_wait_alu 0xfffe
	s_and_saveexec_b32 s1, s4
	s_cbranch_execz .LBB508_183
; %bb.182:
	v_sub_f32_e32 v4, v5, v2
	s_mov_b32 s4, 0x3e9b6dac
	s_delay_alu instid0(VALU_DEP_1) | instskip(SKIP_1) | instid1(VALU_DEP_2)
	v_mul_f32_e32 v5, 0x3fb8aa3b, v4
	v_cmp_ngt_f32_e32 vcc_lo, 0xc2ce8ed0, v4
	v_fma_f32 v19, 0x3fb8aa3b, v4, -v5
	v_rndne_f32_e32 v20, v5
	s_delay_alu instid0(VALU_DEP_2) | instskip(NEXT) | instid1(VALU_DEP_2)
	v_fmamk_f32 v19, v4, 0x32a5705f, v19
	v_sub_f32_e32 v5, v5, v20
	s_delay_alu instid0(VALU_DEP_1) | instskip(SKIP_1) | instid1(VALU_DEP_2)
	v_add_f32_e32 v5, v5, v19
	v_cvt_i32_f32_e32 v19, v20
	v_exp_f32_e32 v5, v5
	s_delay_alu instid0(TRANS32_DEP_1) | instskip(SKIP_1) | instid1(VALU_DEP_1)
	v_ldexp_f32 v5, v5, v19
	s_wait_alu 0xfffd
	v_cndmask_b32_e32 v5, 0, v5, vcc_lo
	v_cmp_nlt_f32_e32 vcc_lo, 0x42b17218, v4
	s_wait_alu 0xfffd
	s_delay_alu instid0(VALU_DEP_2) | instskip(NEXT) | instid1(VALU_DEP_1)
	v_cndmask_b32_e32 v19, 0x7f800000, v5, vcc_lo
	v_add_f32_e32 v20, 1.0, v19
	s_delay_alu instid0(VALU_DEP_1) | instskip(NEXT) | instid1(VALU_DEP_1)
	v_cvt_f64_f32_e32 v[4:5], v20
	v_frexp_exp_i32_f64_e32 v4, v[4:5]
	v_frexp_mant_f32_e32 v5, v20
	s_delay_alu instid0(VALU_DEP_1) | instskip(SKIP_1) | instid1(VALU_DEP_1)
	v_cmp_gt_f32_e32 vcc_lo, 0x3f2aaaab, v5
	v_add_f32_e32 v5, -1.0, v20
	v_sub_f32_e32 v41, v5, v20
	v_sub_f32_e32 v5, v19, v5
	s_delay_alu instid0(VALU_DEP_2) | instskip(NEXT) | instid1(VALU_DEP_1)
	v_add_f32_e32 v41, 1.0, v41
	v_add_f32_e32 v5, v5, v41
	s_wait_alu 0xfffd
	v_subrev_co_ci_u32_e64 v4, null, 0, v4, vcc_lo
	s_delay_alu instid0(VALU_DEP_1) | instskip(SKIP_1) | instid1(VALU_DEP_2)
	v_sub_nc_u32_e32 v23, 0, v4
	v_cvt_f32_i32_e32 v4, v4
	v_ldexp_f32 v20, v20, v23
	v_ldexp_f32 v5, v5, v23
	s_delay_alu instid0(VALU_DEP_2) | instskip(SKIP_1) | instid1(VALU_DEP_2)
	v_add_f32_e32 v42, 1.0, v20
	v_add_f32_e32 v23, -1.0, v20
	v_add_f32_e32 v41, -1.0, v42
	s_delay_alu instid0(VALU_DEP_2) | instskip(NEXT) | instid1(VALU_DEP_2)
	v_add_f32_e32 v43, 1.0, v23
	v_sub_f32_e32 v41, v20, v41
	s_delay_alu instid0(VALU_DEP_1) | instskip(NEXT) | instid1(VALU_DEP_1)
	v_dual_sub_f32 v20, v20, v43 :: v_dual_add_f32 v41, v5, v41
	v_add_f32_e32 v5, v5, v20
	s_delay_alu instid0(VALU_DEP_2) | instskip(NEXT) | instid1(VALU_DEP_2)
	v_add_f32_e32 v43, v42, v41
	v_add_f32_e32 v44, v23, v5
	s_delay_alu instid0(VALU_DEP_2) | instskip(NEXT) | instid1(VALU_DEP_1)
	v_rcp_f32_e32 v20, v43
	v_dual_sub_f32 v42, v42, v43 :: v_dual_sub_f32 v23, v23, v44
	v_cmp_neq_f32_e32 vcc_lo, 0x7f800000, v19
	s_delay_alu instid0(VALU_DEP_2) | instskip(NEXT) | instid1(VALU_DEP_3)
	v_add_f32_e32 v41, v41, v42
	v_add_f32_e32 v5, v5, v23
	s_delay_alu instid0(TRANS32_DEP_1) | instskip(NEXT) | instid1(VALU_DEP_1)
	v_mul_f32_e32 v45, v44, v20
	v_mul_f32_e32 v46, v43, v45
	s_delay_alu instid0(VALU_DEP_1) | instskip(NEXT) | instid1(VALU_DEP_1)
	v_fma_f32 v42, v45, v43, -v46
	v_fmac_f32_e32 v42, v45, v41
	s_delay_alu instid0(VALU_DEP_1) | instskip(NEXT) | instid1(VALU_DEP_1)
	v_add_f32_e32 v47, v46, v42
	v_dual_sub_f32 v48, v44, v47 :: v_dual_sub_f32 v23, v47, v46
	s_delay_alu instid0(VALU_DEP_1) | instskip(NEXT) | instid1(VALU_DEP_1)
	v_dual_sub_f32 v44, v44, v48 :: v_dual_sub_f32 v23, v23, v42
	v_sub_f32_e32 v44, v44, v47
	s_delay_alu instid0(VALU_DEP_1) | instskip(NEXT) | instid1(VALU_DEP_1)
	v_add_f32_e32 v5, v5, v44
	v_add_f32_e32 v5, v23, v5
	s_delay_alu instid0(VALU_DEP_1) | instskip(NEXT) | instid1(VALU_DEP_1)
	v_add_f32_e32 v23, v48, v5
	v_mul_f32_e32 v42, v20, v23
	s_delay_alu instid0(VALU_DEP_1) | instskip(NEXT) | instid1(VALU_DEP_1)
	v_dual_sub_f32 v47, v48, v23 :: v_dual_mul_f32 v44, v43, v42
	v_add_f32_e32 v5, v5, v47
	s_delay_alu instid0(VALU_DEP_2) | instskip(NEXT) | instid1(VALU_DEP_1)
	v_fma_f32 v43, v42, v43, -v44
	v_fmac_f32_e32 v43, v42, v41
	s_delay_alu instid0(VALU_DEP_1) | instskip(NEXT) | instid1(VALU_DEP_1)
	v_add_f32_e32 v41, v44, v43
	v_sub_f32_e32 v46, v23, v41
	s_delay_alu instid0(VALU_DEP_1) | instskip(NEXT) | instid1(VALU_DEP_1)
	v_dual_sub_f32 v44, v41, v44 :: v_dual_sub_f32 v23, v23, v46
	v_sub_f32_e32 v23, v23, v41
	s_delay_alu instid0(VALU_DEP_2) | instskip(NEXT) | instid1(VALU_DEP_2)
	v_sub_f32_e32 v41, v44, v43
	v_add_f32_e32 v5, v5, v23
	v_add_f32_e32 v23, v45, v42
	s_delay_alu instid0(VALU_DEP_2) | instskip(NEXT) | instid1(VALU_DEP_2)
	v_add_f32_e32 v5, v41, v5
	v_sub_f32_e32 v41, v23, v45
	s_delay_alu instid0(VALU_DEP_2) | instskip(NEXT) | instid1(VALU_DEP_2)
	v_add_f32_e32 v5, v46, v5
	v_sub_f32_e32 v41, v42, v41
	s_delay_alu instid0(VALU_DEP_2) | instskip(NEXT) | instid1(VALU_DEP_1)
	v_mul_f32_e32 v5, v20, v5
	v_add_f32_e32 v5, v41, v5
	s_delay_alu instid0(VALU_DEP_1) | instskip(NEXT) | instid1(VALU_DEP_1)
	v_add_f32_e32 v20, v23, v5
	v_mul_f32_e32 v41, v20, v20
	s_wait_alu 0xfffe
	s_delay_alu instid0(VALU_DEP_1) | instskip(SKIP_1) | instid1(VALU_DEP_2)
	v_fmaak_f32 v42, s4, v41, 0x3ecc95a3
	v_mul_f32_e32 v43, v20, v41
	v_fmaak_f32 v41, v41, v42, 0x3f2aaada
	v_ldexp_f32 v42, v20, 1
	s_delay_alu instid0(VALU_DEP_2) | instskip(SKIP_1) | instid1(VALU_DEP_2)
	v_dual_sub_f32 v20, v20, v23 :: v_dual_mul_f32 v41, v43, v41
	v_mul_f32_e32 v43, 0x3f317218, v4
	v_sub_f32_e32 v5, v5, v20
	s_delay_alu instid0(VALU_DEP_3) | instskip(NEXT) | instid1(VALU_DEP_2)
	v_add_f32_e32 v23, v42, v41
	v_ldexp_f32 v5, v5, 1
	s_delay_alu instid0(VALU_DEP_2) | instskip(SKIP_1) | instid1(VALU_DEP_2)
	v_sub_f32_e32 v20, v23, v42
	v_fma_f32 v42, 0x3f317218, v4, -v43
	v_sub_f32_e32 v20, v41, v20
	s_delay_alu instid0(VALU_DEP_1) | instskip(NEXT) | instid1(VALU_DEP_1)
	v_dual_fmamk_f32 v4, v4, 0xb102e308, v42 :: v_dual_add_f32 v5, v5, v20
	v_add_f32_e32 v20, v43, v4
	s_delay_alu instid0(VALU_DEP_2) | instskip(NEXT) | instid1(VALU_DEP_2)
	v_add_f32_e32 v41, v23, v5
	v_sub_f32_e32 v43, v20, v43
	s_delay_alu instid0(VALU_DEP_2) | instskip(NEXT) | instid1(VALU_DEP_2)
	v_dual_add_f32 v42, v20, v41 :: v_dual_sub_f32 v23, v41, v23
	v_sub_f32_e32 v4, v4, v43
	s_delay_alu instid0(VALU_DEP_2) | instskip(NEXT) | instid1(VALU_DEP_1)
	v_dual_sub_f32 v44, v42, v20 :: v_dual_sub_f32 v5, v5, v23
	v_sub_f32_e32 v45, v42, v44
	v_sub_f32_e32 v23, v41, v44
	s_delay_alu instid0(VALU_DEP_3) | instskip(NEXT) | instid1(VALU_DEP_3)
	v_add_f32_e32 v41, v4, v5
	v_sub_f32_e32 v20, v20, v45
	s_delay_alu instid0(VALU_DEP_1) | instskip(NEXT) | instid1(VALU_DEP_3)
	v_add_f32_e32 v20, v23, v20
	v_sub_f32_e32 v23, v41, v4
	s_delay_alu instid0(VALU_DEP_2) | instskip(NEXT) | instid1(VALU_DEP_2)
	v_add_f32_e32 v20, v41, v20
	v_sub_f32_e32 v41, v41, v23
	v_sub_f32_e32 v5, v5, v23
	s_delay_alu instid0(VALU_DEP_2) | instskip(NEXT) | instid1(VALU_DEP_1)
	v_dual_add_f32 v43, v42, v20 :: v_dual_sub_f32 v4, v4, v41
	v_dual_sub_f32 v23, v43, v42 :: v_dual_add_f32 v4, v5, v4
	s_delay_alu instid0(VALU_DEP_1) | instskip(NEXT) | instid1(VALU_DEP_1)
	v_sub_f32_e32 v5, v20, v23
	v_add_f32_e32 v4, v4, v5
	s_delay_alu instid0(VALU_DEP_1) | instskip(SKIP_1) | instid1(VALU_DEP_1)
	v_add_f32_e32 v4, v43, v4
	s_wait_alu 0xfffd
	v_cndmask_b32_e32 v4, 0x7f800000, v4, vcc_lo
	v_cmp_gt_f32_e64 vcc_lo, 0x33800000, |v19|
	s_wait_alu 0xfffd
	s_delay_alu instid0(VALU_DEP_2) | instskip(NEXT) | instid1(VALU_DEP_1)
	v_cndmask_b32_e32 v4, v4, v19, vcc_lo
	v_add_f32_e32 v4, v2, v4
.LBB508_183:
	s_wait_alu 0xfffe
	s_or_b32 exec_lo, exec_lo, s1
	s_delay_alu instid0(VALU_DEP_1) | instskip(SKIP_1) | instid1(VALU_DEP_2)
	v_bfe_u32 v2, v4, 16, 1
	v_cmp_o_f32_e32 vcc_lo, v4, v4
	v_add3_u32 v2, v4, v2, 0x7fff
	s_delay_alu instid0(VALU_DEP_1) | instskip(SKIP_1) | instid1(VALU_DEP_1)
	v_lshrrev_b32_e32 v2, 16, v2
	s_wait_alu 0xfffd
	v_cndmask_b32_e32 v5, 0x7fc0, v2, vcc_lo
	s_delay_alu instid0(VALU_DEP_1) | instskip(NEXT) | instid1(VALU_DEP_1)
	v_lshlrev_b32_e32 v4, 16, v5
	v_max_num_f32_e32 v2, v4, v4
	v_cmp_u_f32_e32 vcc_lo, v4, v4
	s_delay_alu instid0(VALU_DEP_2) | instskip(SKIP_1) | instid1(VALU_DEP_1)
	v_min_num_f32_e32 v19, v2, v25
	s_wait_alu 0xfffd
	v_dual_max_num_f32 v2, v2, v25 :: v_dual_cndmask_b32 v19, v19, v4
	s_delay_alu instid0(VALU_DEP_1) | instskip(NEXT) | instid1(VALU_DEP_2)
	v_cndmask_b32_e32 v2, v2, v4, vcc_lo
	v_cndmask_b32_e64 v19, v19, v21, s5
	s_delay_alu instid0(VALU_DEP_2) | instskip(NEXT) | instid1(VALU_DEP_2)
	v_cndmask_b32_e64 v2, v2, v21, s5
	v_cmp_class_f32_e64 s1, v19, 0x1f8
	s_delay_alu instid0(VALU_DEP_2)
	v_cmp_neq_f32_e32 vcc_lo, v19, v2
	s_or_b32 s4, vcc_lo, s1
	s_wait_alu 0xfffe
	s_and_saveexec_b32 s1, s4
	s_cbranch_execz .LBB508_185
; %bb.184:
	v_sub_f32_e32 v4, v19, v2
	s_mov_b32 s4, 0x3e9b6dac
	s_delay_alu instid0(VALU_DEP_1) | instskip(SKIP_1) | instid1(VALU_DEP_2)
	v_mul_f32_e32 v19, 0x3fb8aa3b, v4
	v_cmp_ngt_f32_e32 vcc_lo, 0xc2ce8ed0, v4
	v_fma_f32 v20, 0x3fb8aa3b, v4, -v19
	v_rndne_f32_e32 v21, v19
	s_delay_alu instid0(VALU_DEP_1) | instskip(NEXT) | instid1(VALU_DEP_1)
	v_dual_fmamk_f32 v20, v4, 0x32a5705f, v20 :: v_dual_sub_f32 v19, v19, v21
	v_add_f32_e32 v19, v19, v20
	v_cvt_i32_f32_e32 v20, v21
	s_delay_alu instid0(VALU_DEP_2) | instskip(NEXT) | instid1(TRANS32_DEP_1)
	v_exp_f32_e32 v19, v19
	v_ldexp_f32 v19, v19, v20
	s_wait_alu 0xfffd
	s_delay_alu instid0(VALU_DEP_1) | instskip(SKIP_2) | instid1(VALU_DEP_2)
	v_cndmask_b32_e32 v19, 0, v19, vcc_lo
	v_cmp_nlt_f32_e32 vcc_lo, 0x42b17218, v4
	s_wait_alu 0xfffd
	v_cndmask_b32_e32 v4, 0x7f800000, v19, vcc_lo
	s_delay_alu instid0(VALU_DEP_1) | instskip(NEXT) | instid1(VALU_DEP_1)
	v_add_f32_e32 v21, 1.0, v4
	v_cvt_f64_f32_e32 v[19:20], v21
	s_delay_alu instid0(VALU_DEP_1) | instskip(SKIP_1) | instid1(VALU_DEP_1)
	v_frexp_exp_i32_f64_e32 v19, v[19:20]
	v_frexp_mant_f32_e32 v20, v21
	v_cmp_gt_f32_e32 vcc_lo, 0x3f2aaaab, v20
	v_add_f32_e32 v20, -1.0, v21
	s_delay_alu instid0(VALU_DEP_1) | instskip(NEXT) | instid1(VALU_DEP_1)
	v_sub_f32_e32 v25, v20, v21
	v_dual_sub_f32 v20, v4, v20 :: v_dual_add_f32 v25, 1.0, v25
	s_delay_alu instid0(VALU_DEP_1) | instskip(SKIP_3) | instid1(VALU_DEP_2)
	v_add_f32_e32 v20, v20, v25
	s_wait_alu 0xfffd
	v_subrev_co_ci_u32_e64 v19, null, 0, v19, vcc_lo
	v_cmp_neq_f32_e32 vcc_lo, 0x7f800000, v4
	v_sub_nc_u32_e32 v23, 0, v19
	v_cvt_f32_i32_e32 v19, v19
	s_delay_alu instid0(VALU_DEP_2) | instskip(SKIP_1) | instid1(VALU_DEP_2)
	v_ldexp_f32 v21, v21, v23
	v_ldexp_f32 v20, v20, v23
	v_add_f32_e32 v41, 1.0, v21
	v_add_f32_e32 v23, -1.0, v21
	s_delay_alu instid0(VALU_DEP_1) | instskip(NEXT) | instid1(VALU_DEP_1)
	v_dual_add_f32 v25, -1.0, v41 :: v_dual_add_f32 v42, 1.0, v23
	v_sub_f32_e32 v25, v21, v25
	s_delay_alu instid0(VALU_DEP_2) | instskip(NEXT) | instid1(VALU_DEP_2)
	v_sub_f32_e32 v21, v21, v42
	v_add_f32_e32 v25, v20, v25
	s_delay_alu instid0(VALU_DEP_2) | instskip(NEXT) | instid1(VALU_DEP_1)
	v_add_f32_e32 v20, v20, v21
	v_add_f32_e32 v43, v23, v20
	s_delay_alu instid0(VALU_DEP_1) | instskip(NEXT) | instid1(VALU_DEP_1)
	v_sub_f32_e32 v23, v23, v43
	v_add_f32_e32 v20, v20, v23
	v_add_f32_e32 v42, v41, v25
	s_delay_alu instid0(VALU_DEP_1) | instskip(SKIP_1) | instid1(VALU_DEP_1)
	v_rcp_f32_e32 v21, v42
	v_sub_f32_e32 v41, v41, v42
	v_add_f32_e32 v25, v25, v41
	s_delay_alu instid0(TRANS32_DEP_1) | instskip(NEXT) | instid1(VALU_DEP_1)
	v_mul_f32_e32 v44, v43, v21
	v_mul_f32_e32 v45, v42, v44
	s_delay_alu instid0(VALU_DEP_1) | instskip(NEXT) | instid1(VALU_DEP_1)
	v_fma_f32 v41, v44, v42, -v45
	v_fmac_f32_e32 v41, v44, v25
	s_delay_alu instid0(VALU_DEP_1) | instskip(NEXT) | instid1(VALU_DEP_1)
	v_add_f32_e32 v46, v45, v41
	v_sub_f32_e32 v47, v43, v46
	v_sub_f32_e32 v23, v46, v45
	s_delay_alu instid0(VALU_DEP_2) | instskip(NEXT) | instid1(VALU_DEP_2)
	v_sub_f32_e32 v43, v43, v47
	v_sub_f32_e32 v23, v23, v41
	s_delay_alu instid0(VALU_DEP_2) | instskip(NEXT) | instid1(VALU_DEP_1)
	v_sub_f32_e32 v43, v43, v46
	v_add_f32_e32 v20, v20, v43
	s_delay_alu instid0(VALU_DEP_1) | instskip(NEXT) | instid1(VALU_DEP_1)
	v_add_f32_e32 v20, v23, v20
	v_add_f32_e32 v23, v47, v20
	s_delay_alu instid0(VALU_DEP_1) | instskip(NEXT) | instid1(VALU_DEP_1)
	v_mul_f32_e32 v41, v21, v23
	v_dual_sub_f32 v46, v47, v23 :: v_dual_mul_f32 v43, v42, v41
	s_delay_alu instid0(VALU_DEP_1) | instskip(NEXT) | instid1(VALU_DEP_2)
	v_add_f32_e32 v20, v20, v46
	v_fma_f32 v42, v41, v42, -v43
	s_delay_alu instid0(VALU_DEP_1) | instskip(NEXT) | instid1(VALU_DEP_1)
	v_fmac_f32_e32 v42, v41, v25
	v_add_f32_e32 v25, v43, v42
	s_delay_alu instid0(VALU_DEP_1) | instskip(SKIP_1) | instid1(VALU_DEP_2)
	v_sub_f32_e32 v45, v23, v25
	v_sub_f32_e32 v43, v25, v43
	;; [unrolled: 1-line block ×3, first 2 shown]
	s_delay_alu instid0(VALU_DEP_1) | instskip(NEXT) | instid1(VALU_DEP_1)
	v_sub_f32_e32 v23, v23, v25
	v_dual_sub_f32 v25, v43, v42 :: v_dual_add_f32 v20, v20, v23
	s_delay_alu instid0(VALU_DEP_1) | instskip(NEXT) | instid1(VALU_DEP_1)
	v_dual_add_f32 v23, v44, v41 :: v_dual_add_f32 v20, v25, v20
	v_sub_f32_e32 v25, v23, v44
	s_delay_alu instid0(VALU_DEP_2) | instskip(NEXT) | instid1(VALU_DEP_2)
	v_add_f32_e32 v20, v45, v20
	v_sub_f32_e32 v25, v41, v25
	s_delay_alu instid0(VALU_DEP_2) | instskip(NEXT) | instid1(VALU_DEP_1)
	v_mul_f32_e32 v20, v21, v20
	v_add_f32_e32 v20, v25, v20
	s_delay_alu instid0(VALU_DEP_1) | instskip(NEXT) | instid1(VALU_DEP_1)
	v_add_f32_e32 v21, v23, v20
	v_mul_f32_e32 v25, v21, v21
	s_wait_alu 0xfffe
	s_delay_alu instid0(VALU_DEP_1) | instskip(SKIP_1) | instid1(VALU_DEP_2)
	v_fmaak_f32 v41, s4, v25, 0x3ecc95a3
	v_mul_f32_e32 v42, v21, v25
	v_fmaak_f32 v25, v25, v41, 0x3f2aaada
	v_ldexp_f32 v41, v21, 1
	v_sub_f32_e32 v21, v21, v23
	s_delay_alu instid0(VALU_DEP_3) | instskip(NEXT) | instid1(VALU_DEP_2)
	v_dual_mul_f32 v25, v42, v25 :: v_dual_mul_f32 v42, 0x3f317218, v19
	v_sub_f32_e32 v20, v20, v21
	s_delay_alu instid0(VALU_DEP_2) | instskip(NEXT) | instid1(VALU_DEP_2)
	v_add_f32_e32 v23, v41, v25
	v_ldexp_f32 v20, v20, 1
	s_delay_alu instid0(VALU_DEP_2) | instskip(SKIP_1) | instid1(VALU_DEP_2)
	v_sub_f32_e32 v21, v23, v41
	v_fma_f32 v41, 0x3f317218, v19, -v42
	v_sub_f32_e32 v21, v25, v21
	s_delay_alu instid0(VALU_DEP_1) | instskip(NEXT) | instid1(VALU_DEP_1)
	v_dual_fmamk_f32 v19, v19, 0xb102e308, v41 :: v_dual_add_f32 v20, v20, v21
	v_add_f32_e32 v21, v42, v19
	s_delay_alu instid0(VALU_DEP_1) | instskip(NEXT) | instid1(VALU_DEP_1)
	v_dual_add_f32 v25, v23, v20 :: v_dual_sub_f32 v42, v21, v42
	v_add_f32_e32 v41, v21, v25
	v_sub_f32_e32 v23, v25, v23
	s_delay_alu instid0(VALU_DEP_3) | instskip(NEXT) | instid1(VALU_DEP_2)
	v_sub_f32_e32 v19, v19, v42
	v_dual_sub_f32 v43, v41, v21 :: v_dual_sub_f32 v20, v20, v23
	s_delay_alu instid0(VALU_DEP_1) | instskip(SKIP_1) | instid1(VALU_DEP_3)
	v_sub_f32_e32 v44, v41, v43
	v_sub_f32_e32 v23, v25, v43
	v_add_f32_e32 v25, v19, v20
	s_delay_alu instid0(VALU_DEP_3) | instskip(NEXT) | instid1(VALU_DEP_1)
	v_sub_f32_e32 v21, v21, v44
	v_add_f32_e32 v21, v23, v21
	s_delay_alu instid0(VALU_DEP_3) | instskip(NEXT) | instid1(VALU_DEP_2)
	v_sub_f32_e32 v23, v25, v19
	v_add_f32_e32 v21, v25, v21
	s_delay_alu instid0(VALU_DEP_2) | instskip(SKIP_1) | instid1(VALU_DEP_3)
	v_sub_f32_e32 v25, v25, v23
	v_sub_f32_e32 v20, v20, v23
	v_add_f32_e32 v42, v41, v21
	s_delay_alu instid0(VALU_DEP_3) | instskip(NEXT) | instid1(VALU_DEP_2)
	v_sub_f32_e32 v19, v19, v25
	v_sub_f32_e32 v23, v42, v41
	s_delay_alu instid0(VALU_DEP_2) | instskip(NEXT) | instid1(VALU_DEP_2)
	v_add_f32_e32 v19, v20, v19
	v_sub_f32_e32 v20, v21, v23
	s_delay_alu instid0(VALU_DEP_1) | instskip(NEXT) | instid1(VALU_DEP_1)
	v_add_f32_e32 v19, v19, v20
	v_add_f32_e32 v19, v42, v19
	s_wait_alu 0xfffd
	s_delay_alu instid0(VALU_DEP_1) | instskip(SKIP_2) | instid1(VALU_DEP_2)
	v_cndmask_b32_e32 v19, 0x7f800000, v19, vcc_lo
	v_cmp_gt_f32_e64 vcc_lo, 0x33800000, |v4|
	s_wait_alu 0xfffd
	v_cndmask_b32_e32 v4, v19, v4, vcc_lo
	s_delay_alu instid0(VALU_DEP_1)
	v_add_f32_e32 v4, v2, v4
.LBB508_185:
	s_wait_alu 0xfffe
	s_or_b32 exec_lo, exec_lo, s1
	s_delay_alu instid0(VALU_DEP_1) | instskip(SKIP_1) | instid1(VALU_DEP_2)
	v_bfe_u32 v2, v4, 16, 1
	v_cmp_o_f32_e32 vcc_lo, v4, v4
	v_add3_u32 v2, v4, v2, 0x7fff
	s_delay_alu instid0(VALU_DEP_1) | instskip(SKIP_1) | instid1(VALU_DEP_1)
	v_lshrrev_b32_e32 v2, 16, v2
	s_wait_alu 0xfffd
	v_cndmask_b32_e32 v19, 0x7fc0, v2, vcc_lo
	s_delay_alu instid0(VALU_DEP_1) | instskip(NEXT) | instid1(VALU_DEP_1)
	v_lshlrev_b32_e32 v4, 16, v19
	v_max_num_f32_e32 v2, v4, v4
	v_cmp_u_f32_e32 vcc_lo, v4, v4
	s_delay_alu instid0(VALU_DEP_2) | instskip(SKIP_2) | instid1(VALU_DEP_2)
	v_min_num_f32_e32 v20, v2, v27
	v_max_num_f32_e32 v2, v2, v27
	s_wait_alu 0xfffd
	v_cndmask_b32_e32 v20, v20, v4, vcc_lo
	s_delay_alu instid0(VALU_DEP_2) | instskip(NEXT) | instid1(VALU_DEP_2)
	v_cndmask_b32_e32 v2, v2, v4, vcc_lo
	v_cndmask_b32_e64 v20, v20, v22, s6
	s_delay_alu instid0(VALU_DEP_2) | instskip(NEXT) | instid1(VALU_DEP_2)
	v_cndmask_b32_e64 v2, v2, v22, s6
	v_cmp_class_f32_e64 s1, v20, 0x1f8
	s_delay_alu instid0(VALU_DEP_2)
	v_cmp_neq_f32_e32 vcc_lo, v20, v2
	s_or_b32 s4, vcc_lo, s1
	s_wait_alu 0xfffe
	s_and_saveexec_b32 s1, s4
	s_cbranch_execz .LBB508_187
; %bb.186:
	v_sub_f32_e32 v4, v20, v2
	s_mov_b32 s4, 0x3e9b6dac
	s_delay_alu instid0(VALU_DEP_1) | instskip(SKIP_1) | instid1(VALU_DEP_2)
	v_mul_f32_e32 v20, 0x3fb8aa3b, v4
	v_cmp_ngt_f32_e32 vcc_lo, 0xc2ce8ed0, v4
	v_fma_f32 v21, 0x3fb8aa3b, v4, -v20
	v_rndne_f32_e32 v22, v20
	s_delay_alu instid0(VALU_DEP_2) | instskip(NEXT) | instid1(VALU_DEP_2)
	v_fmamk_f32 v21, v4, 0x32a5705f, v21
	v_sub_f32_e32 v20, v20, v22
	s_delay_alu instid0(VALU_DEP_1) | instskip(SKIP_1) | instid1(VALU_DEP_2)
	v_add_f32_e32 v20, v20, v21
	v_cvt_i32_f32_e32 v21, v22
	v_exp_f32_e32 v20, v20
	s_delay_alu instid0(TRANS32_DEP_1) | instskip(SKIP_1) | instid1(VALU_DEP_1)
	v_ldexp_f32 v20, v20, v21
	s_wait_alu 0xfffd
	v_cndmask_b32_e32 v20, 0, v20, vcc_lo
	v_cmp_nlt_f32_e32 vcc_lo, 0x42b17218, v4
	s_wait_alu 0xfffd
	s_delay_alu instid0(VALU_DEP_2) | instskip(NEXT) | instid1(VALU_DEP_1)
	v_cndmask_b32_e32 v4, 0x7f800000, v20, vcc_lo
	v_add_f32_e32 v22, 1.0, v4
	s_delay_alu instid0(VALU_DEP_1) | instskip(NEXT) | instid1(VALU_DEP_1)
	v_cvt_f64_f32_e32 v[20:21], v22
	v_frexp_exp_i32_f64_e32 v20, v[20:21]
	v_frexp_mant_f32_e32 v21, v22
	s_delay_alu instid0(VALU_DEP_1) | instskip(SKIP_1) | instid1(VALU_DEP_1)
	v_cmp_gt_f32_e32 vcc_lo, 0x3f2aaaab, v21
	v_add_f32_e32 v21, -1.0, v22
	v_sub_f32_e32 v25, v21, v22
	s_delay_alu instid0(VALU_DEP_1) | instskip(SKIP_2) | instid1(VALU_DEP_1)
	v_add_f32_e32 v25, 1.0, v25
	s_wait_alu 0xfffd
	v_subrev_co_ci_u32_e64 v20, null, 0, v20, vcc_lo
	v_sub_nc_u32_e32 v23, 0, v20
	v_cvt_f32_i32_e32 v20, v20
	s_delay_alu instid0(VALU_DEP_2) | instskip(NEXT) | instid1(VALU_DEP_1)
	v_ldexp_f32 v22, v22, v23
	v_add_f32_e32 v27, 1.0, v22
	v_sub_f32_e32 v21, v4, v21
	v_cmp_neq_f32_e32 vcc_lo, 0x7f800000, v4
	s_delay_alu instid0(VALU_DEP_2) | instskip(NEXT) | instid1(VALU_DEP_1)
	v_add_f32_e32 v21, v21, v25
	v_ldexp_f32 v21, v21, v23
	v_add_f32_e32 v23, -1.0, v22
	s_delay_alu instid0(VALU_DEP_1) | instskip(SKIP_1) | instid1(VALU_DEP_1)
	v_add_f32_e32 v41, 1.0, v23
	v_add_f32_e32 v25, -1.0, v27
	v_sub_f32_e32 v25, v22, v25
	s_delay_alu instid0(VALU_DEP_3) | instskip(NEXT) | instid1(VALU_DEP_2)
	v_sub_f32_e32 v22, v22, v41
	v_add_f32_e32 v25, v21, v25
	s_delay_alu instid0(VALU_DEP_2) | instskip(NEXT) | instid1(VALU_DEP_2)
	v_add_f32_e32 v21, v21, v22
	v_add_f32_e32 v41, v27, v25
	s_delay_alu instid0(VALU_DEP_2) | instskip(NEXT) | instid1(VALU_DEP_2)
	v_add_f32_e32 v42, v23, v21
	v_rcp_f32_e32 v22, v41
	v_sub_f32_e32 v27, v27, v41
	s_delay_alu instid0(VALU_DEP_1) | instskip(NEXT) | instid1(TRANS32_DEP_1)
	v_add_f32_e32 v25, v25, v27
	v_mul_f32_e32 v43, v42, v22
	s_delay_alu instid0(VALU_DEP_1) | instskip(NEXT) | instid1(VALU_DEP_1)
	v_dual_mul_f32 v44, v41, v43 :: v_dual_sub_f32 v23, v23, v42
	v_fma_f32 v27, v43, v41, -v44
	s_delay_alu instid0(VALU_DEP_1) | instskip(NEXT) | instid1(VALU_DEP_1)
	v_fmac_f32_e32 v27, v43, v25
	v_add_f32_e32 v45, v44, v27
	s_delay_alu instid0(VALU_DEP_1) | instskip(NEXT) | instid1(VALU_DEP_1)
	v_dual_sub_f32 v46, v42, v45 :: v_dual_add_f32 v21, v21, v23
	v_dual_sub_f32 v23, v45, v44 :: v_dual_sub_f32 v42, v42, v46
	s_delay_alu instid0(VALU_DEP_1) | instskip(NEXT) | instid1(VALU_DEP_1)
	v_dual_sub_f32 v23, v23, v27 :: v_dual_sub_f32 v42, v42, v45
	v_add_f32_e32 v21, v21, v42
	s_delay_alu instid0(VALU_DEP_1) | instskip(NEXT) | instid1(VALU_DEP_1)
	v_add_f32_e32 v21, v23, v21
	v_add_f32_e32 v23, v46, v21
	s_delay_alu instid0(VALU_DEP_1) | instskip(SKIP_1) | instid1(VALU_DEP_2)
	v_mul_f32_e32 v27, v22, v23
	v_sub_f32_e32 v45, v46, v23
	v_mul_f32_e32 v42, v41, v27
	s_delay_alu instid0(VALU_DEP_2) | instskip(NEXT) | instid1(VALU_DEP_2)
	v_add_f32_e32 v21, v21, v45
	v_fma_f32 v41, v27, v41, -v42
	s_delay_alu instid0(VALU_DEP_1) | instskip(NEXT) | instid1(VALU_DEP_1)
	v_fmac_f32_e32 v41, v27, v25
	v_add_f32_e32 v25, v42, v41
	s_delay_alu instid0(VALU_DEP_1) | instskip(NEXT) | instid1(VALU_DEP_1)
	v_sub_f32_e32 v44, v23, v25
	v_dual_sub_f32 v42, v25, v42 :: v_dual_sub_f32 v23, v23, v44
	s_delay_alu instid0(VALU_DEP_1) | instskip(NEXT) | instid1(VALU_DEP_2)
	v_sub_f32_e32 v23, v23, v25
	v_sub_f32_e32 v25, v42, v41
	s_delay_alu instid0(VALU_DEP_2) | instskip(SKIP_1) | instid1(VALU_DEP_2)
	v_add_f32_e32 v21, v21, v23
	v_add_f32_e32 v23, v43, v27
	;; [unrolled: 1-line block ×3, first 2 shown]
	s_delay_alu instid0(VALU_DEP_2) | instskip(NEXT) | instid1(VALU_DEP_2)
	v_sub_f32_e32 v25, v23, v43
	v_add_f32_e32 v21, v44, v21
	s_delay_alu instid0(VALU_DEP_2) | instskip(NEXT) | instid1(VALU_DEP_2)
	v_sub_f32_e32 v25, v27, v25
	v_mul_f32_e32 v21, v22, v21
	s_delay_alu instid0(VALU_DEP_1) | instskip(NEXT) | instid1(VALU_DEP_1)
	v_add_f32_e32 v21, v25, v21
	v_add_f32_e32 v22, v23, v21
	s_delay_alu instid0(VALU_DEP_1) | instskip(SKIP_1) | instid1(VALU_DEP_1)
	v_mul_f32_e32 v25, v22, v22
	s_wait_alu 0xfffe
	v_fmaak_f32 v27, s4, v25, 0x3ecc95a3
	v_mul_f32_e32 v41, v22, v25
	s_delay_alu instid0(VALU_DEP_2) | instskip(SKIP_1) | instid1(VALU_DEP_2)
	v_fmaak_f32 v25, v25, v27, 0x3f2aaada
	v_ldexp_f32 v27, v22, 1
	v_dual_sub_f32 v22, v22, v23 :: v_dual_mul_f32 v25, v41, v25
	v_mul_f32_e32 v41, 0x3f317218, v20
	s_delay_alu instid0(VALU_DEP_2) | instskip(NEXT) | instid1(VALU_DEP_3)
	v_sub_f32_e32 v21, v21, v22
	v_add_f32_e32 v23, v27, v25
	s_delay_alu instid0(VALU_DEP_2) | instskip(NEXT) | instid1(VALU_DEP_2)
	v_ldexp_f32 v21, v21, 1
	v_sub_f32_e32 v22, v23, v27
	v_fma_f32 v27, 0x3f317218, v20, -v41
	s_delay_alu instid0(VALU_DEP_2) | instskip(NEXT) | instid1(VALU_DEP_1)
	v_sub_f32_e32 v22, v25, v22
	v_dual_fmamk_f32 v20, v20, 0xb102e308, v27 :: v_dual_add_f32 v21, v21, v22
	s_delay_alu instid0(VALU_DEP_1) | instskip(NEXT) | instid1(VALU_DEP_1)
	v_dual_add_f32 v22, v41, v20 :: v_dual_add_f32 v25, v23, v21
	v_sub_f32_e32 v41, v22, v41
	s_delay_alu instid0(VALU_DEP_2) | instskip(NEXT) | instid1(VALU_DEP_2)
	v_add_f32_e32 v27, v22, v25
	v_dual_sub_f32 v23, v25, v23 :: v_dual_sub_f32 v20, v20, v41
	s_delay_alu instid0(VALU_DEP_1) | instskip(NEXT) | instid1(VALU_DEP_1)
	v_dual_sub_f32 v42, v27, v22 :: v_dual_sub_f32 v21, v21, v23
	v_sub_f32_e32 v43, v27, v42
	v_sub_f32_e32 v23, v25, v42
	s_delay_alu instid0(VALU_DEP_2) | instskip(NEXT) | instid1(VALU_DEP_1)
	v_dual_add_f32 v25, v20, v21 :: v_dual_sub_f32 v22, v22, v43
	v_dual_add_f32 v22, v23, v22 :: v_dual_sub_f32 v23, v25, v20
	s_delay_alu instid0(VALU_DEP_1) | instskip(NEXT) | instid1(VALU_DEP_2)
	v_add_f32_e32 v22, v25, v22
	v_sub_f32_e32 v25, v25, v23
	v_sub_f32_e32 v21, v21, v23
	s_delay_alu instid0(VALU_DEP_2) | instskip(NEXT) | instid1(VALU_DEP_1)
	v_dual_add_f32 v41, v27, v22 :: v_dual_sub_f32 v20, v20, v25
	v_sub_f32_e32 v23, v41, v27
	s_delay_alu instid0(VALU_DEP_1) | instskip(NEXT) | instid1(VALU_DEP_1)
	v_dual_add_f32 v20, v21, v20 :: v_dual_sub_f32 v21, v22, v23
	v_add_f32_e32 v20, v20, v21
	s_delay_alu instid0(VALU_DEP_1) | instskip(SKIP_1) | instid1(VALU_DEP_1)
	v_add_f32_e32 v20, v41, v20
	s_wait_alu 0xfffd
	v_cndmask_b32_e32 v20, 0x7f800000, v20, vcc_lo
	v_cmp_gt_f32_e64 vcc_lo, 0x33800000, |v4|
	s_wait_alu 0xfffd
	s_delay_alu instid0(VALU_DEP_2) | instskip(NEXT) | instid1(VALU_DEP_1)
	v_cndmask_b32_e32 v4, v20, v4, vcc_lo
	v_add_f32_e32 v4, v2, v4
.LBB508_187:
	s_wait_alu 0xfffe
	s_or_b32 exec_lo, exec_lo, s1
	s_delay_alu instid0(VALU_DEP_1) | instskip(SKIP_1) | instid1(VALU_DEP_2)
	v_bfe_u32 v2, v4, 16, 1
	v_cmp_o_f32_e32 vcc_lo, v4, v4
	v_add3_u32 v2, v4, v2, 0x7fff
	s_delay_alu instid0(VALU_DEP_1) | instskip(SKIP_1) | instid1(VALU_DEP_1)
	v_lshrrev_b32_e32 v2, 16, v2
	s_wait_alu 0xfffd
	v_cndmask_b32_e32 v4, 0x7fc0, v2, vcc_lo
	s_delay_alu instid0(VALU_DEP_1) | instskip(NEXT) | instid1(VALU_DEP_1)
	v_lshlrev_b32_e32 v20, 16, v4
	v_max_num_f32_e32 v2, v20, v20
	v_cmp_u_f32_e32 vcc_lo, v20, v20
	s_delay_alu instid0(VALU_DEP_2) | instskip(SKIP_1) | instid1(VALU_DEP_1)
	v_min_num_f32_e32 v21, v2, v29
	s_wait_alu 0xfffd
	v_dual_max_num_f32 v2, v2, v29 :: v_dual_cndmask_b32 v21, v21, v20
	s_delay_alu instid0(VALU_DEP_1) | instskip(NEXT) | instid1(VALU_DEP_2)
	v_cndmask_b32_e32 v2, v2, v20, vcc_lo
	v_cndmask_b32_e64 v21, v21, v24, s7
	s_delay_alu instid0(VALU_DEP_2) | instskip(NEXT) | instid1(VALU_DEP_2)
	v_cndmask_b32_e64 v2, v2, v24, s7
	v_cmp_class_f32_e64 s1, v21, 0x1f8
	s_delay_alu instid0(VALU_DEP_2)
	v_cmp_neq_f32_e32 vcc_lo, v21, v2
	s_or_b32 s4, vcc_lo, s1
	s_wait_alu 0xfffe
	s_and_saveexec_b32 s1, s4
	s_cbranch_execz .LBB508_189
; %bb.188:
	v_sub_f32_e32 v20, v21, v2
	s_mov_b32 s4, 0x3e9b6dac
	s_delay_alu instid0(VALU_DEP_1) | instskip(SKIP_1) | instid1(VALU_DEP_2)
	v_mul_f32_e32 v21, 0x3fb8aa3b, v20
	v_cmp_ngt_f32_e32 vcc_lo, 0xc2ce8ed0, v20
	v_fma_f32 v22, 0x3fb8aa3b, v20, -v21
	v_rndne_f32_e32 v23, v21
	s_delay_alu instid0(VALU_DEP_1) | instskip(NEXT) | instid1(VALU_DEP_1)
	v_dual_fmamk_f32 v22, v20, 0x32a5705f, v22 :: v_dual_sub_f32 v21, v21, v23
	v_add_f32_e32 v21, v21, v22
	v_cvt_i32_f32_e32 v22, v23
	s_delay_alu instid0(VALU_DEP_2) | instskip(NEXT) | instid1(TRANS32_DEP_1)
	v_exp_f32_e32 v21, v21
	v_ldexp_f32 v21, v21, v22
	s_wait_alu 0xfffd
	s_delay_alu instid0(VALU_DEP_1) | instskip(SKIP_2) | instid1(VALU_DEP_2)
	v_cndmask_b32_e32 v21, 0, v21, vcc_lo
	v_cmp_nlt_f32_e32 vcc_lo, 0x42b17218, v20
	s_wait_alu 0xfffd
	v_cndmask_b32_e32 v22, 0x7f800000, v21, vcc_lo
	s_delay_alu instid0(VALU_DEP_1) | instskip(NEXT) | instid1(VALU_DEP_1)
	v_add_f32_e32 v23, 1.0, v22
	v_cvt_f64_f32_e32 v[20:21], v23
	s_delay_alu instid0(VALU_DEP_1) | instskip(SKIP_1) | instid1(VALU_DEP_1)
	v_frexp_exp_i32_f64_e32 v20, v[20:21]
	v_frexp_mant_f32_e32 v21, v23
	v_cmp_gt_f32_e32 vcc_lo, 0x3f2aaaab, v21
	v_add_f32_e32 v21, -1.0, v23
	s_wait_alu 0xfffd
	s_delay_alu instid0(VALU_DEP_4) | instskip(SKIP_1) | instid1(VALU_DEP_2)
	v_subrev_co_ci_u32_e64 v20, null, 0, v20, vcc_lo
	v_cmp_neq_f32_e32 vcc_lo, 0x7f800000, v22
	v_sub_nc_u32_e32 v24, 0, v20
	v_cvt_f32_i32_e32 v20, v20
	v_sub_f32_e32 v25, v21, v23
	v_sub_f32_e32 v21, v22, v21
	s_delay_alu instid0(VALU_DEP_4) | instskip(NEXT) | instid1(VALU_DEP_3)
	v_ldexp_f32 v23, v23, v24
	v_add_f32_e32 v25, 1.0, v25
	s_delay_alu instid0(VALU_DEP_2) | instskip(NEXT) | instid1(VALU_DEP_2)
	v_add_f32_e32 v27, 1.0, v23
	v_add_f32_e32 v21, v21, v25
	s_delay_alu instid0(VALU_DEP_2) | instskip(NEXT) | instid1(VALU_DEP_2)
	v_add_f32_e32 v25, -1.0, v27
	v_ldexp_f32 v21, v21, v24
	s_delay_alu instid0(VALU_DEP_2) | instskip(NEXT) | instid1(VALU_DEP_1)
	v_dual_add_f32 v24, -1.0, v23 :: v_dual_sub_f32 v25, v23, v25
	v_add_f32_e32 v29, 1.0, v24
	s_delay_alu instid0(VALU_DEP_2) | instskip(NEXT) | instid1(VALU_DEP_2)
	v_add_f32_e32 v25, v21, v25
	v_sub_f32_e32 v23, v23, v29
	s_delay_alu instid0(VALU_DEP_2) | instskip(NEXT) | instid1(VALU_DEP_2)
	v_add_f32_e32 v29, v27, v25
	v_add_f32_e32 v21, v21, v23
	s_delay_alu instid0(VALU_DEP_2) | instskip(SKIP_1) | instid1(VALU_DEP_2)
	v_rcp_f32_e32 v23, v29
	v_sub_f32_e32 v27, v27, v29
	v_add_f32_e32 v41, v24, v21
	s_delay_alu instid0(VALU_DEP_1) | instskip(NEXT) | instid1(TRANS32_DEP_1)
	v_dual_add_f32 v25, v25, v27 :: v_dual_sub_f32 v24, v24, v41
	v_mul_f32_e32 v42, v41, v23
	s_delay_alu instid0(VALU_DEP_2) | instskip(NEXT) | instid1(VALU_DEP_2)
	v_add_f32_e32 v21, v21, v24
	v_mul_f32_e32 v43, v29, v42
	s_delay_alu instid0(VALU_DEP_1) | instskip(NEXT) | instid1(VALU_DEP_1)
	v_fma_f32 v27, v42, v29, -v43
	v_fmac_f32_e32 v27, v42, v25
	s_delay_alu instid0(VALU_DEP_1) | instskip(NEXT) | instid1(VALU_DEP_1)
	v_add_f32_e32 v44, v43, v27
	v_dual_sub_f32 v45, v41, v44 :: v_dual_sub_f32 v24, v44, v43
	s_delay_alu instid0(VALU_DEP_1) | instskip(NEXT) | instid1(VALU_DEP_1)
	v_dual_sub_f32 v41, v41, v45 :: v_dual_sub_f32 v24, v24, v27
	v_sub_f32_e32 v41, v41, v44
	s_delay_alu instid0(VALU_DEP_1) | instskip(NEXT) | instid1(VALU_DEP_1)
	v_add_f32_e32 v21, v21, v41
	v_add_f32_e32 v21, v24, v21
	s_delay_alu instid0(VALU_DEP_1) | instskip(NEXT) | instid1(VALU_DEP_1)
	v_add_f32_e32 v24, v45, v21
	v_mul_f32_e32 v27, v23, v24
	v_sub_f32_e32 v44, v45, v24
	s_delay_alu instid0(VALU_DEP_2) | instskip(NEXT) | instid1(VALU_DEP_2)
	v_mul_f32_e32 v41, v29, v27
	v_add_f32_e32 v21, v21, v44
	s_delay_alu instid0(VALU_DEP_2) | instskip(NEXT) | instid1(VALU_DEP_1)
	v_fma_f32 v29, v27, v29, -v41
	v_fmac_f32_e32 v29, v27, v25
	s_delay_alu instid0(VALU_DEP_1) | instskip(NEXT) | instid1(VALU_DEP_1)
	v_add_f32_e32 v25, v41, v29
	v_sub_f32_e32 v43, v24, v25
	s_delay_alu instid0(VALU_DEP_1) | instskip(NEXT) | instid1(VALU_DEP_1)
	v_dual_sub_f32 v41, v25, v41 :: v_dual_sub_f32 v24, v24, v43
	v_sub_f32_e32 v24, v24, v25
	s_delay_alu instid0(VALU_DEP_2) | instskip(NEXT) | instid1(VALU_DEP_2)
	v_sub_f32_e32 v25, v41, v29
	v_dual_add_f32 v21, v21, v24 :: v_dual_add_f32 v24, v42, v27
	s_delay_alu instid0(VALU_DEP_1) | instskip(NEXT) | instid1(VALU_DEP_2)
	v_add_f32_e32 v21, v25, v21
	v_sub_f32_e32 v25, v24, v42
	s_delay_alu instid0(VALU_DEP_2) | instskip(NEXT) | instid1(VALU_DEP_2)
	v_add_f32_e32 v21, v43, v21
	v_sub_f32_e32 v25, v27, v25
	s_delay_alu instid0(VALU_DEP_2) | instskip(NEXT) | instid1(VALU_DEP_1)
	v_mul_f32_e32 v21, v23, v21
	v_add_f32_e32 v21, v25, v21
	s_delay_alu instid0(VALU_DEP_1) | instskip(NEXT) | instid1(VALU_DEP_1)
	v_add_f32_e32 v23, v24, v21
	v_mul_f32_e32 v25, v23, v23
	s_wait_alu 0xfffe
	s_delay_alu instid0(VALU_DEP_1) | instskip(SKIP_1) | instid1(VALU_DEP_2)
	v_fmaak_f32 v27, s4, v25, 0x3ecc95a3
	v_mul_f32_e32 v29, v23, v25
	v_fmaak_f32 v25, v25, v27, 0x3f2aaada
	v_ldexp_f32 v27, v23, 1
	v_sub_f32_e32 v23, v23, v24
	s_delay_alu instid0(VALU_DEP_3) | instskip(SKIP_1) | instid1(VALU_DEP_2)
	v_mul_f32_e32 v25, v29, v25
	v_mul_f32_e32 v29, 0x3f317218, v20
	v_dual_sub_f32 v21, v21, v23 :: v_dual_add_f32 v24, v27, v25
	s_delay_alu instid0(VALU_DEP_1) | instskip(NEXT) | instid1(VALU_DEP_2)
	v_ldexp_f32 v21, v21, 1
	v_sub_f32_e32 v23, v24, v27
	s_delay_alu instid0(VALU_DEP_4) | instskip(NEXT) | instid1(VALU_DEP_1)
	v_fma_f32 v27, 0x3f317218, v20, -v29
	v_dual_sub_f32 v23, v25, v23 :: v_dual_fmamk_f32 v20, v20, 0xb102e308, v27
	s_delay_alu instid0(VALU_DEP_1) | instskip(NEXT) | instid1(VALU_DEP_2)
	v_add_f32_e32 v21, v21, v23
	v_add_f32_e32 v23, v29, v20
	s_delay_alu instid0(VALU_DEP_2) | instskip(NEXT) | instid1(VALU_DEP_2)
	v_add_f32_e32 v25, v24, v21
	v_sub_f32_e32 v29, v23, v29
	s_delay_alu instid0(VALU_DEP_2) | instskip(NEXT) | instid1(VALU_DEP_1)
	v_dual_add_f32 v27, v23, v25 :: v_dual_sub_f32 v24, v25, v24
	v_dual_sub_f32 v20, v20, v29 :: v_dual_sub_f32 v41, v27, v23
	s_delay_alu instid0(VALU_DEP_1) | instskip(SKIP_1) | instid1(VALU_DEP_2)
	v_dual_sub_f32 v21, v21, v24 :: v_dual_sub_f32 v42, v27, v41
	v_sub_f32_e32 v24, v25, v41
	v_add_f32_e32 v25, v20, v21
	s_delay_alu instid0(VALU_DEP_3) | instskip(NEXT) | instid1(VALU_DEP_1)
	v_sub_f32_e32 v23, v23, v42
	v_dual_add_f32 v23, v24, v23 :: v_dual_sub_f32 v24, v25, v20
	s_delay_alu instid0(VALU_DEP_1) | instskip(NEXT) | instid1(VALU_DEP_2)
	v_add_f32_e32 v23, v25, v23
	v_sub_f32_e32 v25, v25, v24
	v_sub_f32_e32 v21, v21, v24
	s_delay_alu instid0(VALU_DEP_2) | instskip(NEXT) | instid1(VALU_DEP_1)
	v_dual_add_f32 v29, v27, v23 :: v_dual_sub_f32 v20, v20, v25
	v_sub_f32_e32 v24, v29, v27
	s_delay_alu instid0(VALU_DEP_2) | instskip(NEXT) | instid1(VALU_DEP_2)
	v_add_f32_e32 v20, v21, v20
	v_sub_f32_e32 v21, v23, v24
	s_delay_alu instid0(VALU_DEP_1) | instskip(NEXT) | instid1(VALU_DEP_1)
	v_add_f32_e32 v20, v20, v21
	v_add_f32_e32 v20, v29, v20
	s_wait_alu 0xfffd
	s_delay_alu instid0(VALU_DEP_1) | instskip(SKIP_2) | instid1(VALU_DEP_2)
	v_cndmask_b32_e32 v20, 0x7f800000, v20, vcc_lo
	v_cmp_gt_f32_e64 vcc_lo, 0x33800000, |v22|
	s_wait_alu 0xfffd
	v_cndmask_b32_e32 v20, v20, v22, vcc_lo
	s_delay_alu instid0(VALU_DEP_1)
	v_add_f32_e32 v20, v2, v20
.LBB508_189:
	s_wait_alu 0xfffe
	s_or_b32 exec_lo, exec_lo, s1
	s_delay_alu instid0(VALU_DEP_1) | instskip(SKIP_1) | instid1(VALU_DEP_2)
	v_bfe_u32 v2, v20, 16, 1
	v_cmp_o_f32_e32 vcc_lo, v20, v20
	v_add3_u32 v2, v20, v2, 0x7fff
	s_delay_alu instid0(VALU_DEP_1) | instskip(SKIP_1) | instid1(VALU_DEP_1)
	v_lshrrev_b32_e32 v2, 16, v2
	s_wait_alu 0xfffd
	v_cndmask_b32_e32 v27, 0x7fc0, v2, vcc_lo
	s_delay_alu instid0(VALU_DEP_1) | instskip(NEXT) | instid1(VALU_DEP_1)
	v_lshlrev_b32_e32 v20, 16, v27
	v_max_num_f32_e32 v2, v20, v20
	v_cmp_u_f32_e32 vcc_lo, v20, v20
	s_delay_alu instid0(VALU_DEP_2) | instskip(SKIP_1) | instid1(VALU_DEP_1)
	v_min_num_f32_e32 v21, v2, v31
	s_wait_alu 0xfffd
	v_dual_max_num_f32 v2, v2, v31 :: v_dual_cndmask_b32 v21, v21, v20
	s_delay_alu instid0(VALU_DEP_1) | instskip(NEXT) | instid1(VALU_DEP_2)
	v_cndmask_b32_e32 v2, v2, v20, vcc_lo
	v_cndmask_b32_e64 v21, v21, v26, s8
	s_delay_alu instid0(VALU_DEP_2) | instskip(NEXT) | instid1(VALU_DEP_2)
	v_cndmask_b32_e64 v2, v2, v26, s8
	v_cmp_class_f32_e64 s1, v21, 0x1f8
	s_delay_alu instid0(VALU_DEP_2)
	v_cmp_neq_f32_e32 vcc_lo, v21, v2
	s_or_b32 s4, vcc_lo, s1
	s_wait_alu 0xfffe
	s_and_saveexec_b32 s1, s4
	s_cbranch_execz .LBB508_191
; %bb.190:
	v_sub_f32_e32 v20, v21, v2
	s_mov_b32 s4, 0x3e9b6dac
	s_delay_alu instid0(VALU_DEP_1) | instskip(SKIP_1) | instid1(VALU_DEP_2)
	v_mul_f32_e32 v21, 0x3fb8aa3b, v20
	v_cmp_ngt_f32_e32 vcc_lo, 0xc2ce8ed0, v20
	v_fma_f32 v22, 0x3fb8aa3b, v20, -v21
	v_rndne_f32_e32 v23, v21
	s_delay_alu instid0(VALU_DEP_1) | instskip(NEXT) | instid1(VALU_DEP_1)
	v_dual_fmamk_f32 v22, v20, 0x32a5705f, v22 :: v_dual_sub_f32 v21, v21, v23
	v_add_f32_e32 v21, v21, v22
	v_cvt_i32_f32_e32 v22, v23
	s_delay_alu instid0(VALU_DEP_2) | instskip(NEXT) | instid1(TRANS32_DEP_1)
	v_exp_f32_e32 v21, v21
	v_ldexp_f32 v21, v21, v22
	s_wait_alu 0xfffd
	s_delay_alu instid0(VALU_DEP_1) | instskip(SKIP_2) | instid1(VALU_DEP_2)
	v_cndmask_b32_e32 v21, 0, v21, vcc_lo
	v_cmp_nlt_f32_e32 vcc_lo, 0x42b17218, v20
	s_wait_alu 0xfffd
	v_cndmask_b32_e32 v22, 0x7f800000, v21, vcc_lo
	s_delay_alu instid0(VALU_DEP_1) | instskip(NEXT) | instid1(VALU_DEP_1)
	v_add_f32_e32 v23, 1.0, v22
	v_cvt_f64_f32_e32 v[20:21], v23
	s_delay_alu instid0(VALU_DEP_1) | instskip(SKIP_1) | instid1(VALU_DEP_1)
	v_frexp_exp_i32_f64_e32 v20, v[20:21]
	v_frexp_mant_f32_e32 v21, v23
	v_cmp_gt_f32_e32 vcc_lo, 0x3f2aaaab, v21
	v_add_f32_e32 v21, -1.0, v23
	s_delay_alu instid0(VALU_DEP_1) | instskip(SKIP_1) | instid1(VALU_DEP_2)
	v_sub_f32_e32 v25, v21, v23
	v_sub_f32_e32 v21, v22, v21
	v_add_f32_e32 v25, 1.0, v25
	s_delay_alu instid0(VALU_DEP_1) | instskip(SKIP_3) | instid1(VALU_DEP_2)
	v_add_f32_e32 v21, v21, v25
	s_wait_alu 0xfffd
	v_subrev_co_ci_u32_e64 v20, null, 0, v20, vcc_lo
	v_cmp_neq_f32_e32 vcc_lo, 0x7f800000, v22
	v_sub_nc_u32_e32 v24, 0, v20
	v_cvt_f32_i32_e32 v20, v20
	s_delay_alu instid0(VALU_DEP_2) | instskip(SKIP_1) | instid1(VALU_DEP_2)
	v_ldexp_f32 v23, v23, v24
	v_ldexp_f32 v21, v21, v24
	v_add_f32_e32 v26, 1.0, v23
	s_delay_alu instid0(VALU_DEP_1) | instskip(NEXT) | instid1(VALU_DEP_1)
	v_dual_add_f32 v24, -1.0, v23 :: v_dual_add_f32 v25, -1.0, v26
	v_add_f32_e32 v29, 1.0, v24
	s_delay_alu instid0(VALU_DEP_2) | instskip(NEXT) | instid1(VALU_DEP_2)
	v_sub_f32_e32 v25, v23, v25
	v_sub_f32_e32 v23, v23, v29
	s_delay_alu instid0(VALU_DEP_2) | instskip(NEXT) | instid1(VALU_DEP_2)
	v_add_f32_e32 v25, v21, v25
	v_add_f32_e32 v21, v21, v23
	s_delay_alu instid0(VALU_DEP_2) | instskip(NEXT) | instid1(VALU_DEP_2)
	v_add_f32_e32 v29, v26, v25
	v_add_f32_e32 v31, v24, v21
	s_delay_alu instid0(VALU_DEP_2) | instskip(SKIP_1) | instid1(VALU_DEP_1)
	v_rcp_f32_e32 v23, v29
	v_sub_f32_e32 v26, v26, v29
	v_dual_sub_f32 v24, v24, v31 :: v_dual_add_f32 v25, v25, v26
	s_delay_alu instid0(VALU_DEP_1) | instskip(NEXT) | instid1(TRANS32_DEP_1)
	v_add_f32_e32 v21, v21, v24
	v_mul_f32_e32 v41, v31, v23
	s_delay_alu instid0(VALU_DEP_1) | instskip(NEXT) | instid1(VALU_DEP_1)
	v_mul_f32_e32 v42, v29, v41
	v_fma_f32 v26, v41, v29, -v42
	s_delay_alu instid0(VALU_DEP_1) | instskip(NEXT) | instid1(VALU_DEP_1)
	v_fmac_f32_e32 v26, v41, v25
	v_add_f32_e32 v43, v42, v26
	s_delay_alu instid0(VALU_DEP_1) | instskip(SKIP_1) | instid1(VALU_DEP_1)
	v_sub_f32_e32 v44, v31, v43
	v_sub_f32_e32 v24, v43, v42
	v_dual_sub_f32 v31, v31, v44 :: v_dual_sub_f32 v24, v24, v26
	s_delay_alu instid0(VALU_DEP_1) | instskip(NEXT) | instid1(VALU_DEP_1)
	v_sub_f32_e32 v31, v31, v43
	v_add_f32_e32 v21, v21, v31
	s_delay_alu instid0(VALU_DEP_1) | instskip(NEXT) | instid1(VALU_DEP_1)
	v_add_f32_e32 v21, v24, v21
	v_add_f32_e32 v24, v44, v21
	s_delay_alu instid0(VALU_DEP_1) | instskip(SKIP_1) | instid1(VALU_DEP_2)
	v_mul_f32_e32 v26, v23, v24
	v_sub_f32_e32 v43, v44, v24
	v_mul_f32_e32 v31, v29, v26
	s_delay_alu instid0(VALU_DEP_2) | instskip(NEXT) | instid1(VALU_DEP_2)
	v_add_f32_e32 v21, v21, v43
	v_fma_f32 v29, v26, v29, -v31
	s_delay_alu instid0(VALU_DEP_1) | instskip(NEXT) | instid1(VALU_DEP_1)
	v_fmac_f32_e32 v29, v26, v25
	v_add_f32_e32 v25, v31, v29
	s_delay_alu instid0(VALU_DEP_1) | instskip(NEXT) | instid1(VALU_DEP_1)
	v_dual_sub_f32 v42, v24, v25 :: v_dual_sub_f32 v31, v25, v31
	v_sub_f32_e32 v24, v24, v42
	s_delay_alu instid0(VALU_DEP_1) | instskip(NEXT) | instid1(VALU_DEP_3)
	v_sub_f32_e32 v24, v24, v25
	v_sub_f32_e32 v25, v31, v29
	s_delay_alu instid0(VALU_DEP_2) | instskip(SKIP_1) | instid1(VALU_DEP_2)
	v_add_f32_e32 v21, v21, v24
	v_add_f32_e32 v24, v41, v26
	;; [unrolled: 1-line block ×3, first 2 shown]
	s_delay_alu instid0(VALU_DEP_2) | instskip(NEXT) | instid1(VALU_DEP_2)
	v_sub_f32_e32 v25, v24, v41
	v_add_f32_e32 v21, v42, v21
	s_delay_alu instid0(VALU_DEP_2) | instskip(NEXT) | instid1(VALU_DEP_2)
	v_sub_f32_e32 v25, v26, v25
	v_mul_f32_e32 v21, v23, v21
	s_delay_alu instid0(VALU_DEP_1) | instskip(NEXT) | instid1(VALU_DEP_1)
	v_add_f32_e32 v21, v25, v21
	v_add_f32_e32 v23, v24, v21
	s_delay_alu instid0(VALU_DEP_1) | instskip(SKIP_1) | instid1(VALU_DEP_1)
	v_mul_f32_e32 v25, v23, v23
	s_wait_alu 0xfffe
	v_fmaak_f32 v26, s4, v25, 0x3ecc95a3
	v_mul_f32_e32 v29, v23, v25
	s_delay_alu instid0(VALU_DEP_2) | instskip(SKIP_2) | instid1(VALU_DEP_3)
	v_fmaak_f32 v25, v25, v26, 0x3f2aaada
	v_ldexp_f32 v26, v23, 1
	v_sub_f32_e32 v23, v23, v24
	v_mul_f32_e32 v25, v29, v25
	v_mul_f32_e32 v29, 0x3f317218, v20
	s_delay_alu instid0(VALU_DEP_2) | instskip(NEXT) | instid1(VALU_DEP_1)
	v_dual_sub_f32 v21, v21, v23 :: v_dual_add_f32 v24, v26, v25
	v_ldexp_f32 v21, v21, 1
	s_delay_alu instid0(VALU_DEP_2) | instskip(NEXT) | instid1(VALU_DEP_4)
	v_sub_f32_e32 v23, v24, v26
	v_fma_f32 v26, 0x3f317218, v20, -v29
	s_delay_alu instid0(VALU_DEP_1) | instskip(NEXT) | instid1(VALU_DEP_1)
	v_dual_sub_f32 v23, v25, v23 :: v_dual_fmamk_f32 v20, v20, 0xb102e308, v26
	v_add_f32_e32 v21, v21, v23
	s_delay_alu instid0(VALU_DEP_2) | instskip(NEXT) | instid1(VALU_DEP_2)
	v_add_f32_e32 v23, v29, v20
	v_add_f32_e32 v25, v24, v21
	s_delay_alu instid0(VALU_DEP_2) | instskip(NEXT) | instid1(VALU_DEP_2)
	v_sub_f32_e32 v29, v23, v29
	v_add_f32_e32 v26, v23, v25
	v_sub_f32_e32 v24, v25, v24
	s_delay_alu instid0(VALU_DEP_2) | instskip(NEXT) | instid1(VALU_DEP_2)
	v_dual_sub_f32 v20, v20, v29 :: v_dual_sub_f32 v31, v26, v23
	v_sub_f32_e32 v21, v21, v24
	s_delay_alu instid0(VALU_DEP_2) | instskip(NEXT) | instid1(VALU_DEP_2)
	v_sub_f32_e32 v41, v26, v31
	v_dual_sub_f32 v24, v25, v31 :: v_dual_add_f32 v25, v20, v21
	s_delay_alu instid0(VALU_DEP_2) | instskip(NEXT) | instid1(VALU_DEP_1)
	v_sub_f32_e32 v23, v23, v41
	v_dual_add_f32 v23, v24, v23 :: v_dual_sub_f32 v24, v25, v20
	s_delay_alu instid0(VALU_DEP_1) | instskip(NEXT) | instid1(VALU_DEP_2)
	v_add_f32_e32 v23, v25, v23
	v_sub_f32_e32 v25, v25, v24
	v_sub_f32_e32 v21, v21, v24
	s_delay_alu instid0(VALU_DEP_2) | instskip(NEXT) | instid1(VALU_DEP_1)
	v_dual_add_f32 v29, v26, v23 :: v_dual_sub_f32 v20, v20, v25
	v_sub_f32_e32 v24, v29, v26
	s_delay_alu instid0(VALU_DEP_2) | instskip(NEXT) | instid1(VALU_DEP_2)
	v_add_f32_e32 v20, v21, v20
	v_sub_f32_e32 v21, v23, v24
	s_delay_alu instid0(VALU_DEP_1) | instskip(NEXT) | instid1(VALU_DEP_1)
	v_add_f32_e32 v20, v20, v21
	v_add_f32_e32 v20, v29, v20
	s_wait_alu 0xfffd
	s_delay_alu instid0(VALU_DEP_1) | instskip(SKIP_2) | instid1(VALU_DEP_2)
	v_cndmask_b32_e32 v20, 0x7f800000, v20, vcc_lo
	v_cmp_gt_f32_e64 vcc_lo, 0x33800000, |v22|
	s_wait_alu 0xfffd
	v_cndmask_b32_e32 v20, v20, v22, vcc_lo
	s_delay_alu instid0(VALU_DEP_1)
	v_add_f32_e32 v20, v2, v20
.LBB508_191:
	s_wait_alu 0xfffe
	s_or_b32 exec_lo, exec_lo, s1
	s_delay_alu instid0(VALU_DEP_1) | instskip(SKIP_1) | instid1(VALU_DEP_2)
	v_bfe_u32 v2, v20, 16, 1
	v_cmp_o_f32_e32 vcc_lo, v20, v20
	v_add3_u32 v2, v20, v2, 0x7fff
	s_delay_alu instid0(VALU_DEP_1) | instskip(SKIP_1) | instid1(VALU_DEP_1)
	v_lshrrev_b32_e32 v2, 16, v2
	s_wait_alu 0xfffd
	v_cndmask_b32_e32 v2, 0x7fc0, v2, vcc_lo
	s_delay_alu instid0(VALU_DEP_1) | instskip(NEXT) | instid1(VALU_DEP_1)
	v_lshlrev_b32_e32 v21, 16, v2
	v_max_num_f32_e32 v20, v21, v21
	s_delay_alu instid0(VALU_DEP_1) | instskip(SKIP_3) | instid1(VALU_DEP_3)
	v_min_num_f32_e32 v22, v20, v33
	v_max_num_f32_e32 v20, v20, v33
	v_cmp_u_f32_e32 vcc_lo, v21, v21
	s_wait_alu 0xfffd
	v_cndmask_b32_e32 v22, v22, v21, vcc_lo
	s_delay_alu instid0(VALU_DEP_3) | instskip(NEXT) | instid1(VALU_DEP_2)
	v_cndmask_b32_e32 v20, v20, v21, vcc_lo
	v_cndmask_b32_e64 v22, v22, v28, s9
	s_delay_alu instid0(VALU_DEP_2) | instskip(NEXT) | instid1(VALU_DEP_2)
	v_cndmask_b32_e64 v20, v20, v28, s9
	v_cmp_class_f32_e64 s1, v22, 0x1f8
	s_delay_alu instid0(VALU_DEP_2)
	v_cmp_neq_f32_e32 vcc_lo, v22, v20
	s_or_b32 s4, vcc_lo, s1
	s_wait_alu 0xfffe
	s_and_saveexec_b32 s1, s4
	s_cbranch_execz .LBB508_193
; %bb.192:
	v_sub_f32_e32 v21, v22, v20
	s_mov_b32 s4, 0x3e9b6dac
	s_delay_alu instid0(VALU_DEP_1) | instskip(SKIP_1) | instid1(VALU_DEP_2)
	v_mul_f32_e32 v22, 0x3fb8aa3b, v21
	v_cmp_ngt_f32_e32 vcc_lo, 0xc2ce8ed0, v21
	v_fma_f32 v23, 0x3fb8aa3b, v21, -v22
	v_rndne_f32_e32 v24, v22
	s_delay_alu instid0(VALU_DEP_1) | instskip(NEXT) | instid1(VALU_DEP_1)
	v_dual_fmamk_f32 v23, v21, 0x32a5705f, v23 :: v_dual_sub_f32 v22, v22, v24
	v_add_f32_e32 v22, v22, v23
	v_cvt_i32_f32_e32 v23, v24
	s_delay_alu instid0(VALU_DEP_2) | instskip(NEXT) | instid1(TRANS32_DEP_1)
	v_exp_f32_e32 v22, v22
	v_ldexp_f32 v22, v22, v23
	s_wait_alu 0xfffd
	s_delay_alu instid0(VALU_DEP_1) | instskip(SKIP_2) | instid1(VALU_DEP_2)
	v_cndmask_b32_e32 v22, 0, v22, vcc_lo
	v_cmp_nlt_f32_e32 vcc_lo, 0x42b17218, v21
	s_wait_alu 0xfffd
	v_cndmask_b32_e32 v23, 0x7f800000, v22, vcc_lo
	s_delay_alu instid0(VALU_DEP_1) | instskip(NEXT) | instid1(VALU_DEP_1)
	v_add_f32_e32 v24, 1.0, v23
	v_cvt_f64_f32_e32 v[21:22], v24
	s_delay_alu instid0(VALU_DEP_1) | instskip(SKIP_1) | instid1(VALU_DEP_1)
	v_frexp_exp_i32_f64_e32 v21, v[21:22]
	v_frexp_mant_f32_e32 v22, v24
	v_cmp_gt_f32_e32 vcc_lo, 0x3f2aaaab, v22
	v_add_f32_e32 v22, -1.0, v24
	s_delay_alu instid0(VALU_DEP_1) | instskip(SKIP_1) | instid1(VALU_DEP_2)
	v_sub_f32_e32 v26, v22, v24
	v_sub_f32_e32 v22, v23, v22
	v_add_f32_e32 v26, 1.0, v26
	s_delay_alu instid0(VALU_DEP_1) | instskip(SKIP_3) | instid1(VALU_DEP_2)
	v_add_f32_e32 v22, v22, v26
	s_wait_alu 0xfffd
	v_subrev_co_ci_u32_e64 v21, null, 0, v21, vcc_lo
	v_cmp_neq_f32_e32 vcc_lo, 0x7f800000, v23
	v_sub_nc_u32_e32 v25, 0, v21
	v_cvt_f32_i32_e32 v21, v21
	s_delay_alu instid0(VALU_DEP_2) | instskip(SKIP_1) | instid1(VALU_DEP_2)
	v_ldexp_f32 v24, v24, v25
	v_ldexp_f32 v22, v22, v25
	v_add_f32_e32 v28, 1.0, v24
	v_add_f32_e32 v25, -1.0, v24
	s_delay_alu instid0(VALU_DEP_1) | instskip(NEXT) | instid1(VALU_DEP_1)
	v_dual_add_f32 v26, -1.0, v28 :: v_dual_add_f32 v29, 1.0, v25
	v_sub_f32_e32 v26, v24, v26
	s_delay_alu instid0(VALU_DEP_2) | instskip(NEXT) | instid1(VALU_DEP_2)
	v_sub_f32_e32 v24, v24, v29
	v_add_f32_e32 v26, v22, v26
	s_delay_alu instid0(VALU_DEP_1) | instskip(NEXT) | instid1(VALU_DEP_1)
	v_add_f32_e32 v29, v28, v26
	v_sub_f32_e32 v28, v28, v29
	s_delay_alu instid0(VALU_DEP_1) | instskip(SKIP_2) | instid1(VALU_DEP_1)
	v_add_f32_e32 v26, v26, v28
	v_add_f32_e32 v22, v22, v24
	v_rcp_f32_e32 v24, v29
	v_add_f32_e32 v31, v25, v22
	s_delay_alu instid0(VALU_DEP_1)
	v_sub_f32_e32 v25, v25, v31
	s_delay_alu instid0(TRANS32_DEP_1) | instid1(VALU_DEP_1)
	v_dual_mul_f32 v33, v31, v24 :: v_dual_add_f32 v22, v22, v25
	s_delay_alu instid0(VALU_DEP_1) | instskip(NEXT) | instid1(VALU_DEP_1)
	v_mul_f32_e32 v41, v29, v33
	v_fma_f32 v28, v33, v29, -v41
	s_delay_alu instid0(VALU_DEP_1) | instskip(NEXT) | instid1(VALU_DEP_1)
	v_fmac_f32_e32 v28, v33, v26
	v_add_f32_e32 v42, v41, v28
	s_delay_alu instid0(VALU_DEP_1) | instskip(SKIP_1) | instid1(VALU_DEP_2)
	v_sub_f32_e32 v43, v31, v42
	v_sub_f32_e32 v25, v42, v41
	;; [unrolled: 1-line block ×3, first 2 shown]
	s_delay_alu instid0(VALU_DEP_2) | instskip(NEXT) | instid1(VALU_DEP_2)
	v_sub_f32_e32 v25, v25, v28
	v_sub_f32_e32 v31, v31, v42
	s_delay_alu instid0(VALU_DEP_1) | instskip(NEXT) | instid1(VALU_DEP_1)
	v_add_f32_e32 v22, v22, v31
	v_add_f32_e32 v22, v25, v22
	s_delay_alu instid0(VALU_DEP_1) | instskip(NEXT) | instid1(VALU_DEP_1)
	v_add_f32_e32 v25, v43, v22
	v_mul_f32_e32 v28, v24, v25
	s_delay_alu instid0(VALU_DEP_1) | instskip(NEXT) | instid1(VALU_DEP_1)
	v_dual_sub_f32 v42, v43, v25 :: v_dual_mul_f32 v31, v29, v28
	v_add_f32_e32 v22, v22, v42
	s_delay_alu instid0(VALU_DEP_2) | instskip(NEXT) | instid1(VALU_DEP_1)
	v_fma_f32 v29, v28, v29, -v31
	v_fmac_f32_e32 v29, v28, v26
	s_delay_alu instid0(VALU_DEP_1) | instskip(NEXT) | instid1(VALU_DEP_1)
	v_add_f32_e32 v26, v31, v29
	v_sub_f32_e32 v41, v25, v26
	s_delay_alu instid0(VALU_DEP_1) | instskip(NEXT) | instid1(VALU_DEP_1)
	v_sub_f32_e32 v25, v25, v41
	v_sub_f32_e32 v25, v25, v26
	s_delay_alu instid0(VALU_DEP_1) | instskip(SKIP_1) | instid1(VALU_DEP_1)
	v_dual_add_f32 v22, v22, v25 :: v_dual_add_f32 v25, v33, v28
	v_sub_f32_e32 v31, v26, v31
	v_sub_f32_e32 v26, v31, v29
	s_delay_alu instid0(VALU_DEP_1) | instskip(NEXT) | instid1(VALU_DEP_4)
	v_add_f32_e32 v22, v26, v22
	v_sub_f32_e32 v26, v25, v33
	s_delay_alu instid0(VALU_DEP_2) | instskip(NEXT) | instid1(VALU_DEP_2)
	v_add_f32_e32 v22, v41, v22
	v_sub_f32_e32 v26, v28, v26
	s_delay_alu instid0(VALU_DEP_2) | instskip(NEXT) | instid1(VALU_DEP_1)
	v_mul_f32_e32 v22, v24, v22
	v_add_f32_e32 v22, v26, v22
	s_delay_alu instid0(VALU_DEP_1) | instskip(NEXT) | instid1(VALU_DEP_1)
	v_add_f32_e32 v24, v25, v22
	v_mul_f32_e32 v26, v24, v24
	s_wait_alu 0xfffe
	s_delay_alu instid0(VALU_DEP_1) | instskip(NEXT) | instid1(VALU_DEP_1)
	v_fmaak_f32 v28, s4, v26, 0x3ecc95a3
	v_dual_mul_f32 v29, v24, v26 :: v_dual_fmaak_f32 v26, v26, v28, 0x3f2aaada
	v_ldexp_f32 v28, v24, 1
	v_sub_f32_e32 v24, v24, v25
	s_delay_alu instid0(VALU_DEP_3) | instskip(NEXT) | instid1(VALU_DEP_1)
	v_dual_mul_f32 v26, v29, v26 :: v_dual_mul_f32 v29, 0x3f317218, v21
	v_dual_sub_f32 v22, v22, v24 :: v_dual_add_f32 v25, v28, v26
	s_delay_alu instid0(VALU_DEP_1) | instskip(NEXT) | instid1(VALU_DEP_2)
	v_ldexp_f32 v22, v22, 1
	v_sub_f32_e32 v24, v25, v28
	s_delay_alu instid0(VALU_DEP_4) | instskip(NEXT) | instid1(VALU_DEP_1)
	v_fma_f32 v28, 0x3f317218, v21, -v29
	v_dual_sub_f32 v24, v26, v24 :: v_dual_fmamk_f32 v21, v21, 0xb102e308, v28
	s_delay_alu instid0(VALU_DEP_1) | instskip(NEXT) | instid1(VALU_DEP_2)
	v_add_f32_e32 v22, v22, v24
	v_add_f32_e32 v24, v29, v21
	s_delay_alu instid0(VALU_DEP_1) | instskip(NEXT) | instid1(VALU_DEP_1)
	v_dual_add_f32 v26, v25, v22 :: v_dual_sub_f32 v29, v24, v29
	v_dual_add_f32 v28, v24, v26 :: v_dual_sub_f32 v25, v26, v25
	s_delay_alu instid0(VALU_DEP_2) | instskip(NEXT) | instid1(VALU_DEP_2)
	v_sub_f32_e32 v21, v21, v29
	v_dual_sub_f32 v31, v28, v24 :: v_dual_sub_f32 v22, v22, v25
	s_delay_alu instid0(VALU_DEP_1) | instskip(NEXT) | instid1(VALU_DEP_2)
	v_sub_f32_e32 v33, v28, v31
	v_dual_sub_f32 v25, v26, v31 :: v_dual_add_f32 v26, v21, v22
	s_delay_alu instid0(VALU_DEP_2) | instskip(NEXT) | instid1(VALU_DEP_1)
	v_sub_f32_e32 v24, v24, v33
	v_dual_add_f32 v24, v25, v24 :: v_dual_sub_f32 v25, v26, v21
	s_delay_alu instid0(VALU_DEP_1) | instskip(NEXT) | instid1(VALU_DEP_2)
	v_add_f32_e32 v24, v26, v24
	v_sub_f32_e32 v26, v26, v25
	s_delay_alu instid0(VALU_DEP_2) | instskip(NEXT) | instid1(VALU_DEP_2)
	v_dual_sub_f32 v22, v22, v25 :: v_dual_add_f32 v29, v28, v24
	v_sub_f32_e32 v21, v21, v26
	s_delay_alu instid0(VALU_DEP_2) | instskip(NEXT) | instid1(VALU_DEP_2)
	v_sub_f32_e32 v25, v29, v28
	v_add_f32_e32 v21, v22, v21
	s_delay_alu instid0(VALU_DEP_2) | instskip(NEXT) | instid1(VALU_DEP_1)
	v_sub_f32_e32 v22, v24, v25
	v_add_f32_e32 v21, v21, v22
	s_delay_alu instid0(VALU_DEP_1) | instskip(SKIP_1) | instid1(VALU_DEP_1)
	v_add_f32_e32 v21, v29, v21
	s_wait_alu 0xfffd
	v_cndmask_b32_e32 v21, 0x7f800000, v21, vcc_lo
	v_cmp_gt_f32_e64 vcc_lo, 0x33800000, |v23|
	s_wait_alu 0xfffd
	s_delay_alu instid0(VALU_DEP_2) | instskip(NEXT) | instid1(VALU_DEP_1)
	v_cndmask_b32_e32 v21, v21, v23, vcc_lo
	v_add_f32_e32 v21, v20, v21
.LBB508_193:
	s_wait_alu 0xfffe
	s_or_b32 exec_lo, exec_lo, s1
	s_delay_alu instid0(VALU_DEP_1) | instskip(SKIP_1) | instid1(VALU_DEP_2)
	v_bfe_u32 v20, v21, 16, 1
	v_cmp_o_f32_e32 vcc_lo, v21, v21
	v_add3_u32 v20, v21, v20, 0x7fff
	s_delay_alu instid0(VALU_DEP_1) | instskip(SKIP_1) | instid1(VALU_DEP_1)
	v_lshrrev_b32_e32 v20, 16, v20
	s_wait_alu 0xfffd
	v_cndmask_b32_e32 v20, 0x7fc0, v20, vcc_lo
	s_delay_alu instid0(VALU_DEP_1) | instskip(NEXT) | instid1(VALU_DEP_1)
	v_lshlrev_b32_e32 v22, 16, v20
	v_max_num_f32_e32 v21, v22, v22
	s_delay_alu instid0(VALU_DEP_1) | instskip(SKIP_3) | instid1(VALU_DEP_3)
	v_min_num_f32_e32 v23, v21, v35
	v_max_num_f32_e32 v21, v21, v35
	v_cmp_u_f32_e32 vcc_lo, v22, v22
	s_wait_alu 0xfffd
	v_cndmask_b32_e32 v23, v23, v22, vcc_lo
	s_delay_alu instid0(VALU_DEP_3) | instskip(NEXT) | instid1(VALU_DEP_2)
	v_cndmask_b32_e32 v21, v21, v22, vcc_lo
	v_cndmask_b32_e64 v23, v23, v30, s10
	s_delay_alu instid0(VALU_DEP_2) | instskip(NEXT) | instid1(VALU_DEP_2)
	v_cndmask_b32_e64 v21, v21, v30, s10
	v_cmp_class_f32_e64 s1, v23, 0x1f8
	s_delay_alu instid0(VALU_DEP_2)
	v_cmp_neq_f32_e32 vcc_lo, v23, v21
	s_or_b32 s4, vcc_lo, s1
	s_wait_alu 0xfffe
	s_and_saveexec_b32 s1, s4
	s_cbranch_execz .LBB508_195
; %bb.194:
	v_sub_f32_e32 v22, v23, v21
	s_mov_b32 s4, 0x3e9b6dac
	s_delay_alu instid0(VALU_DEP_1) | instskip(SKIP_1) | instid1(VALU_DEP_2)
	v_mul_f32_e32 v23, 0x3fb8aa3b, v22
	v_cmp_ngt_f32_e32 vcc_lo, 0xc2ce8ed0, v22
	v_fma_f32 v24, 0x3fb8aa3b, v22, -v23
	v_rndne_f32_e32 v25, v23
	s_delay_alu instid0(VALU_DEP_1) | instskip(NEXT) | instid1(VALU_DEP_1)
	v_dual_fmamk_f32 v24, v22, 0x32a5705f, v24 :: v_dual_sub_f32 v23, v23, v25
	v_add_f32_e32 v23, v23, v24
	v_cvt_i32_f32_e32 v24, v25
	s_delay_alu instid0(VALU_DEP_2) | instskip(NEXT) | instid1(TRANS32_DEP_1)
	v_exp_f32_e32 v23, v23
	v_ldexp_f32 v23, v23, v24
	s_wait_alu 0xfffd
	s_delay_alu instid0(VALU_DEP_1) | instskip(SKIP_2) | instid1(VALU_DEP_2)
	v_cndmask_b32_e32 v23, 0, v23, vcc_lo
	v_cmp_nlt_f32_e32 vcc_lo, 0x42b17218, v22
	s_wait_alu 0xfffd
	v_cndmask_b32_e32 v24, 0x7f800000, v23, vcc_lo
	s_delay_alu instid0(VALU_DEP_1) | instskip(NEXT) | instid1(VALU_DEP_1)
	v_add_f32_e32 v25, 1.0, v24
	v_cvt_f64_f32_e32 v[22:23], v25
	s_delay_alu instid0(VALU_DEP_1) | instskip(SKIP_1) | instid1(VALU_DEP_1)
	v_frexp_exp_i32_f64_e32 v22, v[22:23]
	v_frexp_mant_f32_e32 v23, v25
	v_cmp_gt_f32_e32 vcc_lo, 0x3f2aaaab, v23
	v_add_f32_e32 v23, -1.0, v25
	s_delay_alu instid0(VALU_DEP_1) | instskip(NEXT) | instid1(VALU_DEP_1)
	v_dual_sub_f32 v28, v23, v25 :: v_dual_sub_f32 v23, v24, v23
	v_add_f32_e32 v28, 1.0, v28
	s_wait_alu 0xfffd
	v_subrev_co_ci_u32_e64 v22, null, 0, v22, vcc_lo
	v_cmp_neq_f32_e32 vcc_lo, 0x7f800000, v24
	s_delay_alu instid0(VALU_DEP_2) | instskip(SKIP_1) | instid1(VALU_DEP_2)
	v_sub_nc_u32_e32 v26, 0, v22
	v_cvt_f32_i32_e32 v22, v22
	v_ldexp_f32 v25, v25, v26
	v_add_f32_e32 v23, v23, v28
	s_delay_alu instid0(VALU_DEP_2) | instskip(NEXT) | instid1(VALU_DEP_2)
	v_add_f32_e32 v29, 1.0, v25
	v_ldexp_f32 v23, v23, v26
	v_add_f32_e32 v26, -1.0, v25
	s_delay_alu instid0(VALU_DEP_3) | instskip(NEXT) | instid1(VALU_DEP_2)
	v_add_f32_e32 v28, -1.0, v29
	v_add_f32_e32 v30, 1.0, v26
	s_delay_alu instid0(VALU_DEP_2) | instskip(NEXT) | instid1(VALU_DEP_1)
	v_sub_f32_e32 v28, v25, v28
	v_dual_sub_f32 v25, v25, v30 :: v_dual_add_f32 v28, v23, v28
	s_delay_alu instid0(VALU_DEP_1) | instskip(NEXT) | instid1(VALU_DEP_1)
	v_dual_add_f32 v23, v23, v25 :: v_dual_add_f32 v30, v29, v28
	v_rcp_f32_e32 v25, v30
	v_sub_f32_e32 v29, v29, v30
	s_delay_alu instid0(VALU_DEP_1)
	v_dual_add_f32 v31, v26, v23 :: v_dual_add_f32 v28, v28, v29
	s_delay_alu instid0(TRANS32_DEP_1) | instid1(VALU_DEP_1)
	v_dual_sub_f32 v26, v26, v31 :: v_dual_mul_f32 v33, v31, v25
	s_delay_alu instid0(VALU_DEP_1) | instskip(NEXT) | instid1(VALU_DEP_1)
	v_mul_f32_e32 v35, v30, v33
	v_fma_f32 v29, v33, v30, -v35
	s_delay_alu instid0(VALU_DEP_1) | instskip(NEXT) | instid1(VALU_DEP_4)
	v_fmac_f32_e32 v29, v33, v28
	v_add_f32_e32 v23, v23, v26
	s_delay_alu instid0(VALU_DEP_2) | instskip(NEXT) | instid1(VALU_DEP_1)
	v_add_f32_e32 v41, v35, v29
	v_sub_f32_e32 v42, v31, v41
	s_delay_alu instid0(VALU_DEP_1) | instskip(NEXT) | instid1(VALU_DEP_1)
	v_dual_sub_f32 v26, v41, v35 :: v_dual_sub_f32 v31, v31, v42
	v_sub_f32_e32 v26, v26, v29
	s_delay_alu instid0(VALU_DEP_2) | instskip(NEXT) | instid1(VALU_DEP_1)
	v_sub_f32_e32 v31, v31, v41
	v_add_f32_e32 v23, v23, v31
	s_delay_alu instid0(VALU_DEP_1) | instskip(NEXT) | instid1(VALU_DEP_1)
	v_add_f32_e32 v23, v26, v23
	v_add_f32_e32 v26, v42, v23
	s_delay_alu instid0(VALU_DEP_1) | instskip(SKIP_1) | instid1(VALU_DEP_2)
	v_mul_f32_e32 v29, v25, v26
	v_sub_f32_e32 v41, v42, v26
	v_mul_f32_e32 v31, v30, v29
	s_delay_alu instid0(VALU_DEP_1) | instskip(NEXT) | instid1(VALU_DEP_1)
	v_fma_f32 v30, v29, v30, -v31
	v_fmac_f32_e32 v30, v29, v28
	s_delay_alu instid0(VALU_DEP_1) | instskip(SKIP_1) | instid1(VALU_DEP_2)
	v_add_f32_e32 v28, v31, v30
	v_add_f32_e32 v23, v23, v41
	v_sub_f32_e32 v31, v28, v31
	v_sub_f32_e32 v35, v26, v28
	s_delay_alu instid0(VALU_DEP_1) | instskip(NEXT) | instid1(VALU_DEP_1)
	v_sub_f32_e32 v26, v26, v35
	v_sub_f32_e32 v26, v26, v28
	s_delay_alu instid0(VALU_DEP_4) | instskip(NEXT) | instid1(VALU_DEP_2)
	v_sub_f32_e32 v28, v31, v30
	v_dual_add_f32 v23, v23, v26 :: v_dual_add_f32 v26, v33, v29
	s_delay_alu instid0(VALU_DEP_1) | instskip(NEXT) | instid1(VALU_DEP_1)
	v_dual_add_f32 v23, v28, v23 :: v_dual_sub_f32 v28, v26, v33
	v_dual_add_f32 v23, v35, v23 :: v_dual_sub_f32 v28, v29, v28
	s_delay_alu instid0(VALU_DEP_1) | instskip(NEXT) | instid1(VALU_DEP_1)
	v_mul_f32_e32 v23, v25, v23
	v_add_f32_e32 v23, v28, v23
	s_delay_alu instid0(VALU_DEP_1) | instskip(NEXT) | instid1(VALU_DEP_1)
	v_add_f32_e32 v25, v26, v23
	v_mul_f32_e32 v28, v25, v25
	s_wait_alu 0xfffe
	s_delay_alu instid0(VALU_DEP_1) | instskip(SKIP_1) | instid1(VALU_DEP_2)
	v_fmaak_f32 v29, s4, v28, 0x3ecc95a3
	v_mul_f32_e32 v30, v25, v28
	v_fmaak_f32 v28, v28, v29, 0x3f2aaada
	v_ldexp_f32 v29, v25, 1
	s_delay_alu instid0(VALU_DEP_2) | instskip(NEXT) | instid1(VALU_DEP_1)
	v_dual_sub_f32 v25, v25, v26 :: v_dual_mul_f32 v28, v30, v28
	v_dual_mul_f32 v30, 0x3f317218, v22 :: v_dual_sub_f32 v23, v23, v25
	s_delay_alu instid0(VALU_DEP_2) | instskip(NEXT) | instid1(VALU_DEP_2)
	v_add_f32_e32 v26, v29, v28
	v_ldexp_f32 v23, v23, 1
	s_delay_alu instid0(VALU_DEP_2) | instskip(NEXT) | instid1(VALU_DEP_4)
	v_sub_f32_e32 v25, v26, v29
	v_fma_f32 v29, 0x3f317218, v22, -v30
	s_delay_alu instid0(VALU_DEP_1) | instskip(NEXT) | instid1(VALU_DEP_1)
	v_dual_sub_f32 v25, v28, v25 :: v_dual_fmamk_f32 v22, v22, 0xb102e308, v29
	v_add_f32_e32 v23, v23, v25
	s_delay_alu instid0(VALU_DEP_2) | instskip(NEXT) | instid1(VALU_DEP_2)
	v_add_f32_e32 v25, v30, v22
	v_add_f32_e32 v28, v26, v23
	s_delay_alu instid0(VALU_DEP_2) | instskip(NEXT) | instid1(VALU_DEP_2)
	v_sub_f32_e32 v30, v25, v30
	v_dual_add_f32 v29, v25, v28 :: v_dual_sub_f32 v26, v28, v26
	s_delay_alu instid0(VALU_DEP_1) | instskip(NEXT) | instid1(VALU_DEP_2)
	v_dual_sub_f32 v22, v22, v30 :: v_dual_sub_f32 v31, v29, v25
	v_sub_f32_e32 v23, v23, v26
	s_delay_alu instid0(VALU_DEP_2) | instskip(SKIP_1) | instid1(VALU_DEP_2)
	v_sub_f32_e32 v33, v29, v31
	v_sub_f32_e32 v26, v28, v31
	v_dual_add_f32 v28, v22, v23 :: v_dual_sub_f32 v25, v25, v33
	s_delay_alu instid0(VALU_DEP_1) | instskip(NEXT) | instid1(VALU_DEP_1)
	v_dual_add_f32 v25, v26, v25 :: v_dual_sub_f32 v26, v28, v22
	v_add_f32_e32 v25, v28, v25
	s_delay_alu instid0(VALU_DEP_2) | instskip(NEXT) | instid1(VALU_DEP_1)
	v_sub_f32_e32 v28, v28, v26
	v_dual_sub_f32 v23, v23, v26 :: v_dual_sub_f32 v22, v22, v28
	s_delay_alu instid0(VALU_DEP_1) | instskip(NEXT) | instid1(VALU_DEP_4)
	v_add_f32_e32 v22, v23, v22
	v_add_f32_e32 v30, v29, v25
	s_delay_alu instid0(VALU_DEP_1) | instskip(NEXT) | instid1(VALU_DEP_1)
	v_sub_f32_e32 v26, v30, v29
	v_sub_f32_e32 v23, v25, v26
	s_delay_alu instid0(VALU_DEP_1) | instskip(NEXT) | instid1(VALU_DEP_1)
	v_add_f32_e32 v22, v22, v23
	v_add_f32_e32 v22, v30, v22
	s_wait_alu 0xfffd
	s_delay_alu instid0(VALU_DEP_1) | instskip(SKIP_2) | instid1(VALU_DEP_2)
	v_cndmask_b32_e32 v22, 0x7f800000, v22, vcc_lo
	v_cmp_gt_f32_e64 vcc_lo, 0x33800000, |v24|
	s_wait_alu 0xfffd
	v_cndmask_b32_e32 v22, v22, v24, vcc_lo
	s_delay_alu instid0(VALU_DEP_1)
	v_add_f32_e32 v22, v21, v22
.LBB508_195:
	s_wait_alu 0xfffe
	s_or_b32 exec_lo, exec_lo, s1
	s_delay_alu instid0(VALU_DEP_1) | instskip(SKIP_1) | instid1(VALU_DEP_2)
	v_bfe_u32 v21, v22, 16, 1
	v_cmp_o_f32_e32 vcc_lo, v22, v22
	v_add3_u32 v21, v22, v21, 0x7fff
	s_delay_alu instid0(VALU_DEP_1) | instskip(SKIP_1) | instid1(VALU_DEP_1)
	v_lshrrev_b32_e32 v21, 16, v21
	s_wait_alu 0xfffd
	v_cndmask_b32_e32 v21, 0x7fc0, v21, vcc_lo
	s_delay_alu instid0(VALU_DEP_1) | instskip(NEXT) | instid1(VALU_DEP_1)
	v_lshlrev_b32_e32 v23, 16, v21
	v_max_num_f32_e32 v22, v23, v23
	v_cmp_u_f32_e32 vcc_lo, v23, v23
	s_delay_alu instid0(VALU_DEP_2) | instskip(SKIP_2) | instid1(VALU_DEP_2)
	v_min_num_f32_e32 v24, v22, v37
	v_max_num_f32_e32 v22, v22, v37
	s_wait_alu 0xfffd
	v_cndmask_b32_e32 v24, v24, v23, vcc_lo
	s_delay_alu instid0(VALU_DEP_2) | instskip(NEXT) | instid1(VALU_DEP_2)
	v_cndmask_b32_e32 v22, v22, v23, vcc_lo
	v_cndmask_b32_e64 v24, v24, v32, s11
	s_delay_alu instid0(VALU_DEP_2) | instskip(NEXT) | instid1(VALU_DEP_2)
	v_cndmask_b32_e64 v22, v22, v32, s11
	v_cmp_class_f32_e64 s1, v24, 0x1f8
	s_delay_alu instid0(VALU_DEP_2)
	v_cmp_neq_f32_e32 vcc_lo, v24, v22
	s_or_b32 s4, vcc_lo, s1
	s_wait_alu 0xfffe
	s_and_saveexec_b32 s1, s4
	s_cbranch_execz .LBB508_197
; %bb.196:
	v_sub_f32_e32 v23, v24, v22
	s_mov_b32 s4, 0x3e9b6dac
	s_delay_alu instid0(VALU_DEP_1) | instskip(SKIP_1) | instid1(VALU_DEP_2)
	v_mul_f32_e32 v24, 0x3fb8aa3b, v23
	v_cmp_ngt_f32_e32 vcc_lo, 0xc2ce8ed0, v23
	v_fma_f32 v25, 0x3fb8aa3b, v23, -v24
	v_rndne_f32_e32 v26, v24
	s_delay_alu instid0(VALU_DEP_1) | instskip(NEXT) | instid1(VALU_DEP_1)
	v_dual_fmamk_f32 v25, v23, 0x32a5705f, v25 :: v_dual_sub_f32 v24, v24, v26
	v_add_f32_e32 v24, v24, v25
	v_cvt_i32_f32_e32 v25, v26
	s_delay_alu instid0(VALU_DEP_2) | instskip(NEXT) | instid1(TRANS32_DEP_1)
	v_exp_f32_e32 v24, v24
	v_ldexp_f32 v24, v24, v25
	s_wait_alu 0xfffd
	s_delay_alu instid0(VALU_DEP_1) | instskip(SKIP_2) | instid1(VALU_DEP_2)
	v_cndmask_b32_e32 v24, 0, v24, vcc_lo
	v_cmp_nlt_f32_e32 vcc_lo, 0x42b17218, v23
	s_wait_alu 0xfffd
	v_cndmask_b32_e32 v25, 0x7f800000, v24, vcc_lo
	s_delay_alu instid0(VALU_DEP_1) | instskip(NEXT) | instid1(VALU_DEP_1)
	v_add_f32_e32 v26, 1.0, v25
	v_cvt_f64_f32_e32 v[23:24], v26
	s_delay_alu instid0(VALU_DEP_1) | instskip(SKIP_1) | instid1(VALU_DEP_1)
	v_frexp_exp_i32_f64_e32 v23, v[23:24]
	v_frexp_mant_f32_e32 v24, v26
	v_cmp_gt_f32_e32 vcc_lo, 0x3f2aaaab, v24
	v_add_f32_e32 v24, -1.0, v26
	s_delay_alu instid0(VALU_DEP_1) | instskip(NEXT) | instid1(VALU_DEP_1)
	v_dual_sub_f32 v29, v24, v26 :: v_dual_sub_f32 v24, v25, v24
	v_add_f32_e32 v29, 1.0, v29
	s_delay_alu instid0(VALU_DEP_1) | instskip(SKIP_3) | instid1(VALU_DEP_2)
	v_add_f32_e32 v24, v24, v29
	s_wait_alu 0xfffd
	v_subrev_co_ci_u32_e64 v23, null, 0, v23, vcc_lo
	v_cmp_neq_f32_e32 vcc_lo, 0x7f800000, v25
	v_sub_nc_u32_e32 v28, 0, v23
	v_cvt_f32_i32_e32 v23, v23
	s_delay_alu instid0(VALU_DEP_2) | instskip(SKIP_1) | instid1(VALU_DEP_2)
	v_ldexp_f32 v26, v26, v28
	v_ldexp_f32 v24, v24, v28
	v_add_f32_e32 v30, 1.0, v26
	s_delay_alu instid0(VALU_DEP_1) | instskip(NEXT) | instid1(VALU_DEP_1)
	v_add_f32_e32 v29, -1.0, v30
	v_dual_sub_f32 v29, v26, v29 :: v_dual_add_f32 v28, -1.0, v26
	s_delay_alu instid0(VALU_DEP_1) | instskip(NEXT) | instid1(VALU_DEP_2)
	v_add_f32_e32 v29, v24, v29
	v_add_f32_e32 v31, 1.0, v28
	s_delay_alu instid0(VALU_DEP_1) | instskip(NEXT) | instid1(VALU_DEP_1)
	v_sub_f32_e32 v26, v26, v31
	v_dual_add_f32 v31, v30, v29 :: v_dual_add_f32 v24, v24, v26
	s_delay_alu instid0(VALU_DEP_1) | instskip(SKIP_1) | instid1(VALU_DEP_1)
	v_rcp_f32_e32 v26, v31
	v_sub_f32_e32 v30, v30, v31
	v_dual_add_f32 v32, v28, v24 :: v_dual_add_f32 v29, v29, v30
	s_delay_alu instid0(TRANS32_DEP_1) | instid1(VALU_DEP_1)
	v_mul_f32_e32 v33, v32, v26
	s_delay_alu instid0(VALU_DEP_1) | instskip(NEXT) | instid1(VALU_DEP_1)
	v_mul_f32_e32 v35, v31, v33
	v_fma_f32 v30, v33, v31, -v35
	s_delay_alu instid0(VALU_DEP_1) | instskip(NEXT) | instid1(VALU_DEP_1)
	v_fmac_f32_e32 v30, v33, v29
	v_dual_add_f32 v37, v35, v30 :: v_dual_sub_f32 v28, v28, v32
	s_delay_alu instid0(VALU_DEP_1) | instskip(NEXT) | instid1(VALU_DEP_2)
	v_sub_f32_e32 v41, v32, v37
	v_add_f32_e32 v24, v24, v28
	v_sub_f32_e32 v28, v37, v35
	s_delay_alu instid0(VALU_DEP_3) | instskip(NEXT) | instid1(VALU_DEP_2)
	v_sub_f32_e32 v32, v32, v41
	v_sub_f32_e32 v28, v28, v30
	s_delay_alu instid0(VALU_DEP_2) | instskip(NEXT) | instid1(VALU_DEP_1)
	v_sub_f32_e32 v32, v32, v37
	v_add_f32_e32 v24, v24, v32
	s_delay_alu instid0(VALU_DEP_1) | instskip(NEXT) | instid1(VALU_DEP_1)
	v_add_f32_e32 v24, v28, v24
	v_add_f32_e32 v28, v41, v24
	s_delay_alu instid0(VALU_DEP_1) | instskip(NEXT) | instid1(VALU_DEP_1)
	v_mul_f32_e32 v30, v26, v28
	v_dual_sub_f32 v37, v41, v28 :: v_dual_mul_f32 v32, v31, v30
	s_delay_alu instid0(VALU_DEP_1) | instskip(NEXT) | instid1(VALU_DEP_2)
	v_add_f32_e32 v24, v24, v37
	v_fma_f32 v31, v30, v31, -v32
	s_delay_alu instid0(VALU_DEP_1) | instskip(NEXT) | instid1(VALU_DEP_1)
	v_fmac_f32_e32 v31, v30, v29
	v_add_f32_e32 v29, v32, v31
	s_delay_alu instid0(VALU_DEP_1) | instskip(NEXT) | instid1(VALU_DEP_1)
	v_dual_sub_f32 v35, v28, v29 :: v_dual_sub_f32 v32, v29, v32
	v_sub_f32_e32 v28, v28, v35
	s_delay_alu instid0(VALU_DEP_1) | instskip(NEXT) | instid1(VALU_DEP_3)
	v_sub_f32_e32 v28, v28, v29
	v_sub_f32_e32 v29, v32, v31
	s_delay_alu instid0(VALU_DEP_2) | instskip(SKIP_1) | instid1(VALU_DEP_1)
	v_add_f32_e32 v24, v24, v28
	v_add_f32_e32 v28, v33, v30
	v_dual_add_f32 v24, v29, v24 :: v_dual_sub_f32 v29, v28, v33
	s_delay_alu instid0(VALU_DEP_1) | instskip(NEXT) | instid1(VALU_DEP_1)
	v_dual_add_f32 v24, v35, v24 :: v_dual_sub_f32 v29, v30, v29
	v_mul_f32_e32 v24, v26, v24
	s_delay_alu instid0(VALU_DEP_1) | instskip(NEXT) | instid1(VALU_DEP_1)
	v_add_f32_e32 v24, v29, v24
	v_add_f32_e32 v26, v28, v24
	s_delay_alu instid0(VALU_DEP_1) | instskip(SKIP_1) | instid1(VALU_DEP_1)
	v_mul_f32_e32 v29, v26, v26
	s_wait_alu 0xfffe
	v_fmaak_f32 v30, s4, v29, 0x3ecc95a3
	v_mul_f32_e32 v31, v26, v29
	s_delay_alu instid0(VALU_DEP_2) | instskip(SKIP_1) | instid1(VALU_DEP_2)
	v_fmaak_f32 v29, v29, v30, 0x3f2aaada
	v_ldexp_f32 v30, v26, 1
	v_dual_sub_f32 v26, v26, v28 :: v_dual_mul_f32 v29, v31, v29
	s_delay_alu instid0(VALU_DEP_1) | instskip(NEXT) | instid1(VALU_DEP_2)
	v_dual_mul_f32 v31, 0x3f317218, v23 :: v_dual_sub_f32 v24, v24, v26
	v_add_f32_e32 v28, v30, v29
	s_delay_alu instid0(VALU_DEP_2) | instskip(NEXT) | instid1(VALU_DEP_2)
	v_ldexp_f32 v24, v24, 1
	v_sub_f32_e32 v26, v28, v30
	s_delay_alu instid0(VALU_DEP_4) | instskip(NEXT) | instid1(VALU_DEP_1)
	v_fma_f32 v30, 0x3f317218, v23, -v31
	v_dual_sub_f32 v26, v29, v26 :: v_dual_fmamk_f32 v23, v23, 0xb102e308, v30
	s_delay_alu instid0(VALU_DEP_1) | instskip(NEXT) | instid1(VALU_DEP_1)
	v_add_f32_e32 v24, v24, v26
	v_dual_add_f32 v26, v31, v23 :: v_dual_add_f32 v29, v28, v24
	s_delay_alu instid0(VALU_DEP_1) | instskip(NEXT) | instid1(VALU_DEP_2)
	v_sub_f32_e32 v31, v26, v31
	v_add_f32_e32 v30, v26, v29
	s_delay_alu instid0(VALU_DEP_2) | instskip(NEXT) | instid1(VALU_DEP_2)
	v_dual_sub_f32 v28, v29, v28 :: v_dual_sub_f32 v23, v23, v31
	v_sub_f32_e32 v32, v30, v26
	s_delay_alu instid0(VALU_DEP_2) | instskip(NEXT) | instid1(VALU_DEP_2)
	v_sub_f32_e32 v24, v24, v28
	v_sub_f32_e32 v33, v30, v32
	;; [unrolled: 1-line block ×3, first 2 shown]
	s_delay_alu instid0(VALU_DEP_2) | instskip(NEXT) | instid1(VALU_DEP_1)
	v_dual_add_f32 v29, v23, v24 :: v_dual_sub_f32 v26, v26, v33
	v_add_f32_e32 v26, v28, v26
	s_delay_alu instid0(VALU_DEP_2) | instskip(NEXT) | instid1(VALU_DEP_2)
	v_sub_f32_e32 v28, v29, v23
	v_add_f32_e32 v26, v29, v26
	s_delay_alu instid0(VALU_DEP_2) | instskip(NEXT) | instid1(VALU_DEP_2)
	v_sub_f32_e32 v29, v29, v28
	v_dual_sub_f32 v24, v24, v28 :: v_dual_add_f32 v31, v30, v26
	s_delay_alu instid0(VALU_DEP_2) | instskip(NEXT) | instid1(VALU_DEP_1)
	v_sub_f32_e32 v23, v23, v29
	v_dual_sub_f32 v28, v31, v30 :: v_dual_add_f32 v23, v24, v23
	s_delay_alu instid0(VALU_DEP_1) | instskip(NEXT) | instid1(VALU_DEP_1)
	v_sub_f32_e32 v24, v26, v28
	v_add_f32_e32 v23, v23, v24
	s_delay_alu instid0(VALU_DEP_1) | instskip(SKIP_1) | instid1(VALU_DEP_1)
	v_add_f32_e32 v23, v31, v23
	s_wait_alu 0xfffd
	v_cndmask_b32_e32 v23, 0x7f800000, v23, vcc_lo
	v_cmp_gt_f32_e64 vcc_lo, 0x33800000, |v25|
	s_wait_alu 0xfffd
	s_delay_alu instid0(VALU_DEP_2) | instskip(NEXT) | instid1(VALU_DEP_1)
	v_cndmask_b32_e32 v23, v23, v25, vcc_lo
	v_add_f32_e32 v23, v22, v23
.LBB508_197:
	s_wait_alu 0xfffe
	s_or_b32 exec_lo, exec_lo, s1
	s_delay_alu instid0(VALU_DEP_1) | instskip(SKIP_1) | instid1(VALU_DEP_2)
	v_bfe_u32 v22, v23, 16, 1
	v_cmp_o_f32_e32 vcc_lo, v23, v23
	v_add3_u32 v22, v23, v22, 0x7fff
	s_delay_alu instid0(VALU_DEP_1) | instskip(SKIP_1) | instid1(VALU_DEP_1)
	v_lshrrev_b32_e32 v22, 16, v22
	s_wait_alu 0xfffd
	v_cndmask_b32_e32 v22, 0x7fc0, v22, vcc_lo
	s_delay_alu instid0(VALU_DEP_1) | instskip(NEXT) | instid1(VALU_DEP_1)
	v_lshlrev_b32_e32 v24, 16, v22
	v_max_num_f32_e32 v23, v24, v24
	v_cmp_u_f32_e32 vcc_lo, v24, v24
	s_delay_alu instid0(VALU_DEP_2) | instskip(SKIP_2) | instid1(VALU_DEP_2)
	v_min_num_f32_e32 v25, v23, v38
	v_max_num_f32_e32 v23, v23, v38
	s_wait_alu 0xfffd
	v_cndmask_b32_e32 v25, v25, v24, vcc_lo
	s_delay_alu instid0(VALU_DEP_2) | instskip(NEXT) | instid1(VALU_DEP_2)
	v_cndmask_b32_e32 v23, v23, v24, vcc_lo
	v_cndmask_b32_e64 v25, v25, v34, s12
	s_delay_alu instid0(VALU_DEP_2) | instskip(NEXT) | instid1(VALU_DEP_2)
	v_cndmask_b32_e64 v23, v23, v34, s12
	v_cmp_class_f32_e64 s1, v25, 0x1f8
	s_delay_alu instid0(VALU_DEP_2)
	v_cmp_neq_f32_e32 vcc_lo, v25, v23
	s_or_b32 s4, vcc_lo, s1
	s_wait_alu 0xfffe
	s_and_saveexec_b32 s1, s4
	s_cbranch_execz .LBB508_199
; %bb.198:
	v_sub_f32_e32 v24, v25, v23
	s_mov_b32 s4, 0x3e9b6dac
	s_delay_alu instid0(VALU_DEP_1) | instskip(SKIP_1) | instid1(VALU_DEP_2)
	v_mul_f32_e32 v25, 0x3fb8aa3b, v24
	v_cmp_ngt_f32_e32 vcc_lo, 0xc2ce8ed0, v24
	v_fma_f32 v26, 0x3fb8aa3b, v24, -v25
	v_rndne_f32_e32 v28, v25
	s_delay_alu instid0(VALU_DEP_1) | instskip(NEXT) | instid1(VALU_DEP_1)
	v_dual_fmamk_f32 v26, v24, 0x32a5705f, v26 :: v_dual_sub_f32 v25, v25, v28
	v_add_f32_e32 v25, v25, v26
	v_cvt_i32_f32_e32 v26, v28
	s_delay_alu instid0(VALU_DEP_2) | instskip(NEXT) | instid1(TRANS32_DEP_1)
	v_exp_f32_e32 v25, v25
	v_ldexp_f32 v25, v25, v26
	s_wait_alu 0xfffd
	s_delay_alu instid0(VALU_DEP_1) | instskip(SKIP_2) | instid1(VALU_DEP_2)
	v_cndmask_b32_e32 v25, 0, v25, vcc_lo
	v_cmp_nlt_f32_e32 vcc_lo, 0x42b17218, v24
	s_wait_alu 0xfffd
	v_cndmask_b32_e32 v26, 0x7f800000, v25, vcc_lo
	s_delay_alu instid0(VALU_DEP_1) | instskip(NEXT) | instid1(VALU_DEP_1)
	v_add_f32_e32 v28, 1.0, v26
	v_cvt_f64_f32_e32 v[24:25], v28
	s_delay_alu instid0(VALU_DEP_1) | instskip(SKIP_1) | instid1(VALU_DEP_1)
	v_frexp_exp_i32_f64_e32 v24, v[24:25]
	v_frexp_mant_f32_e32 v25, v28
	v_cmp_gt_f32_e32 vcc_lo, 0x3f2aaaab, v25
	v_add_f32_e32 v25, -1.0, v28
	s_delay_alu instid0(VALU_DEP_1) | instskip(SKIP_3) | instid1(VALU_DEP_2)
	v_dual_sub_f32 v30, v25, v28 :: v_dual_sub_f32 v25, v26, v25
	s_wait_alu 0xfffd
	v_subrev_co_ci_u32_e64 v24, null, 0, v24, vcc_lo
	v_cmp_neq_f32_e32 vcc_lo, 0x7f800000, v26
	v_sub_nc_u32_e32 v29, 0, v24
	v_cvt_f32_i32_e32 v24, v24
	s_delay_alu instid0(VALU_DEP_2) | instskip(NEXT) | instid1(VALU_DEP_1)
	v_ldexp_f32 v28, v28, v29
	v_dual_add_f32 v30, 1.0, v30 :: v_dual_add_f32 v31, 1.0, v28
	s_delay_alu instid0(VALU_DEP_1) | instskip(NEXT) | instid1(VALU_DEP_1)
	v_dual_add_f32 v25, v25, v30 :: v_dual_add_f32 v30, -1.0, v31
	v_ldexp_f32 v25, v25, v29
	s_delay_alu instid0(VALU_DEP_2) | instskip(NEXT) | instid1(VALU_DEP_1)
	v_dual_add_f32 v29, -1.0, v28 :: v_dual_sub_f32 v30, v28, v30
	v_add_f32_e32 v32, 1.0, v29
	s_delay_alu instid0(VALU_DEP_2) | instskip(NEXT) | instid1(VALU_DEP_2)
	v_add_f32_e32 v30, v25, v30
	v_sub_f32_e32 v28, v28, v32
	s_delay_alu instid0(VALU_DEP_1) | instskip(NEXT) | instid1(VALU_DEP_1)
	v_dual_add_f32 v32, v31, v30 :: v_dual_add_f32 v25, v25, v28
	v_rcp_f32_e32 v28, v32
	v_sub_f32_e32 v31, v31, v32
	s_delay_alu instid0(VALU_DEP_1) | instskip(NEXT) | instid1(VALU_DEP_1)
	v_dual_add_f32 v33, v29, v25 :: v_dual_add_f32 v30, v30, v31
	v_sub_f32_e32 v29, v29, v33
	s_delay_alu instid0(TRANS32_DEP_1) | instskip(NEXT) | instid1(VALU_DEP_2)
	v_mul_f32_e32 v34, v33, v28
	v_add_f32_e32 v25, v25, v29
	s_delay_alu instid0(VALU_DEP_2) | instskip(NEXT) | instid1(VALU_DEP_1)
	v_mul_f32_e32 v35, v32, v34
	v_fma_f32 v31, v34, v32, -v35
	s_delay_alu instid0(VALU_DEP_1) | instskip(NEXT) | instid1(VALU_DEP_1)
	v_fmac_f32_e32 v31, v34, v30
	v_add_f32_e32 v37, v35, v31
	s_delay_alu instid0(VALU_DEP_1) | instskip(SKIP_1) | instid1(VALU_DEP_2)
	v_sub_f32_e32 v38, v33, v37
	v_sub_f32_e32 v29, v37, v35
	;; [unrolled: 1-line block ×3, first 2 shown]
	s_delay_alu instid0(VALU_DEP_2) | instskip(NEXT) | instid1(VALU_DEP_2)
	v_sub_f32_e32 v29, v29, v31
	v_sub_f32_e32 v33, v33, v37
	s_delay_alu instid0(VALU_DEP_1) | instskip(NEXT) | instid1(VALU_DEP_1)
	v_add_f32_e32 v25, v25, v33
	v_add_f32_e32 v25, v29, v25
	s_delay_alu instid0(VALU_DEP_1) | instskip(NEXT) | instid1(VALU_DEP_1)
	v_add_f32_e32 v29, v38, v25
	v_mul_f32_e32 v31, v28, v29
	s_delay_alu instid0(VALU_DEP_1) | instskip(NEXT) | instid1(VALU_DEP_1)
	v_mul_f32_e32 v33, v32, v31
	v_fma_f32 v32, v31, v32, -v33
	s_delay_alu instid0(VALU_DEP_1) | instskip(NEXT) | instid1(VALU_DEP_1)
	v_fmac_f32_e32 v32, v31, v30
	v_dual_add_f32 v30, v33, v32 :: v_dual_sub_f32 v37, v38, v29
	s_delay_alu instid0(VALU_DEP_1) | instskip(NEXT) | instid1(VALU_DEP_2)
	v_sub_f32_e32 v35, v29, v30
	v_add_f32_e32 v25, v25, v37
	v_sub_f32_e32 v33, v30, v33
	s_delay_alu instid0(VALU_DEP_3) | instskip(NEXT) | instid1(VALU_DEP_1)
	v_sub_f32_e32 v29, v29, v35
	v_sub_f32_e32 v29, v29, v30
	s_delay_alu instid0(VALU_DEP_3) | instskip(NEXT) | instid1(VALU_DEP_2)
	v_sub_f32_e32 v30, v33, v32
	v_add_f32_e32 v25, v25, v29
	v_add_f32_e32 v29, v34, v31
	s_delay_alu instid0(VALU_DEP_1) | instskip(NEXT) | instid1(VALU_DEP_1)
	v_dual_add_f32 v25, v30, v25 :: v_dual_sub_f32 v30, v29, v34
	v_add_f32_e32 v25, v35, v25
	s_delay_alu instid0(VALU_DEP_1) | instskip(NEXT) | instid1(VALU_DEP_1)
	v_dual_sub_f32 v30, v31, v30 :: v_dual_mul_f32 v25, v28, v25
	v_add_f32_e32 v25, v30, v25
	s_delay_alu instid0(VALU_DEP_1) | instskip(NEXT) | instid1(VALU_DEP_1)
	v_add_f32_e32 v28, v29, v25
	v_mul_f32_e32 v30, v28, v28
	s_wait_alu 0xfffe
	s_delay_alu instid0(VALU_DEP_1) | instskip(SKIP_1) | instid1(VALU_DEP_2)
	v_fmaak_f32 v31, s4, v30, 0x3ecc95a3
	v_mul_f32_e32 v32, v28, v30
	v_fmaak_f32 v30, v30, v31, 0x3f2aaada
	v_ldexp_f32 v31, v28, 1
	v_sub_f32_e32 v28, v28, v29
	s_delay_alu instid0(VALU_DEP_3) | instskip(SKIP_1) | instid1(VALU_DEP_3)
	v_mul_f32_e32 v30, v32, v30
	v_mul_f32_e32 v32, 0x3f317218, v24
	v_sub_f32_e32 v25, v25, v28
	s_delay_alu instid0(VALU_DEP_3) | instskip(NEXT) | instid1(VALU_DEP_2)
	v_add_f32_e32 v29, v31, v30
	v_ldexp_f32 v25, v25, 1
	s_delay_alu instid0(VALU_DEP_2) | instskip(SKIP_1) | instid1(VALU_DEP_2)
	v_sub_f32_e32 v28, v29, v31
	v_fma_f32 v31, 0x3f317218, v24, -v32
	v_sub_f32_e32 v28, v30, v28
	s_delay_alu instid0(VALU_DEP_1) | instskip(NEXT) | instid1(VALU_DEP_1)
	v_dual_fmamk_f32 v24, v24, 0xb102e308, v31 :: v_dual_add_f32 v25, v25, v28
	v_add_f32_e32 v28, v32, v24
	s_delay_alu instid0(VALU_DEP_2) | instskip(NEXT) | instid1(VALU_DEP_2)
	v_add_f32_e32 v30, v29, v25
	v_sub_f32_e32 v32, v28, v32
	s_delay_alu instid0(VALU_DEP_2) | instskip(NEXT) | instid1(VALU_DEP_2)
	v_add_f32_e32 v31, v28, v30
	v_sub_f32_e32 v24, v24, v32
	s_delay_alu instid0(VALU_DEP_2) | instskip(SKIP_1) | instid1(VALU_DEP_2)
	v_sub_f32_e32 v33, v31, v28
	v_sub_f32_e32 v29, v30, v29
	;; [unrolled: 1-line block ×3, first 2 shown]
	s_delay_alu instid0(VALU_DEP_2) | instskip(NEXT) | instid1(VALU_DEP_2)
	v_sub_f32_e32 v25, v25, v29
	v_dual_sub_f32 v29, v30, v33 :: v_dual_sub_f32 v28, v28, v34
	s_delay_alu instid0(VALU_DEP_2) | instskip(NEXT) | instid1(VALU_DEP_2)
	v_add_f32_e32 v30, v24, v25
	v_add_f32_e32 v28, v29, v28
	s_delay_alu instid0(VALU_DEP_2) | instskip(NEXT) | instid1(VALU_DEP_2)
	v_sub_f32_e32 v29, v30, v24
	v_add_f32_e32 v28, v30, v28
	s_delay_alu instid0(VALU_DEP_2) | instskip(NEXT) | instid1(VALU_DEP_1)
	v_sub_f32_e32 v30, v30, v29
	v_dual_sub_f32 v25, v25, v29 :: v_dual_sub_f32 v24, v24, v30
	s_delay_alu instid0(VALU_DEP_1) | instskip(NEXT) | instid1(VALU_DEP_4)
	v_add_f32_e32 v24, v25, v24
	v_add_f32_e32 v32, v31, v28
	s_delay_alu instid0(VALU_DEP_1) | instskip(NEXT) | instid1(VALU_DEP_1)
	v_sub_f32_e32 v29, v32, v31
	v_sub_f32_e32 v25, v28, v29
	s_delay_alu instid0(VALU_DEP_1) | instskip(NEXT) | instid1(VALU_DEP_1)
	v_add_f32_e32 v24, v24, v25
	v_add_f32_e32 v24, v32, v24
	s_wait_alu 0xfffd
	s_delay_alu instid0(VALU_DEP_1) | instskip(SKIP_2) | instid1(VALU_DEP_2)
	v_cndmask_b32_e32 v24, 0x7f800000, v24, vcc_lo
	v_cmp_gt_f32_e64 vcc_lo, 0x33800000, |v26|
	s_wait_alu 0xfffd
	v_cndmask_b32_e32 v24, v24, v26, vcc_lo
	s_delay_alu instid0(VALU_DEP_1)
	v_add_f32_e32 v24, v23, v24
.LBB508_199:
	s_wait_alu 0xfffe
	s_or_b32 exec_lo, exec_lo, s1
	s_delay_alu instid0(VALU_DEP_1) | instskip(SKIP_1) | instid1(VALU_DEP_2)
	v_bfe_u32 v23, v24, 16, 1
	v_cmp_o_f32_e32 vcc_lo, v24, v24
	v_add3_u32 v23, v24, v23, 0x7fff
	s_delay_alu instid0(VALU_DEP_1) | instskip(SKIP_1) | instid1(VALU_DEP_1)
	v_lshrrev_b32_e32 v23, 16, v23
	s_wait_alu 0xfffd
	v_cndmask_b32_e32 v23, 0x7fc0, v23, vcc_lo
	s_delay_alu instid0(VALU_DEP_1) | instskip(NEXT) | instid1(VALU_DEP_1)
	v_lshlrev_b32_e32 v25, 16, v23
	v_max_num_f32_e32 v24, v25, v25
	v_cmp_u_f32_e32 vcc_lo, v25, v25
	s_delay_alu instid0(VALU_DEP_2) | instskip(SKIP_2) | instid1(VALU_DEP_2)
	v_min_num_f32_e32 v26, v24, v39
	v_max_num_f32_e32 v24, v24, v39
	s_wait_alu 0xfffd
	v_cndmask_b32_e32 v26, v26, v25, vcc_lo
	s_delay_alu instid0(VALU_DEP_2) | instskip(NEXT) | instid1(VALU_DEP_2)
	v_cndmask_b32_e32 v24, v24, v25, vcc_lo
	v_cndmask_b32_e64 v26, v26, v36, s13
	s_delay_alu instid0(VALU_DEP_2) | instskip(NEXT) | instid1(VALU_DEP_2)
	v_cndmask_b32_e64 v24, v24, v36, s13
	v_cmp_class_f32_e64 s1, v26, 0x1f8
	s_delay_alu instid0(VALU_DEP_2)
	v_cmp_neq_f32_e32 vcc_lo, v26, v24
	s_or_b32 s4, vcc_lo, s1
	s_wait_alu 0xfffe
	s_and_saveexec_b32 s1, s4
	s_cbranch_execz .LBB508_201
; %bb.200:
	v_sub_f32_e32 v25, v26, v24
	s_mov_b32 s4, 0x3e9b6dac
	s_delay_alu instid0(VALU_DEP_1) | instskip(SKIP_1) | instid1(VALU_DEP_2)
	v_mul_f32_e32 v26, 0x3fb8aa3b, v25
	v_cmp_ngt_f32_e32 vcc_lo, 0xc2ce8ed0, v25
	v_fma_f32 v28, 0x3fb8aa3b, v25, -v26
	v_rndne_f32_e32 v29, v26
	s_delay_alu instid0(VALU_DEP_2) | instskip(NEXT) | instid1(VALU_DEP_2)
	v_fmamk_f32 v28, v25, 0x32a5705f, v28
	v_sub_f32_e32 v26, v26, v29
	s_delay_alu instid0(VALU_DEP_1) | instskip(SKIP_1) | instid1(VALU_DEP_2)
	v_add_f32_e32 v26, v26, v28
	v_cvt_i32_f32_e32 v28, v29
	v_exp_f32_e32 v26, v26
	s_delay_alu instid0(TRANS32_DEP_1) | instskip(SKIP_1) | instid1(VALU_DEP_1)
	v_ldexp_f32 v26, v26, v28
	s_wait_alu 0xfffd
	v_cndmask_b32_e32 v26, 0, v26, vcc_lo
	v_cmp_nlt_f32_e32 vcc_lo, 0x42b17218, v25
	s_wait_alu 0xfffd
	s_delay_alu instid0(VALU_DEP_2) | instskip(NEXT) | instid1(VALU_DEP_1)
	v_cndmask_b32_e32 v28, 0x7f800000, v26, vcc_lo
	v_add_f32_e32 v29, 1.0, v28
	s_delay_alu instid0(VALU_DEP_1) | instskip(NEXT) | instid1(VALU_DEP_1)
	v_cvt_f64_f32_e32 v[25:26], v29
	v_frexp_exp_i32_f64_e32 v25, v[25:26]
	v_frexp_mant_f32_e32 v26, v29
	s_delay_alu instid0(VALU_DEP_1) | instskip(SKIP_1) | instid1(VALU_DEP_1)
	v_cmp_gt_f32_e32 vcc_lo, 0x3f2aaaab, v26
	v_add_f32_e32 v26, -1.0, v29
	v_sub_f32_e32 v31, v26, v29
	s_delay_alu instid0(VALU_DEP_1) | instskip(SKIP_2) | instid1(VALU_DEP_1)
	v_add_f32_e32 v31, 1.0, v31
	s_wait_alu 0xfffd
	v_subrev_co_ci_u32_e64 v25, null, 0, v25, vcc_lo
	v_sub_nc_u32_e32 v30, 0, v25
	v_cvt_f32_i32_e32 v25, v25
	s_delay_alu instid0(VALU_DEP_2) | instskip(SKIP_1) | instid1(VALU_DEP_1)
	v_ldexp_f32 v29, v29, v30
	v_sub_f32_e32 v26, v28, v26
	v_add_f32_e32 v26, v26, v31
	s_delay_alu instid0(VALU_DEP_1) | instskip(NEXT) | instid1(VALU_DEP_4)
	v_ldexp_f32 v26, v26, v30
	v_add_f32_e32 v32, 1.0, v29
	s_delay_alu instid0(VALU_DEP_1) | instskip(SKIP_1) | instid1(VALU_DEP_2)
	v_add_f32_e32 v31, -1.0, v32
	v_cmp_neq_f32_e32 vcc_lo, 0x7f800000, v28
	v_sub_f32_e32 v31, v29, v31
	s_delay_alu instid0(VALU_DEP_1) | instskip(NEXT) | instid1(VALU_DEP_1)
	v_dual_add_f32 v31, v26, v31 :: v_dual_add_f32 v30, -1.0, v29
	v_add_f32_e32 v33, 1.0, v30
	s_delay_alu instid0(VALU_DEP_1) | instskip(NEXT) | instid1(VALU_DEP_1)
	v_sub_f32_e32 v29, v29, v33
	v_dual_add_f32 v33, v32, v31 :: v_dual_add_f32 v26, v26, v29
	s_delay_alu instid0(VALU_DEP_1) | instskip(SKIP_1) | instid1(VALU_DEP_1)
	v_rcp_f32_e32 v29, v33
	v_sub_f32_e32 v32, v32, v33
	v_dual_add_f32 v31, v31, v32 :: v_dual_add_f32 v34, v30, v26
	s_delay_alu instid0(TRANS32_DEP_1) | instid1(VALU_DEP_1)
	v_mul_f32_e32 v35, v34, v29
	v_sub_f32_e32 v30, v30, v34
	s_delay_alu instid0(VALU_DEP_2) | instskip(NEXT) | instid1(VALU_DEP_1)
	v_mul_f32_e32 v36, v33, v35
	v_fma_f32 v32, v35, v33, -v36
	s_delay_alu instid0(VALU_DEP_1) | instskip(NEXT) | instid1(VALU_DEP_1)
	v_fmac_f32_e32 v32, v35, v31
	v_dual_add_f32 v37, v36, v32 :: v_dual_add_f32 v26, v26, v30
	s_delay_alu instid0(VALU_DEP_1) | instskip(SKIP_1) | instid1(VALU_DEP_2)
	v_sub_f32_e32 v38, v34, v37
	v_sub_f32_e32 v30, v37, v36
	;; [unrolled: 1-line block ×3, first 2 shown]
	s_delay_alu instid0(VALU_DEP_2) | instskip(NEXT) | instid1(VALU_DEP_2)
	v_sub_f32_e32 v30, v30, v32
	v_sub_f32_e32 v34, v34, v37
	s_delay_alu instid0(VALU_DEP_1) | instskip(NEXT) | instid1(VALU_DEP_1)
	v_add_f32_e32 v26, v26, v34
	v_add_f32_e32 v26, v30, v26
	s_delay_alu instid0(VALU_DEP_1) | instskip(NEXT) | instid1(VALU_DEP_1)
	v_add_f32_e32 v30, v38, v26
	v_mul_f32_e32 v32, v29, v30
	s_delay_alu instid0(VALU_DEP_1) | instskip(NEXT) | instid1(VALU_DEP_1)
	v_dual_sub_f32 v37, v38, v30 :: v_dual_mul_f32 v34, v33, v32
	v_add_f32_e32 v26, v26, v37
	s_delay_alu instid0(VALU_DEP_2) | instskip(NEXT) | instid1(VALU_DEP_1)
	v_fma_f32 v33, v32, v33, -v34
	v_fmac_f32_e32 v33, v32, v31
	s_delay_alu instid0(VALU_DEP_1) | instskip(NEXT) | instid1(VALU_DEP_1)
	v_add_f32_e32 v31, v34, v33
	v_sub_f32_e32 v36, v30, v31
	v_sub_f32_e32 v34, v31, v34
	s_delay_alu instid0(VALU_DEP_2) | instskip(NEXT) | instid1(VALU_DEP_1)
	v_sub_f32_e32 v30, v30, v36
	v_sub_f32_e32 v30, v30, v31
	s_delay_alu instid0(VALU_DEP_3) | instskip(NEXT) | instid1(VALU_DEP_2)
	v_sub_f32_e32 v31, v34, v33
	v_add_f32_e32 v26, v26, v30
	v_add_f32_e32 v30, v35, v32
	s_delay_alu instid0(VALU_DEP_1) | instskip(NEXT) | instid1(VALU_DEP_1)
	v_dual_add_f32 v26, v31, v26 :: v_dual_sub_f32 v31, v30, v35
	v_add_f32_e32 v26, v36, v26
	s_delay_alu instid0(VALU_DEP_1) | instskip(NEXT) | instid1(VALU_DEP_1)
	v_dual_sub_f32 v31, v32, v31 :: v_dual_mul_f32 v26, v29, v26
	v_add_f32_e32 v26, v31, v26
	s_delay_alu instid0(VALU_DEP_1) | instskip(NEXT) | instid1(VALU_DEP_1)
	v_add_f32_e32 v29, v30, v26
	v_mul_f32_e32 v31, v29, v29
	s_wait_alu 0xfffe
	s_delay_alu instid0(VALU_DEP_1) | instskip(SKIP_1) | instid1(VALU_DEP_2)
	v_fmaak_f32 v32, s4, v31, 0x3ecc95a3
	v_mul_f32_e32 v33, v29, v31
	v_fmaak_f32 v31, v31, v32, 0x3f2aaada
	v_ldexp_f32 v32, v29, 1
	v_sub_f32_e32 v29, v29, v30
	s_delay_alu instid0(VALU_DEP_3) | instskip(SKIP_1) | instid1(VALU_DEP_3)
	v_mul_f32_e32 v31, v33, v31
	v_mul_f32_e32 v33, 0x3f317218, v25
	v_sub_f32_e32 v26, v26, v29
	s_delay_alu instid0(VALU_DEP_3) | instskip(NEXT) | instid1(VALU_DEP_2)
	v_add_f32_e32 v30, v32, v31
	v_ldexp_f32 v26, v26, 1
	s_delay_alu instid0(VALU_DEP_2) | instskip(SKIP_1) | instid1(VALU_DEP_2)
	v_sub_f32_e32 v29, v30, v32
	v_fma_f32 v32, 0x3f317218, v25, -v33
	v_sub_f32_e32 v29, v31, v29
	s_delay_alu instid0(VALU_DEP_1) | instskip(NEXT) | instid1(VALU_DEP_1)
	v_dual_fmamk_f32 v25, v25, 0xb102e308, v32 :: v_dual_add_f32 v26, v26, v29
	v_add_f32_e32 v29, v33, v25
	s_delay_alu instid0(VALU_DEP_2) | instskip(NEXT) | instid1(VALU_DEP_2)
	v_add_f32_e32 v31, v30, v26
	v_sub_f32_e32 v33, v29, v33
	s_delay_alu instid0(VALU_DEP_2) | instskip(NEXT) | instid1(VALU_DEP_2)
	v_add_f32_e32 v32, v29, v31
	v_dual_sub_f32 v30, v31, v30 :: v_dual_sub_f32 v25, v25, v33
	s_delay_alu instid0(VALU_DEP_2) | instskip(NEXT) | instid1(VALU_DEP_2)
	v_sub_f32_e32 v34, v32, v29
	v_sub_f32_e32 v26, v26, v30
	s_delay_alu instid0(VALU_DEP_2) | instskip(SKIP_1) | instid1(VALU_DEP_3)
	v_sub_f32_e32 v35, v32, v34
	v_sub_f32_e32 v30, v31, v34
	v_add_f32_e32 v31, v25, v26
	s_delay_alu instid0(VALU_DEP_3) | instskip(NEXT) | instid1(VALU_DEP_1)
	v_sub_f32_e32 v29, v29, v35
	v_add_f32_e32 v29, v30, v29
	s_delay_alu instid0(VALU_DEP_3) | instskip(NEXT) | instid1(VALU_DEP_2)
	v_sub_f32_e32 v30, v31, v25
	v_add_f32_e32 v29, v31, v29
	s_delay_alu instid0(VALU_DEP_2) | instskip(NEXT) | instid1(VALU_DEP_2)
	v_sub_f32_e32 v31, v31, v30
	v_dual_sub_f32 v26, v26, v30 :: v_dual_add_f32 v33, v32, v29
	s_delay_alu instid0(VALU_DEP_2) | instskip(NEXT) | instid1(VALU_DEP_1)
	v_sub_f32_e32 v25, v25, v31
	v_dual_sub_f32 v30, v33, v32 :: v_dual_add_f32 v25, v26, v25
	s_delay_alu instid0(VALU_DEP_1) | instskip(NEXT) | instid1(VALU_DEP_1)
	v_sub_f32_e32 v26, v29, v30
	v_add_f32_e32 v25, v25, v26
	s_delay_alu instid0(VALU_DEP_1) | instskip(SKIP_1) | instid1(VALU_DEP_1)
	v_add_f32_e32 v25, v33, v25
	s_wait_alu 0xfffd
	v_cndmask_b32_e32 v25, 0x7f800000, v25, vcc_lo
	v_cmp_gt_f32_e64 vcc_lo, 0x33800000, |v28|
	s_wait_alu 0xfffd
	s_delay_alu instid0(VALU_DEP_2) | instskip(NEXT) | instid1(VALU_DEP_1)
	v_cndmask_b32_e32 v25, v25, v28, vcc_lo
	v_add_f32_e32 v25, v24, v25
.LBB508_201:
	s_wait_alu 0xfffe
	s_or_b32 exec_lo, exec_lo, s1
	s_delay_alu instid0(VALU_DEP_1) | instskip(SKIP_1) | instid1(VALU_DEP_2)
	v_bfe_u32 v24, v25, 16, 1
	v_cmp_o_f32_e32 vcc_lo, v25, v25
	v_add3_u32 v24, v25, v24, 0x7fff
	s_delay_alu instid0(VALU_DEP_1) | instskip(SKIP_1) | instid1(VALU_DEP_1)
	v_lshrrev_b32_e32 v24, 16, v24
	s_wait_alu 0xfffd
	v_cndmask_b32_e32 v24, 0x7fc0, v24, vcc_lo
	s_branch .LBB508_309
.LBB508_202:
	s_cmp_lg_u64 s[24:25], 0
	v_mov_b32_e32 v3, v1
	s_cselect_b32 s1, -1, 0
	s_wait_alu 0xfffe
	s_and_b32 s4, s3, s1
	s_wait_alu 0xfffe
	s_and_saveexec_b32 s1, s4
	s_cbranch_execz .LBB508_206
; %bb.203:
	v_dual_mov_b32 v2, 0 :: v_dual_lshlrev_b32 v1, 16, v1
	global_load_u16 v2, v2, s[20:21]
	s_wait_loadcnt 0x0
	v_dual_max_num_f32 v3, v1, v1 :: v_dual_lshlrev_b32 v2, 16, v2
	s_delay_alu instid0(VALU_DEP_1) | instskip(SKIP_1) | instid1(VALU_DEP_2)
	v_max_num_f32_e32 v4, v2, v2
	v_cmp_u_f32_e32 vcc_lo, v2, v2
	v_min_num_f32_e32 v5, v4, v3
	s_delay_alu instid0(VALU_DEP_1) | instskip(NEXT) | instid1(VALU_DEP_1)
	v_dual_max_num_f32 v3, v4, v3 :: v_dual_cndmask_b32 v4, v5, v2
	v_cndmask_b32_e32 v5, v3, v2, vcc_lo
	v_cmp_u_f32_e32 vcc_lo, v1, v1
	s_wait_alu 0xfffd
	s_delay_alu instid0(VALU_DEP_3) | instskip(NEXT) | instid1(VALU_DEP_3)
	v_cndmask_b32_e32 v3, v4, v1, vcc_lo
	v_cndmask_b32_e32 v1, v5, v1, vcc_lo
	s_delay_alu instid0(VALU_DEP_2) | instskip(NEXT) | instid1(VALU_DEP_2)
	v_cmp_class_f32_e64 s4, v3, 0x1f8
	v_cmp_neq_f32_e32 vcc_lo, v3, v1
	s_or_b32 s5, vcc_lo, s4
	s_wait_alu 0xfffe
	s_and_saveexec_b32 s4, s5
	s_cbranch_execz .LBB508_205
; %bb.204:
	v_sub_f32_e32 v2, v3, v1
	s_mov_b32 s5, 0x3e9b6dac
	s_delay_alu instid0(VALU_DEP_1) | instskip(SKIP_1) | instid1(VALU_DEP_2)
	v_mul_f32_e32 v3, 0x3fb8aa3b, v2
	v_cmp_ngt_f32_e32 vcc_lo, 0xc2ce8ed0, v2
	v_fma_f32 v4, 0x3fb8aa3b, v2, -v3
	v_rndne_f32_e32 v5, v3
	s_delay_alu instid0(VALU_DEP_1) | instskip(NEXT) | instid1(VALU_DEP_1)
	v_dual_fmamk_f32 v4, v2, 0x32a5705f, v4 :: v_dual_sub_f32 v3, v3, v5
	v_add_f32_e32 v3, v3, v4
	v_cvt_i32_f32_e32 v4, v5
	s_delay_alu instid0(VALU_DEP_2) | instskip(NEXT) | instid1(TRANS32_DEP_1)
	v_exp_f32_e32 v3, v3
	v_ldexp_f32 v3, v3, v4
	s_wait_alu 0xfffd
	s_delay_alu instid0(VALU_DEP_1) | instskip(SKIP_2) | instid1(VALU_DEP_2)
	v_cndmask_b32_e32 v3, 0, v3, vcc_lo
	v_cmp_nlt_f32_e32 vcc_lo, 0x42b17218, v2
	s_wait_alu 0xfffd
	v_cndmask_b32_e32 v4, 0x7f800000, v3, vcc_lo
	s_delay_alu instid0(VALU_DEP_1) | instskip(NEXT) | instid1(VALU_DEP_1)
	v_add_f32_e32 v5, 1.0, v4
	v_cvt_f64_f32_e32 v[2:3], v5
	s_delay_alu instid0(VALU_DEP_1) | instskip(SKIP_1) | instid1(VALU_DEP_1)
	v_frexp_exp_i32_f64_e32 v2, v[2:3]
	v_frexp_mant_f32_e32 v3, v5
	v_cmp_gt_f32_e32 vcc_lo, 0x3f2aaaab, v3
	v_add_f32_e32 v3, -1.0, v5
	s_delay_alu instid0(VALU_DEP_1) | instskip(NEXT) | instid1(VALU_DEP_1)
	v_dual_sub_f32 v20, v3, v5 :: v_dual_sub_f32 v3, v4, v3
	v_add_f32_e32 v20, 1.0, v20
	s_delay_alu instid0(VALU_DEP_1) | instskip(SKIP_3) | instid1(VALU_DEP_2)
	v_add_f32_e32 v3, v3, v20
	s_wait_alu 0xfffd
	v_subrev_co_ci_u32_e64 v2, null, 0, v2, vcc_lo
	v_cmp_neq_f32_e32 vcc_lo, 0x7f800000, v4
	v_sub_nc_u32_e32 v19, 0, v2
	v_cvt_f32_i32_e32 v2, v2
	s_delay_alu instid0(VALU_DEP_2) | instskip(SKIP_1) | instid1(VALU_DEP_2)
	v_ldexp_f32 v5, v5, v19
	v_ldexp_f32 v3, v3, v19
	v_add_f32_e32 v21, 1.0, v5
	s_delay_alu instid0(VALU_DEP_1) | instskip(NEXT) | instid1(VALU_DEP_1)
	v_add_f32_e32 v20, -1.0, v21
	v_dual_sub_f32 v20, v5, v20 :: v_dual_add_f32 v19, -1.0, v5
	s_delay_alu instid0(VALU_DEP_1) | instskip(NEXT) | instid1(VALU_DEP_2)
	v_add_f32_e32 v20, v3, v20
	v_add_f32_e32 v22, 1.0, v19
	s_delay_alu instid0(VALU_DEP_1) | instskip(NEXT) | instid1(VALU_DEP_1)
	v_sub_f32_e32 v5, v5, v22
	v_dual_add_f32 v22, v21, v20 :: v_dual_add_f32 v3, v3, v5
	s_delay_alu instid0(VALU_DEP_1) | instskip(SKIP_1) | instid1(VALU_DEP_1)
	v_rcp_f32_e32 v5, v22
	v_sub_f32_e32 v21, v21, v22
	v_dual_add_f32 v23, v19, v3 :: v_dual_add_f32 v20, v20, v21
	s_delay_alu instid0(TRANS32_DEP_1) | instid1(VALU_DEP_1)
	v_mul_f32_e32 v24, v23, v5
	s_delay_alu instid0(VALU_DEP_1) | instskip(NEXT) | instid1(VALU_DEP_1)
	v_mul_f32_e32 v25, v22, v24
	v_fma_f32 v21, v24, v22, -v25
	s_delay_alu instid0(VALU_DEP_1) | instskip(NEXT) | instid1(VALU_DEP_1)
	v_fmac_f32_e32 v21, v24, v20
	v_dual_add_f32 v26, v25, v21 :: v_dual_sub_f32 v19, v19, v23
	s_delay_alu instid0(VALU_DEP_1) | instskip(NEXT) | instid1(VALU_DEP_2)
	v_sub_f32_e32 v27, v23, v26
	v_add_f32_e32 v3, v3, v19
	v_sub_f32_e32 v19, v26, v25
	s_delay_alu instid0(VALU_DEP_3) | instskip(NEXT) | instid1(VALU_DEP_2)
	v_sub_f32_e32 v23, v23, v27
	v_sub_f32_e32 v19, v19, v21
	s_delay_alu instid0(VALU_DEP_2) | instskip(NEXT) | instid1(VALU_DEP_1)
	v_sub_f32_e32 v23, v23, v26
	v_add_f32_e32 v3, v3, v23
	s_delay_alu instid0(VALU_DEP_1) | instskip(NEXT) | instid1(VALU_DEP_1)
	v_add_f32_e32 v3, v19, v3
	v_add_f32_e32 v19, v27, v3
	s_delay_alu instid0(VALU_DEP_1) | instskip(NEXT) | instid1(VALU_DEP_1)
	v_mul_f32_e32 v21, v5, v19
	v_mul_f32_e32 v23, v22, v21
	s_delay_alu instid0(VALU_DEP_1) | instskip(NEXT) | instid1(VALU_DEP_1)
	v_fma_f32 v22, v21, v22, -v23
	v_fmac_f32_e32 v22, v21, v20
	v_sub_f32_e32 v26, v27, v19
	s_delay_alu instid0(VALU_DEP_2) | instskip(NEXT) | instid1(VALU_DEP_2)
	v_add_f32_e32 v20, v23, v22
	v_add_f32_e32 v3, v3, v26
	s_delay_alu instid0(VALU_DEP_2) | instskip(SKIP_1) | instid1(VALU_DEP_2)
	v_sub_f32_e32 v25, v19, v20
	v_sub_f32_e32 v23, v20, v23
	;; [unrolled: 1-line block ×3, first 2 shown]
	s_delay_alu instid0(VALU_DEP_1) | instskip(NEXT) | instid1(VALU_DEP_3)
	v_sub_f32_e32 v19, v19, v20
	v_sub_f32_e32 v20, v23, v22
	s_delay_alu instid0(VALU_DEP_2) | instskip(SKIP_1) | instid1(VALU_DEP_1)
	v_add_f32_e32 v3, v3, v19
	v_add_f32_e32 v19, v24, v21
	v_dual_add_f32 v3, v20, v3 :: v_dual_sub_f32 v20, v19, v24
	s_delay_alu instid0(VALU_DEP_1) | instskip(NEXT) | instid1(VALU_DEP_2)
	v_add_f32_e32 v3, v25, v3
	v_sub_f32_e32 v20, v21, v20
	s_delay_alu instid0(VALU_DEP_2) | instskip(NEXT) | instid1(VALU_DEP_1)
	v_mul_f32_e32 v3, v5, v3
	v_add_f32_e32 v3, v20, v3
	s_delay_alu instid0(VALU_DEP_1) | instskip(NEXT) | instid1(VALU_DEP_1)
	v_add_f32_e32 v5, v19, v3
	v_mul_f32_e32 v20, v5, v5
	s_wait_alu 0xfffe
	s_delay_alu instid0(VALU_DEP_1) | instskip(SKIP_1) | instid1(VALU_DEP_2)
	v_fmaak_f32 v21, s5, v20, 0x3ecc95a3
	v_mul_f32_e32 v22, v5, v20
	v_fmaak_f32 v20, v20, v21, 0x3f2aaada
	v_ldexp_f32 v21, v5, 1
	s_delay_alu instid0(VALU_DEP_2) | instskip(NEXT) | instid1(VALU_DEP_1)
	v_dual_sub_f32 v5, v5, v19 :: v_dual_mul_f32 v20, v22, v20
	v_dual_mul_f32 v22, 0x3f317218, v2 :: v_dual_sub_f32 v3, v3, v5
	s_delay_alu instid0(VALU_DEP_2) | instskip(NEXT) | instid1(VALU_DEP_2)
	v_add_f32_e32 v19, v21, v20
	v_ldexp_f32 v3, v3, 1
	s_delay_alu instid0(VALU_DEP_2) | instskip(NEXT) | instid1(VALU_DEP_4)
	v_sub_f32_e32 v5, v19, v21
	v_fma_f32 v21, 0x3f317218, v2, -v22
	s_delay_alu instid0(VALU_DEP_1) | instskip(NEXT) | instid1(VALU_DEP_1)
	v_dual_sub_f32 v5, v20, v5 :: v_dual_fmamk_f32 v2, v2, 0xb102e308, v21
	v_add_f32_e32 v3, v3, v5
	s_delay_alu instid0(VALU_DEP_1) | instskip(NEXT) | instid1(VALU_DEP_1)
	v_dual_add_f32 v5, v22, v2 :: v_dual_add_f32 v20, v19, v3
	v_sub_f32_e32 v22, v5, v22
	s_delay_alu instid0(VALU_DEP_2) | instskip(NEXT) | instid1(VALU_DEP_2)
	v_add_f32_e32 v21, v5, v20
	v_dual_sub_f32 v19, v20, v19 :: v_dual_sub_f32 v2, v2, v22
	s_delay_alu instid0(VALU_DEP_2) | instskip(NEXT) | instid1(VALU_DEP_2)
	v_sub_f32_e32 v23, v21, v5
	v_sub_f32_e32 v3, v3, v19
	s_delay_alu instid0(VALU_DEP_2) | instskip(SKIP_1) | instid1(VALU_DEP_2)
	v_sub_f32_e32 v24, v21, v23
	v_sub_f32_e32 v19, v20, v23
	v_dual_add_f32 v20, v2, v3 :: v_dual_sub_f32 v5, v5, v24
	s_delay_alu instid0(VALU_DEP_1) | instskip(NEXT) | instid1(VALU_DEP_2)
	v_add_f32_e32 v5, v19, v5
	v_sub_f32_e32 v19, v20, v2
	s_delay_alu instid0(VALU_DEP_2) | instskip(NEXT) | instid1(VALU_DEP_2)
	v_add_f32_e32 v5, v20, v5
	v_sub_f32_e32 v20, v20, v19
	s_delay_alu instid0(VALU_DEP_2) | instskip(NEXT) | instid1(VALU_DEP_2)
	v_dual_sub_f32 v3, v3, v19 :: v_dual_add_f32 v22, v21, v5
	v_sub_f32_e32 v2, v2, v20
	s_delay_alu instid0(VALU_DEP_1) | instskip(NEXT) | instid1(VALU_DEP_1)
	v_dual_sub_f32 v19, v22, v21 :: v_dual_add_f32 v2, v3, v2
	v_sub_f32_e32 v3, v5, v19
	s_delay_alu instid0(VALU_DEP_1) | instskip(NEXT) | instid1(VALU_DEP_1)
	v_add_f32_e32 v2, v2, v3
	v_add_f32_e32 v2, v22, v2
	s_wait_alu 0xfffd
	s_delay_alu instid0(VALU_DEP_1) | instskip(SKIP_2) | instid1(VALU_DEP_2)
	v_cndmask_b32_e32 v2, 0x7f800000, v2, vcc_lo
	v_cmp_gt_f32_e64 vcc_lo, 0x33800000, |v4|
	s_wait_alu 0xfffd
	v_cndmask_b32_e32 v2, v2, v4, vcc_lo
	s_delay_alu instid0(VALU_DEP_1)
	v_add_f32_e32 v2, v1, v2
.LBB508_205:
	s_wait_alu 0xfffe
	s_or_b32 exec_lo, exec_lo, s4
	s_delay_alu instid0(VALU_DEP_1) | instskip(SKIP_1) | instid1(VALU_DEP_2)
	v_bfe_u32 v1, v2, 16, 1
	v_cmp_o_f32_e32 vcc_lo, v2, v2
	v_add3_u32 v1, v2, v1, 0x7fff
	s_delay_alu instid0(VALU_DEP_1) | instskip(SKIP_1) | instid1(VALU_DEP_1)
	v_lshrrev_b32_e32 v1, 16, v1
	s_wait_alu 0xfffd
	v_cndmask_b32_e32 v3, 0x7fc0, v1, vcc_lo
.LBB508_206:
	s_wait_alu 0xfffe
	s_or_b32 exec_lo, exec_lo, s1
	s_delay_alu instid0(VALU_DEP_1) | instskip(SKIP_1) | instid1(VALU_DEP_2)
	v_dual_max_num_f32 v19, v6, v6 :: v_dual_lshlrev_b32 v26, 16, v3
	v_cmp_u_f32_e32 vcc_lo, v6, v6
	v_max_num_f32_e32 v29, v26, v26
	v_cmp_u_f32_e64 s13, v26, v26
	s_delay_alu instid0(VALU_DEP_2) | instskip(SKIP_1) | instid1(VALU_DEP_2)
	v_min_num_f32_e32 v27, v29, v19
	v_max_num_f32_e32 v28, v29, v19
	v_cndmask_b32_e64 v1, v27, v26, s13
	s_delay_alu instid0(VALU_DEP_2) | instskip(SKIP_1) | instid1(VALU_DEP_2)
	v_cndmask_b32_e64 v2, v28, v26, s13
	s_wait_alu 0xfffd
	v_cndmask_b32_e32 v4, v1, v6, vcc_lo
	s_delay_alu instid0(VALU_DEP_2) | instskip(SKIP_1) | instid1(VALU_DEP_3)
	v_cndmask_b32_e32 v1, v2, v6, vcc_lo
	v_mov_b32_e32 v2, v26
	v_cmp_class_f32_e64 s4, v4, 0x1f8
	s_delay_alu instid0(VALU_DEP_3)
	v_cmp_neq_f32_e64 s1, v4, v1
	s_or_b32 s1, s1, s4
	s_wait_alu 0xfffe
	s_and_saveexec_b32 s4, s1
	s_cbranch_execz .LBB508_208
; %bb.207:
	v_sub_f32_e32 v2, v4, v1
	s_delay_alu instid0(VALU_DEP_1) | instskip(SKIP_1) | instid1(VALU_DEP_2)
	v_mul_f32_e32 v4, 0x3fb8aa3b, v2
	v_cmp_ngt_f32_e64 s1, 0xc2ce8ed0, v2
	v_fma_f32 v5, 0x3fb8aa3b, v2, -v4
	v_rndne_f32_e32 v20, v4
	s_delay_alu instid0(VALU_DEP_1) | instskip(NEXT) | instid1(VALU_DEP_1)
	v_dual_fmamk_f32 v5, v2, 0x32a5705f, v5 :: v_dual_sub_f32 v4, v4, v20
	v_add_f32_e32 v4, v4, v5
	v_cvt_i32_f32_e32 v5, v20
	s_delay_alu instid0(VALU_DEP_2) | instskip(NEXT) | instid1(TRANS32_DEP_1)
	v_exp_f32_e32 v4, v4
	v_ldexp_f32 v4, v4, v5
	s_wait_alu 0xf1ff
	s_delay_alu instid0(VALU_DEP_1) | instskip(SKIP_2) | instid1(VALU_DEP_1)
	v_cndmask_b32_e64 v4, 0, v4, s1
	v_cmp_nlt_f32_e64 s1, 0x42b17218, v2
	s_wait_alu 0xf1ff
	v_cndmask_b32_e64 v2, 0x7f800000, v4, s1
	s_delay_alu instid0(VALU_DEP_1) | instskip(NEXT) | instid1(VALU_DEP_1)
	v_add_f32_e32 v20, 1.0, v2
	v_cvt_f64_f32_e32 v[4:5], v20
	s_delay_alu instid0(VALU_DEP_1) | instskip(SKIP_1) | instid1(VALU_DEP_1)
	v_frexp_exp_i32_f64_e32 v4, v[4:5]
	v_frexp_mant_f32_e32 v5, v20
	v_cmp_gt_f32_e64 s1, 0x3f2aaaab, v5
	v_add_f32_e32 v5, -1.0, v20
	s_delay_alu instid0(VALU_DEP_1) | instskip(SKIP_1) | instid1(VALU_DEP_3)
	v_dual_sub_f32 v22, v5, v20 :: v_dual_sub_f32 v5, v2, v5
	s_wait_alu 0xf1ff
	v_subrev_co_ci_u32_e64 v4, null, 0, v4, s1
	s_mov_b32 s1, 0x3e9b6dac
	v_sub_nc_u32_e32 v21, 0, v4
	v_cvt_f32_i32_e32 v4, v4
	s_delay_alu instid0(VALU_DEP_2) | instskip(NEXT) | instid1(VALU_DEP_1)
	v_ldexp_f32 v20, v20, v21
	v_dual_add_f32 v22, 1.0, v22 :: v_dual_add_f32 v23, 1.0, v20
	s_delay_alu instid0(VALU_DEP_1) | instskip(NEXT) | instid1(VALU_DEP_1)
	v_dual_add_f32 v5, v5, v22 :: v_dual_add_f32 v22, -1.0, v23
	v_ldexp_f32 v5, v5, v21
	s_delay_alu instid0(VALU_DEP_2) | instskip(NEXT) | instid1(VALU_DEP_1)
	v_dual_add_f32 v21, -1.0, v20 :: v_dual_sub_f32 v22, v20, v22
	v_add_f32_e32 v24, 1.0, v21
	s_delay_alu instid0(VALU_DEP_2) | instskip(NEXT) | instid1(VALU_DEP_2)
	v_add_f32_e32 v22, v5, v22
	v_sub_f32_e32 v20, v20, v24
	s_delay_alu instid0(VALU_DEP_1) | instskip(NEXT) | instid1(VALU_DEP_1)
	v_add_f32_e32 v5, v5, v20
	v_dual_add_f32 v25, v21, v5 :: v_dual_add_f32 v24, v23, v22
	s_delay_alu instid0(VALU_DEP_1) | instskip(NEXT) | instid1(VALU_DEP_2)
	v_sub_f32_e32 v21, v21, v25
	v_rcp_f32_e32 v20, v24
	v_sub_f32_e32 v23, v23, v24
	s_delay_alu instid0(VALU_DEP_1) | instskip(NEXT) | instid1(TRANS32_DEP_1)
	v_dual_add_f32 v5, v5, v21 :: v_dual_add_f32 v22, v22, v23
	v_mul_f32_e32 v30, v25, v20
	s_delay_alu instid0(VALU_DEP_1) | instskip(NEXT) | instid1(VALU_DEP_1)
	v_mul_f32_e32 v31, v24, v30
	v_fma_f32 v23, v30, v24, -v31
	s_delay_alu instid0(VALU_DEP_1) | instskip(NEXT) | instid1(VALU_DEP_1)
	v_fmac_f32_e32 v23, v30, v22
	v_add_f32_e32 v32, v31, v23
	s_delay_alu instid0(VALU_DEP_1) | instskip(SKIP_1) | instid1(VALU_DEP_2)
	v_sub_f32_e32 v33, v25, v32
	v_sub_f32_e32 v21, v32, v31
	;; [unrolled: 1-line block ×3, first 2 shown]
	s_delay_alu instid0(VALU_DEP_2) | instskip(NEXT) | instid1(VALU_DEP_2)
	v_sub_f32_e32 v21, v21, v23
	v_sub_f32_e32 v25, v25, v32
	s_delay_alu instid0(VALU_DEP_1) | instskip(NEXT) | instid1(VALU_DEP_1)
	v_add_f32_e32 v5, v5, v25
	v_add_f32_e32 v5, v21, v5
	s_delay_alu instid0(VALU_DEP_1) | instskip(NEXT) | instid1(VALU_DEP_1)
	v_add_f32_e32 v21, v33, v5
	v_mul_f32_e32 v23, v20, v21
	s_delay_alu instid0(VALU_DEP_1) | instskip(NEXT) | instid1(VALU_DEP_1)
	v_dual_sub_f32 v32, v33, v21 :: v_dual_mul_f32 v25, v24, v23
	v_add_f32_e32 v5, v5, v32
	s_delay_alu instid0(VALU_DEP_2) | instskip(NEXT) | instid1(VALU_DEP_1)
	v_fma_f32 v24, v23, v24, -v25
	v_fmac_f32_e32 v24, v23, v22
	s_delay_alu instid0(VALU_DEP_1) | instskip(NEXT) | instid1(VALU_DEP_1)
	v_add_f32_e32 v22, v25, v24
	v_sub_f32_e32 v31, v21, v22
	s_delay_alu instid0(VALU_DEP_1) | instskip(NEXT) | instid1(VALU_DEP_1)
	v_sub_f32_e32 v21, v21, v31
	v_sub_f32_e32 v21, v21, v22
	s_delay_alu instid0(VALU_DEP_1) | instskip(SKIP_2) | instid1(VALU_DEP_1)
	v_add_f32_e32 v5, v5, v21
	v_add_f32_e32 v21, v30, v23
	v_sub_f32_e32 v25, v22, v25
	v_sub_f32_e32 v22, v25, v24
	s_delay_alu instid0(VALU_DEP_1) | instskip(NEXT) | instid1(VALU_DEP_1)
	v_dual_add_f32 v5, v22, v5 :: v_dual_sub_f32 v22, v21, v30
	v_add_f32_e32 v5, v31, v5
	s_delay_alu instid0(VALU_DEP_1) | instskip(NEXT) | instid1(VALU_DEP_1)
	v_dual_sub_f32 v22, v23, v22 :: v_dual_mul_f32 v5, v20, v5
	v_add_f32_e32 v5, v22, v5
	s_delay_alu instid0(VALU_DEP_1) | instskip(NEXT) | instid1(VALU_DEP_1)
	v_add_f32_e32 v20, v21, v5
	v_mul_f32_e32 v22, v20, v20
	s_wait_alu 0xfffe
	s_delay_alu instid0(VALU_DEP_1) | instskip(SKIP_2) | instid1(VALU_DEP_3)
	v_fmaak_f32 v23, s1, v22, 0x3ecc95a3
	v_mul_f32_e32 v24, v20, v22
	v_cmp_neq_f32_e64 s1, 0x7f800000, v2
	v_fmaak_f32 v22, v22, v23, 0x3f2aaada
	v_ldexp_f32 v23, v20, 1
	v_sub_f32_e32 v20, v20, v21
	s_delay_alu instid0(VALU_DEP_3) | instskip(SKIP_1) | instid1(VALU_DEP_3)
	v_mul_f32_e32 v22, v24, v22
	v_mul_f32_e32 v24, 0x3f317218, v4
	v_sub_f32_e32 v5, v5, v20
	s_delay_alu instid0(VALU_DEP_3) | instskip(NEXT) | instid1(VALU_DEP_2)
	v_add_f32_e32 v21, v23, v22
	v_ldexp_f32 v5, v5, 1
	s_delay_alu instid0(VALU_DEP_2) | instskip(SKIP_1) | instid1(VALU_DEP_2)
	v_sub_f32_e32 v20, v21, v23
	v_fma_f32 v23, 0x3f317218, v4, -v24
	v_sub_f32_e32 v20, v22, v20
	s_delay_alu instid0(VALU_DEP_1) | instskip(NEXT) | instid1(VALU_DEP_1)
	v_dual_fmamk_f32 v4, v4, 0xb102e308, v23 :: v_dual_add_f32 v5, v5, v20
	v_add_f32_e32 v20, v24, v4
	s_delay_alu instid0(VALU_DEP_1) | instskip(NEXT) | instid1(VALU_DEP_1)
	v_sub_f32_e32 v24, v20, v24
	v_sub_f32_e32 v4, v4, v24
	s_delay_alu instid0(VALU_DEP_4) | instskip(NEXT) | instid1(VALU_DEP_1)
	v_add_f32_e32 v22, v21, v5
	v_add_f32_e32 v23, v20, v22
	s_delay_alu instid0(VALU_DEP_1) | instskip(SKIP_1) | instid1(VALU_DEP_2)
	v_sub_f32_e32 v25, v23, v20
	v_sub_f32_e32 v21, v22, v21
	;; [unrolled: 1-line block ×3, first 2 shown]
	s_delay_alu instid0(VALU_DEP_1) | instskip(SKIP_1) | instid1(VALU_DEP_2)
	v_dual_sub_f32 v20, v20, v30 :: v_dual_sub_f32 v5, v5, v21
	v_sub_f32_e32 v21, v22, v25
	v_add_f32_e32 v22, v4, v5
	s_delay_alu instid0(VALU_DEP_2) | instskip(NEXT) | instid1(VALU_DEP_2)
	v_add_f32_e32 v20, v21, v20
	v_sub_f32_e32 v21, v22, v4
	s_delay_alu instid0(VALU_DEP_2) | instskip(NEXT) | instid1(VALU_DEP_1)
	v_add_f32_e32 v20, v22, v20
	v_add_f32_e32 v24, v23, v20
	s_delay_alu instid0(VALU_DEP_3) | instskip(NEXT) | instid1(VALU_DEP_1)
	v_sub_f32_e32 v22, v22, v21
	v_dual_sub_f32 v4, v4, v22 :: v_dual_sub_f32 v5, v5, v21
	s_delay_alu instid0(VALU_DEP_1) | instskip(NEXT) | instid1(VALU_DEP_1)
	v_dual_sub_f32 v21, v24, v23 :: v_dual_add_f32 v4, v5, v4
	v_sub_f32_e32 v5, v20, v21
	s_delay_alu instid0(VALU_DEP_1) | instskip(NEXT) | instid1(VALU_DEP_1)
	v_add_f32_e32 v4, v4, v5
	v_add_f32_e32 v4, v24, v4
	s_wait_alu 0xf1ff
	s_delay_alu instid0(VALU_DEP_1) | instskip(SKIP_2) | instid1(VALU_DEP_1)
	v_cndmask_b32_e64 v4, 0x7f800000, v4, s1
	v_cmp_gt_f32_e64 s1, 0x33800000, |v2|
	s_wait_alu 0xf1ff
	v_cndmask_b32_e64 v2, v4, v2, s1
	s_delay_alu instid0(VALU_DEP_1)
	v_add_f32_e32 v2, v1, v2
.LBB508_208:
	s_wait_alu 0xfffe
	s_or_b32 exec_lo, exec_lo, s4
	s_delay_alu instid0(VALU_DEP_1) | instskip(SKIP_1) | instid1(VALU_DEP_2)
	v_bfe_u32 v1, v2, 16, 1
	v_cmp_o_f32_e64 s1, v2, v2
	v_add3_u32 v1, v2, v1, 0x7fff
	s_delay_alu instid0(VALU_DEP_1) | instskip(SKIP_1) | instid1(VALU_DEP_1)
	v_and_b32_e32 v4, 0xffff0000, v1
	s_wait_alu 0xf1ff
	v_cndmask_b32_e64 v4, 0x7fc00000, v4, s1
	s_delay_alu instid0(VALU_DEP_1) | instskip(NEXT) | instid1(VALU_DEP_1)
	v_dual_max_num_f32 v2, v4, v4 :: v_dual_lshlrev_b32 v1, 16, v18
	v_max_num_f32_e32 v5, v1, v1
	v_cmp_u_f32_e64 s1, v4, v4
	s_delay_alu instid0(VALU_DEP_2) | instskip(SKIP_2) | instid1(VALU_DEP_2)
	v_min_num_f32_e32 v18, v2, v5
	v_max_num_f32_e32 v2, v2, v5
	s_wait_alu 0xf1ff
	v_cndmask_b32_e64 v18, v18, v4, s1
	s_delay_alu instid0(VALU_DEP_2) | instskip(SKIP_2) | instid1(VALU_DEP_1)
	v_cndmask_b32_e64 v2, v2, v4, s1
	v_cmp_u_f32_e64 s1, v1, v1
	s_wait_alu 0xf1ff
	v_cndmask_b32_e64 v18, v18, v1, s1
	s_delay_alu instid0(VALU_DEP_3) | instskip(NEXT) | instid1(VALU_DEP_2)
	v_cndmask_b32_e64 v2, v2, v1, s1
	v_cmp_class_f32_e64 s5, v18, 0x1f8
	s_delay_alu instid0(VALU_DEP_2)
	v_cmp_neq_f32_e64 s4, v18, v2
	s_or_b32 s4, s4, s5
	s_wait_alu 0xfffe
	s_and_saveexec_b32 s5, s4
	s_cbranch_execz .LBB508_210
; %bb.209:
	v_sub_f32_e32 v4, v18, v2
	s_delay_alu instid0(VALU_DEP_1) | instskip(SKIP_1) | instid1(VALU_DEP_2)
	v_mul_f32_e32 v18, 0x3fb8aa3b, v4
	v_cmp_ngt_f32_e64 s4, 0xc2ce8ed0, v4
	v_fma_f32 v20, 0x3fb8aa3b, v4, -v18
	v_rndne_f32_e32 v21, v18
	s_delay_alu instid0(VALU_DEP_2) | instskip(NEXT) | instid1(VALU_DEP_2)
	v_fmamk_f32 v20, v4, 0x32a5705f, v20
	v_sub_f32_e32 v18, v18, v21
	s_delay_alu instid0(VALU_DEP_1) | instskip(SKIP_1) | instid1(VALU_DEP_2)
	v_add_f32_e32 v18, v18, v20
	v_cvt_i32_f32_e32 v20, v21
	v_exp_f32_e32 v18, v18
	s_delay_alu instid0(TRANS32_DEP_1) | instskip(SKIP_1) | instid1(VALU_DEP_1)
	v_ldexp_f32 v18, v18, v20
	s_wait_alu 0xf1ff
	v_cndmask_b32_e64 v18, 0, v18, s4
	v_cmp_nlt_f32_e64 s4, 0x42b17218, v4
	s_wait_alu 0xf1ff
	s_delay_alu instid0(VALU_DEP_1) | instskip(NEXT) | instid1(VALU_DEP_1)
	v_cndmask_b32_e64 v4, 0x7f800000, v18, s4
	v_add_f32_e32 v18, 1.0, v4
	s_delay_alu instid0(VALU_DEP_1) | instskip(NEXT) | instid1(VALU_DEP_1)
	v_cvt_f64_f32_e32 v[20:21], v18
	v_frexp_exp_i32_f64_e32 v20, v[20:21]
	v_frexp_mant_f32_e32 v21, v18
	s_delay_alu instid0(VALU_DEP_1) | instskip(SKIP_1) | instid1(VALU_DEP_1)
	v_cmp_gt_f32_e64 s4, 0x3f2aaaab, v21
	v_add_f32_e32 v21, -1.0, v18
	v_sub_f32_e32 v23, v21, v18
	v_sub_f32_e32 v21, v4, v21
	s_delay_alu instid0(VALU_DEP_2) | instskip(NEXT) | instid1(VALU_DEP_1)
	v_add_f32_e32 v23, 1.0, v23
	v_add_f32_e32 v21, v21, v23
	s_wait_alu 0xf1ff
	v_subrev_co_ci_u32_e64 v20, null, 0, v20, s4
	s_mov_b32 s4, 0x3e9b6dac
	v_sub_nc_u32_e32 v22, 0, v20
	v_cvt_f32_i32_e32 v20, v20
	s_delay_alu instid0(VALU_DEP_2) | instskip(SKIP_1) | instid1(VALU_DEP_2)
	v_ldexp_f32 v18, v18, v22
	v_ldexp_f32 v21, v21, v22
	v_add_f32_e32 v24, 1.0, v18
	s_delay_alu instid0(VALU_DEP_1) | instskip(NEXT) | instid1(VALU_DEP_1)
	v_dual_add_f32 v22, -1.0, v18 :: v_dual_add_f32 v23, -1.0, v24
	v_add_f32_e32 v25, 1.0, v22
	s_delay_alu instid0(VALU_DEP_2) | instskip(NEXT) | instid1(VALU_DEP_1)
	v_sub_f32_e32 v23, v18, v23
	v_dual_sub_f32 v18, v18, v25 :: v_dual_add_f32 v23, v21, v23
	s_delay_alu instid0(VALU_DEP_1) | instskip(NEXT) | instid1(VALU_DEP_1)
	v_dual_add_f32 v18, v21, v18 :: v_dual_add_f32 v25, v24, v23
	v_rcp_f32_e32 v21, v25
	v_sub_f32_e32 v24, v24, v25
	s_delay_alu instid0(VALU_DEP_1) | instskip(NEXT) | instid1(VALU_DEP_1)
	v_dual_add_f32 v30, v22, v18 :: v_dual_add_f32 v23, v23, v24
	v_sub_f32_e32 v22, v22, v30
	s_delay_alu instid0(TRANS32_DEP_1) | instskip(NEXT) | instid1(VALU_DEP_2)
	v_mul_f32_e32 v31, v30, v21
	v_add_f32_e32 v18, v18, v22
	s_delay_alu instid0(VALU_DEP_2) | instskip(NEXT) | instid1(VALU_DEP_1)
	v_mul_f32_e32 v32, v25, v31
	v_fma_f32 v24, v31, v25, -v32
	s_delay_alu instid0(VALU_DEP_1) | instskip(NEXT) | instid1(VALU_DEP_1)
	v_fmac_f32_e32 v24, v31, v23
	v_add_f32_e32 v33, v32, v24
	s_delay_alu instid0(VALU_DEP_1) | instskip(SKIP_1) | instid1(VALU_DEP_2)
	v_sub_f32_e32 v34, v30, v33
	v_sub_f32_e32 v22, v33, v32
	;; [unrolled: 1-line block ×3, first 2 shown]
	s_delay_alu instid0(VALU_DEP_2) | instskip(NEXT) | instid1(VALU_DEP_2)
	v_sub_f32_e32 v22, v22, v24
	v_sub_f32_e32 v30, v30, v33
	s_delay_alu instid0(VALU_DEP_1) | instskip(NEXT) | instid1(VALU_DEP_1)
	v_add_f32_e32 v18, v18, v30
	v_add_f32_e32 v18, v22, v18
	s_delay_alu instid0(VALU_DEP_1) | instskip(NEXT) | instid1(VALU_DEP_1)
	v_add_f32_e32 v22, v34, v18
	v_mul_f32_e32 v24, v21, v22
	s_delay_alu instid0(VALU_DEP_1) | instskip(NEXT) | instid1(VALU_DEP_1)
	v_mul_f32_e32 v30, v25, v24
	v_fma_f32 v25, v24, v25, -v30
	s_delay_alu instid0(VALU_DEP_1) | instskip(SKIP_1) | instid1(VALU_DEP_2)
	v_fmac_f32_e32 v25, v24, v23
	v_sub_f32_e32 v33, v34, v22
	v_add_f32_e32 v23, v30, v25
	s_delay_alu instid0(VALU_DEP_2) | instskip(NEXT) | instid1(VALU_DEP_2)
	v_add_f32_e32 v18, v18, v33
	v_sub_f32_e32 v32, v22, v23
	v_sub_f32_e32 v30, v23, v30
	s_delay_alu instid0(VALU_DEP_2) | instskip(NEXT) | instid1(VALU_DEP_1)
	v_sub_f32_e32 v22, v22, v32
	v_sub_f32_e32 v22, v22, v23
	s_delay_alu instid0(VALU_DEP_3) | instskip(NEXT) | instid1(VALU_DEP_2)
	v_sub_f32_e32 v23, v30, v25
	v_add_f32_e32 v18, v18, v22
	v_add_f32_e32 v22, v31, v24
	s_delay_alu instid0(VALU_DEP_1) | instskip(NEXT) | instid1(VALU_DEP_1)
	v_dual_add_f32 v18, v23, v18 :: v_dual_sub_f32 v23, v22, v31
	v_add_f32_e32 v18, v32, v18
	s_delay_alu instid0(VALU_DEP_1) | instskip(NEXT) | instid1(VALU_DEP_1)
	v_dual_sub_f32 v23, v24, v23 :: v_dual_mul_f32 v18, v21, v18
	v_add_f32_e32 v18, v23, v18
	s_delay_alu instid0(VALU_DEP_1) | instskip(NEXT) | instid1(VALU_DEP_1)
	v_add_f32_e32 v21, v22, v18
	v_mul_f32_e32 v23, v21, v21
	s_wait_alu 0xfffe
	s_delay_alu instid0(VALU_DEP_1) | instskip(SKIP_2) | instid1(VALU_DEP_3)
	v_fmaak_f32 v24, s4, v23, 0x3ecc95a3
	v_mul_f32_e32 v25, v21, v23
	v_cmp_neq_f32_e64 s4, 0x7f800000, v4
	v_fmaak_f32 v23, v23, v24, 0x3f2aaada
	v_ldexp_f32 v24, v21, 1
	v_sub_f32_e32 v21, v21, v22
	s_delay_alu instid0(VALU_DEP_3) | instskip(NEXT) | instid1(VALU_DEP_2)
	v_mul_f32_e32 v23, v25, v23
	v_dual_mul_f32 v25, 0x3f317218, v20 :: v_dual_sub_f32 v18, v18, v21
	s_delay_alu instid0(VALU_DEP_2) | instskip(NEXT) | instid1(VALU_DEP_2)
	v_add_f32_e32 v22, v24, v23
	v_ldexp_f32 v18, v18, 1
	s_delay_alu instid0(VALU_DEP_2) | instskip(NEXT) | instid1(VALU_DEP_4)
	v_sub_f32_e32 v21, v22, v24
	v_fma_f32 v24, 0x3f317218, v20, -v25
	s_delay_alu instid0(VALU_DEP_1) | instskip(NEXT) | instid1(VALU_DEP_1)
	v_dual_sub_f32 v21, v23, v21 :: v_dual_fmamk_f32 v20, v20, 0xb102e308, v24
	v_dual_add_f32 v18, v18, v21 :: v_dual_add_f32 v21, v25, v20
	s_delay_alu instid0(VALU_DEP_1) | instskip(NEXT) | instid1(VALU_DEP_2)
	v_add_f32_e32 v23, v22, v18
	v_sub_f32_e32 v25, v21, v25
	s_delay_alu instid0(VALU_DEP_2) | instskip(SKIP_1) | instid1(VALU_DEP_3)
	v_add_f32_e32 v24, v21, v23
	v_sub_f32_e32 v22, v23, v22
	v_sub_f32_e32 v20, v20, v25
	s_delay_alu instid0(VALU_DEP_3) | instskip(NEXT) | instid1(VALU_DEP_3)
	v_sub_f32_e32 v30, v24, v21
	v_sub_f32_e32 v18, v18, v22
	s_delay_alu instid0(VALU_DEP_2) | instskip(SKIP_1) | instid1(VALU_DEP_3)
	v_sub_f32_e32 v31, v24, v30
	v_sub_f32_e32 v22, v23, v30
	v_add_f32_e32 v23, v20, v18
	s_delay_alu instid0(VALU_DEP_3) | instskip(NEXT) | instid1(VALU_DEP_1)
	v_sub_f32_e32 v21, v21, v31
	v_dual_add_f32 v21, v22, v21 :: v_dual_sub_f32 v22, v23, v20
	s_delay_alu instid0(VALU_DEP_1) | instskip(NEXT) | instid1(VALU_DEP_2)
	v_add_f32_e32 v21, v23, v21
	v_sub_f32_e32 v23, v23, v22
	s_delay_alu instid0(VALU_DEP_2) | instskip(NEXT) | instid1(VALU_DEP_2)
	v_dual_sub_f32 v18, v18, v22 :: v_dual_add_f32 v25, v24, v21
	v_sub_f32_e32 v20, v20, v23
	s_delay_alu instid0(VALU_DEP_2) | instskip(NEXT) | instid1(VALU_DEP_2)
	v_sub_f32_e32 v22, v25, v24
	v_add_f32_e32 v18, v18, v20
	s_delay_alu instid0(VALU_DEP_2) | instskip(NEXT) | instid1(VALU_DEP_1)
	v_sub_f32_e32 v20, v21, v22
	v_add_f32_e32 v18, v18, v20
	s_delay_alu instid0(VALU_DEP_1) | instskip(SKIP_1) | instid1(VALU_DEP_1)
	v_add_f32_e32 v18, v25, v18
	s_wait_alu 0xf1ff
	v_cndmask_b32_e64 v18, 0x7f800000, v18, s4
	v_cmp_gt_f32_e64 s4, 0x33800000, |v4|
	s_wait_alu 0xf1ff
	s_delay_alu instid0(VALU_DEP_1) | instskip(NEXT) | instid1(VALU_DEP_1)
	v_cndmask_b32_e64 v4, v18, v4, s4
	v_add_f32_e32 v4, v2, v4
.LBB508_210:
	s_wait_alu 0xfffe
	s_or_b32 exec_lo, exec_lo, s5
	s_delay_alu instid0(VALU_DEP_1) | instskip(SKIP_1) | instid1(VALU_DEP_2)
	v_bfe_u32 v2, v4, 16, 1
	v_cmp_o_f32_e64 s4, v4, v4
	v_add3_u32 v2, v4, v2, 0x7fff
	s_delay_alu instid0(VALU_DEP_1) | instskip(SKIP_2) | instid1(VALU_DEP_2)
	v_and_b32_e32 v18, 0xffff0000, v2
	v_lshlrev_b32_e32 v2, 16, v17
	s_wait_alu 0xf1ff
	v_cndmask_b32_e64 v18, 0x7fc00000, v18, s4
	s_delay_alu instid0(VALU_DEP_2) | instskip(NEXT) | instid1(VALU_DEP_2)
	v_max_num_f32_e32 v17, v2, v2
	v_max_num_f32_e32 v4, v18, v18
	v_cmp_u_f32_e64 s4, v18, v18
	s_delay_alu instid0(VALU_DEP_2) | instskip(SKIP_2) | instid1(VALU_DEP_2)
	v_min_num_f32_e32 v20, v4, v17
	v_max_num_f32_e32 v4, v4, v17
	s_wait_alu 0xf1ff
	v_cndmask_b32_e64 v20, v20, v18, s4
	s_delay_alu instid0(VALU_DEP_2) | instskip(SKIP_2) | instid1(VALU_DEP_1)
	v_cndmask_b32_e64 v4, v4, v18, s4
	v_cmp_u_f32_e64 s4, v2, v2
	s_wait_alu 0xf1ff
	v_cndmask_b32_e64 v20, v20, v2, s4
	s_delay_alu instid0(VALU_DEP_3) | instskip(NEXT) | instid1(VALU_DEP_2)
	v_cndmask_b32_e64 v4, v4, v2, s4
	v_cmp_class_f32_e64 s6, v20, 0x1f8
	s_delay_alu instid0(VALU_DEP_2)
	v_cmp_neq_f32_e64 s5, v20, v4
	s_or_b32 s5, s5, s6
	s_wait_alu 0xfffe
	s_and_saveexec_b32 s6, s5
	s_cbranch_execz .LBB508_212
; %bb.211:
	v_sub_f32_e32 v18, v20, v4
	s_delay_alu instid0(VALU_DEP_1) | instskip(SKIP_1) | instid1(VALU_DEP_2)
	v_mul_f32_e32 v20, 0x3fb8aa3b, v18
	v_cmp_ngt_f32_e64 s5, 0xc2ce8ed0, v18
	v_fma_f32 v21, 0x3fb8aa3b, v18, -v20
	v_rndne_f32_e32 v22, v20
	s_delay_alu instid0(VALU_DEP_1) | instskip(NEXT) | instid1(VALU_DEP_1)
	v_dual_fmamk_f32 v21, v18, 0x32a5705f, v21 :: v_dual_sub_f32 v20, v20, v22
	v_add_f32_e32 v20, v20, v21
	v_cvt_i32_f32_e32 v21, v22
	s_delay_alu instid0(VALU_DEP_2) | instskip(NEXT) | instid1(TRANS32_DEP_1)
	v_exp_f32_e32 v20, v20
	v_ldexp_f32 v20, v20, v21
	s_wait_alu 0xf1ff
	s_delay_alu instid0(VALU_DEP_1) | instskip(SKIP_2) | instid1(VALU_DEP_1)
	v_cndmask_b32_e64 v20, 0, v20, s5
	v_cmp_nlt_f32_e64 s5, 0x42b17218, v18
	s_wait_alu 0xf1ff
	v_cndmask_b32_e64 v18, 0x7f800000, v20, s5
	s_delay_alu instid0(VALU_DEP_1) | instskip(NEXT) | instid1(VALU_DEP_1)
	v_add_f32_e32 v22, 1.0, v18
	v_cvt_f64_f32_e32 v[20:21], v22
	s_delay_alu instid0(VALU_DEP_1) | instskip(SKIP_1) | instid1(VALU_DEP_1)
	v_frexp_exp_i32_f64_e32 v20, v[20:21]
	v_frexp_mant_f32_e32 v21, v22
	v_cmp_gt_f32_e64 s5, 0x3f2aaaab, v21
	v_add_f32_e32 v21, -1.0, v22
	s_delay_alu instid0(VALU_DEP_1) | instskip(NEXT) | instid1(VALU_DEP_1)
	v_dual_sub_f32 v24, v21, v22 :: v_dual_sub_f32 v21, v18, v21
	v_add_f32_e32 v24, 1.0, v24
	s_delay_alu instid0(VALU_DEP_1)
	v_add_f32_e32 v21, v21, v24
	s_wait_alu 0xf1ff
	v_subrev_co_ci_u32_e64 v20, null, 0, v20, s5
	s_mov_b32 s5, 0x3e9b6dac
	v_sub_nc_u32_e32 v23, 0, v20
	v_cvt_f32_i32_e32 v20, v20
	s_delay_alu instid0(VALU_DEP_2) | instskip(SKIP_1) | instid1(VALU_DEP_2)
	v_ldexp_f32 v22, v22, v23
	v_ldexp_f32 v21, v21, v23
	v_add_f32_e32 v25, 1.0, v22
	s_delay_alu instid0(VALU_DEP_1) | instskip(NEXT) | instid1(VALU_DEP_1)
	v_dual_add_f32 v23, -1.0, v22 :: v_dual_add_f32 v24, -1.0, v25
	v_add_f32_e32 v30, 1.0, v23
	s_delay_alu instid0(VALU_DEP_2) | instskip(NEXT) | instid1(VALU_DEP_2)
	v_sub_f32_e32 v24, v22, v24
	v_sub_f32_e32 v22, v22, v30
	s_delay_alu instid0(VALU_DEP_2) | instskip(NEXT) | instid1(VALU_DEP_2)
	v_add_f32_e32 v24, v21, v24
	v_add_f32_e32 v21, v21, v22
	s_delay_alu instid0(VALU_DEP_1) | instskip(NEXT) | instid1(VALU_DEP_1)
	v_dual_add_f32 v31, v23, v21 :: v_dual_add_f32 v30, v25, v24
	v_sub_f32_e32 v23, v23, v31
	s_delay_alu instid0(VALU_DEP_2) | instskip(SKIP_1) | instid1(VALU_DEP_1)
	v_rcp_f32_e32 v22, v30
	v_sub_f32_e32 v25, v25, v30
	v_dual_add_f32 v21, v21, v23 :: v_dual_add_f32 v24, v24, v25
	s_delay_alu instid0(TRANS32_DEP_1) | instskip(NEXT) | instid1(VALU_DEP_1)
	v_mul_f32_e32 v32, v31, v22
	v_mul_f32_e32 v33, v30, v32
	s_delay_alu instid0(VALU_DEP_1) | instskip(NEXT) | instid1(VALU_DEP_1)
	v_fma_f32 v25, v32, v30, -v33
	v_fmac_f32_e32 v25, v32, v24
	s_delay_alu instid0(VALU_DEP_1) | instskip(NEXT) | instid1(VALU_DEP_1)
	v_add_f32_e32 v34, v33, v25
	v_sub_f32_e32 v35, v31, v34
	v_sub_f32_e32 v23, v34, v33
	s_delay_alu instid0(VALU_DEP_2) | instskip(NEXT) | instid1(VALU_DEP_2)
	v_sub_f32_e32 v31, v31, v35
	v_sub_f32_e32 v23, v23, v25
	s_delay_alu instid0(VALU_DEP_2) | instskip(NEXT) | instid1(VALU_DEP_1)
	v_sub_f32_e32 v31, v31, v34
	v_add_f32_e32 v21, v21, v31
	s_delay_alu instid0(VALU_DEP_1) | instskip(NEXT) | instid1(VALU_DEP_1)
	v_add_f32_e32 v21, v23, v21
	v_add_f32_e32 v23, v35, v21
	s_delay_alu instid0(VALU_DEP_1) | instskip(NEXT) | instid1(VALU_DEP_1)
	v_mul_f32_e32 v25, v22, v23
	v_dual_sub_f32 v34, v35, v23 :: v_dual_mul_f32 v31, v30, v25
	s_delay_alu instid0(VALU_DEP_1) | instskip(NEXT) | instid1(VALU_DEP_2)
	v_add_f32_e32 v21, v21, v34
	v_fma_f32 v30, v25, v30, -v31
	s_delay_alu instid0(VALU_DEP_1) | instskip(NEXT) | instid1(VALU_DEP_1)
	v_fmac_f32_e32 v30, v25, v24
	v_add_f32_e32 v24, v31, v30
	s_delay_alu instid0(VALU_DEP_1) | instskip(NEXT) | instid1(VALU_DEP_1)
	v_sub_f32_e32 v33, v23, v24
	v_sub_f32_e32 v23, v23, v33
	s_delay_alu instid0(VALU_DEP_1) | instskip(NEXT) | instid1(VALU_DEP_1)
	v_sub_f32_e32 v23, v23, v24
	v_add_f32_e32 v21, v21, v23
	v_add_f32_e32 v23, v32, v25
	v_sub_f32_e32 v31, v24, v31
	s_delay_alu instid0(VALU_DEP_1) | instskip(NEXT) | instid1(VALU_DEP_1)
	v_sub_f32_e32 v24, v31, v30
	v_dual_add_f32 v21, v24, v21 :: v_dual_sub_f32 v24, v23, v32
	s_delay_alu instid0(VALU_DEP_1) | instskip(NEXT) | instid1(VALU_DEP_1)
	v_add_f32_e32 v21, v33, v21
	v_dual_sub_f32 v24, v25, v24 :: v_dual_mul_f32 v21, v22, v21
	s_delay_alu instid0(VALU_DEP_1) | instskip(NEXT) | instid1(VALU_DEP_1)
	v_add_f32_e32 v21, v24, v21
	v_add_f32_e32 v22, v23, v21
	s_delay_alu instid0(VALU_DEP_1) | instskip(SKIP_1) | instid1(VALU_DEP_1)
	v_mul_f32_e32 v24, v22, v22
	s_wait_alu 0xfffe
	v_fmaak_f32 v25, s5, v24, 0x3ecc95a3
	v_mul_f32_e32 v30, v22, v24
	v_cmp_neq_f32_e64 s5, 0x7f800000, v18
	s_delay_alu instid0(VALU_DEP_3) | instskip(SKIP_2) | instid1(VALU_DEP_3)
	v_fmaak_f32 v24, v24, v25, 0x3f2aaada
	v_ldexp_f32 v25, v22, 1
	v_sub_f32_e32 v22, v22, v23
	v_mul_f32_e32 v24, v30, v24
	s_delay_alu instid0(VALU_DEP_2) | instskip(NEXT) | instid1(VALU_DEP_2)
	v_dual_mul_f32 v30, 0x3f317218, v20 :: v_dual_sub_f32 v21, v21, v22
	v_add_f32_e32 v23, v25, v24
	s_delay_alu instid0(VALU_DEP_2) | instskip(NEXT) | instid1(VALU_DEP_2)
	v_ldexp_f32 v21, v21, 1
	v_sub_f32_e32 v22, v23, v25
	s_delay_alu instid0(VALU_DEP_4) | instskip(NEXT) | instid1(VALU_DEP_2)
	v_fma_f32 v25, 0x3f317218, v20, -v30
	v_sub_f32_e32 v22, v24, v22
	s_delay_alu instid0(VALU_DEP_1) | instskip(NEXT) | instid1(VALU_DEP_1)
	v_dual_fmamk_f32 v20, v20, 0xb102e308, v25 :: v_dual_add_f32 v21, v21, v22
	v_add_f32_e32 v22, v30, v20
	s_delay_alu instid0(VALU_DEP_1) | instskip(NEXT) | instid1(VALU_DEP_1)
	v_sub_f32_e32 v30, v22, v30
	v_sub_f32_e32 v20, v20, v30
	s_delay_alu instid0(VALU_DEP_4) | instskip(NEXT) | instid1(VALU_DEP_1)
	v_add_f32_e32 v24, v23, v21
	v_sub_f32_e32 v23, v24, v23
	s_delay_alu instid0(VALU_DEP_1) | instskip(SKIP_1) | instid1(VALU_DEP_1)
	v_sub_f32_e32 v21, v21, v23
	v_add_f32_e32 v25, v22, v24
	v_sub_f32_e32 v31, v25, v22
	s_delay_alu instid0(VALU_DEP_1) | instskip(NEXT) | instid1(VALU_DEP_4)
	v_sub_f32_e32 v23, v24, v31
	v_add_f32_e32 v24, v20, v21
	v_sub_f32_e32 v32, v25, v31
	s_delay_alu instid0(VALU_DEP_1) | instskip(NEXT) | instid1(VALU_DEP_1)
	v_sub_f32_e32 v22, v22, v32
	v_dual_add_f32 v22, v23, v22 :: v_dual_sub_f32 v23, v24, v20
	s_delay_alu instid0(VALU_DEP_1) | instskip(SKIP_1) | instid1(VALU_DEP_2)
	v_dual_add_f32 v22, v24, v22 :: v_dual_sub_f32 v21, v21, v23
	v_sub_f32_e32 v24, v24, v23
	v_add_f32_e32 v30, v25, v22
	s_delay_alu instid0(VALU_DEP_1) | instskip(NEXT) | instid1(VALU_DEP_1)
	v_dual_sub_f32 v20, v20, v24 :: v_dual_sub_f32 v23, v30, v25
	v_dual_add_f32 v20, v21, v20 :: v_dual_sub_f32 v21, v22, v23
	s_delay_alu instid0(VALU_DEP_1) | instskip(NEXT) | instid1(VALU_DEP_1)
	v_add_f32_e32 v20, v20, v21
	v_add_f32_e32 v20, v30, v20
	s_wait_alu 0xf1ff
	s_delay_alu instid0(VALU_DEP_1) | instskip(SKIP_2) | instid1(VALU_DEP_1)
	v_cndmask_b32_e64 v20, 0x7f800000, v20, s5
	v_cmp_gt_f32_e64 s5, 0x33800000, |v18|
	s_wait_alu 0xf1ff
	v_cndmask_b32_e64 v18, v20, v18, s5
	s_delay_alu instid0(VALU_DEP_1)
	v_add_f32_e32 v18, v4, v18
.LBB508_212:
	s_wait_alu 0xfffe
	s_or_b32 exec_lo, exec_lo, s6
	s_delay_alu instid0(VALU_DEP_1) | instskip(SKIP_1) | instid1(VALU_DEP_2)
	v_bfe_u32 v4, v18, 16, 1
	v_cmp_o_f32_e64 s5, v18, v18
	v_add3_u32 v4, v18, v4, 0x7fff
	s_delay_alu instid0(VALU_DEP_1) | instskip(SKIP_2) | instid1(VALU_DEP_2)
	v_and_b32_e32 v20, 0xffff0000, v4
	v_lshlrev_b32_e32 v4, 16, v16
	s_wait_alu 0xf1ff
	v_cndmask_b32_e64 v20, 0x7fc00000, v20, s5
	s_delay_alu instid0(VALU_DEP_2) | instskip(NEXT) | instid1(VALU_DEP_2)
	v_max_num_f32_e32 v16, v4, v4
	v_max_num_f32_e32 v18, v20, v20
	v_cmp_u_f32_e64 s5, v20, v20
	s_delay_alu instid0(VALU_DEP_2) | instskip(SKIP_2) | instid1(VALU_DEP_2)
	v_min_num_f32_e32 v21, v18, v16
	v_max_num_f32_e32 v18, v18, v16
	s_wait_alu 0xf1ff
	v_cndmask_b32_e64 v21, v21, v20, s5
	s_delay_alu instid0(VALU_DEP_2) | instskip(SKIP_2) | instid1(VALU_DEP_1)
	v_cndmask_b32_e64 v18, v18, v20, s5
	v_cmp_u_f32_e64 s5, v4, v4
	s_wait_alu 0xf1ff
	v_cndmask_b32_e64 v21, v21, v4, s5
	s_delay_alu instid0(VALU_DEP_3) | instskip(NEXT) | instid1(VALU_DEP_2)
	v_cndmask_b32_e64 v18, v18, v4, s5
	v_cmp_class_f32_e64 s7, v21, 0x1f8
	s_delay_alu instid0(VALU_DEP_2)
	v_cmp_neq_f32_e64 s6, v21, v18
	s_or_b32 s6, s6, s7
	s_wait_alu 0xfffe
	s_and_saveexec_b32 s7, s6
	s_cbranch_execz .LBB508_214
; %bb.213:
	v_sub_f32_e32 v20, v21, v18
	s_delay_alu instid0(VALU_DEP_1) | instskip(SKIP_1) | instid1(VALU_DEP_2)
	v_mul_f32_e32 v21, 0x3fb8aa3b, v20
	v_cmp_ngt_f32_e64 s6, 0xc2ce8ed0, v20
	v_fma_f32 v22, 0x3fb8aa3b, v20, -v21
	v_rndne_f32_e32 v23, v21
	s_delay_alu instid0(VALU_DEP_1) | instskip(NEXT) | instid1(VALU_DEP_1)
	v_dual_fmamk_f32 v22, v20, 0x32a5705f, v22 :: v_dual_sub_f32 v21, v21, v23
	v_add_f32_e32 v21, v21, v22
	v_cvt_i32_f32_e32 v22, v23
	s_delay_alu instid0(VALU_DEP_2) | instskip(NEXT) | instid1(TRANS32_DEP_1)
	v_exp_f32_e32 v21, v21
	v_ldexp_f32 v21, v21, v22
	s_wait_alu 0xf1ff
	s_delay_alu instid0(VALU_DEP_1) | instskip(SKIP_2) | instid1(VALU_DEP_1)
	v_cndmask_b32_e64 v21, 0, v21, s6
	v_cmp_nlt_f32_e64 s6, 0x42b17218, v20
	s_wait_alu 0xf1ff
	v_cndmask_b32_e64 v22, 0x7f800000, v21, s6
	s_delay_alu instid0(VALU_DEP_1) | instskip(NEXT) | instid1(VALU_DEP_1)
	v_add_f32_e32 v23, 1.0, v22
	v_cvt_f64_f32_e32 v[20:21], v23
	s_delay_alu instid0(VALU_DEP_1) | instskip(SKIP_1) | instid1(VALU_DEP_1)
	v_frexp_exp_i32_f64_e32 v20, v[20:21]
	v_frexp_mant_f32_e32 v21, v23
	v_cmp_gt_f32_e64 s6, 0x3f2aaaab, v21
	v_add_f32_e32 v21, -1.0, v23
	s_delay_alu instid0(VALU_DEP_1)
	v_sub_f32_e32 v25, v21, v23
	v_sub_f32_e32 v21, v22, v21
	s_wait_alu 0xf1ff
	v_subrev_co_ci_u32_e64 v20, null, 0, v20, s6
	s_mov_b32 s6, 0x3e9b6dac
	v_sub_nc_u32_e32 v24, 0, v20
	v_cvt_f32_i32_e32 v20, v20
	s_delay_alu instid0(VALU_DEP_2) | instskip(NEXT) | instid1(VALU_DEP_1)
	v_ldexp_f32 v23, v23, v24
	v_dual_add_f32 v30, 1.0, v23 :: v_dual_add_f32 v25, 1.0, v25
	s_delay_alu instid0(VALU_DEP_1) | instskip(NEXT) | instid1(VALU_DEP_2)
	v_add_f32_e32 v21, v21, v25
	v_add_f32_e32 v25, -1.0, v30
	s_delay_alu instid0(VALU_DEP_2) | instskip(NEXT) | instid1(VALU_DEP_2)
	v_ldexp_f32 v21, v21, v24
	v_dual_add_f32 v24, -1.0, v23 :: v_dual_sub_f32 v25, v23, v25
	s_delay_alu instid0(VALU_DEP_1) | instskip(NEXT) | instid1(VALU_DEP_2)
	v_add_f32_e32 v31, 1.0, v24
	v_add_f32_e32 v25, v21, v25
	s_delay_alu instid0(VALU_DEP_2) | instskip(NEXT) | instid1(VALU_DEP_2)
	v_sub_f32_e32 v23, v23, v31
	v_add_f32_e32 v31, v30, v25
	s_delay_alu instid0(VALU_DEP_2) | instskip(NEXT) | instid1(VALU_DEP_2)
	v_add_f32_e32 v21, v21, v23
	v_rcp_f32_e32 v23, v31
	v_sub_f32_e32 v30, v30, v31
	s_delay_alu instid0(VALU_DEP_1) | instskip(NEXT) | instid1(VALU_DEP_1)
	v_dual_add_f32 v32, v24, v21 :: v_dual_add_f32 v25, v25, v30
	v_sub_f32_e32 v24, v24, v32
	s_delay_alu instid0(TRANS32_DEP_1) | instskip(NEXT) | instid1(VALU_DEP_1)
	v_mul_f32_e32 v33, v32, v23
	v_dual_add_f32 v21, v21, v24 :: v_dual_mul_f32 v34, v31, v33
	s_delay_alu instid0(VALU_DEP_1) | instskip(NEXT) | instid1(VALU_DEP_1)
	v_fma_f32 v30, v33, v31, -v34
	v_fmac_f32_e32 v30, v33, v25
	s_delay_alu instid0(VALU_DEP_1) | instskip(NEXT) | instid1(VALU_DEP_1)
	v_add_f32_e32 v35, v34, v30
	v_sub_f32_e32 v36, v32, v35
	v_sub_f32_e32 v24, v35, v34
	s_delay_alu instid0(VALU_DEP_2) | instskip(NEXT) | instid1(VALU_DEP_2)
	v_sub_f32_e32 v32, v32, v36
	v_sub_f32_e32 v24, v24, v30
	s_delay_alu instid0(VALU_DEP_2) | instskip(NEXT) | instid1(VALU_DEP_1)
	v_sub_f32_e32 v32, v32, v35
	v_add_f32_e32 v21, v21, v32
	s_delay_alu instid0(VALU_DEP_1) | instskip(NEXT) | instid1(VALU_DEP_1)
	v_add_f32_e32 v21, v24, v21
	v_add_f32_e32 v24, v36, v21
	s_delay_alu instid0(VALU_DEP_1) | instskip(NEXT) | instid1(VALU_DEP_1)
	v_mul_f32_e32 v30, v23, v24
	v_dual_sub_f32 v35, v36, v24 :: v_dual_mul_f32 v32, v31, v30
	s_delay_alu instid0(VALU_DEP_1) | instskip(NEXT) | instid1(VALU_DEP_2)
	v_add_f32_e32 v21, v21, v35
	v_fma_f32 v31, v30, v31, -v32
	s_delay_alu instid0(VALU_DEP_1) | instskip(NEXT) | instid1(VALU_DEP_1)
	v_fmac_f32_e32 v31, v30, v25
	v_add_f32_e32 v25, v32, v31
	s_delay_alu instid0(VALU_DEP_1) | instskip(SKIP_1) | instid1(VALU_DEP_2)
	v_sub_f32_e32 v34, v24, v25
	v_sub_f32_e32 v32, v25, v32
	;; [unrolled: 1-line block ×3, first 2 shown]
	s_delay_alu instid0(VALU_DEP_1) | instskip(NEXT) | instid1(VALU_DEP_3)
	v_sub_f32_e32 v24, v24, v25
	v_sub_f32_e32 v25, v32, v31
	s_delay_alu instid0(VALU_DEP_2) | instskip(SKIP_1) | instid1(VALU_DEP_2)
	v_add_f32_e32 v21, v21, v24
	v_add_f32_e32 v24, v33, v30
	v_add_f32_e32 v21, v25, v21
	s_delay_alu instid0(VALU_DEP_2) | instskip(NEXT) | instid1(VALU_DEP_2)
	v_sub_f32_e32 v25, v24, v33
	v_add_f32_e32 v21, v34, v21
	s_delay_alu instid0(VALU_DEP_2) | instskip(NEXT) | instid1(VALU_DEP_2)
	v_sub_f32_e32 v25, v30, v25
	v_mul_f32_e32 v21, v23, v21
	s_delay_alu instid0(VALU_DEP_1) | instskip(NEXT) | instid1(VALU_DEP_1)
	v_add_f32_e32 v21, v25, v21
	v_add_f32_e32 v23, v24, v21
	s_delay_alu instid0(VALU_DEP_1) | instskip(SKIP_1) | instid1(VALU_DEP_1)
	v_mul_f32_e32 v25, v23, v23
	s_wait_alu 0xfffe
	v_fmaak_f32 v30, s6, v25, 0x3ecc95a3
	v_mul_f32_e32 v31, v23, v25
	v_cmp_neq_f32_e64 s6, 0x7f800000, v22
	s_delay_alu instid0(VALU_DEP_3) | instskip(SKIP_2) | instid1(VALU_DEP_3)
	v_fmaak_f32 v25, v25, v30, 0x3f2aaada
	v_ldexp_f32 v30, v23, 1
	v_sub_f32_e32 v23, v23, v24
	v_mul_f32_e32 v25, v31, v25
	v_mul_f32_e32 v31, 0x3f317218, v20
	s_delay_alu instid0(VALU_DEP_2) | instskip(NEXT) | instid1(VALU_DEP_1)
	v_dual_sub_f32 v21, v21, v23 :: v_dual_add_f32 v24, v30, v25
	v_ldexp_f32 v21, v21, 1
	s_delay_alu instid0(VALU_DEP_2) | instskip(NEXT) | instid1(VALU_DEP_4)
	v_sub_f32_e32 v23, v24, v30
	v_fma_f32 v30, 0x3f317218, v20, -v31
	s_delay_alu instid0(VALU_DEP_1) | instskip(NEXT) | instid1(VALU_DEP_1)
	v_dual_sub_f32 v23, v25, v23 :: v_dual_fmamk_f32 v20, v20, 0xb102e308, v30
	v_add_f32_e32 v21, v21, v23
	s_delay_alu instid0(VALU_DEP_2) | instskip(NEXT) | instid1(VALU_DEP_2)
	v_add_f32_e32 v23, v31, v20
	v_add_f32_e32 v25, v24, v21
	s_delay_alu instid0(VALU_DEP_2) | instskip(NEXT) | instid1(VALU_DEP_2)
	v_sub_f32_e32 v31, v23, v31
	v_add_f32_e32 v30, v23, v25
	v_sub_f32_e32 v24, v25, v24
	s_delay_alu instid0(VALU_DEP_3) | instskip(NEXT) | instid1(VALU_DEP_2)
	v_sub_f32_e32 v20, v20, v31
	v_dual_sub_f32 v32, v30, v23 :: v_dual_sub_f32 v21, v21, v24
	s_delay_alu instid0(VALU_DEP_1) | instskip(NEXT) | instid1(VALU_DEP_2)
	v_sub_f32_e32 v33, v30, v32
	v_dual_sub_f32 v24, v25, v32 :: v_dual_add_f32 v25, v20, v21
	s_delay_alu instid0(VALU_DEP_2) | instskip(NEXT) | instid1(VALU_DEP_1)
	v_sub_f32_e32 v23, v23, v33
	v_dual_add_f32 v23, v24, v23 :: v_dual_sub_f32 v24, v25, v20
	s_delay_alu instid0(VALU_DEP_1) | instskip(NEXT) | instid1(VALU_DEP_2)
	v_add_f32_e32 v23, v25, v23
	v_sub_f32_e32 v25, v25, v24
	v_sub_f32_e32 v21, v21, v24
	s_delay_alu instid0(VALU_DEP_2) | instskip(NEXT) | instid1(VALU_DEP_1)
	v_dual_add_f32 v31, v30, v23 :: v_dual_sub_f32 v20, v20, v25
	v_sub_f32_e32 v24, v31, v30
	s_delay_alu instid0(VALU_DEP_2) | instskip(NEXT) | instid1(VALU_DEP_2)
	v_add_f32_e32 v20, v21, v20
	v_sub_f32_e32 v21, v23, v24
	s_delay_alu instid0(VALU_DEP_1) | instskip(NEXT) | instid1(VALU_DEP_1)
	v_add_f32_e32 v20, v20, v21
	v_add_f32_e32 v20, v31, v20
	s_wait_alu 0xf1ff
	s_delay_alu instid0(VALU_DEP_1) | instskip(SKIP_2) | instid1(VALU_DEP_1)
	v_cndmask_b32_e64 v20, 0x7f800000, v20, s6
	v_cmp_gt_f32_e64 s6, 0x33800000, |v22|
	s_wait_alu 0xf1ff
	v_cndmask_b32_e64 v20, v20, v22, s6
	s_delay_alu instid0(VALU_DEP_1)
	v_add_f32_e32 v20, v18, v20
.LBB508_214:
	s_wait_alu 0xfffe
	s_or_b32 exec_lo, exec_lo, s7
	s_delay_alu instid0(VALU_DEP_1) | instskip(SKIP_1) | instid1(VALU_DEP_2)
	v_bfe_u32 v18, v20, 16, 1
	v_cmp_o_f32_e64 s6, v20, v20
	v_add3_u32 v18, v20, v18, 0x7fff
	s_delay_alu instid0(VALU_DEP_1) | instskip(SKIP_1) | instid1(VALU_DEP_1)
	v_and_b32_e32 v18, 0xffff0000, v18
	s_wait_alu 0xf1ff
	v_cndmask_b32_e64 v21, 0x7fc00000, v18, s6
	s_delay_alu instid0(VALU_DEP_1) | instskip(NEXT) | instid1(VALU_DEP_1)
	v_dual_max_num_f32 v20, v21, v21 :: v_dual_lshlrev_b32 v15, 16, v15
	v_max_num_f32_e32 v18, v15, v15
	v_cmp_u_f32_e64 s6, v21, v21
	s_delay_alu instid0(VALU_DEP_2) | instskip(SKIP_2) | instid1(VALU_DEP_2)
	v_min_num_f32_e32 v22, v20, v18
	v_max_num_f32_e32 v20, v20, v18
	s_wait_alu 0xf1ff
	v_cndmask_b32_e64 v22, v22, v21, s6
	s_delay_alu instid0(VALU_DEP_2) | instskip(SKIP_2) | instid1(VALU_DEP_1)
	v_cndmask_b32_e64 v20, v20, v21, s6
	v_cmp_u_f32_e64 s6, v15, v15
	s_wait_alu 0xf1ff
	v_cndmask_b32_e64 v22, v22, v15, s6
	s_delay_alu instid0(VALU_DEP_3) | instskip(NEXT) | instid1(VALU_DEP_2)
	v_cndmask_b32_e64 v20, v20, v15, s6
	v_cmp_class_f32_e64 s8, v22, 0x1f8
	s_delay_alu instid0(VALU_DEP_2)
	v_cmp_neq_f32_e64 s7, v22, v20
	s_or_b32 s7, s7, s8
	s_wait_alu 0xfffe
	s_and_saveexec_b32 s8, s7
	s_cbranch_execz .LBB508_216
; %bb.215:
	v_sub_f32_e32 v21, v22, v20
	s_delay_alu instid0(VALU_DEP_1) | instskip(SKIP_1) | instid1(VALU_DEP_2)
	v_mul_f32_e32 v22, 0x3fb8aa3b, v21
	v_cmp_ngt_f32_e64 s7, 0xc2ce8ed0, v21
	v_fma_f32 v23, 0x3fb8aa3b, v21, -v22
	v_rndne_f32_e32 v24, v22
	s_delay_alu instid0(VALU_DEP_1) | instskip(NEXT) | instid1(VALU_DEP_1)
	v_dual_fmamk_f32 v23, v21, 0x32a5705f, v23 :: v_dual_sub_f32 v22, v22, v24
	v_add_f32_e32 v22, v22, v23
	v_cvt_i32_f32_e32 v23, v24
	s_delay_alu instid0(VALU_DEP_2) | instskip(NEXT) | instid1(TRANS32_DEP_1)
	v_exp_f32_e32 v22, v22
	v_ldexp_f32 v22, v22, v23
	s_wait_alu 0xf1ff
	s_delay_alu instid0(VALU_DEP_1) | instskip(SKIP_2) | instid1(VALU_DEP_1)
	v_cndmask_b32_e64 v22, 0, v22, s7
	v_cmp_nlt_f32_e64 s7, 0x42b17218, v21
	s_wait_alu 0xf1ff
	v_cndmask_b32_e64 v23, 0x7f800000, v22, s7
	s_delay_alu instid0(VALU_DEP_1) | instskip(NEXT) | instid1(VALU_DEP_1)
	v_add_f32_e32 v24, 1.0, v23
	v_cvt_f64_f32_e32 v[21:22], v24
	s_delay_alu instid0(VALU_DEP_1) | instskip(SKIP_1) | instid1(VALU_DEP_1)
	v_frexp_exp_i32_f64_e32 v21, v[21:22]
	v_frexp_mant_f32_e32 v22, v24
	v_cmp_gt_f32_e64 s7, 0x3f2aaaab, v22
	v_add_f32_e32 v22, -1.0, v24
	s_delay_alu instid0(VALU_DEP_1)
	v_sub_f32_e32 v30, v22, v24
	v_sub_f32_e32 v22, v23, v22
	s_wait_alu 0xf1ff
	v_subrev_co_ci_u32_e64 v21, null, 0, v21, s7
	s_mov_b32 s7, 0x3e9b6dac
	v_sub_nc_u32_e32 v25, 0, v21
	v_cvt_f32_i32_e32 v21, v21
	s_delay_alu instid0(VALU_DEP_2) | instskip(NEXT) | instid1(VALU_DEP_1)
	v_ldexp_f32 v24, v24, v25
	v_dual_add_f32 v31, 1.0, v24 :: v_dual_add_f32 v30, 1.0, v30
	s_delay_alu instid0(VALU_DEP_1) | instskip(NEXT) | instid1(VALU_DEP_2)
	v_add_f32_e32 v22, v22, v30
	v_add_f32_e32 v30, -1.0, v31
	s_delay_alu instid0(VALU_DEP_2) | instskip(NEXT) | instid1(VALU_DEP_2)
	v_ldexp_f32 v22, v22, v25
	v_dual_add_f32 v25, -1.0, v24 :: v_dual_sub_f32 v30, v24, v30
	s_delay_alu instid0(VALU_DEP_1) | instskip(NEXT) | instid1(VALU_DEP_2)
	v_add_f32_e32 v32, 1.0, v25
	v_add_f32_e32 v30, v22, v30
	s_delay_alu instid0(VALU_DEP_2) | instskip(NEXT) | instid1(VALU_DEP_2)
	v_sub_f32_e32 v24, v24, v32
	v_add_f32_e32 v32, v31, v30
	s_delay_alu instid0(VALU_DEP_2) | instskip(NEXT) | instid1(VALU_DEP_2)
	v_add_f32_e32 v22, v22, v24
	v_rcp_f32_e32 v24, v32
	v_sub_f32_e32 v31, v31, v32
	s_delay_alu instid0(VALU_DEP_1) | instskip(NEXT) | instid1(VALU_DEP_1)
	v_dual_add_f32 v33, v25, v22 :: v_dual_add_f32 v30, v30, v31
	v_sub_f32_e32 v25, v25, v33
	s_delay_alu instid0(TRANS32_DEP_1) | instskip(NEXT) | instid1(VALU_DEP_1)
	v_mul_f32_e32 v34, v33, v24
	v_dual_add_f32 v22, v22, v25 :: v_dual_mul_f32 v35, v32, v34
	s_delay_alu instid0(VALU_DEP_1) | instskip(NEXT) | instid1(VALU_DEP_1)
	v_fma_f32 v31, v34, v32, -v35
	v_fmac_f32_e32 v31, v34, v30
	s_delay_alu instid0(VALU_DEP_1) | instskip(NEXT) | instid1(VALU_DEP_1)
	v_add_f32_e32 v36, v35, v31
	v_sub_f32_e32 v37, v33, v36
	v_sub_f32_e32 v25, v36, v35
	s_delay_alu instid0(VALU_DEP_2) | instskip(NEXT) | instid1(VALU_DEP_2)
	v_sub_f32_e32 v33, v33, v37
	v_sub_f32_e32 v25, v25, v31
	s_delay_alu instid0(VALU_DEP_2) | instskip(NEXT) | instid1(VALU_DEP_1)
	v_sub_f32_e32 v33, v33, v36
	v_add_f32_e32 v22, v22, v33
	s_delay_alu instid0(VALU_DEP_1) | instskip(NEXT) | instid1(VALU_DEP_1)
	v_add_f32_e32 v22, v25, v22
	v_add_f32_e32 v25, v37, v22
	s_delay_alu instid0(VALU_DEP_1) | instskip(NEXT) | instid1(VALU_DEP_1)
	v_mul_f32_e32 v31, v24, v25
	v_dual_sub_f32 v36, v37, v25 :: v_dual_mul_f32 v33, v32, v31
	s_delay_alu instid0(VALU_DEP_1) | instskip(NEXT) | instid1(VALU_DEP_2)
	v_add_f32_e32 v22, v22, v36
	v_fma_f32 v32, v31, v32, -v33
	s_delay_alu instid0(VALU_DEP_1) | instskip(NEXT) | instid1(VALU_DEP_1)
	v_fmac_f32_e32 v32, v31, v30
	v_add_f32_e32 v30, v33, v32
	s_delay_alu instid0(VALU_DEP_1) | instskip(SKIP_1) | instid1(VALU_DEP_2)
	v_sub_f32_e32 v35, v25, v30
	v_sub_f32_e32 v33, v30, v33
	;; [unrolled: 1-line block ×3, first 2 shown]
	s_delay_alu instid0(VALU_DEP_1) | instskip(NEXT) | instid1(VALU_DEP_3)
	v_sub_f32_e32 v25, v25, v30
	v_sub_f32_e32 v30, v33, v32
	s_delay_alu instid0(VALU_DEP_2) | instskip(SKIP_1) | instid1(VALU_DEP_2)
	v_add_f32_e32 v22, v22, v25
	v_add_f32_e32 v25, v34, v31
	;; [unrolled: 1-line block ×3, first 2 shown]
	s_delay_alu instid0(VALU_DEP_2) | instskip(NEXT) | instid1(VALU_DEP_2)
	v_sub_f32_e32 v30, v25, v34
	v_add_f32_e32 v22, v35, v22
	s_delay_alu instid0(VALU_DEP_2) | instskip(NEXT) | instid1(VALU_DEP_2)
	v_sub_f32_e32 v30, v31, v30
	v_mul_f32_e32 v22, v24, v22
	s_delay_alu instid0(VALU_DEP_1) | instskip(NEXT) | instid1(VALU_DEP_1)
	v_add_f32_e32 v22, v30, v22
	v_add_f32_e32 v24, v25, v22
	s_delay_alu instid0(VALU_DEP_1) | instskip(SKIP_1) | instid1(VALU_DEP_1)
	v_mul_f32_e32 v30, v24, v24
	s_wait_alu 0xfffe
	v_fmaak_f32 v31, s7, v30, 0x3ecc95a3
	v_mul_f32_e32 v32, v24, v30
	v_cmp_neq_f32_e64 s7, 0x7f800000, v23
	s_delay_alu instid0(VALU_DEP_3) | instskip(SKIP_2) | instid1(VALU_DEP_3)
	v_fmaak_f32 v30, v30, v31, 0x3f2aaada
	v_ldexp_f32 v31, v24, 1
	v_sub_f32_e32 v24, v24, v25
	v_mul_f32_e32 v30, v32, v30
	v_mul_f32_e32 v32, 0x3f317218, v21
	s_delay_alu instid0(VALU_DEP_2) | instskip(NEXT) | instid1(VALU_DEP_1)
	v_dual_sub_f32 v22, v22, v24 :: v_dual_add_f32 v25, v31, v30
	v_ldexp_f32 v22, v22, 1
	s_delay_alu instid0(VALU_DEP_2) | instskip(NEXT) | instid1(VALU_DEP_4)
	v_sub_f32_e32 v24, v25, v31
	v_fma_f32 v31, 0x3f317218, v21, -v32
	s_delay_alu instid0(VALU_DEP_1) | instskip(NEXT) | instid1(VALU_DEP_1)
	v_dual_sub_f32 v24, v30, v24 :: v_dual_fmamk_f32 v21, v21, 0xb102e308, v31
	v_add_f32_e32 v22, v22, v24
	s_delay_alu instid0(VALU_DEP_2) | instskip(NEXT) | instid1(VALU_DEP_2)
	v_add_f32_e32 v24, v32, v21
	v_add_f32_e32 v30, v25, v22
	s_delay_alu instid0(VALU_DEP_2) | instskip(NEXT) | instid1(VALU_DEP_2)
	v_sub_f32_e32 v32, v24, v32
	v_add_f32_e32 v31, v24, v30
	v_sub_f32_e32 v25, v30, v25
	s_delay_alu instid0(VALU_DEP_3) | instskip(NEXT) | instid1(VALU_DEP_2)
	v_sub_f32_e32 v21, v21, v32
	v_dual_sub_f32 v33, v31, v24 :: v_dual_sub_f32 v22, v22, v25
	s_delay_alu instid0(VALU_DEP_1) | instskip(NEXT) | instid1(VALU_DEP_2)
	v_sub_f32_e32 v34, v31, v33
	v_dual_sub_f32 v25, v30, v33 :: v_dual_add_f32 v30, v21, v22
	s_delay_alu instid0(VALU_DEP_2) | instskip(NEXT) | instid1(VALU_DEP_1)
	v_sub_f32_e32 v24, v24, v34
	v_dual_add_f32 v24, v25, v24 :: v_dual_sub_f32 v25, v30, v21
	s_delay_alu instid0(VALU_DEP_1) | instskip(NEXT) | instid1(VALU_DEP_2)
	v_add_f32_e32 v24, v30, v24
	v_sub_f32_e32 v30, v30, v25
	v_sub_f32_e32 v22, v22, v25
	s_delay_alu instid0(VALU_DEP_2) | instskip(NEXT) | instid1(VALU_DEP_1)
	v_dual_add_f32 v32, v31, v24 :: v_dual_sub_f32 v21, v21, v30
	v_sub_f32_e32 v25, v32, v31
	s_delay_alu instid0(VALU_DEP_2) | instskip(NEXT) | instid1(VALU_DEP_2)
	v_add_f32_e32 v21, v22, v21
	v_sub_f32_e32 v22, v24, v25
	s_delay_alu instid0(VALU_DEP_1) | instskip(NEXT) | instid1(VALU_DEP_1)
	v_add_f32_e32 v21, v21, v22
	v_add_f32_e32 v21, v32, v21
	s_wait_alu 0xf1ff
	s_delay_alu instid0(VALU_DEP_1) | instskip(SKIP_2) | instid1(VALU_DEP_1)
	v_cndmask_b32_e64 v21, 0x7f800000, v21, s7
	v_cmp_gt_f32_e64 s7, 0x33800000, |v23|
	s_wait_alu 0xf1ff
	v_cndmask_b32_e64 v21, v21, v23, s7
	s_delay_alu instid0(VALU_DEP_1)
	v_add_f32_e32 v21, v20, v21
.LBB508_216:
	s_or_b32 exec_lo, exec_lo, s8
	s_delay_alu instid0(VALU_DEP_1) | instskip(SKIP_1) | instid1(VALU_DEP_2)
	v_bfe_u32 v20, v21, 16, 1
	v_cmp_o_f32_e64 s7, v21, v21
	v_add3_u32 v20, v21, v20, 0x7fff
	s_delay_alu instid0(VALU_DEP_1) | instskip(SKIP_1) | instid1(VALU_DEP_1)
	v_and_b32_e32 v20, 0xffff0000, v20
	s_wait_alu 0xf1ff
	v_cndmask_b32_e64 v22, 0x7fc00000, v20, s7
	s_delay_alu instid0(VALU_DEP_1) | instskip(SKIP_2) | instid1(VALU_DEP_2)
	v_max_num_f32_e32 v21, v22, v22
	v_lshlrev_b32_e32 v14, 16, v14
	v_cmp_u_f32_e64 s7, v22, v22
	v_max_num_f32_e32 v20, v14, v14
	s_delay_alu instid0(VALU_DEP_1) | instskip(SKIP_2) | instid1(VALU_DEP_2)
	v_min_num_f32_e32 v23, v21, v20
	v_max_num_f32_e32 v21, v21, v20
	s_wait_alu 0xf1ff
	v_cndmask_b32_e64 v23, v23, v22, s7
	s_delay_alu instid0(VALU_DEP_2) | instskip(SKIP_2) | instid1(VALU_DEP_1)
	v_cndmask_b32_e64 v21, v21, v22, s7
	v_cmp_u_f32_e64 s7, v14, v14
	s_wait_alu 0xf1ff
	v_cndmask_b32_e64 v23, v23, v14, s7
	s_delay_alu instid0(VALU_DEP_3) | instskip(NEXT) | instid1(VALU_DEP_2)
	v_cndmask_b32_e64 v21, v21, v14, s7
	v_cmp_class_f32_e64 s9, v23, 0x1f8
	s_delay_alu instid0(VALU_DEP_2) | instskip(SKIP_1) | instid1(SALU_CYCLE_1)
	v_cmp_neq_f32_e64 s8, v23, v21
	s_or_b32 s8, s8, s9
	s_and_saveexec_b32 s9, s8
	s_cbranch_execz .LBB508_218
; %bb.217:
	v_sub_f32_e32 v22, v23, v21
	s_delay_alu instid0(VALU_DEP_1) | instskip(SKIP_1) | instid1(VALU_DEP_2)
	v_mul_f32_e32 v23, 0x3fb8aa3b, v22
	v_cmp_ngt_f32_e64 s8, 0xc2ce8ed0, v22
	v_fma_f32 v24, 0x3fb8aa3b, v22, -v23
	v_rndne_f32_e32 v25, v23
	s_delay_alu instid0(VALU_DEP_1) | instskip(NEXT) | instid1(VALU_DEP_1)
	v_dual_fmamk_f32 v24, v22, 0x32a5705f, v24 :: v_dual_sub_f32 v23, v23, v25
	v_add_f32_e32 v23, v23, v24
	v_cvt_i32_f32_e32 v24, v25
	s_delay_alu instid0(VALU_DEP_2) | instskip(NEXT) | instid1(TRANS32_DEP_1)
	v_exp_f32_e32 v23, v23
	v_ldexp_f32 v23, v23, v24
	s_delay_alu instid0(VALU_DEP_1) | instskip(SKIP_2) | instid1(VALU_DEP_1)
	v_cndmask_b32_e64 v23, 0, v23, s8
	v_cmp_nlt_f32_e64 s8, 0x42b17218, v22
	s_wait_alu 0xf1ff
	v_cndmask_b32_e64 v24, 0x7f800000, v23, s8
	s_delay_alu instid0(VALU_DEP_1) | instskip(NEXT) | instid1(VALU_DEP_1)
	v_add_f32_e32 v25, 1.0, v24
	v_cvt_f64_f32_e32 v[22:23], v25
	s_delay_alu instid0(VALU_DEP_1) | instskip(SKIP_1) | instid1(VALU_DEP_1)
	v_frexp_exp_i32_f64_e32 v22, v[22:23]
	v_frexp_mant_f32_e32 v23, v25
	v_cmp_gt_f32_e64 s8, 0x3f2aaaab, v23
	v_add_f32_e32 v23, -1.0, v25
	s_delay_alu instid0(VALU_DEP_1)
	v_sub_f32_e32 v31, v23, v25
	v_sub_f32_e32 v23, v24, v23
	s_wait_alu 0xf1ff
	v_subrev_co_ci_u32_e64 v22, null, 0, v22, s8
	s_mov_b32 s8, 0x3e9b6dac
	v_sub_nc_u32_e32 v30, 0, v22
	v_cvt_f32_i32_e32 v22, v22
	s_delay_alu instid0(VALU_DEP_2) | instskip(NEXT) | instid1(VALU_DEP_1)
	v_ldexp_f32 v25, v25, v30
	v_dual_add_f32 v32, 1.0, v25 :: v_dual_add_f32 v31, 1.0, v31
	s_delay_alu instid0(VALU_DEP_1) | instskip(NEXT) | instid1(VALU_DEP_2)
	v_add_f32_e32 v23, v23, v31
	v_add_f32_e32 v31, -1.0, v32
	s_delay_alu instid0(VALU_DEP_2) | instskip(NEXT) | instid1(VALU_DEP_2)
	v_ldexp_f32 v23, v23, v30
	v_dual_add_f32 v30, -1.0, v25 :: v_dual_sub_f32 v31, v25, v31
	s_delay_alu instid0(VALU_DEP_1) | instskip(NEXT) | instid1(VALU_DEP_2)
	v_add_f32_e32 v33, 1.0, v30
	v_add_f32_e32 v31, v23, v31
	s_delay_alu instid0(VALU_DEP_2) | instskip(NEXT) | instid1(VALU_DEP_2)
	v_sub_f32_e32 v25, v25, v33
	v_add_f32_e32 v33, v32, v31
	s_delay_alu instid0(VALU_DEP_2) | instskip(NEXT) | instid1(VALU_DEP_2)
	v_add_f32_e32 v23, v23, v25
	v_rcp_f32_e32 v25, v33
	v_sub_f32_e32 v32, v32, v33
	s_delay_alu instid0(VALU_DEP_1) | instskip(NEXT) | instid1(VALU_DEP_1)
	v_dual_add_f32 v34, v30, v23 :: v_dual_add_f32 v31, v31, v32
	v_sub_f32_e32 v30, v30, v34
	s_delay_alu instid0(TRANS32_DEP_1) | instskip(NEXT) | instid1(VALU_DEP_1)
	v_mul_f32_e32 v35, v34, v25
	v_dual_add_f32 v23, v23, v30 :: v_dual_mul_f32 v36, v33, v35
	s_delay_alu instid0(VALU_DEP_1) | instskip(NEXT) | instid1(VALU_DEP_1)
	v_fma_f32 v32, v35, v33, -v36
	v_fmac_f32_e32 v32, v35, v31
	s_delay_alu instid0(VALU_DEP_1) | instskip(NEXT) | instid1(VALU_DEP_1)
	v_add_f32_e32 v37, v36, v32
	v_sub_f32_e32 v38, v34, v37
	v_sub_f32_e32 v30, v37, v36
	s_delay_alu instid0(VALU_DEP_2) | instskip(NEXT) | instid1(VALU_DEP_2)
	v_sub_f32_e32 v34, v34, v38
	v_sub_f32_e32 v30, v30, v32
	s_delay_alu instid0(VALU_DEP_2) | instskip(NEXT) | instid1(VALU_DEP_1)
	v_sub_f32_e32 v34, v34, v37
	v_add_f32_e32 v23, v23, v34
	s_delay_alu instid0(VALU_DEP_1) | instskip(NEXT) | instid1(VALU_DEP_1)
	v_add_f32_e32 v23, v30, v23
	v_add_f32_e32 v30, v38, v23
	s_delay_alu instid0(VALU_DEP_1) | instskip(NEXT) | instid1(VALU_DEP_1)
	v_mul_f32_e32 v32, v25, v30
	v_dual_sub_f32 v37, v38, v30 :: v_dual_mul_f32 v34, v33, v32
	s_delay_alu instid0(VALU_DEP_1) | instskip(NEXT) | instid1(VALU_DEP_2)
	v_add_f32_e32 v23, v23, v37
	v_fma_f32 v33, v32, v33, -v34
	s_delay_alu instid0(VALU_DEP_1) | instskip(NEXT) | instid1(VALU_DEP_1)
	v_fmac_f32_e32 v33, v32, v31
	v_add_f32_e32 v31, v34, v33
	s_delay_alu instid0(VALU_DEP_1) | instskip(SKIP_1) | instid1(VALU_DEP_2)
	v_sub_f32_e32 v36, v30, v31
	v_sub_f32_e32 v34, v31, v34
	;; [unrolled: 1-line block ×3, first 2 shown]
	s_delay_alu instid0(VALU_DEP_1) | instskip(NEXT) | instid1(VALU_DEP_3)
	v_sub_f32_e32 v30, v30, v31
	v_sub_f32_e32 v31, v34, v33
	s_delay_alu instid0(VALU_DEP_2) | instskip(SKIP_1) | instid1(VALU_DEP_2)
	v_add_f32_e32 v23, v23, v30
	v_add_f32_e32 v30, v35, v32
	;; [unrolled: 1-line block ×3, first 2 shown]
	s_delay_alu instid0(VALU_DEP_2) | instskip(NEXT) | instid1(VALU_DEP_2)
	v_sub_f32_e32 v31, v30, v35
	v_add_f32_e32 v23, v36, v23
	s_delay_alu instid0(VALU_DEP_2) | instskip(NEXT) | instid1(VALU_DEP_2)
	v_sub_f32_e32 v31, v32, v31
	v_mul_f32_e32 v23, v25, v23
	s_delay_alu instid0(VALU_DEP_1) | instskip(NEXT) | instid1(VALU_DEP_1)
	v_add_f32_e32 v23, v31, v23
	v_add_f32_e32 v25, v30, v23
	s_delay_alu instid0(VALU_DEP_1) | instskip(SKIP_1) | instid1(VALU_DEP_1)
	v_mul_f32_e32 v31, v25, v25
	s_wait_alu 0xfffe
	v_fmaak_f32 v32, s8, v31, 0x3ecc95a3
	v_mul_f32_e32 v33, v25, v31
	v_cmp_neq_f32_e64 s8, 0x7f800000, v24
	s_delay_alu instid0(VALU_DEP_3) | instskip(SKIP_2) | instid1(VALU_DEP_3)
	v_fmaak_f32 v31, v31, v32, 0x3f2aaada
	v_ldexp_f32 v32, v25, 1
	v_sub_f32_e32 v25, v25, v30
	v_mul_f32_e32 v31, v33, v31
	v_mul_f32_e32 v33, 0x3f317218, v22
	s_delay_alu instid0(VALU_DEP_2) | instskip(NEXT) | instid1(VALU_DEP_1)
	v_dual_sub_f32 v23, v23, v25 :: v_dual_add_f32 v30, v32, v31
	v_ldexp_f32 v23, v23, 1
	s_delay_alu instid0(VALU_DEP_2) | instskip(NEXT) | instid1(VALU_DEP_4)
	v_sub_f32_e32 v25, v30, v32
	v_fma_f32 v32, 0x3f317218, v22, -v33
	s_delay_alu instid0(VALU_DEP_1) | instskip(NEXT) | instid1(VALU_DEP_1)
	v_dual_sub_f32 v25, v31, v25 :: v_dual_fmamk_f32 v22, v22, 0xb102e308, v32
	v_add_f32_e32 v23, v23, v25
	s_delay_alu instid0(VALU_DEP_2) | instskip(NEXT) | instid1(VALU_DEP_2)
	v_add_f32_e32 v25, v33, v22
	v_add_f32_e32 v31, v30, v23
	s_delay_alu instid0(VALU_DEP_2) | instskip(NEXT) | instid1(VALU_DEP_2)
	v_sub_f32_e32 v33, v25, v33
	v_add_f32_e32 v32, v25, v31
	v_sub_f32_e32 v30, v31, v30
	s_delay_alu instid0(VALU_DEP_3) | instskip(NEXT) | instid1(VALU_DEP_2)
	v_sub_f32_e32 v22, v22, v33
	v_dual_sub_f32 v34, v32, v25 :: v_dual_sub_f32 v23, v23, v30
	s_delay_alu instid0(VALU_DEP_1) | instskip(NEXT) | instid1(VALU_DEP_2)
	v_sub_f32_e32 v35, v32, v34
	v_dual_sub_f32 v30, v31, v34 :: v_dual_add_f32 v31, v22, v23
	s_delay_alu instid0(VALU_DEP_2) | instskip(NEXT) | instid1(VALU_DEP_1)
	v_sub_f32_e32 v25, v25, v35
	v_dual_add_f32 v25, v30, v25 :: v_dual_sub_f32 v30, v31, v22
	s_delay_alu instid0(VALU_DEP_1) | instskip(NEXT) | instid1(VALU_DEP_2)
	v_add_f32_e32 v25, v31, v25
	v_sub_f32_e32 v31, v31, v30
	v_sub_f32_e32 v23, v23, v30
	s_delay_alu instid0(VALU_DEP_2) | instskip(NEXT) | instid1(VALU_DEP_1)
	v_dual_add_f32 v33, v32, v25 :: v_dual_sub_f32 v22, v22, v31
	v_sub_f32_e32 v30, v33, v32
	s_delay_alu instid0(VALU_DEP_2) | instskip(NEXT) | instid1(VALU_DEP_2)
	v_add_f32_e32 v22, v23, v22
	v_sub_f32_e32 v23, v25, v30
	s_delay_alu instid0(VALU_DEP_1) | instskip(NEXT) | instid1(VALU_DEP_1)
	v_add_f32_e32 v22, v22, v23
	v_add_f32_e32 v22, v33, v22
	s_wait_alu 0xf1ff
	s_delay_alu instid0(VALU_DEP_1) | instskip(SKIP_2) | instid1(VALU_DEP_1)
	v_cndmask_b32_e64 v22, 0x7f800000, v22, s8
	v_cmp_gt_f32_e64 s8, 0x33800000, |v24|
	s_wait_alu 0xf1ff
	v_cndmask_b32_e64 v22, v22, v24, s8
	s_delay_alu instid0(VALU_DEP_1)
	v_add_f32_e32 v22, v21, v22
.LBB508_218:
	s_or_b32 exec_lo, exec_lo, s9
	s_delay_alu instid0(VALU_DEP_1) | instskip(SKIP_2) | instid1(VALU_DEP_3)
	v_bfe_u32 v21, v22, 16, 1
	v_cmp_o_f32_e64 s8, v22, v22
	v_lshlrev_b32_e32 v13, 16, v13
	v_add3_u32 v21, v22, v21, 0x7fff
	s_delay_alu instid0(VALU_DEP_1) | instskip(SKIP_1) | instid1(VALU_DEP_1)
	v_and_b32_e32 v21, 0xffff0000, v21
	s_wait_alu 0xf1ff
	v_cndmask_b32_e64 v23, 0x7fc00000, v21, s8
	s_delay_alu instid0(VALU_DEP_1) | instskip(SKIP_1) | instid1(VALU_DEP_2)
	v_dual_max_num_f32 v21, v13, v13 :: v_dual_max_num_f32 v22, v23, v23
	v_cmp_u_f32_e64 s8, v23, v23
	v_min_num_f32_e32 v24, v22, v21
	v_max_num_f32_e32 v22, v22, v21
	s_wait_alu 0xf1ff
	s_delay_alu instid0(VALU_DEP_2) | instskip(NEXT) | instid1(VALU_DEP_2)
	v_cndmask_b32_e64 v24, v24, v23, s8
	v_cndmask_b32_e64 v22, v22, v23, s8
	v_cmp_u_f32_e64 s8, v13, v13
	s_wait_alu 0xf1ff
	s_delay_alu instid0(VALU_DEP_1) | instskip(NEXT) | instid1(VALU_DEP_3)
	v_cndmask_b32_e64 v24, v24, v13, s8
	v_cndmask_b32_e64 v22, v22, v13, s8
	s_delay_alu instid0(VALU_DEP_2) | instskip(NEXT) | instid1(VALU_DEP_2)
	v_cmp_class_f32_e64 s10, v24, 0x1f8
	v_cmp_neq_f32_e64 s9, v24, v22
	s_or_b32 s9, s9, s10
	s_wait_alu 0xfffe
	s_and_saveexec_b32 s10, s9
	s_cbranch_execz .LBB508_220
; %bb.219:
	v_sub_f32_e32 v23, v24, v22
	s_delay_alu instid0(VALU_DEP_1) | instskip(SKIP_1) | instid1(VALU_DEP_2)
	v_mul_f32_e32 v24, 0x3fb8aa3b, v23
	v_cmp_ngt_f32_e64 s9, 0xc2ce8ed0, v23
	v_fma_f32 v25, 0x3fb8aa3b, v23, -v24
	v_rndne_f32_e32 v30, v24
	s_delay_alu instid0(VALU_DEP_1) | instskip(NEXT) | instid1(VALU_DEP_1)
	v_dual_fmamk_f32 v25, v23, 0x32a5705f, v25 :: v_dual_sub_f32 v24, v24, v30
	v_add_f32_e32 v24, v24, v25
	v_cvt_i32_f32_e32 v25, v30
	s_delay_alu instid0(VALU_DEP_2) | instskip(NEXT) | instid1(TRANS32_DEP_1)
	v_exp_f32_e32 v24, v24
	v_ldexp_f32 v24, v24, v25
	s_wait_alu 0xf1ff
	s_delay_alu instid0(VALU_DEP_1) | instskip(SKIP_2) | instid1(VALU_DEP_1)
	v_cndmask_b32_e64 v24, 0, v24, s9
	v_cmp_nlt_f32_e64 s9, 0x42b17218, v23
	s_wait_alu 0xf1ff
	v_cndmask_b32_e64 v25, 0x7f800000, v24, s9
	s_delay_alu instid0(VALU_DEP_1) | instskip(NEXT) | instid1(VALU_DEP_1)
	v_add_f32_e32 v30, 1.0, v25
	v_cvt_f64_f32_e32 v[23:24], v30
	s_delay_alu instid0(VALU_DEP_1) | instskip(SKIP_1) | instid1(VALU_DEP_1)
	v_frexp_exp_i32_f64_e32 v23, v[23:24]
	v_frexp_mant_f32_e32 v24, v30
	v_cmp_gt_f32_e64 s9, 0x3f2aaaab, v24
	v_add_f32_e32 v24, -1.0, v30
	s_delay_alu instid0(VALU_DEP_1)
	v_sub_f32_e32 v32, v24, v30
	v_sub_f32_e32 v24, v25, v24
	s_wait_alu 0xf1ff
	v_subrev_co_ci_u32_e64 v23, null, 0, v23, s9
	s_mov_b32 s9, 0x3e9b6dac
	v_sub_nc_u32_e32 v31, 0, v23
	v_cvt_f32_i32_e32 v23, v23
	s_delay_alu instid0(VALU_DEP_2) | instskip(NEXT) | instid1(VALU_DEP_1)
	v_ldexp_f32 v30, v30, v31
	v_dual_add_f32 v33, 1.0, v30 :: v_dual_add_f32 v32, 1.0, v32
	s_delay_alu instid0(VALU_DEP_1) | instskip(NEXT) | instid1(VALU_DEP_2)
	v_add_f32_e32 v24, v24, v32
	v_add_f32_e32 v32, -1.0, v33
	s_delay_alu instid0(VALU_DEP_2) | instskip(NEXT) | instid1(VALU_DEP_2)
	v_ldexp_f32 v24, v24, v31
	v_dual_add_f32 v31, -1.0, v30 :: v_dual_sub_f32 v32, v30, v32
	s_delay_alu instid0(VALU_DEP_1) | instskip(NEXT) | instid1(VALU_DEP_2)
	v_add_f32_e32 v34, 1.0, v31
	v_add_f32_e32 v32, v24, v32
	s_delay_alu instid0(VALU_DEP_2) | instskip(NEXT) | instid1(VALU_DEP_2)
	v_sub_f32_e32 v30, v30, v34
	v_add_f32_e32 v34, v33, v32
	s_delay_alu instid0(VALU_DEP_2) | instskip(NEXT) | instid1(VALU_DEP_2)
	v_add_f32_e32 v24, v24, v30
	v_rcp_f32_e32 v30, v34
	v_sub_f32_e32 v33, v33, v34
	s_delay_alu instid0(VALU_DEP_1) | instskip(NEXT) | instid1(VALU_DEP_1)
	v_dual_add_f32 v35, v31, v24 :: v_dual_add_f32 v32, v32, v33
	v_sub_f32_e32 v31, v31, v35
	s_delay_alu instid0(TRANS32_DEP_1) | instskip(NEXT) | instid1(VALU_DEP_1)
	v_mul_f32_e32 v36, v35, v30
	v_dual_add_f32 v24, v24, v31 :: v_dual_mul_f32 v37, v34, v36
	s_delay_alu instid0(VALU_DEP_1) | instskip(NEXT) | instid1(VALU_DEP_1)
	v_fma_f32 v33, v36, v34, -v37
	v_fmac_f32_e32 v33, v36, v32
	s_delay_alu instid0(VALU_DEP_1) | instskip(NEXT) | instid1(VALU_DEP_1)
	v_add_f32_e32 v38, v37, v33
	v_sub_f32_e32 v39, v35, v38
	v_sub_f32_e32 v31, v38, v37
	s_delay_alu instid0(VALU_DEP_2) | instskip(NEXT) | instid1(VALU_DEP_2)
	v_sub_f32_e32 v35, v35, v39
	v_sub_f32_e32 v31, v31, v33
	s_delay_alu instid0(VALU_DEP_2) | instskip(NEXT) | instid1(VALU_DEP_1)
	v_sub_f32_e32 v35, v35, v38
	v_add_f32_e32 v24, v24, v35
	s_delay_alu instid0(VALU_DEP_1) | instskip(NEXT) | instid1(VALU_DEP_1)
	v_add_f32_e32 v24, v31, v24
	v_add_f32_e32 v31, v39, v24
	s_delay_alu instid0(VALU_DEP_1) | instskip(NEXT) | instid1(VALU_DEP_1)
	v_mul_f32_e32 v33, v30, v31
	v_dual_sub_f32 v38, v39, v31 :: v_dual_mul_f32 v35, v34, v33
	s_delay_alu instid0(VALU_DEP_1) | instskip(NEXT) | instid1(VALU_DEP_2)
	v_add_f32_e32 v24, v24, v38
	v_fma_f32 v34, v33, v34, -v35
	s_delay_alu instid0(VALU_DEP_1) | instskip(NEXT) | instid1(VALU_DEP_1)
	v_fmac_f32_e32 v34, v33, v32
	v_add_f32_e32 v32, v35, v34
	s_delay_alu instid0(VALU_DEP_1) | instskip(SKIP_1) | instid1(VALU_DEP_2)
	v_sub_f32_e32 v37, v31, v32
	v_sub_f32_e32 v35, v32, v35
	;; [unrolled: 1-line block ×3, first 2 shown]
	s_delay_alu instid0(VALU_DEP_1) | instskip(NEXT) | instid1(VALU_DEP_3)
	v_sub_f32_e32 v31, v31, v32
	v_sub_f32_e32 v32, v35, v34
	s_delay_alu instid0(VALU_DEP_2) | instskip(SKIP_1) | instid1(VALU_DEP_2)
	v_add_f32_e32 v24, v24, v31
	v_add_f32_e32 v31, v36, v33
	v_add_f32_e32 v24, v32, v24
	s_delay_alu instid0(VALU_DEP_2) | instskip(NEXT) | instid1(VALU_DEP_2)
	v_sub_f32_e32 v32, v31, v36
	v_add_f32_e32 v24, v37, v24
	s_delay_alu instid0(VALU_DEP_2) | instskip(NEXT) | instid1(VALU_DEP_2)
	v_sub_f32_e32 v32, v33, v32
	v_mul_f32_e32 v24, v30, v24
	s_delay_alu instid0(VALU_DEP_1) | instskip(NEXT) | instid1(VALU_DEP_1)
	v_add_f32_e32 v24, v32, v24
	v_add_f32_e32 v30, v31, v24
	s_delay_alu instid0(VALU_DEP_1) | instskip(SKIP_1) | instid1(VALU_DEP_1)
	v_mul_f32_e32 v32, v30, v30
	s_wait_alu 0xfffe
	v_fmaak_f32 v33, s9, v32, 0x3ecc95a3
	v_mul_f32_e32 v34, v30, v32
	v_cmp_neq_f32_e64 s9, 0x7f800000, v25
	s_delay_alu instid0(VALU_DEP_3) | instskip(SKIP_2) | instid1(VALU_DEP_3)
	v_fmaak_f32 v32, v32, v33, 0x3f2aaada
	v_ldexp_f32 v33, v30, 1
	v_sub_f32_e32 v30, v30, v31
	v_mul_f32_e32 v32, v34, v32
	v_mul_f32_e32 v34, 0x3f317218, v23
	s_delay_alu instid0(VALU_DEP_2) | instskip(NEXT) | instid1(VALU_DEP_1)
	v_dual_sub_f32 v24, v24, v30 :: v_dual_add_f32 v31, v33, v32
	v_ldexp_f32 v24, v24, 1
	s_delay_alu instid0(VALU_DEP_2) | instskip(NEXT) | instid1(VALU_DEP_4)
	v_sub_f32_e32 v30, v31, v33
	v_fma_f32 v33, 0x3f317218, v23, -v34
	s_delay_alu instid0(VALU_DEP_1) | instskip(NEXT) | instid1(VALU_DEP_1)
	v_dual_sub_f32 v30, v32, v30 :: v_dual_fmamk_f32 v23, v23, 0xb102e308, v33
	v_add_f32_e32 v24, v24, v30
	s_delay_alu instid0(VALU_DEP_2) | instskip(NEXT) | instid1(VALU_DEP_2)
	v_add_f32_e32 v30, v34, v23
	v_add_f32_e32 v32, v31, v24
	s_delay_alu instid0(VALU_DEP_2) | instskip(NEXT) | instid1(VALU_DEP_2)
	v_sub_f32_e32 v34, v30, v34
	v_add_f32_e32 v33, v30, v32
	v_sub_f32_e32 v31, v32, v31
	s_delay_alu instid0(VALU_DEP_3) | instskip(NEXT) | instid1(VALU_DEP_2)
	v_sub_f32_e32 v23, v23, v34
	v_dual_sub_f32 v35, v33, v30 :: v_dual_sub_f32 v24, v24, v31
	s_delay_alu instid0(VALU_DEP_1) | instskip(NEXT) | instid1(VALU_DEP_2)
	v_sub_f32_e32 v36, v33, v35
	v_dual_sub_f32 v31, v32, v35 :: v_dual_add_f32 v32, v23, v24
	s_delay_alu instid0(VALU_DEP_2) | instskip(NEXT) | instid1(VALU_DEP_1)
	v_sub_f32_e32 v30, v30, v36
	v_dual_add_f32 v30, v31, v30 :: v_dual_sub_f32 v31, v32, v23
	s_delay_alu instid0(VALU_DEP_1) | instskip(NEXT) | instid1(VALU_DEP_2)
	v_add_f32_e32 v30, v32, v30
	v_sub_f32_e32 v32, v32, v31
	v_sub_f32_e32 v24, v24, v31
	s_delay_alu instid0(VALU_DEP_2) | instskip(NEXT) | instid1(VALU_DEP_1)
	v_dual_add_f32 v34, v33, v30 :: v_dual_sub_f32 v23, v23, v32
	v_sub_f32_e32 v31, v34, v33
	s_delay_alu instid0(VALU_DEP_2) | instskip(NEXT) | instid1(VALU_DEP_2)
	v_add_f32_e32 v23, v24, v23
	v_sub_f32_e32 v24, v30, v31
	s_delay_alu instid0(VALU_DEP_1) | instskip(NEXT) | instid1(VALU_DEP_1)
	v_add_f32_e32 v23, v23, v24
	v_add_f32_e32 v23, v34, v23
	s_wait_alu 0xf1ff
	s_delay_alu instid0(VALU_DEP_1) | instskip(SKIP_2) | instid1(VALU_DEP_1)
	v_cndmask_b32_e64 v23, 0x7f800000, v23, s9
	v_cmp_gt_f32_e64 s9, 0x33800000, |v25|
	s_wait_alu 0xf1ff
	v_cndmask_b32_e64 v23, v23, v25, s9
	s_delay_alu instid0(VALU_DEP_1)
	v_add_f32_e32 v23, v22, v23
.LBB508_220:
	s_or_b32 exec_lo, exec_lo, s10
	s_delay_alu instid0(VALU_DEP_1) | instskip(SKIP_1) | instid1(VALU_DEP_2)
	v_bfe_u32 v22, v23, 16, 1
	v_cmp_o_f32_e64 s9, v23, v23
	v_add3_u32 v22, v23, v22, 0x7fff
	s_delay_alu instid0(VALU_DEP_1) | instskip(SKIP_1) | instid1(VALU_DEP_1)
	v_and_b32_e32 v22, 0xffff0000, v22
	s_wait_alu 0xf1ff
	v_cndmask_b32_e64 v24, 0x7fc00000, v22, s9
	s_delay_alu instid0(VALU_DEP_1) | instskip(SKIP_2) | instid1(VALU_DEP_2)
	v_max_num_f32_e32 v23, v24, v24
	v_lshlrev_b32_e32 v12, 16, v12
	v_cmp_u_f32_e64 s9, v24, v24
	v_max_num_f32_e32 v22, v12, v12
	s_delay_alu instid0(VALU_DEP_1) | instskip(SKIP_2) | instid1(VALU_DEP_2)
	v_min_num_f32_e32 v25, v23, v22
	v_max_num_f32_e32 v23, v23, v22
	s_wait_alu 0xf1ff
	v_cndmask_b32_e64 v25, v25, v24, s9
	s_delay_alu instid0(VALU_DEP_2) | instskip(SKIP_2) | instid1(VALU_DEP_1)
	v_cndmask_b32_e64 v23, v23, v24, s9
	v_cmp_u_f32_e64 s9, v12, v12
	s_wait_alu 0xf1ff
	v_cndmask_b32_e64 v25, v25, v12, s9
	s_delay_alu instid0(VALU_DEP_3) | instskip(NEXT) | instid1(VALU_DEP_2)
	v_cndmask_b32_e64 v23, v23, v12, s9
	v_cmp_class_f32_e64 s11, v25, 0x1f8
	s_delay_alu instid0(VALU_DEP_2) | instskip(SKIP_1) | instid1(SALU_CYCLE_1)
	v_cmp_neq_f32_e64 s10, v25, v23
	s_or_b32 s10, s10, s11
	s_and_saveexec_b32 s11, s10
	s_cbranch_execz .LBB508_222
; %bb.221:
	v_sub_f32_e32 v24, v25, v23
	s_delay_alu instid0(VALU_DEP_1) | instskip(SKIP_1) | instid1(VALU_DEP_2)
	v_mul_f32_e32 v25, 0x3fb8aa3b, v24
	v_cmp_ngt_f32_e64 s10, 0xc2ce8ed0, v24
	v_fma_f32 v30, 0x3fb8aa3b, v24, -v25
	v_rndne_f32_e32 v31, v25
	s_delay_alu instid0(VALU_DEP_1) | instskip(NEXT) | instid1(VALU_DEP_1)
	v_dual_fmamk_f32 v30, v24, 0x32a5705f, v30 :: v_dual_sub_f32 v25, v25, v31
	v_add_f32_e32 v25, v25, v30
	v_cvt_i32_f32_e32 v30, v31
	s_delay_alu instid0(VALU_DEP_2) | instskip(NEXT) | instid1(TRANS32_DEP_1)
	v_exp_f32_e32 v25, v25
	v_ldexp_f32 v25, v25, v30
	s_delay_alu instid0(VALU_DEP_1) | instskip(SKIP_2) | instid1(VALU_DEP_1)
	v_cndmask_b32_e64 v25, 0, v25, s10
	v_cmp_nlt_f32_e64 s10, 0x42b17218, v24
	s_wait_alu 0xf1ff
	v_cndmask_b32_e64 v30, 0x7f800000, v25, s10
	s_delay_alu instid0(VALU_DEP_1) | instskip(NEXT) | instid1(VALU_DEP_1)
	v_add_f32_e32 v31, 1.0, v30
	v_cvt_f64_f32_e32 v[24:25], v31
	s_delay_alu instid0(VALU_DEP_1) | instskip(SKIP_1) | instid1(VALU_DEP_1)
	v_frexp_exp_i32_f64_e32 v24, v[24:25]
	v_frexp_mant_f32_e32 v25, v31
	v_cmp_gt_f32_e64 s10, 0x3f2aaaab, v25
	v_add_f32_e32 v25, -1.0, v31
	s_delay_alu instid0(VALU_DEP_1)
	v_sub_f32_e32 v33, v25, v31
	v_sub_f32_e32 v25, v30, v25
	s_wait_alu 0xf1ff
	v_subrev_co_ci_u32_e64 v24, null, 0, v24, s10
	s_mov_b32 s10, 0x3e9b6dac
	v_sub_nc_u32_e32 v32, 0, v24
	v_cvt_f32_i32_e32 v24, v24
	s_delay_alu instid0(VALU_DEP_2) | instskip(NEXT) | instid1(VALU_DEP_1)
	v_ldexp_f32 v31, v31, v32
	v_dual_add_f32 v34, 1.0, v31 :: v_dual_add_f32 v33, 1.0, v33
	s_delay_alu instid0(VALU_DEP_1) | instskip(NEXT) | instid1(VALU_DEP_2)
	v_add_f32_e32 v25, v25, v33
	v_add_f32_e32 v33, -1.0, v34
	s_delay_alu instid0(VALU_DEP_2) | instskip(NEXT) | instid1(VALU_DEP_2)
	v_ldexp_f32 v25, v25, v32
	v_dual_add_f32 v32, -1.0, v31 :: v_dual_sub_f32 v33, v31, v33
	s_delay_alu instid0(VALU_DEP_1) | instskip(NEXT) | instid1(VALU_DEP_2)
	v_add_f32_e32 v35, 1.0, v32
	v_add_f32_e32 v33, v25, v33
	s_delay_alu instid0(VALU_DEP_2) | instskip(NEXT) | instid1(VALU_DEP_2)
	v_sub_f32_e32 v31, v31, v35
	v_add_f32_e32 v35, v34, v33
	s_delay_alu instid0(VALU_DEP_2) | instskip(NEXT) | instid1(VALU_DEP_2)
	v_add_f32_e32 v25, v25, v31
	v_rcp_f32_e32 v31, v35
	v_sub_f32_e32 v34, v34, v35
	s_delay_alu instid0(VALU_DEP_1) | instskip(NEXT) | instid1(VALU_DEP_1)
	v_dual_add_f32 v36, v32, v25 :: v_dual_add_f32 v33, v33, v34
	v_sub_f32_e32 v32, v32, v36
	s_delay_alu instid0(TRANS32_DEP_1) | instskip(NEXT) | instid1(VALU_DEP_1)
	v_mul_f32_e32 v37, v36, v31
	v_dual_add_f32 v25, v25, v32 :: v_dual_mul_f32 v38, v35, v37
	s_delay_alu instid0(VALU_DEP_1) | instskip(NEXT) | instid1(VALU_DEP_1)
	v_fma_f32 v34, v37, v35, -v38
	v_fmac_f32_e32 v34, v37, v33
	s_delay_alu instid0(VALU_DEP_1) | instskip(NEXT) | instid1(VALU_DEP_1)
	v_add_f32_e32 v39, v38, v34
	v_sub_f32_e32 v40, v36, v39
	v_sub_f32_e32 v32, v39, v38
	s_delay_alu instid0(VALU_DEP_2) | instskip(NEXT) | instid1(VALU_DEP_2)
	v_sub_f32_e32 v36, v36, v40
	v_sub_f32_e32 v32, v32, v34
	s_delay_alu instid0(VALU_DEP_2) | instskip(NEXT) | instid1(VALU_DEP_1)
	v_sub_f32_e32 v36, v36, v39
	v_add_f32_e32 v25, v25, v36
	s_delay_alu instid0(VALU_DEP_1) | instskip(NEXT) | instid1(VALU_DEP_1)
	v_add_f32_e32 v25, v32, v25
	v_add_f32_e32 v32, v40, v25
	s_delay_alu instid0(VALU_DEP_1) | instskip(NEXT) | instid1(VALU_DEP_1)
	v_mul_f32_e32 v34, v31, v32
	v_dual_sub_f32 v39, v40, v32 :: v_dual_mul_f32 v36, v35, v34
	s_delay_alu instid0(VALU_DEP_1) | instskip(NEXT) | instid1(VALU_DEP_2)
	v_add_f32_e32 v25, v25, v39
	v_fma_f32 v35, v34, v35, -v36
	s_delay_alu instid0(VALU_DEP_1) | instskip(NEXT) | instid1(VALU_DEP_1)
	v_fmac_f32_e32 v35, v34, v33
	v_add_f32_e32 v33, v36, v35
	s_delay_alu instid0(VALU_DEP_1) | instskip(SKIP_1) | instid1(VALU_DEP_2)
	v_sub_f32_e32 v38, v32, v33
	v_sub_f32_e32 v36, v33, v36
	;; [unrolled: 1-line block ×3, first 2 shown]
	s_delay_alu instid0(VALU_DEP_1) | instskip(NEXT) | instid1(VALU_DEP_3)
	v_sub_f32_e32 v32, v32, v33
	v_sub_f32_e32 v33, v36, v35
	s_delay_alu instid0(VALU_DEP_2) | instskip(SKIP_1) | instid1(VALU_DEP_2)
	v_add_f32_e32 v25, v25, v32
	v_add_f32_e32 v32, v37, v34
	;; [unrolled: 1-line block ×3, first 2 shown]
	s_delay_alu instid0(VALU_DEP_2) | instskip(NEXT) | instid1(VALU_DEP_2)
	v_sub_f32_e32 v33, v32, v37
	v_add_f32_e32 v25, v38, v25
	s_delay_alu instid0(VALU_DEP_2) | instskip(NEXT) | instid1(VALU_DEP_2)
	v_sub_f32_e32 v33, v34, v33
	v_mul_f32_e32 v25, v31, v25
	s_delay_alu instid0(VALU_DEP_1) | instskip(NEXT) | instid1(VALU_DEP_1)
	v_add_f32_e32 v25, v33, v25
	v_add_f32_e32 v31, v32, v25
	s_delay_alu instid0(VALU_DEP_1) | instskip(SKIP_1) | instid1(VALU_DEP_1)
	v_mul_f32_e32 v33, v31, v31
	s_wait_alu 0xfffe
	v_fmaak_f32 v34, s10, v33, 0x3ecc95a3
	v_mul_f32_e32 v35, v31, v33
	v_cmp_neq_f32_e64 s10, 0x7f800000, v30
	s_delay_alu instid0(VALU_DEP_3) | instskip(SKIP_2) | instid1(VALU_DEP_3)
	v_fmaak_f32 v33, v33, v34, 0x3f2aaada
	v_ldexp_f32 v34, v31, 1
	v_sub_f32_e32 v31, v31, v32
	v_mul_f32_e32 v33, v35, v33
	v_mul_f32_e32 v35, 0x3f317218, v24
	s_delay_alu instid0(VALU_DEP_2) | instskip(NEXT) | instid1(VALU_DEP_1)
	v_dual_sub_f32 v25, v25, v31 :: v_dual_add_f32 v32, v34, v33
	v_ldexp_f32 v25, v25, 1
	s_delay_alu instid0(VALU_DEP_2) | instskip(NEXT) | instid1(VALU_DEP_4)
	v_sub_f32_e32 v31, v32, v34
	v_fma_f32 v34, 0x3f317218, v24, -v35
	s_delay_alu instid0(VALU_DEP_1) | instskip(NEXT) | instid1(VALU_DEP_1)
	v_dual_sub_f32 v31, v33, v31 :: v_dual_fmamk_f32 v24, v24, 0xb102e308, v34
	v_add_f32_e32 v25, v25, v31
	s_delay_alu instid0(VALU_DEP_2) | instskip(NEXT) | instid1(VALU_DEP_2)
	v_add_f32_e32 v31, v35, v24
	v_add_f32_e32 v33, v32, v25
	s_delay_alu instid0(VALU_DEP_2) | instskip(NEXT) | instid1(VALU_DEP_2)
	v_sub_f32_e32 v35, v31, v35
	v_add_f32_e32 v34, v31, v33
	v_sub_f32_e32 v32, v33, v32
	s_delay_alu instid0(VALU_DEP_3) | instskip(NEXT) | instid1(VALU_DEP_2)
	v_sub_f32_e32 v24, v24, v35
	v_dual_sub_f32 v36, v34, v31 :: v_dual_sub_f32 v25, v25, v32
	s_delay_alu instid0(VALU_DEP_1) | instskip(NEXT) | instid1(VALU_DEP_2)
	v_sub_f32_e32 v37, v34, v36
	v_dual_sub_f32 v32, v33, v36 :: v_dual_add_f32 v33, v24, v25
	s_delay_alu instid0(VALU_DEP_2) | instskip(NEXT) | instid1(VALU_DEP_1)
	v_sub_f32_e32 v31, v31, v37
	v_dual_add_f32 v31, v32, v31 :: v_dual_sub_f32 v32, v33, v24
	s_delay_alu instid0(VALU_DEP_1) | instskip(NEXT) | instid1(VALU_DEP_2)
	v_add_f32_e32 v31, v33, v31
	v_sub_f32_e32 v33, v33, v32
	v_sub_f32_e32 v25, v25, v32
	s_delay_alu instid0(VALU_DEP_2) | instskip(NEXT) | instid1(VALU_DEP_1)
	v_dual_add_f32 v35, v34, v31 :: v_dual_sub_f32 v24, v24, v33
	v_sub_f32_e32 v32, v35, v34
	s_delay_alu instid0(VALU_DEP_2) | instskip(NEXT) | instid1(VALU_DEP_2)
	v_add_f32_e32 v24, v25, v24
	v_sub_f32_e32 v25, v31, v32
	s_delay_alu instid0(VALU_DEP_1) | instskip(NEXT) | instid1(VALU_DEP_1)
	v_add_f32_e32 v24, v24, v25
	v_add_f32_e32 v24, v35, v24
	s_wait_alu 0xf1ff
	s_delay_alu instid0(VALU_DEP_1) | instskip(SKIP_2) | instid1(VALU_DEP_1)
	v_cndmask_b32_e64 v24, 0x7f800000, v24, s10
	v_cmp_gt_f32_e64 s10, 0x33800000, |v30|
	s_wait_alu 0xf1ff
	v_cndmask_b32_e64 v24, v24, v30, s10
	s_delay_alu instid0(VALU_DEP_1)
	v_add_f32_e32 v24, v23, v24
.LBB508_222:
	s_or_b32 exec_lo, exec_lo, s11
	s_delay_alu instid0(VALU_DEP_1) | instskip(SKIP_2) | instid1(VALU_DEP_3)
	v_bfe_u32 v23, v24, 16, 1
	v_cmp_o_f32_e64 s10, v24, v24
	v_lshlrev_b32_e32 v11, 16, v11
	v_add3_u32 v23, v24, v23, 0x7fff
	s_delay_alu instid0(VALU_DEP_1) | instskip(SKIP_1) | instid1(VALU_DEP_1)
	v_and_b32_e32 v23, 0xffff0000, v23
	s_wait_alu 0xf1ff
	v_cndmask_b32_e64 v25, 0x7fc00000, v23, s10
	s_delay_alu instid0(VALU_DEP_1) | instskip(SKIP_1) | instid1(VALU_DEP_2)
	v_dual_max_num_f32 v23, v11, v11 :: v_dual_max_num_f32 v24, v25, v25
	v_cmp_u_f32_e64 s10, v25, v25
	v_min_num_f32_e32 v30, v24, v23
	v_max_num_f32_e32 v24, v24, v23
	s_wait_alu 0xf1ff
	s_delay_alu instid0(VALU_DEP_2) | instskip(NEXT) | instid1(VALU_DEP_2)
	v_cndmask_b32_e64 v30, v30, v25, s10
	v_cndmask_b32_e64 v24, v24, v25, s10
	v_cmp_u_f32_e64 s10, v11, v11
	s_wait_alu 0xf1ff
	s_delay_alu instid0(VALU_DEP_1) | instskip(NEXT) | instid1(VALU_DEP_3)
	v_cndmask_b32_e64 v30, v30, v11, s10
	v_cndmask_b32_e64 v24, v24, v11, s10
	s_delay_alu instid0(VALU_DEP_2) | instskip(NEXT) | instid1(VALU_DEP_2)
	v_cmp_class_f32_e64 s12, v30, 0x1f8
	v_cmp_neq_f32_e64 s11, v30, v24
	s_or_b32 s11, s11, s12
	s_wait_alu 0xfffe
	s_and_saveexec_b32 s12, s11
	s_cbranch_execz .LBB508_224
; %bb.223:
	v_sub_f32_e32 v25, v30, v24
	s_delay_alu instid0(VALU_DEP_1) | instskip(SKIP_1) | instid1(VALU_DEP_2)
	v_mul_f32_e32 v30, 0x3fb8aa3b, v25
	v_cmp_ngt_f32_e64 s11, 0xc2ce8ed0, v25
	v_fma_f32 v31, 0x3fb8aa3b, v25, -v30
	v_rndne_f32_e32 v32, v30
	s_delay_alu instid0(VALU_DEP_1) | instskip(NEXT) | instid1(VALU_DEP_1)
	v_dual_fmamk_f32 v31, v25, 0x32a5705f, v31 :: v_dual_sub_f32 v30, v30, v32
	v_add_f32_e32 v30, v30, v31
	v_cvt_i32_f32_e32 v31, v32
	s_delay_alu instid0(VALU_DEP_2) | instskip(NEXT) | instid1(TRANS32_DEP_1)
	v_exp_f32_e32 v30, v30
	v_ldexp_f32 v30, v30, v31
	s_wait_alu 0xf1ff
	s_delay_alu instid0(VALU_DEP_1) | instskip(SKIP_2) | instid1(VALU_DEP_1)
	v_cndmask_b32_e64 v30, 0, v30, s11
	v_cmp_nlt_f32_e64 s11, 0x42b17218, v25
	s_wait_alu 0xf1ff
	v_cndmask_b32_e64 v25, 0x7f800000, v30, s11
	s_delay_alu instid0(VALU_DEP_1) | instskip(NEXT) | instid1(VALU_DEP_1)
	v_add_f32_e32 v32, 1.0, v25
	v_cvt_f64_f32_e32 v[30:31], v32
	s_delay_alu instid0(VALU_DEP_1) | instskip(SKIP_1) | instid1(VALU_DEP_1)
	v_frexp_exp_i32_f64_e32 v30, v[30:31]
	v_frexp_mant_f32_e32 v31, v32
	v_cmp_gt_f32_e64 s11, 0x3f2aaaab, v31
	v_add_f32_e32 v31, -1.0, v32
	s_delay_alu instid0(VALU_DEP_1) | instskip(NEXT) | instid1(VALU_DEP_1)
	v_dual_sub_f32 v34, v31, v32 :: v_dual_sub_f32 v31, v25, v31
	v_add_f32_e32 v34, 1.0, v34
	s_wait_alu 0xf1ff
	v_subrev_co_ci_u32_e64 v30, null, 0, v30, s11
	s_mov_b32 s11, 0x3e9b6dac
	v_sub_nc_u32_e32 v33, 0, v30
	v_cvt_f32_i32_e32 v30, v30
	s_delay_alu instid0(VALU_DEP_2) | instskip(NEXT) | instid1(VALU_DEP_1)
	v_ldexp_f32 v32, v32, v33
	v_add_f32_e32 v35, 1.0, v32
	s_delay_alu instid0(VALU_DEP_1) | instskip(NEXT) | instid1(VALU_DEP_1)
	v_dual_add_f32 v31, v31, v34 :: v_dual_add_f32 v34, -1.0, v35
	v_ldexp_f32 v31, v31, v33
	s_delay_alu instid0(VALU_DEP_2) | instskip(NEXT) | instid1(VALU_DEP_1)
	v_dual_add_f32 v33, -1.0, v32 :: v_dual_sub_f32 v34, v32, v34
	v_add_f32_e32 v36, 1.0, v33
	s_delay_alu instid0(VALU_DEP_2) | instskip(NEXT) | instid1(VALU_DEP_2)
	v_add_f32_e32 v34, v31, v34
	v_sub_f32_e32 v32, v32, v36
	s_delay_alu instid0(VALU_DEP_1) | instskip(NEXT) | instid1(VALU_DEP_1)
	v_add_f32_e32 v31, v31, v32
	v_dual_add_f32 v37, v33, v31 :: v_dual_add_f32 v36, v35, v34
	s_delay_alu instid0(VALU_DEP_1) | instskip(NEXT) | instid1(VALU_DEP_2)
	v_sub_f32_e32 v33, v33, v37
	v_rcp_f32_e32 v32, v36
	v_sub_f32_e32 v35, v35, v36
	s_delay_alu instid0(VALU_DEP_1) | instskip(NEXT) | instid1(TRANS32_DEP_1)
	v_dual_add_f32 v31, v31, v33 :: v_dual_add_f32 v34, v34, v35
	v_mul_f32_e32 v38, v37, v32
	s_delay_alu instid0(VALU_DEP_1) | instskip(NEXT) | instid1(VALU_DEP_1)
	v_mul_f32_e32 v39, v36, v38
	v_fma_f32 v35, v38, v36, -v39
	s_delay_alu instid0(VALU_DEP_1) | instskip(NEXT) | instid1(VALU_DEP_1)
	v_fmac_f32_e32 v35, v38, v34
	v_add_f32_e32 v40, v39, v35
	s_delay_alu instid0(VALU_DEP_1) | instskip(NEXT) | instid1(VALU_DEP_1)
	v_sub_f32_e32 v41, v37, v40
	v_sub_f32_e32 v37, v37, v41
	;; [unrolled: 1-line block ×3, first 2 shown]
	s_delay_alu instid0(VALU_DEP_2) | instskip(NEXT) | instid1(VALU_DEP_2)
	v_sub_f32_e32 v37, v37, v40
	v_sub_f32_e32 v33, v33, v35
	s_delay_alu instid0(VALU_DEP_2) | instskip(NEXT) | instid1(VALU_DEP_1)
	v_add_f32_e32 v31, v31, v37
	v_add_f32_e32 v31, v33, v31
	s_delay_alu instid0(VALU_DEP_1) | instskip(NEXT) | instid1(VALU_DEP_1)
	v_add_f32_e32 v33, v41, v31
	v_mul_f32_e32 v35, v32, v33
	s_delay_alu instid0(VALU_DEP_1) | instskip(NEXT) | instid1(VALU_DEP_1)
	v_dual_sub_f32 v40, v41, v33 :: v_dual_mul_f32 v37, v36, v35
	v_add_f32_e32 v31, v31, v40
	s_delay_alu instid0(VALU_DEP_2) | instskip(NEXT) | instid1(VALU_DEP_1)
	v_fma_f32 v36, v35, v36, -v37
	v_fmac_f32_e32 v36, v35, v34
	s_delay_alu instid0(VALU_DEP_1) | instskip(NEXT) | instid1(VALU_DEP_1)
	v_add_f32_e32 v34, v37, v36
	v_sub_f32_e32 v39, v33, v34
	v_sub_f32_e32 v37, v34, v37
	s_delay_alu instid0(VALU_DEP_2) | instskip(NEXT) | instid1(VALU_DEP_1)
	v_sub_f32_e32 v33, v33, v39
	v_sub_f32_e32 v33, v33, v34
	s_delay_alu instid0(VALU_DEP_1) | instskip(SKIP_1) | instid1(VALU_DEP_1)
	v_dual_sub_f32 v34, v37, v36 :: v_dual_add_f32 v31, v31, v33
	v_add_f32_e32 v33, v38, v35
	v_dual_add_f32 v31, v34, v31 :: v_dual_sub_f32 v34, v33, v38
	s_delay_alu instid0(VALU_DEP_1) | instskip(NEXT) | instid1(VALU_DEP_1)
	v_add_f32_e32 v31, v39, v31
	v_dual_sub_f32 v34, v35, v34 :: v_dual_mul_f32 v31, v32, v31
	s_delay_alu instid0(VALU_DEP_1) | instskip(NEXT) | instid1(VALU_DEP_1)
	v_add_f32_e32 v31, v34, v31
	v_add_f32_e32 v32, v33, v31
	s_delay_alu instid0(VALU_DEP_1) | instskip(SKIP_1) | instid1(VALU_DEP_1)
	v_mul_f32_e32 v34, v32, v32
	s_wait_alu 0xfffe
	v_fmaak_f32 v35, s11, v34, 0x3ecc95a3
	v_mul_f32_e32 v36, v32, v34
	v_cmp_neq_f32_e64 s11, 0x7f800000, v25
	s_delay_alu instid0(VALU_DEP_3) | instskip(SKIP_2) | instid1(VALU_DEP_3)
	v_fmaak_f32 v34, v34, v35, 0x3f2aaada
	v_ldexp_f32 v35, v32, 1
	v_sub_f32_e32 v32, v32, v33
	v_mul_f32_e32 v34, v36, v34
	s_delay_alu instid0(VALU_DEP_2) | instskip(NEXT) | instid1(VALU_DEP_2)
	v_dual_mul_f32 v36, 0x3f317218, v30 :: v_dual_sub_f32 v31, v31, v32
	v_add_f32_e32 v33, v35, v34
	s_delay_alu instid0(VALU_DEP_2) | instskip(NEXT) | instid1(VALU_DEP_2)
	v_ldexp_f32 v31, v31, 1
	v_sub_f32_e32 v32, v33, v35
	s_delay_alu instid0(VALU_DEP_4) | instskip(NEXT) | instid1(VALU_DEP_2)
	v_fma_f32 v35, 0x3f317218, v30, -v36
	v_sub_f32_e32 v32, v34, v32
	s_delay_alu instid0(VALU_DEP_1) | instskip(NEXT) | instid1(VALU_DEP_1)
	v_dual_fmamk_f32 v30, v30, 0xb102e308, v35 :: v_dual_add_f32 v31, v31, v32
	v_add_f32_e32 v32, v36, v30
	s_delay_alu instid0(VALU_DEP_1) | instskip(NEXT) | instid1(VALU_DEP_1)
	v_sub_f32_e32 v36, v32, v36
	v_sub_f32_e32 v30, v30, v36
	s_delay_alu instid0(VALU_DEP_4) | instskip(NEXT) | instid1(VALU_DEP_1)
	v_add_f32_e32 v34, v33, v31
	v_sub_f32_e32 v33, v34, v33
	s_delay_alu instid0(VALU_DEP_1) | instskip(SKIP_1) | instid1(VALU_DEP_1)
	v_sub_f32_e32 v31, v31, v33
	v_add_f32_e32 v35, v32, v34
	v_sub_f32_e32 v37, v35, v32
	s_delay_alu instid0(VALU_DEP_1) | instskip(NEXT) | instid1(VALU_DEP_4)
	v_sub_f32_e32 v33, v34, v37
	v_add_f32_e32 v34, v30, v31
	v_sub_f32_e32 v38, v35, v37
	s_delay_alu instid0(VALU_DEP_1) | instskip(NEXT) | instid1(VALU_DEP_1)
	v_sub_f32_e32 v32, v32, v38
	v_dual_add_f32 v32, v33, v32 :: v_dual_sub_f32 v33, v34, v30
	s_delay_alu instid0(VALU_DEP_1) | instskip(SKIP_1) | instid1(VALU_DEP_2)
	v_dual_add_f32 v32, v34, v32 :: v_dual_sub_f32 v31, v31, v33
	v_sub_f32_e32 v34, v34, v33
	v_add_f32_e32 v36, v35, v32
	s_delay_alu instid0(VALU_DEP_1) | instskip(NEXT) | instid1(VALU_DEP_1)
	v_dual_sub_f32 v30, v30, v34 :: v_dual_sub_f32 v33, v36, v35
	v_dual_add_f32 v30, v31, v30 :: v_dual_sub_f32 v31, v32, v33
	s_delay_alu instid0(VALU_DEP_1) | instskip(NEXT) | instid1(VALU_DEP_1)
	v_add_f32_e32 v30, v30, v31
	v_add_f32_e32 v30, v36, v30
	s_wait_alu 0xf1ff
	s_delay_alu instid0(VALU_DEP_1) | instskip(SKIP_2) | instid1(VALU_DEP_1)
	v_cndmask_b32_e64 v30, 0x7f800000, v30, s11
	v_cmp_gt_f32_e64 s11, 0x33800000, |v25|
	s_wait_alu 0xf1ff
	v_cndmask_b32_e64 v25, v30, v25, s11
	s_delay_alu instid0(VALU_DEP_1)
	v_add_f32_e32 v25, v24, v25
.LBB508_224:
	s_wait_alu 0xfffe
	s_or_b32 exec_lo, exec_lo, s12
	s_delay_alu instid0(VALU_DEP_1) | instskip(SKIP_1) | instid1(VALU_DEP_2)
	v_bfe_u32 v24, v25, 16, 1
	v_cmp_o_f32_e64 s11, v25, v25
	v_add3_u32 v24, v25, v24, 0x7fff
	s_delay_alu instid0(VALU_DEP_1) | instskip(SKIP_1) | instid1(VALU_DEP_1)
	v_and_b32_e32 v24, 0xffff0000, v24
	s_wait_alu 0xf1ff
	v_cndmask_b32_e64 v30, 0x7fc00000, v24, s11
	s_delay_alu instid0(VALU_DEP_1) | instskip(SKIP_2) | instid1(VALU_DEP_2)
	v_max_num_f32_e32 v25, v30, v30
	v_lshlrev_b32_e32 v10, 16, v10
	v_cmp_u_f32_e64 s11, v30, v30
	v_max_num_f32_e32 v24, v10, v10
	s_delay_alu instid0(VALU_DEP_1) | instskip(SKIP_2) | instid1(VALU_DEP_2)
	v_min_num_f32_e32 v31, v25, v24
	v_max_num_f32_e32 v25, v25, v24
	s_wait_alu 0xf1ff
	v_cndmask_b32_e64 v31, v31, v30, s11
	s_delay_alu instid0(VALU_DEP_2) | instskip(SKIP_2) | instid1(VALU_DEP_1)
	v_cndmask_b32_e64 v25, v25, v30, s11
	v_cmp_u_f32_e64 s11, v10, v10
	s_wait_alu 0xf1ff
	v_cndmask_b32_e64 v31, v31, v10, s11
	s_delay_alu instid0(VALU_DEP_3) | instskip(NEXT) | instid1(VALU_DEP_2)
	v_cndmask_b32_e64 v25, v25, v10, s11
	v_cmp_class_f32_e64 s14, v31, 0x1f8
	s_delay_alu instid0(VALU_DEP_2)
	v_cmp_neq_f32_e64 s12, v31, v25
	s_or_b32 s12, s12, s14
	s_wait_alu 0xfffe
	s_and_saveexec_b32 s14, s12
	s_cbranch_execz .LBB508_226
; %bb.225:
	v_sub_f32_e32 v30, v31, v25
	s_delay_alu instid0(VALU_DEP_1) | instskip(SKIP_1) | instid1(VALU_DEP_2)
	v_mul_f32_e32 v31, 0x3fb8aa3b, v30
	v_cmp_ngt_f32_e64 s12, 0xc2ce8ed0, v30
	v_fma_f32 v32, 0x3fb8aa3b, v30, -v31
	v_rndne_f32_e32 v33, v31
	s_delay_alu instid0(VALU_DEP_1) | instskip(NEXT) | instid1(VALU_DEP_1)
	v_dual_fmamk_f32 v32, v30, 0x32a5705f, v32 :: v_dual_sub_f32 v31, v31, v33
	v_add_f32_e32 v31, v31, v32
	v_cvt_i32_f32_e32 v32, v33
	s_delay_alu instid0(VALU_DEP_2) | instskip(NEXT) | instid1(TRANS32_DEP_1)
	v_exp_f32_e32 v31, v31
	v_ldexp_f32 v31, v31, v32
	s_wait_alu 0xf1ff
	s_delay_alu instid0(VALU_DEP_1) | instskip(SKIP_2) | instid1(VALU_DEP_1)
	v_cndmask_b32_e64 v31, 0, v31, s12
	v_cmp_nlt_f32_e64 s12, 0x42b17218, v30
	s_wait_alu 0xf1ff
	v_cndmask_b32_e64 v32, 0x7f800000, v31, s12
	s_delay_alu instid0(VALU_DEP_1) | instskip(NEXT) | instid1(VALU_DEP_1)
	v_add_f32_e32 v33, 1.0, v32
	v_cvt_f64_f32_e32 v[30:31], v33
	s_delay_alu instid0(VALU_DEP_1) | instskip(SKIP_1) | instid1(VALU_DEP_1)
	v_frexp_exp_i32_f64_e32 v30, v[30:31]
	v_frexp_mant_f32_e32 v31, v33
	v_cmp_gt_f32_e64 s12, 0x3f2aaaab, v31
	v_add_f32_e32 v31, -1.0, v33
	s_delay_alu instid0(VALU_DEP_1)
	v_sub_f32_e32 v35, v31, v33
	v_sub_f32_e32 v31, v32, v31
	s_wait_alu 0xf1ff
	v_subrev_co_ci_u32_e64 v30, null, 0, v30, s12
	s_mov_b32 s12, 0x3e9b6dac
	v_sub_nc_u32_e32 v34, 0, v30
	v_cvt_f32_i32_e32 v30, v30
	s_delay_alu instid0(VALU_DEP_2) | instskip(NEXT) | instid1(VALU_DEP_1)
	v_ldexp_f32 v33, v33, v34
	v_dual_add_f32 v36, 1.0, v33 :: v_dual_add_f32 v35, 1.0, v35
	s_delay_alu instid0(VALU_DEP_1) | instskip(NEXT) | instid1(VALU_DEP_2)
	v_add_f32_e32 v31, v31, v35
	v_add_f32_e32 v35, -1.0, v36
	s_delay_alu instid0(VALU_DEP_2) | instskip(NEXT) | instid1(VALU_DEP_2)
	v_ldexp_f32 v31, v31, v34
	v_dual_add_f32 v34, -1.0, v33 :: v_dual_sub_f32 v35, v33, v35
	s_delay_alu instid0(VALU_DEP_1) | instskip(NEXT) | instid1(VALU_DEP_2)
	v_add_f32_e32 v37, 1.0, v34
	v_add_f32_e32 v35, v31, v35
	s_delay_alu instid0(VALU_DEP_2) | instskip(NEXT) | instid1(VALU_DEP_2)
	v_sub_f32_e32 v33, v33, v37
	v_add_f32_e32 v37, v36, v35
	s_delay_alu instid0(VALU_DEP_2) | instskip(NEXT) | instid1(VALU_DEP_2)
	v_add_f32_e32 v31, v31, v33
	v_rcp_f32_e32 v33, v37
	v_sub_f32_e32 v36, v36, v37
	s_delay_alu instid0(VALU_DEP_1) | instskip(NEXT) | instid1(VALU_DEP_1)
	v_dual_add_f32 v38, v34, v31 :: v_dual_add_f32 v35, v35, v36
	v_sub_f32_e32 v34, v34, v38
	s_delay_alu instid0(TRANS32_DEP_1) | instskip(NEXT) | instid1(VALU_DEP_1)
	v_mul_f32_e32 v39, v38, v33
	v_dual_add_f32 v31, v31, v34 :: v_dual_mul_f32 v40, v37, v39
	s_delay_alu instid0(VALU_DEP_1) | instskip(NEXT) | instid1(VALU_DEP_1)
	v_fma_f32 v36, v39, v37, -v40
	v_fmac_f32_e32 v36, v39, v35
	s_delay_alu instid0(VALU_DEP_1) | instskip(NEXT) | instid1(VALU_DEP_1)
	v_add_f32_e32 v41, v40, v36
	v_sub_f32_e32 v42, v38, v41
	v_sub_f32_e32 v34, v41, v40
	s_delay_alu instid0(VALU_DEP_2) | instskip(NEXT) | instid1(VALU_DEP_2)
	v_sub_f32_e32 v38, v38, v42
	v_sub_f32_e32 v34, v34, v36
	s_delay_alu instid0(VALU_DEP_2) | instskip(NEXT) | instid1(VALU_DEP_1)
	v_sub_f32_e32 v38, v38, v41
	v_add_f32_e32 v31, v31, v38
	s_delay_alu instid0(VALU_DEP_1) | instskip(NEXT) | instid1(VALU_DEP_1)
	v_add_f32_e32 v31, v34, v31
	v_add_f32_e32 v34, v42, v31
	s_delay_alu instid0(VALU_DEP_1) | instskip(NEXT) | instid1(VALU_DEP_1)
	v_mul_f32_e32 v36, v33, v34
	v_dual_sub_f32 v41, v42, v34 :: v_dual_mul_f32 v38, v37, v36
	s_delay_alu instid0(VALU_DEP_1) | instskip(NEXT) | instid1(VALU_DEP_2)
	v_add_f32_e32 v31, v31, v41
	v_fma_f32 v37, v36, v37, -v38
	s_delay_alu instid0(VALU_DEP_1) | instskip(NEXT) | instid1(VALU_DEP_1)
	v_fmac_f32_e32 v37, v36, v35
	v_add_f32_e32 v35, v38, v37
	s_delay_alu instid0(VALU_DEP_1) | instskip(SKIP_1) | instid1(VALU_DEP_2)
	v_sub_f32_e32 v40, v34, v35
	v_sub_f32_e32 v38, v35, v38
	;; [unrolled: 1-line block ×3, first 2 shown]
	s_delay_alu instid0(VALU_DEP_1) | instskip(NEXT) | instid1(VALU_DEP_3)
	v_sub_f32_e32 v34, v34, v35
	v_sub_f32_e32 v35, v38, v37
	s_delay_alu instid0(VALU_DEP_2) | instskip(SKIP_1) | instid1(VALU_DEP_2)
	v_add_f32_e32 v31, v31, v34
	v_add_f32_e32 v34, v39, v36
	;; [unrolled: 1-line block ×3, first 2 shown]
	s_delay_alu instid0(VALU_DEP_2) | instskip(NEXT) | instid1(VALU_DEP_2)
	v_sub_f32_e32 v35, v34, v39
	v_add_f32_e32 v31, v40, v31
	s_delay_alu instid0(VALU_DEP_2) | instskip(NEXT) | instid1(VALU_DEP_2)
	v_sub_f32_e32 v35, v36, v35
	v_mul_f32_e32 v31, v33, v31
	s_delay_alu instid0(VALU_DEP_1) | instskip(NEXT) | instid1(VALU_DEP_1)
	v_add_f32_e32 v31, v35, v31
	v_add_f32_e32 v33, v34, v31
	s_delay_alu instid0(VALU_DEP_1) | instskip(SKIP_1) | instid1(VALU_DEP_1)
	v_mul_f32_e32 v35, v33, v33
	s_wait_alu 0xfffe
	v_fmaak_f32 v36, s12, v35, 0x3ecc95a3
	v_mul_f32_e32 v37, v33, v35
	v_cmp_neq_f32_e64 s12, 0x7f800000, v32
	s_delay_alu instid0(VALU_DEP_3) | instskip(SKIP_2) | instid1(VALU_DEP_3)
	v_fmaak_f32 v35, v35, v36, 0x3f2aaada
	v_ldexp_f32 v36, v33, 1
	v_sub_f32_e32 v33, v33, v34
	v_mul_f32_e32 v35, v37, v35
	v_mul_f32_e32 v37, 0x3f317218, v30
	s_delay_alu instid0(VALU_DEP_2) | instskip(NEXT) | instid1(VALU_DEP_1)
	v_dual_sub_f32 v31, v31, v33 :: v_dual_add_f32 v34, v36, v35
	v_ldexp_f32 v31, v31, 1
	s_delay_alu instid0(VALU_DEP_2) | instskip(NEXT) | instid1(VALU_DEP_4)
	v_sub_f32_e32 v33, v34, v36
	v_fma_f32 v36, 0x3f317218, v30, -v37
	s_delay_alu instid0(VALU_DEP_1) | instskip(NEXT) | instid1(VALU_DEP_1)
	v_dual_sub_f32 v33, v35, v33 :: v_dual_fmamk_f32 v30, v30, 0xb102e308, v36
	v_add_f32_e32 v31, v31, v33
	s_delay_alu instid0(VALU_DEP_2) | instskip(NEXT) | instid1(VALU_DEP_2)
	v_add_f32_e32 v33, v37, v30
	v_add_f32_e32 v35, v34, v31
	s_delay_alu instid0(VALU_DEP_2) | instskip(NEXT) | instid1(VALU_DEP_2)
	v_sub_f32_e32 v37, v33, v37
	v_add_f32_e32 v36, v33, v35
	v_sub_f32_e32 v34, v35, v34
	s_delay_alu instid0(VALU_DEP_3) | instskip(NEXT) | instid1(VALU_DEP_2)
	v_sub_f32_e32 v30, v30, v37
	v_dual_sub_f32 v38, v36, v33 :: v_dual_sub_f32 v31, v31, v34
	s_delay_alu instid0(VALU_DEP_1) | instskip(NEXT) | instid1(VALU_DEP_2)
	v_sub_f32_e32 v39, v36, v38
	v_dual_sub_f32 v34, v35, v38 :: v_dual_add_f32 v35, v30, v31
	s_delay_alu instid0(VALU_DEP_2) | instskip(NEXT) | instid1(VALU_DEP_1)
	v_sub_f32_e32 v33, v33, v39
	v_dual_add_f32 v33, v34, v33 :: v_dual_sub_f32 v34, v35, v30
	s_delay_alu instid0(VALU_DEP_1) | instskip(NEXT) | instid1(VALU_DEP_2)
	v_add_f32_e32 v33, v35, v33
	v_sub_f32_e32 v35, v35, v34
	v_sub_f32_e32 v31, v31, v34
	s_delay_alu instid0(VALU_DEP_2) | instskip(NEXT) | instid1(VALU_DEP_1)
	v_dual_add_f32 v37, v36, v33 :: v_dual_sub_f32 v30, v30, v35
	v_sub_f32_e32 v34, v37, v36
	s_delay_alu instid0(VALU_DEP_2) | instskip(NEXT) | instid1(VALU_DEP_2)
	v_add_f32_e32 v30, v31, v30
	v_sub_f32_e32 v31, v33, v34
	s_delay_alu instid0(VALU_DEP_1) | instskip(NEXT) | instid1(VALU_DEP_1)
	v_add_f32_e32 v30, v30, v31
	v_add_f32_e32 v30, v37, v30
	s_wait_alu 0xf1ff
	s_delay_alu instid0(VALU_DEP_1) | instskip(SKIP_2) | instid1(VALU_DEP_1)
	v_cndmask_b32_e64 v30, 0x7f800000, v30, s12
	v_cmp_gt_f32_e64 s12, 0x33800000, |v32|
	s_wait_alu 0xf1ff
	v_cndmask_b32_e64 v30, v30, v32, s12
	s_delay_alu instid0(VALU_DEP_1)
	v_add_f32_e32 v30, v25, v30
.LBB508_226:
	s_or_b32 exec_lo, exec_lo, s14
	s_delay_alu instid0(VALU_DEP_1) | instskip(SKIP_2) | instid1(VALU_DEP_3)
	v_bfe_u32 v25, v30, 16, 1
	v_cmp_o_f32_e64 s12, v30, v30
	v_lshlrev_b32_e32 v9, 16, v9
	v_add3_u32 v25, v30, v25, 0x7fff
	s_delay_alu instid0(VALU_DEP_1) | instskip(SKIP_1) | instid1(VALU_DEP_1)
	v_and_b32_e32 v25, 0xffff0000, v25
	s_wait_alu 0xf1ff
	v_cndmask_b32_e64 v31, 0x7fc00000, v25, s12
	s_delay_alu instid0(VALU_DEP_1) | instskip(SKIP_1) | instid1(VALU_DEP_2)
	v_dual_max_num_f32 v25, v9, v9 :: v_dual_max_num_f32 v30, v31, v31
	v_cmp_u_f32_e64 s12, v31, v31
	v_min_num_f32_e32 v32, v30, v25
	v_max_num_f32_e32 v30, v30, v25
	s_wait_alu 0xf1ff
	s_delay_alu instid0(VALU_DEP_2) | instskip(NEXT) | instid1(VALU_DEP_2)
	v_cndmask_b32_e64 v32, v32, v31, s12
	v_cndmask_b32_e64 v30, v30, v31, s12
	v_cmp_u_f32_e64 s12, v9, v9
	s_wait_alu 0xf1ff
	s_delay_alu instid0(VALU_DEP_1) | instskip(NEXT) | instid1(VALU_DEP_3)
	v_cndmask_b32_e64 v32, v32, v9, s12
	v_cndmask_b32_e64 v30, v30, v9, s12
	s_delay_alu instid0(VALU_DEP_2) | instskip(NEXT) | instid1(VALU_DEP_2)
	v_cmp_class_f32_e64 s15, v32, 0x1f8
	v_cmp_neq_f32_e64 s14, v32, v30
	s_or_b32 s14, s14, s15
	s_delay_alu instid0(SALU_CYCLE_1)
	s_and_saveexec_b32 s15, s14
	s_cbranch_execz .LBB508_228
; %bb.227:
	v_sub_f32_e32 v31, v32, v30
	s_delay_alu instid0(VALU_DEP_1) | instskip(SKIP_1) | instid1(VALU_DEP_2)
	v_mul_f32_e32 v32, 0x3fb8aa3b, v31
	v_cmp_ngt_f32_e64 s14, 0xc2ce8ed0, v31
	v_fma_f32 v33, 0x3fb8aa3b, v31, -v32
	v_rndne_f32_e32 v34, v32
	s_delay_alu instid0(VALU_DEP_1) | instskip(NEXT) | instid1(VALU_DEP_1)
	v_dual_fmamk_f32 v33, v31, 0x32a5705f, v33 :: v_dual_sub_f32 v32, v32, v34
	v_add_f32_e32 v32, v32, v33
	v_cvt_i32_f32_e32 v33, v34
	s_delay_alu instid0(VALU_DEP_2) | instskip(NEXT) | instid1(TRANS32_DEP_1)
	v_exp_f32_e32 v32, v32
	v_ldexp_f32 v32, v32, v33
	s_delay_alu instid0(VALU_DEP_1) | instskip(SKIP_2) | instid1(VALU_DEP_1)
	v_cndmask_b32_e64 v32, 0, v32, s14
	v_cmp_nlt_f32_e64 s14, 0x42b17218, v31
	s_wait_alu 0xf1ff
	v_cndmask_b32_e64 v33, 0x7f800000, v32, s14
	s_delay_alu instid0(VALU_DEP_1) | instskip(NEXT) | instid1(VALU_DEP_1)
	v_add_f32_e32 v34, 1.0, v33
	v_cvt_f64_f32_e32 v[31:32], v34
	s_delay_alu instid0(VALU_DEP_1) | instskip(SKIP_1) | instid1(VALU_DEP_1)
	v_frexp_exp_i32_f64_e32 v31, v[31:32]
	v_frexp_mant_f32_e32 v32, v34
	v_cmp_gt_f32_e64 s14, 0x3f2aaaab, v32
	v_add_f32_e32 v32, -1.0, v34
	s_delay_alu instid0(VALU_DEP_1)
	v_sub_f32_e32 v36, v32, v34
	v_sub_f32_e32 v32, v33, v32
	s_wait_alu 0xf1ff
	v_subrev_co_ci_u32_e64 v31, null, 0, v31, s14
	s_mov_b32 s14, 0x3e9b6dac
	v_sub_nc_u32_e32 v35, 0, v31
	v_cvt_f32_i32_e32 v31, v31
	s_delay_alu instid0(VALU_DEP_2) | instskip(NEXT) | instid1(VALU_DEP_1)
	v_ldexp_f32 v34, v34, v35
	v_dual_add_f32 v37, 1.0, v34 :: v_dual_add_f32 v36, 1.0, v36
	s_delay_alu instid0(VALU_DEP_1) | instskip(NEXT) | instid1(VALU_DEP_2)
	v_add_f32_e32 v32, v32, v36
	v_add_f32_e32 v36, -1.0, v37
	s_delay_alu instid0(VALU_DEP_2) | instskip(NEXT) | instid1(VALU_DEP_2)
	v_ldexp_f32 v32, v32, v35
	v_dual_add_f32 v35, -1.0, v34 :: v_dual_sub_f32 v36, v34, v36
	s_delay_alu instid0(VALU_DEP_1) | instskip(NEXT) | instid1(VALU_DEP_2)
	v_add_f32_e32 v38, 1.0, v35
	v_add_f32_e32 v36, v32, v36
	s_delay_alu instid0(VALU_DEP_2) | instskip(NEXT) | instid1(VALU_DEP_2)
	v_sub_f32_e32 v34, v34, v38
	v_add_f32_e32 v38, v37, v36
	s_delay_alu instid0(VALU_DEP_2) | instskip(NEXT) | instid1(VALU_DEP_2)
	v_add_f32_e32 v32, v32, v34
	v_rcp_f32_e32 v34, v38
	v_sub_f32_e32 v37, v37, v38
	s_delay_alu instid0(VALU_DEP_1) | instskip(NEXT) | instid1(VALU_DEP_1)
	v_dual_add_f32 v39, v35, v32 :: v_dual_add_f32 v36, v36, v37
	v_sub_f32_e32 v35, v35, v39
	s_delay_alu instid0(TRANS32_DEP_1) | instskip(NEXT) | instid1(VALU_DEP_1)
	v_mul_f32_e32 v40, v39, v34
	v_dual_add_f32 v32, v32, v35 :: v_dual_mul_f32 v41, v38, v40
	s_delay_alu instid0(VALU_DEP_1) | instskip(NEXT) | instid1(VALU_DEP_1)
	v_fma_f32 v37, v40, v38, -v41
	v_fmac_f32_e32 v37, v40, v36
	s_delay_alu instid0(VALU_DEP_1) | instskip(NEXT) | instid1(VALU_DEP_1)
	v_add_f32_e32 v42, v41, v37
	v_sub_f32_e32 v43, v39, v42
	v_sub_f32_e32 v35, v42, v41
	s_delay_alu instid0(VALU_DEP_2) | instskip(NEXT) | instid1(VALU_DEP_2)
	v_sub_f32_e32 v39, v39, v43
	v_sub_f32_e32 v35, v35, v37
	s_delay_alu instid0(VALU_DEP_2) | instskip(NEXT) | instid1(VALU_DEP_1)
	v_sub_f32_e32 v39, v39, v42
	v_add_f32_e32 v32, v32, v39
	s_delay_alu instid0(VALU_DEP_1) | instskip(NEXT) | instid1(VALU_DEP_1)
	v_add_f32_e32 v32, v35, v32
	v_add_f32_e32 v35, v43, v32
	s_delay_alu instid0(VALU_DEP_1) | instskip(NEXT) | instid1(VALU_DEP_1)
	v_mul_f32_e32 v37, v34, v35
	v_dual_sub_f32 v42, v43, v35 :: v_dual_mul_f32 v39, v38, v37
	s_delay_alu instid0(VALU_DEP_1) | instskip(NEXT) | instid1(VALU_DEP_2)
	v_add_f32_e32 v32, v32, v42
	v_fma_f32 v38, v37, v38, -v39
	s_delay_alu instid0(VALU_DEP_1) | instskip(NEXT) | instid1(VALU_DEP_1)
	v_fmac_f32_e32 v38, v37, v36
	v_add_f32_e32 v36, v39, v38
	s_delay_alu instid0(VALU_DEP_1) | instskip(SKIP_1) | instid1(VALU_DEP_2)
	v_sub_f32_e32 v41, v35, v36
	v_sub_f32_e32 v39, v36, v39
	;; [unrolled: 1-line block ×3, first 2 shown]
	s_delay_alu instid0(VALU_DEP_1) | instskip(NEXT) | instid1(VALU_DEP_3)
	v_sub_f32_e32 v35, v35, v36
	v_sub_f32_e32 v36, v39, v38
	s_delay_alu instid0(VALU_DEP_2) | instskip(SKIP_1) | instid1(VALU_DEP_2)
	v_add_f32_e32 v32, v32, v35
	v_add_f32_e32 v35, v40, v37
	;; [unrolled: 1-line block ×3, first 2 shown]
	s_delay_alu instid0(VALU_DEP_2) | instskip(NEXT) | instid1(VALU_DEP_2)
	v_sub_f32_e32 v36, v35, v40
	v_add_f32_e32 v32, v41, v32
	s_delay_alu instid0(VALU_DEP_2) | instskip(NEXT) | instid1(VALU_DEP_2)
	v_sub_f32_e32 v36, v37, v36
	v_mul_f32_e32 v32, v34, v32
	s_delay_alu instid0(VALU_DEP_1) | instskip(NEXT) | instid1(VALU_DEP_1)
	v_add_f32_e32 v32, v36, v32
	v_add_f32_e32 v34, v35, v32
	s_delay_alu instid0(VALU_DEP_1) | instskip(SKIP_1) | instid1(VALU_DEP_1)
	v_mul_f32_e32 v36, v34, v34
	s_wait_alu 0xfffe
	v_fmaak_f32 v37, s14, v36, 0x3ecc95a3
	v_mul_f32_e32 v38, v34, v36
	v_cmp_neq_f32_e64 s14, 0x7f800000, v33
	s_delay_alu instid0(VALU_DEP_3) | instskip(SKIP_2) | instid1(VALU_DEP_3)
	v_fmaak_f32 v36, v36, v37, 0x3f2aaada
	v_ldexp_f32 v37, v34, 1
	v_sub_f32_e32 v34, v34, v35
	v_mul_f32_e32 v36, v38, v36
	v_mul_f32_e32 v38, 0x3f317218, v31
	s_delay_alu instid0(VALU_DEP_2) | instskip(NEXT) | instid1(VALU_DEP_1)
	v_dual_sub_f32 v32, v32, v34 :: v_dual_add_f32 v35, v37, v36
	v_ldexp_f32 v32, v32, 1
	s_delay_alu instid0(VALU_DEP_2) | instskip(NEXT) | instid1(VALU_DEP_4)
	v_sub_f32_e32 v34, v35, v37
	v_fma_f32 v37, 0x3f317218, v31, -v38
	s_delay_alu instid0(VALU_DEP_1) | instskip(NEXT) | instid1(VALU_DEP_1)
	v_dual_sub_f32 v34, v36, v34 :: v_dual_fmamk_f32 v31, v31, 0xb102e308, v37
	v_add_f32_e32 v32, v32, v34
	s_delay_alu instid0(VALU_DEP_2) | instskip(NEXT) | instid1(VALU_DEP_2)
	v_add_f32_e32 v34, v38, v31
	v_add_f32_e32 v36, v35, v32
	s_delay_alu instid0(VALU_DEP_2) | instskip(NEXT) | instid1(VALU_DEP_2)
	v_sub_f32_e32 v38, v34, v38
	v_add_f32_e32 v37, v34, v36
	v_sub_f32_e32 v35, v36, v35
	s_delay_alu instid0(VALU_DEP_3) | instskip(NEXT) | instid1(VALU_DEP_2)
	v_sub_f32_e32 v31, v31, v38
	v_dual_sub_f32 v39, v37, v34 :: v_dual_sub_f32 v32, v32, v35
	s_delay_alu instid0(VALU_DEP_1) | instskip(NEXT) | instid1(VALU_DEP_2)
	v_sub_f32_e32 v40, v37, v39
	v_dual_sub_f32 v35, v36, v39 :: v_dual_add_f32 v36, v31, v32
	s_delay_alu instid0(VALU_DEP_2) | instskip(NEXT) | instid1(VALU_DEP_1)
	v_sub_f32_e32 v34, v34, v40
	v_dual_add_f32 v34, v35, v34 :: v_dual_sub_f32 v35, v36, v31
	s_delay_alu instid0(VALU_DEP_1) | instskip(NEXT) | instid1(VALU_DEP_2)
	v_add_f32_e32 v34, v36, v34
	v_sub_f32_e32 v36, v36, v35
	v_sub_f32_e32 v32, v32, v35
	s_delay_alu instid0(VALU_DEP_2) | instskip(NEXT) | instid1(VALU_DEP_1)
	v_dual_add_f32 v38, v37, v34 :: v_dual_sub_f32 v31, v31, v36
	v_sub_f32_e32 v35, v38, v37
	s_delay_alu instid0(VALU_DEP_2) | instskip(NEXT) | instid1(VALU_DEP_2)
	v_add_f32_e32 v31, v32, v31
	v_sub_f32_e32 v32, v34, v35
	s_delay_alu instid0(VALU_DEP_1) | instskip(NEXT) | instid1(VALU_DEP_1)
	v_add_f32_e32 v31, v31, v32
	v_add_f32_e32 v31, v38, v31
	s_wait_alu 0xf1ff
	s_delay_alu instid0(VALU_DEP_1) | instskip(SKIP_2) | instid1(VALU_DEP_1)
	v_cndmask_b32_e64 v31, 0x7f800000, v31, s14
	v_cmp_gt_f32_e64 s14, 0x33800000, |v33|
	s_wait_alu 0xf1ff
	v_cndmask_b32_e64 v31, v31, v33, s14
	s_delay_alu instid0(VALU_DEP_1)
	v_add_f32_e32 v31, v30, v31
.LBB508_228:
	s_or_b32 exec_lo, exec_lo, s15
	s_delay_alu instid0(VALU_DEP_1)
	v_bfe_u32 v30, v31, 16, 1
	v_lshrrev_b32_e32 v32, 4, v0
	v_cmp_o_f32_e64 s14, v31, v31
	s_mov_b32 s16, exec_lo
	v_add3_u32 v30, v31, v30, 0x7fff
	v_and_b32_e32 v32, 14, v32
	s_delay_alu instid0(VALU_DEP_2) | instskip(NEXT) | instid1(VALU_DEP_2)
	v_lshrrev_b32_e32 v30, 16, v30
	v_lshl_add_u32 v32, v0, 1, v32
	s_wait_alu 0xf1ff
	s_delay_alu instid0(VALU_DEP_2)
	v_cndmask_b32_e64 v31, 0x7fc0, v30, s14
	ds_store_b16 v32, v31
	s_wait_loadcnt_dscnt 0x0
	s_barrier_signal -1
	s_barrier_wait -1
	global_inv scope:SCOPE_SE
	v_cmpx_gt_u32_e32 32, v0
	s_cbranch_execz .LBB508_280
; %bb.229:
	v_lshrrev_b32_e32 v30, 1, v0
	v_lshlrev_b32_e32 v32, 4, v0
	s_delay_alu instid0(VALU_DEP_2) | instskip(NEXT) | instid1(VALU_DEP_1)
	v_and_b32_e32 v30, 0x7e, v30
	v_add_nc_u32_e32 v30, v30, v32
	ds_load_u16 v32, v30 offset:2
	ds_load_u16 v33, v30
	s_wait_dscnt 0x1
	v_lshlrev_b32_e32 v34, 16, v32
	s_wait_dscnt 0x0
	s_delay_alu instid0(VALU_DEP_1) | instskip(NEXT) | instid1(VALU_DEP_1)
	v_dual_max_num_f32 v35, v34, v34 :: v_dual_lshlrev_b32 v32, 16, v33
	v_max_num_f32_e32 v33, v32, v32
	v_cmp_u_f32_e64 s14, v32, v32
	v_cmp_u_f32_e64 s15, v34, v34
	s_delay_alu instid0(VALU_DEP_3) | instskip(SKIP_2) | instid1(VALU_DEP_2)
	v_min_num_f32_e32 v36, v33, v35
	v_max_num_f32_e32 v35, v33, v35
	s_wait_alu 0xf1ff
	v_cndmask_b32_e64 v36, v36, v32, s14
	s_delay_alu instid0(VALU_DEP_2) | instskip(NEXT) | instid1(VALU_DEP_2)
	v_cndmask_b32_e64 v35, v35, v32, s14
	v_cndmask_b32_e64 v36, v36, v34, s15
	s_delay_alu instid0(VALU_DEP_2) | instskip(SKIP_1) | instid1(VALU_DEP_3)
	v_cndmask_b32_e64 v34, v35, v34, s15
	v_mov_b32_e32 v35, v32
	v_cmp_class_f32_e64 s17, v36, 0x1f8
	s_delay_alu instid0(VALU_DEP_3)
	v_cmp_neq_f32_e64 s15, v36, v34
	s_or_b32 s15, s15, s17
	s_wait_alu 0xfffe
	s_and_saveexec_b32 s17, s15
	s_cbranch_execz .LBB508_231
; %bb.230:
	v_sub_f32_e32 v35, v36, v34
	s_delay_alu instid0(VALU_DEP_1) | instskip(SKIP_1) | instid1(VALU_DEP_2)
	v_mul_f32_e32 v36, 0x3fb8aa3b, v35
	v_cmp_ngt_f32_e64 s15, 0xc2ce8ed0, v35
	v_fma_f32 v37, 0x3fb8aa3b, v35, -v36
	v_rndne_f32_e32 v38, v36
	s_delay_alu instid0(VALU_DEP_1) | instskip(NEXT) | instid1(VALU_DEP_1)
	v_dual_fmamk_f32 v37, v35, 0x32a5705f, v37 :: v_dual_sub_f32 v36, v36, v38
	v_add_f32_e32 v36, v36, v37
	v_cvt_i32_f32_e32 v37, v38
	s_delay_alu instid0(VALU_DEP_2) | instskip(NEXT) | instid1(TRANS32_DEP_1)
	v_exp_f32_e32 v36, v36
	v_ldexp_f32 v36, v36, v37
	s_wait_alu 0xf1ff
	s_delay_alu instid0(VALU_DEP_1) | instskip(SKIP_2) | instid1(VALU_DEP_1)
	v_cndmask_b32_e64 v36, 0, v36, s15
	v_cmp_nlt_f32_e64 s15, 0x42b17218, v35
	s_wait_alu 0xf1ff
	v_cndmask_b32_e64 v37, 0x7f800000, v36, s15
	s_delay_alu instid0(VALU_DEP_1) | instskip(NEXT) | instid1(VALU_DEP_1)
	v_add_f32_e32 v38, 1.0, v37
	v_cvt_f64_f32_e32 v[35:36], v38
	s_delay_alu instid0(VALU_DEP_1) | instskip(SKIP_1) | instid1(VALU_DEP_1)
	v_frexp_exp_i32_f64_e32 v35, v[35:36]
	v_frexp_mant_f32_e32 v36, v38
	v_cmp_gt_f32_e64 s15, 0x3f2aaaab, v36
	v_add_f32_e32 v36, -1.0, v38
	s_delay_alu instid0(VALU_DEP_1)
	v_sub_f32_e32 v40, v36, v38
	v_sub_f32_e32 v36, v37, v36
	s_wait_alu 0xf1ff
	v_subrev_co_ci_u32_e64 v35, null, 0, v35, s15
	s_mov_b32 s15, 0x3e9b6dac
	v_sub_nc_u32_e32 v39, 0, v35
	v_cvt_f32_i32_e32 v35, v35
	s_delay_alu instid0(VALU_DEP_2) | instskip(NEXT) | instid1(VALU_DEP_1)
	v_ldexp_f32 v38, v38, v39
	v_dual_add_f32 v41, 1.0, v38 :: v_dual_add_f32 v40, 1.0, v40
	s_delay_alu instid0(VALU_DEP_1) | instskip(NEXT) | instid1(VALU_DEP_2)
	v_add_f32_e32 v36, v36, v40
	v_add_f32_e32 v40, -1.0, v41
	s_delay_alu instid0(VALU_DEP_2) | instskip(NEXT) | instid1(VALU_DEP_2)
	v_ldexp_f32 v36, v36, v39
	v_dual_add_f32 v39, -1.0, v38 :: v_dual_sub_f32 v40, v38, v40
	s_delay_alu instid0(VALU_DEP_1) | instskip(NEXT) | instid1(VALU_DEP_2)
	v_add_f32_e32 v42, 1.0, v39
	v_add_f32_e32 v40, v36, v40
	s_delay_alu instid0(VALU_DEP_2) | instskip(NEXT) | instid1(VALU_DEP_2)
	v_sub_f32_e32 v38, v38, v42
	v_add_f32_e32 v42, v41, v40
	s_delay_alu instid0(VALU_DEP_2) | instskip(NEXT) | instid1(VALU_DEP_2)
	v_add_f32_e32 v36, v36, v38
	v_rcp_f32_e32 v38, v42
	v_sub_f32_e32 v41, v41, v42
	s_delay_alu instid0(VALU_DEP_1) | instskip(NEXT) | instid1(VALU_DEP_1)
	v_dual_add_f32 v43, v39, v36 :: v_dual_add_f32 v40, v40, v41
	v_sub_f32_e32 v39, v39, v43
	s_delay_alu instid0(TRANS32_DEP_1) | instskip(NEXT) | instid1(VALU_DEP_1)
	v_mul_f32_e32 v44, v43, v38
	v_dual_add_f32 v36, v36, v39 :: v_dual_mul_f32 v45, v42, v44
	s_delay_alu instid0(VALU_DEP_1) | instskip(NEXT) | instid1(VALU_DEP_1)
	v_fma_f32 v41, v44, v42, -v45
	v_fmac_f32_e32 v41, v44, v40
	s_delay_alu instid0(VALU_DEP_1) | instskip(NEXT) | instid1(VALU_DEP_1)
	v_add_f32_e32 v46, v45, v41
	v_sub_f32_e32 v47, v43, v46
	v_sub_f32_e32 v39, v46, v45
	s_delay_alu instid0(VALU_DEP_2) | instskip(NEXT) | instid1(VALU_DEP_2)
	v_sub_f32_e32 v43, v43, v47
	v_sub_f32_e32 v39, v39, v41
	s_delay_alu instid0(VALU_DEP_2) | instskip(NEXT) | instid1(VALU_DEP_1)
	v_sub_f32_e32 v43, v43, v46
	v_add_f32_e32 v36, v36, v43
	s_delay_alu instid0(VALU_DEP_1) | instskip(NEXT) | instid1(VALU_DEP_1)
	v_add_f32_e32 v36, v39, v36
	v_add_f32_e32 v39, v47, v36
	s_delay_alu instid0(VALU_DEP_1) | instskip(NEXT) | instid1(VALU_DEP_1)
	v_mul_f32_e32 v41, v38, v39
	v_dual_sub_f32 v46, v47, v39 :: v_dual_mul_f32 v43, v42, v41
	s_delay_alu instid0(VALU_DEP_1) | instskip(NEXT) | instid1(VALU_DEP_2)
	v_add_f32_e32 v36, v36, v46
	v_fma_f32 v42, v41, v42, -v43
	s_delay_alu instid0(VALU_DEP_1) | instskip(NEXT) | instid1(VALU_DEP_1)
	v_fmac_f32_e32 v42, v41, v40
	v_add_f32_e32 v40, v43, v42
	s_delay_alu instid0(VALU_DEP_1) | instskip(SKIP_1) | instid1(VALU_DEP_2)
	v_sub_f32_e32 v45, v39, v40
	v_sub_f32_e32 v43, v40, v43
	;; [unrolled: 1-line block ×3, first 2 shown]
	s_delay_alu instid0(VALU_DEP_1) | instskip(NEXT) | instid1(VALU_DEP_3)
	v_sub_f32_e32 v39, v39, v40
	v_sub_f32_e32 v40, v43, v42
	s_delay_alu instid0(VALU_DEP_2) | instskip(SKIP_1) | instid1(VALU_DEP_2)
	v_add_f32_e32 v36, v36, v39
	v_add_f32_e32 v39, v44, v41
	;; [unrolled: 1-line block ×3, first 2 shown]
	s_delay_alu instid0(VALU_DEP_2) | instskip(NEXT) | instid1(VALU_DEP_2)
	v_sub_f32_e32 v40, v39, v44
	v_add_f32_e32 v36, v45, v36
	s_delay_alu instid0(VALU_DEP_2) | instskip(NEXT) | instid1(VALU_DEP_2)
	v_sub_f32_e32 v40, v41, v40
	v_mul_f32_e32 v36, v38, v36
	s_delay_alu instid0(VALU_DEP_1) | instskip(NEXT) | instid1(VALU_DEP_1)
	v_add_f32_e32 v36, v40, v36
	v_add_f32_e32 v38, v39, v36
	s_delay_alu instid0(VALU_DEP_1) | instskip(SKIP_1) | instid1(VALU_DEP_1)
	v_mul_f32_e32 v40, v38, v38
	s_wait_alu 0xfffe
	v_fmaak_f32 v41, s15, v40, 0x3ecc95a3
	v_mul_f32_e32 v42, v38, v40
	v_cmp_neq_f32_e64 s15, 0x7f800000, v37
	s_delay_alu instid0(VALU_DEP_3) | instskip(SKIP_2) | instid1(VALU_DEP_3)
	v_fmaak_f32 v40, v40, v41, 0x3f2aaada
	v_ldexp_f32 v41, v38, 1
	v_sub_f32_e32 v38, v38, v39
	v_mul_f32_e32 v40, v42, v40
	v_mul_f32_e32 v42, 0x3f317218, v35
	s_delay_alu instid0(VALU_DEP_2) | instskip(NEXT) | instid1(VALU_DEP_1)
	v_dual_sub_f32 v36, v36, v38 :: v_dual_add_f32 v39, v41, v40
	v_ldexp_f32 v36, v36, 1
	s_delay_alu instid0(VALU_DEP_2) | instskip(NEXT) | instid1(VALU_DEP_4)
	v_sub_f32_e32 v38, v39, v41
	v_fma_f32 v41, 0x3f317218, v35, -v42
	s_delay_alu instid0(VALU_DEP_1) | instskip(NEXT) | instid1(VALU_DEP_1)
	v_dual_sub_f32 v38, v40, v38 :: v_dual_fmamk_f32 v35, v35, 0xb102e308, v41
	v_add_f32_e32 v36, v36, v38
	s_delay_alu instid0(VALU_DEP_2) | instskip(NEXT) | instid1(VALU_DEP_2)
	v_add_f32_e32 v38, v42, v35
	v_add_f32_e32 v40, v39, v36
	s_delay_alu instid0(VALU_DEP_2) | instskip(NEXT) | instid1(VALU_DEP_2)
	v_sub_f32_e32 v42, v38, v42
	v_add_f32_e32 v41, v38, v40
	v_sub_f32_e32 v39, v40, v39
	s_delay_alu instid0(VALU_DEP_3) | instskip(NEXT) | instid1(VALU_DEP_2)
	v_sub_f32_e32 v35, v35, v42
	v_dual_sub_f32 v43, v41, v38 :: v_dual_sub_f32 v36, v36, v39
	s_delay_alu instid0(VALU_DEP_1) | instskip(NEXT) | instid1(VALU_DEP_2)
	v_sub_f32_e32 v44, v41, v43
	v_dual_sub_f32 v39, v40, v43 :: v_dual_add_f32 v40, v35, v36
	s_delay_alu instid0(VALU_DEP_2) | instskip(NEXT) | instid1(VALU_DEP_1)
	v_sub_f32_e32 v38, v38, v44
	v_dual_add_f32 v38, v39, v38 :: v_dual_sub_f32 v39, v40, v35
	s_delay_alu instid0(VALU_DEP_1) | instskip(NEXT) | instid1(VALU_DEP_2)
	v_add_f32_e32 v38, v40, v38
	v_sub_f32_e32 v40, v40, v39
	v_sub_f32_e32 v36, v36, v39
	s_delay_alu instid0(VALU_DEP_2) | instskip(NEXT) | instid1(VALU_DEP_1)
	v_dual_add_f32 v42, v41, v38 :: v_dual_sub_f32 v35, v35, v40
	v_sub_f32_e32 v39, v42, v41
	s_delay_alu instid0(VALU_DEP_2) | instskip(NEXT) | instid1(VALU_DEP_2)
	v_add_f32_e32 v35, v36, v35
	v_sub_f32_e32 v36, v38, v39
	s_delay_alu instid0(VALU_DEP_1) | instskip(NEXT) | instid1(VALU_DEP_1)
	v_add_f32_e32 v35, v35, v36
	v_add_f32_e32 v35, v42, v35
	s_wait_alu 0xf1ff
	s_delay_alu instid0(VALU_DEP_1) | instskip(SKIP_2) | instid1(VALU_DEP_1)
	v_cndmask_b32_e64 v35, 0x7f800000, v35, s15
	v_cmp_gt_f32_e64 s15, 0x33800000, |v37|
	s_wait_alu 0xf1ff
	v_cndmask_b32_e64 v35, v35, v37, s15
	s_delay_alu instid0(VALU_DEP_1)
	v_add_f32_e32 v35, v34, v35
.LBB508_231:
	s_or_b32 exec_lo, exec_lo, s17
	ds_load_u16 v34, v30 offset:4
	v_bfe_u32 v36, v35, 16, 1
	v_cmp_o_f32_e64 s15, v35, v35
	s_delay_alu instid0(VALU_DEP_2) | instskip(SKIP_2) | instid1(VALU_DEP_1)
	v_add3_u32 v36, v35, v36, 0x7fff
	s_wait_dscnt 0x0
	v_lshlrev_b32_e32 v34, 16, v34
	v_dual_max_num_f32 v37, v34, v34 :: v_dual_and_b32 v36, 0xffff0000, v36
	s_wait_alu 0xf1ff
	s_delay_alu instid0(VALU_DEP_1) | instskip(NEXT) | instid1(VALU_DEP_1)
	v_cndmask_b32_e64 v35, 0x7fc00000, v36, s15
	v_max_num_f32_e32 v36, v35, v35
	v_cmp_u_f32_e64 s15, v35, v35
	s_delay_alu instid0(VALU_DEP_2) | instskip(SKIP_2) | instid1(VALU_DEP_2)
	v_min_num_f32_e32 v38, v36, v37
	v_max_num_f32_e32 v36, v36, v37
	s_wait_alu 0xf1ff
	v_cndmask_b32_e64 v37, v38, v35, s15
	s_delay_alu instid0(VALU_DEP_2) | instskip(SKIP_2) | instid1(VALU_DEP_1)
	v_cndmask_b32_e64 v38, v36, v35, s15
	v_cmp_u_f32_e64 s15, v34, v34
	s_wait_alu 0xf1ff
	v_cndmask_b32_e64 v36, v37, v34, s15
	s_delay_alu instid0(VALU_DEP_3) | instskip(NEXT) | instid1(VALU_DEP_2)
	v_cndmask_b32_e64 v34, v38, v34, s15
	v_cmp_class_f32_e64 s17, v36, 0x1f8
	s_delay_alu instid0(VALU_DEP_2)
	v_cmp_neq_f32_e64 s15, v36, v34
	s_or_b32 s15, s15, s17
	s_wait_alu 0xfffe
	s_and_saveexec_b32 s17, s15
	s_cbranch_execz .LBB508_233
; %bb.232:
	v_sub_f32_e32 v35, v36, v34
	s_delay_alu instid0(VALU_DEP_1) | instskip(SKIP_1) | instid1(VALU_DEP_2)
	v_mul_f32_e32 v36, 0x3fb8aa3b, v35
	v_cmp_ngt_f32_e64 s15, 0xc2ce8ed0, v35
	v_fma_f32 v37, 0x3fb8aa3b, v35, -v36
	v_rndne_f32_e32 v38, v36
	s_delay_alu instid0(VALU_DEP_1) | instskip(NEXT) | instid1(VALU_DEP_1)
	v_dual_fmamk_f32 v37, v35, 0x32a5705f, v37 :: v_dual_sub_f32 v36, v36, v38
	v_add_f32_e32 v36, v36, v37
	v_cvt_i32_f32_e32 v37, v38
	s_delay_alu instid0(VALU_DEP_2) | instskip(NEXT) | instid1(TRANS32_DEP_1)
	v_exp_f32_e32 v36, v36
	v_ldexp_f32 v36, v36, v37
	s_wait_alu 0xf1ff
	s_delay_alu instid0(VALU_DEP_1) | instskip(SKIP_2) | instid1(VALU_DEP_1)
	v_cndmask_b32_e64 v36, 0, v36, s15
	v_cmp_nlt_f32_e64 s15, 0x42b17218, v35
	s_wait_alu 0xf1ff
	v_cndmask_b32_e64 v37, 0x7f800000, v36, s15
	s_delay_alu instid0(VALU_DEP_1) | instskip(NEXT) | instid1(VALU_DEP_1)
	v_add_f32_e32 v38, 1.0, v37
	v_cvt_f64_f32_e32 v[35:36], v38
	s_delay_alu instid0(VALU_DEP_1) | instskip(SKIP_1) | instid1(VALU_DEP_1)
	v_frexp_exp_i32_f64_e32 v35, v[35:36]
	v_frexp_mant_f32_e32 v36, v38
	v_cmp_gt_f32_e64 s15, 0x3f2aaaab, v36
	v_add_f32_e32 v36, -1.0, v38
	s_delay_alu instid0(VALU_DEP_1)
	v_sub_f32_e32 v40, v36, v38
	v_sub_f32_e32 v36, v37, v36
	s_wait_alu 0xf1ff
	v_subrev_co_ci_u32_e64 v35, null, 0, v35, s15
	s_mov_b32 s15, 0x3e9b6dac
	v_sub_nc_u32_e32 v39, 0, v35
	v_cvt_f32_i32_e32 v35, v35
	s_delay_alu instid0(VALU_DEP_2) | instskip(NEXT) | instid1(VALU_DEP_1)
	v_ldexp_f32 v38, v38, v39
	v_dual_add_f32 v41, 1.0, v38 :: v_dual_add_f32 v40, 1.0, v40
	s_delay_alu instid0(VALU_DEP_1) | instskip(NEXT) | instid1(VALU_DEP_2)
	v_add_f32_e32 v36, v36, v40
	v_add_f32_e32 v40, -1.0, v41
	s_delay_alu instid0(VALU_DEP_2) | instskip(NEXT) | instid1(VALU_DEP_2)
	v_ldexp_f32 v36, v36, v39
	v_dual_add_f32 v39, -1.0, v38 :: v_dual_sub_f32 v40, v38, v40
	s_delay_alu instid0(VALU_DEP_1) | instskip(NEXT) | instid1(VALU_DEP_2)
	v_add_f32_e32 v42, 1.0, v39
	v_add_f32_e32 v40, v36, v40
	s_delay_alu instid0(VALU_DEP_2) | instskip(NEXT) | instid1(VALU_DEP_2)
	v_sub_f32_e32 v38, v38, v42
	v_add_f32_e32 v42, v41, v40
	s_delay_alu instid0(VALU_DEP_2) | instskip(NEXT) | instid1(VALU_DEP_2)
	v_add_f32_e32 v36, v36, v38
	v_rcp_f32_e32 v38, v42
	v_sub_f32_e32 v41, v41, v42
	s_delay_alu instid0(VALU_DEP_1) | instskip(NEXT) | instid1(VALU_DEP_1)
	v_dual_add_f32 v43, v39, v36 :: v_dual_add_f32 v40, v40, v41
	v_sub_f32_e32 v39, v39, v43
	s_delay_alu instid0(TRANS32_DEP_1) | instskip(NEXT) | instid1(VALU_DEP_1)
	v_mul_f32_e32 v44, v43, v38
	v_dual_add_f32 v36, v36, v39 :: v_dual_mul_f32 v45, v42, v44
	s_delay_alu instid0(VALU_DEP_1) | instskip(NEXT) | instid1(VALU_DEP_1)
	v_fma_f32 v41, v44, v42, -v45
	v_fmac_f32_e32 v41, v44, v40
	s_delay_alu instid0(VALU_DEP_1) | instskip(NEXT) | instid1(VALU_DEP_1)
	v_add_f32_e32 v46, v45, v41
	v_sub_f32_e32 v47, v43, v46
	v_sub_f32_e32 v39, v46, v45
	s_delay_alu instid0(VALU_DEP_2) | instskip(NEXT) | instid1(VALU_DEP_2)
	v_sub_f32_e32 v43, v43, v47
	v_sub_f32_e32 v39, v39, v41
	s_delay_alu instid0(VALU_DEP_2) | instskip(NEXT) | instid1(VALU_DEP_1)
	v_sub_f32_e32 v43, v43, v46
	v_add_f32_e32 v36, v36, v43
	s_delay_alu instid0(VALU_DEP_1) | instskip(NEXT) | instid1(VALU_DEP_1)
	v_add_f32_e32 v36, v39, v36
	v_add_f32_e32 v39, v47, v36
	s_delay_alu instid0(VALU_DEP_1) | instskip(NEXT) | instid1(VALU_DEP_1)
	v_mul_f32_e32 v41, v38, v39
	v_dual_sub_f32 v46, v47, v39 :: v_dual_mul_f32 v43, v42, v41
	s_delay_alu instid0(VALU_DEP_1) | instskip(NEXT) | instid1(VALU_DEP_2)
	v_add_f32_e32 v36, v36, v46
	v_fma_f32 v42, v41, v42, -v43
	s_delay_alu instid0(VALU_DEP_1) | instskip(NEXT) | instid1(VALU_DEP_1)
	v_fmac_f32_e32 v42, v41, v40
	v_add_f32_e32 v40, v43, v42
	s_delay_alu instid0(VALU_DEP_1) | instskip(SKIP_1) | instid1(VALU_DEP_2)
	v_sub_f32_e32 v45, v39, v40
	v_sub_f32_e32 v43, v40, v43
	;; [unrolled: 1-line block ×3, first 2 shown]
	s_delay_alu instid0(VALU_DEP_1) | instskip(NEXT) | instid1(VALU_DEP_3)
	v_sub_f32_e32 v39, v39, v40
	v_sub_f32_e32 v40, v43, v42
	s_delay_alu instid0(VALU_DEP_2) | instskip(SKIP_1) | instid1(VALU_DEP_2)
	v_add_f32_e32 v36, v36, v39
	v_add_f32_e32 v39, v44, v41
	;; [unrolled: 1-line block ×3, first 2 shown]
	s_delay_alu instid0(VALU_DEP_2) | instskip(NEXT) | instid1(VALU_DEP_2)
	v_sub_f32_e32 v40, v39, v44
	v_add_f32_e32 v36, v45, v36
	s_delay_alu instid0(VALU_DEP_2) | instskip(NEXT) | instid1(VALU_DEP_2)
	v_sub_f32_e32 v40, v41, v40
	v_mul_f32_e32 v36, v38, v36
	s_delay_alu instid0(VALU_DEP_1) | instskip(NEXT) | instid1(VALU_DEP_1)
	v_add_f32_e32 v36, v40, v36
	v_add_f32_e32 v38, v39, v36
	s_delay_alu instid0(VALU_DEP_1) | instskip(SKIP_1) | instid1(VALU_DEP_1)
	v_mul_f32_e32 v40, v38, v38
	s_wait_alu 0xfffe
	v_fmaak_f32 v41, s15, v40, 0x3ecc95a3
	v_mul_f32_e32 v42, v38, v40
	v_cmp_neq_f32_e64 s15, 0x7f800000, v37
	s_delay_alu instid0(VALU_DEP_3) | instskip(SKIP_2) | instid1(VALU_DEP_3)
	v_fmaak_f32 v40, v40, v41, 0x3f2aaada
	v_ldexp_f32 v41, v38, 1
	v_sub_f32_e32 v38, v38, v39
	v_mul_f32_e32 v40, v42, v40
	v_mul_f32_e32 v42, 0x3f317218, v35
	s_delay_alu instid0(VALU_DEP_2) | instskip(NEXT) | instid1(VALU_DEP_1)
	v_dual_sub_f32 v36, v36, v38 :: v_dual_add_f32 v39, v41, v40
	v_ldexp_f32 v36, v36, 1
	s_delay_alu instid0(VALU_DEP_2) | instskip(NEXT) | instid1(VALU_DEP_4)
	v_sub_f32_e32 v38, v39, v41
	v_fma_f32 v41, 0x3f317218, v35, -v42
	s_delay_alu instid0(VALU_DEP_1) | instskip(NEXT) | instid1(VALU_DEP_1)
	v_dual_sub_f32 v38, v40, v38 :: v_dual_fmamk_f32 v35, v35, 0xb102e308, v41
	v_add_f32_e32 v36, v36, v38
	s_delay_alu instid0(VALU_DEP_2) | instskip(NEXT) | instid1(VALU_DEP_2)
	v_add_f32_e32 v38, v42, v35
	v_add_f32_e32 v40, v39, v36
	s_delay_alu instid0(VALU_DEP_2) | instskip(NEXT) | instid1(VALU_DEP_2)
	v_sub_f32_e32 v42, v38, v42
	v_add_f32_e32 v41, v38, v40
	v_sub_f32_e32 v39, v40, v39
	s_delay_alu instid0(VALU_DEP_3) | instskip(NEXT) | instid1(VALU_DEP_2)
	v_sub_f32_e32 v35, v35, v42
	v_dual_sub_f32 v43, v41, v38 :: v_dual_sub_f32 v36, v36, v39
	s_delay_alu instid0(VALU_DEP_1) | instskip(NEXT) | instid1(VALU_DEP_2)
	v_sub_f32_e32 v44, v41, v43
	v_dual_sub_f32 v39, v40, v43 :: v_dual_add_f32 v40, v35, v36
	s_delay_alu instid0(VALU_DEP_2) | instskip(NEXT) | instid1(VALU_DEP_1)
	v_sub_f32_e32 v38, v38, v44
	v_dual_add_f32 v38, v39, v38 :: v_dual_sub_f32 v39, v40, v35
	s_delay_alu instid0(VALU_DEP_1) | instskip(NEXT) | instid1(VALU_DEP_2)
	v_add_f32_e32 v38, v40, v38
	v_sub_f32_e32 v40, v40, v39
	v_sub_f32_e32 v36, v36, v39
	s_delay_alu instid0(VALU_DEP_2) | instskip(NEXT) | instid1(VALU_DEP_1)
	v_dual_add_f32 v42, v41, v38 :: v_dual_sub_f32 v35, v35, v40
	v_sub_f32_e32 v39, v42, v41
	s_delay_alu instid0(VALU_DEP_2) | instskip(NEXT) | instid1(VALU_DEP_2)
	v_add_f32_e32 v35, v36, v35
	v_sub_f32_e32 v36, v38, v39
	s_delay_alu instid0(VALU_DEP_1) | instskip(NEXT) | instid1(VALU_DEP_1)
	v_add_f32_e32 v35, v35, v36
	v_add_f32_e32 v35, v42, v35
	s_wait_alu 0xf1ff
	s_delay_alu instid0(VALU_DEP_1) | instskip(SKIP_2) | instid1(VALU_DEP_1)
	v_cndmask_b32_e64 v35, 0x7f800000, v35, s15
	v_cmp_gt_f32_e64 s15, 0x33800000, |v37|
	s_wait_alu 0xf1ff
	v_cndmask_b32_e64 v35, v35, v37, s15
	s_delay_alu instid0(VALU_DEP_1)
	v_add_f32_e32 v35, v34, v35
.LBB508_233:
	s_or_b32 exec_lo, exec_lo, s17
	ds_load_u16 v34, v30 offset:6
	v_bfe_u32 v36, v35, 16, 1
	v_cmp_o_f32_e64 s15, v35, v35
	s_delay_alu instid0(VALU_DEP_2) | instskip(SKIP_2) | instid1(VALU_DEP_1)
	v_add3_u32 v36, v35, v36, 0x7fff
	s_wait_dscnt 0x0
	v_lshlrev_b32_e32 v34, 16, v34
	v_dual_max_num_f32 v37, v34, v34 :: v_dual_and_b32 v36, 0xffff0000, v36
	s_wait_alu 0xf1ff
	s_delay_alu instid0(VALU_DEP_1) | instskip(NEXT) | instid1(VALU_DEP_1)
	v_cndmask_b32_e64 v35, 0x7fc00000, v36, s15
	v_max_num_f32_e32 v36, v35, v35
	v_cmp_u_f32_e64 s15, v35, v35
	s_delay_alu instid0(VALU_DEP_2) | instskip(SKIP_2) | instid1(VALU_DEP_2)
	v_min_num_f32_e32 v38, v36, v37
	v_max_num_f32_e32 v36, v36, v37
	s_wait_alu 0xf1ff
	v_cndmask_b32_e64 v37, v38, v35, s15
	s_delay_alu instid0(VALU_DEP_2) | instskip(SKIP_2) | instid1(VALU_DEP_1)
	v_cndmask_b32_e64 v38, v36, v35, s15
	v_cmp_u_f32_e64 s15, v34, v34
	s_wait_alu 0xf1ff
	v_cndmask_b32_e64 v36, v37, v34, s15
	s_delay_alu instid0(VALU_DEP_3) | instskip(NEXT) | instid1(VALU_DEP_2)
	v_cndmask_b32_e64 v34, v38, v34, s15
	v_cmp_class_f32_e64 s17, v36, 0x1f8
	s_delay_alu instid0(VALU_DEP_2)
	v_cmp_neq_f32_e64 s15, v36, v34
	s_or_b32 s15, s15, s17
	s_wait_alu 0xfffe
	s_and_saveexec_b32 s17, s15
	s_cbranch_execz .LBB508_235
; %bb.234:
	v_sub_f32_e32 v35, v36, v34
	s_delay_alu instid0(VALU_DEP_1) | instskip(SKIP_1) | instid1(VALU_DEP_2)
	v_mul_f32_e32 v36, 0x3fb8aa3b, v35
	v_cmp_ngt_f32_e64 s15, 0xc2ce8ed0, v35
	v_fma_f32 v37, 0x3fb8aa3b, v35, -v36
	v_rndne_f32_e32 v38, v36
	s_delay_alu instid0(VALU_DEP_1) | instskip(NEXT) | instid1(VALU_DEP_1)
	v_dual_fmamk_f32 v37, v35, 0x32a5705f, v37 :: v_dual_sub_f32 v36, v36, v38
	v_add_f32_e32 v36, v36, v37
	v_cvt_i32_f32_e32 v37, v38
	s_delay_alu instid0(VALU_DEP_2) | instskip(NEXT) | instid1(TRANS32_DEP_1)
	v_exp_f32_e32 v36, v36
	v_ldexp_f32 v36, v36, v37
	s_wait_alu 0xf1ff
	s_delay_alu instid0(VALU_DEP_1) | instskip(SKIP_2) | instid1(VALU_DEP_1)
	v_cndmask_b32_e64 v36, 0, v36, s15
	v_cmp_nlt_f32_e64 s15, 0x42b17218, v35
	s_wait_alu 0xf1ff
	v_cndmask_b32_e64 v37, 0x7f800000, v36, s15
	s_delay_alu instid0(VALU_DEP_1) | instskip(NEXT) | instid1(VALU_DEP_1)
	v_add_f32_e32 v38, 1.0, v37
	v_cvt_f64_f32_e32 v[35:36], v38
	s_delay_alu instid0(VALU_DEP_1) | instskip(SKIP_1) | instid1(VALU_DEP_1)
	v_frexp_exp_i32_f64_e32 v35, v[35:36]
	v_frexp_mant_f32_e32 v36, v38
	v_cmp_gt_f32_e64 s15, 0x3f2aaaab, v36
	v_add_f32_e32 v36, -1.0, v38
	s_delay_alu instid0(VALU_DEP_1)
	v_sub_f32_e32 v40, v36, v38
	v_sub_f32_e32 v36, v37, v36
	s_wait_alu 0xf1ff
	v_subrev_co_ci_u32_e64 v35, null, 0, v35, s15
	s_mov_b32 s15, 0x3e9b6dac
	v_sub_nc_u32_e32 v39, 0, v35
	v_cvt_f32_i32_e32 v35, v35
	s_delay_alu instid0(VALU_DEP_2) | instskip(NEXT) | instid1(VALU_DEP_1)
	v_ldexp_f32 v38, v38, v39
	v_dual_add_f32 v41, 1.0, v38 :: v_dual_add_f32 v40, 1.0, v40
	s_delay_alu instid0(VALU_DEP_1) | instskip(NEXT) | instid1(VALU_DEP_2)
	v_add_f32_e32 v36, v36, v40
	v_add_f32_e32 v40, -1.0, v41
	s_delay_alu instid0(VALU_DEP_2) | instskip(NEXT) | instid1(VALU_DEP_2)
	v_ldexp_f32 v36, v36, v39
	v_dual_add_f32 v39, -1.0, v38 :: v_dual_sub_f32 v40, v38, v40
	s_delay_alu instid0(VALU_DEP_1) | instskip(NEXT) | instid1(VALU_DEP_2)
	v_add_f32_e32 v42, 1.0, v39
	v_add_f32_e32 v40, v36, v40
	s_delay_alu instid0(VALU_DEP_2) | instskip(NEXT) | instid1(VALU_DEP_2)
	v_sub_f32_e32 v38, v38, v42
	v_add_f32_e32 v42, v41, v40
	s_delay_alu instid0(VALU_DEP_2) | instskip(NEXT) | instid1(VALU_DEP_2)
	v_add_f32_e32 v36, v36, v38
	v_rcp_f32_e32 v38, v42
	v_sub_f32_e32 v41, v41, v42
	s_delay_alu instid0(VALU_DEP_1) | instskip(NEXT) | instid1(VALU_DEP_1)
	v_dual_add_f32 v43, v39, v36 :: v_dual_add_f32 v40, v40, v41
	v_sub_f32_e32 v39, v39, v43
	s_delay_alu instid0(TRANS32_DEP_1) | instskip(NEXT) | instid1(VALU_DEP_1)
	v_mul_f32_e32 v44, v43, v38
	v_dual_add_f32 v36, v36, v39 :: v_dual_mul_f32 v45, v42, v44
	s_delay_alu instid0(VALU_DEP_1) | instskip(NEXT) | instid1(VALU_DEP_1)
	v_fma_f32 v41, v44, v42, -v45
	v_fmac_f32_e32 v41, v44, v40
	s_delay_alu instid0(VALU_DEP_1) | instskip(NEXT) | instid1(VALU_DEP_1)
	v_add_f32_e32 v46, v45, v41
	v_sub_f32_e32 v47, v43, v46
	v_sub_f32_e32 v39, v46, v45
	s_delay_alu instid0(VALU_DEP_2) | instskip(NEXT) | instid1(VALU_DEP_2)
	v_sub_f32_e32 v43, v43, v47
	v_sub_f32_e32 v39, v39, v41
	s_delay_alu instid0(VALU_DEP_2) | instskip(NEXT) | instid1(VALU_DEP_1)
	v_sub_f32_e32 v43, v43, v46
	v_add_f32_e32 v36, v36, v43
	s_delay_alu instid0(VALU_DEP_1) | instskip(NEXT) | instid1(VALU_DEP_1)
	v_add_f32_e32 v36, v39, v36
	v_add_f32_e32 v39, v47, v36
	s_delay_alu instid0(VALU_DEP_1) | instskip(NEXT) | instid1(VALU_DEP_1)
	v_mul_f32_e32 v41, v38, v39
	v_dual_sub_f32 v46, v47, v39 :: v_dual_mul_f32 v43, v42, v41
	s_delay_alu instid0(VALU_DEP_1) | instskip(NEXT) | instid1(VALU_DEP_2)
	v_add_f32_e32 v36, v36, v46
	v_fma_f32 v42, v41, v42, -v43
	s_delay_alu instid0(VALU_DEP_1) | instskip(NEXT) | instid1(VALU_DEP_1)
	v_fmac_f32_e32 v42, v41, v40
	v_add_f32_e32 v40, v43, v42
	s_delay_alu instid0(VALU_DEP_1) | instskip(SKIP_1) | instid1(VALU_DEP_2)
	v_sub_f32_e32 v45, v39, v40
	v_sub_f32_e32 v43, v40, v43
	;; [unrolled: 1-line block ×3, first 2 shown]
	s_delay_alu instid0(VALU_DEP_1) | instskip(NEXT) | instid1(VALU_DEP_3)
	v_sub_f32_e32 v39, v39, v40
	v_sub_f32_e32 v40, v43, v42
	s_delay_alu instid0(VALU_DEP_2) | instskip(SKIP_1) | instid1(VALU_DEP_2)
	v_add_f32_e32 v36, v36, v39
	v_add_f32_e32 v39, v44, v41
	;; [unrolled: 1-line block ×3, first 2 shown]
	s_delay_alu instid0(VALU_DEP_2) | instskip(NEXT) | instid1(VALU_DEP_2)
	v_sub_f32_e32 v40, v39, v44
	v_add_f32_e32 v36, v45, v36
	s_delay_alu instid0(VALU_DEP_2) | instskip(NEXT) | instid1(VALU_DEP_2)
	v_sub_f32_e32 v40, v41, v40
	v_mul_f32_e32 v36, v38, v36
	s_delay_alu instid0(VALU_DEP_1) | instskip(NEXT) | instid1(VALU_DEP_1)
	v_add_f32_e32 v36, v40, v36
	v_add_f32_e32 v38, v39, v36
	s_delay_alu instid0(VALU_DEP_1) | instskip(SKIP_1) | instid1(VALU_DEP_1)
	v_mul_f32_e32 v40, v38, v38
	s_wait_alu 0xfffe
	v_fmaak_f32 v41, s15, v40, 0x3ecc95a3
	v_mul_f32_e32 v42, v38, v40
	v_cmp_neq_f32_e64 s15, 0x7f800000, v37
	s_delay_alu instid0(VALU_DEP_3) | instskip(SKIP_2) | instid1(VALU_DEP_3)
	v_fmaak_f32 v40, v40, v41, 0x3f2aaada
	v_ldexp_f32 v41, v38, 1
	v_sub_f32_e32 v38, v38, v39
	v_mul_f32_e32 v40, v42, v40
	v_mul_f32_e32 v42, 0x3f317218, v35
	s_delay_alu instid0(VALU_DEP_2) | instskip(NEXT) | instid1(VALU_DEP_1)
	v_dual_sub_f32 v36, v36, v38 :: v_dual_add_f32 v39, v41, v40
	v_ldexp_f32 v36, v36, 1
	s_delay_alu instid0(VALU_DEP_2) | instskip(NEXT) | instid1(VALU_DEP_4)
	v_sub_f32_e32 v38, v39, v41
	v_fma_f32 v41, 0x3f317218, v35, -v42
	s_delay_alu instid0(VALU_DEP_1) | instskip(NEXT) | instid1(VALU_DEP_1)
	v_dual_sub_f32 v38, v40, v38 :: v_dual_fmamk_f32 v35, v35, 0xb102e308, v41
	v_add_f32_e32 v36, v36, v38
	s_delay_alu instid0(VALU_DEP_2) | instskip(NEXT) | instid1(VALU_DEP_2)
	v_add_f32_e32 v38, v42, v35
	v_add_f32_e32 v40, v39, v36
	s_delay_alu instid0(VALU_DEP_2) | instskip(NEXT) | instid1(VALU_DEP_2)
	v_sub_f32_e32 v42, v38, v42
	v_add_f32_e32 v41, v38, v40
	v_sub_f32_e32 v39, v40, v39
	s_delay_alu instid0(VALU_DEP_3) | instskip(NEXT) | instid1(VALU_DEP_2)
	v_sub_f32_e32 v35, v35, v42
	v_dual_sub_f32 v43, v41, v38 :: v_dual_sub_f32 v36, v36, v39
	s_delay_alu instid0(VALU_DEP_1) | instskip(NEXT) | instid1(VALU_DEP_2)
	v_sub_f32_e32 v44, v41, v43
	v_dual_sub_f32 v39, v40, v43 :: v_dual_add_f32 v40, v35, v36
	s_delay_alu instid0(VALU_DEP_2) | instskip(NEXT) | instid1(VALU_DEP_1)
	v_sub_f32_e32 v38, v38, v44
	v_dual_add_f32 v38, v39, v38 :: v_dual_sub_f32 v39, v40, v35
	s_delay_alu instid0(VALU_DEP_1) | instskip(NEXT) | instid1(VALU_DEP_2)
	v_add_f32_e32 v38, v40, v38
	v_sub_f32_e32 v40, v40, v39
	v_sub_f32_e32 v36, v36, v39
	s_delay_alu instid0(VALU_DEP_2) | instskip(NEXT) | instid1(VALU_DEP_1)
	v_dual_add_f32 v42, v41, v38 :: v_dual_sub_f32 v35, v35, v40
	v_sub_f32_e32 v39, v42, v41
	s_delay_alu instid0(VALU_DEP_2) | instskip(NEXT) | instid1(VALU_DEP_2)
	v_add_f32_e32 v35, v36, v35
	v_sub_f32_e32 v36, v38, v39
	s_delay_alu instid0(VALU_DEP_1) | instskip(NEXT) | instid1(VALU_DEP_1)
	v_add_f32_e32 v35, v35, v36
	v_add_f32_e32 v35, v42, v35
	s_wait_alu 0xf1ff
	s_delay_alu instid0(VALU_DEP_1) | instskip(SKIP_2) | instid1(VALU_DEP_1)
	v_cndmask_b32_e64 v35, 0x7f800000, v35, s15
	v_cmp_gt_f32_e64 s15, 0x33800000, |v37|
	s_wait_alu 0xf1ff
	v_cndmask_b32_e64 v35, v35, v37, s15
	s_delay_alu instid0(VALU_DEP_1)
	v_add_f32_e32 v35, v34, v35
.LBB508_235:
	s_or_b32 exec_lo, exec_lo, s17
	ds_load_u16 v34, v30 offset:8
	v_bfe_u32 v36, v35, 16, 1
	v_cmp_o_f32_e64 s15, v35, v35
	s_delay_alu instid0(VALU_DEP_2) | instskip(SKIP_2) | instid1(VALU_DEP_1)
	v_add3_u32 v36, v35, v36, 0x7fff
	s_wait_dscnt 0x0
	v_lshlrev_b32_e32 v34, 16, v34
	v_dual_max_num_f32 v37, v34, v34 :: v_dual_and_b32 v36, 0xffff0000, v36
	s_wait_alu 0xf1ff
	s_delay_alu instid0(VALU_DEP_1) | instskip(NEXT) | instid1(VALU_DEP_1)
	v_cndmask_b32_e64 v35, 0x7fc00000, v36, s15
	v_max_num_f32_e32 v36, v35, v35
	v_cmp_u_f32_e64 s15, v35, v35
	s_delay_alu instid0(VALU_DEP_2) | instskip(SKIP_2) | instid1(VALU_DEP_2)
	v_min_num_f32_e32 v38, v36, v37
	v_max_num_f32_e32 v36, v36, v37
	s_wait_alu 0xf1ff
	v_cndmask_b32_e64 v37, v38, v35, s15
	s_delay_alu instid0(VALU_DEP_2) | instskip(SKIP_2) | instid1(VALU_DEP_1)
	v_cndmask_b32_e64 v38, v36, v35, s15
	v_cmp_u_f32_e64 s15, v34, v34
	s_wait_alu 0xf1ff
	v_cndmask_b32_e64 v36, v37, v34, s15
	s_delay_alu instid0(VALU_DEP_3) | instskip(NEXT) | instid1(VALU_DEP_2)
	v_cndmask_b32_e64 v34, v38, v34, s15
	v_cmp_class_f32_e64 s17, v36, 0x1f8
	s_delay_alu instid0(VALU_DEP_2)
	v_cmp_neq_f32_e64 s15, v36, v34
	s_or_b32 s15, s15, s17
	s_wait_alu 0xfffe
	s_and_saveexec_b32 s17, s15
	s_cbranch_execz .LBB508_237
; %bb.236:
	v_sub_f32_e32 v35, v36, v34
	s_delay_alu instid0(VALU_DEP_1) | instskip(SKIP_1) | instid1(VALU_DEP_2)
	v_mul_f32_e32 v36, 0x3fb8aa3b, v35
	v_cmp_ngt_f32_e64 s15, 0xc2ce8ed0, v35
	v_fma_f32 v37, 0x3fb8aa3b, v35, -v36
	v_rndne_f32_e32 v38, v36
	s_delay_alu instid0(VALU_DEP_1) | instskip(NEXT) | instid1(VALU_DEP_1)
	v_dual_fmamk_f32 v37, v35, 0x32a5705f, v37 :: v_dual_sub_f32 v36, v36, v38
	v_add_f32_e32 v36, v36, v37
	v_cvt_i32_f32_e32 v37, v38
	s_delay_alu instid0(VALU_DEP_2) | instskip(NEXT) | instid1(TRANS32_DEP_1)
	v_exp_f32_e32 v36, v36
	v_ldexp_f32 v36, v36, v37
	s_wait_alu 0xf1ff
	s_delay_alu instid0(VALU_DEP_1) | instskip(SKIP_2) | instid1(VALU_DEP_1)
	v_cndmask_b32_e64 v36, 0, v36, s15
	v_cmp_nlt_f32_e64 s15, 0x42b17218, v35
	s_wait_alu 0xf1ff
	v_cndmask_b32_e64 v37, 0x7f800000, v36, s15
	s_delay_alu instid0(VALU_DEP_1) | instskip(NEXT) | instid1(VALU_DEP_1)
	v_add_f32_e32 v38, 1.0, v37
	v_cvt_f64_f32_e32 v[35:36], v38
	s_delay_alu instid0(VALU_DEP_1) | instskip(SKIP_1) | instid1(VALU_DEP_1)
	v_frexp_exp_i32_f64_e32 v35, v[35:36]
	v_frexp_mant_f32_e32 v36, v38
	v_cmp_gt_f32_e64 s15, 0x3f2aaaab, v36
	v_add_f32_e32 v36, -1.0, v38
	s_delay_alu instid0(VALU_DEP_1)
	v_sub_f32_e32 v40, v36, v38
	v_sub_f32_e32 v36, v37, v36
	s_wait_alu 0xf1ff
	v_subrev_co_ci_u32_e64 v35, null, 0, v35, s15
	s_mov_b32 s15, 0x3e9b6dac
	v_sub_nc_u32_e32 v39, 0, v35
	v_cvt_f32_i32_e32 v35, v35
	s_delay_alu instid0(VALU_DEP_2) | instskip(NEXT) | instid1(VALU_DEP_1)
	v_ldexp_f32 v38, v38, v39
	v_dual_add_f32 v41, 1.0, v38 :: v_dual_add_f32 v40, 1.0, v40
	s_delay_alu instid0(VALU_DEP_1) | instskip(NEXT) | instid1(VALU_DEP_2)
	v_add_f32_e32 v36, v36, v40
	v_add_f32_e32 v40, -1.0, v41
	s_delay_alu instid0(VALU_DEP_2) | instskip(NEXT) | instid1(VALU_DEP_2)
	v_ldexp_f32 v36, v36, v39
	v_dual_add_f32 v39, -1.0, v38 :: v_dual_sub_f32 v40, v38, v40
	s_delay_alu instid0(VALU_DEP_1) | instskip(NEXT) | instid1(VALU_DEP_2)
	v_add_f32_e32 v42, 1.0, v39
	v_add_f32_e32 v40, v36, v40
	s_delay_alu instid0(VALU_DEP_2) | instskip(NEXT) | instid1(VALU_DEP_2)
	v_sub_f32_e32 v38, v38, v42
	v_add_f32_e32 v42, v41, v40
	s_delay_alu instid0(VALU_DEP_2) | instskip(NEXT) | instid1(VALU_DEP_2)
	v_add_f32_e32 v36, v36, v38
	v_rcp_f32_e32 v38, v42
	v_sub_f32_e32 v41, v41, v42
	s_delay_alu instid0(VALU_DEP_1) | instskip(NEXT) | instid1(VALU_DEP_1)
	v_dual_add_f32 v43, v39, v36 :: v_dual_add_f32 v40, v40, v41
	v_sub_f32_e32 v39, v39, v43
	s_delay_alu instid0(TRANS32_DEP_1) | instskip(NEXT) | instid1(VALU_DEP_1)
	v_mul_f32_e32 v44, v43, v38
	v_dual_add_f32 v36, v36, v39 :: v_dual_mul_f32 v45, v42, v44
	s_delay_alu instid0(VALU_DEP_1) | instskip(NEXT) | instid1(VALU_DEP_1)
	v_fma_f32 v41, v44, v42, -v45
	v_fmac_f32_e32 v41, v44, v40
	s_delay_alu instid0(VALU_DEP_1) | instskip(NEXT) | instid1(VALU_DEP_1)
	v_add_f32_e32 v46, v45, v41
	v_sub_f32_e32 v47, v43, v46
	v_sub_f32_e32 v39, v46, v45
	s_delay_alu instid0(VALU_DEP_2) | instskip(NEXT) | instid1(VALU_DEP_2)
	v_sub_f32_e32 v43, v43, v47
	v_sub_f32_e32 v39, v39, v41
	s_delay_alu instid0(VALU_DEP_2) | instskip(NEXT) | instid1(VALU_DEP_1)
	v_sub_f32_e32 v43, v43, v46
	v_add_f32_e32 v36, v36, v43
	s_delay_alu instid0(VALU_DEP_1) | instskip(NEXT) | instid1(VALU_DEP_1)
	v_add_f32_e32 v36, v39, v36
	v_add_f32_e32 v39, v47, v36
	s_delay_alu instid0(VALU_DEP_1) | instskip(NEXT) | instid1(VALU_DEP_1)
	v_mul_f32_e32 v41, v38, v39
	v_dual_sub_f32 v46, v47, v39 :: v_dual_mul_f32 v43, v42, v41
	s_delay_alu instid0(VALU_DEP_1) | instskip(NEXT) | instid1(VALU_DEP_2)
	v_add_f32_e32 v36, v36, v46
	v_fma_f32 v42, v41, v42, -v43
	s_delay_alu instid0(VALU_DEP_1) | instskip(NEXT) | instid1(VALU_DEP_1)
	v_fmac_f32_e32 v42, v41, v40
	v_add_f32_e32 v40, v43, v42
	s_delay_alu instid0(VALU_DEP_1) | instskip(SKIP_1) | instid1(VALU_DEP_2)
	v_sub_f32_e32 v45, v39, v40
	v_sub_f32_e32 v43, v40, v43
	;; [unrolled: 1-line block ×3, first 2 shown]
	s_delay_alu instid0(VALU_DEP_1) | instskip(NEXT) | instid1(VALU_DEP_3)
	v_sub_f32_e32 v39, v39, v40
	v_sub_f32_e32 v40, v43, v42
	s_delay_alu instid0(VALU_DEP_2) | instskip(SKIP_1) | instid1(VALU_DEP_2)
	v_add_f32_e32 v36, v36, v39
	v_add_f32_e32 v39, v44, v41
	;; [unrolled: 1-line block ×3, first 2 shown]
	s_delay_alu instid0(VALU_DEP_2) | instskip(NEXT) | instid1(VALU_DEP_2)
	v_sub_f32_e32 v40, v39, v44
	v_add_f32_e32 v36, v45, v36
	s_delay_alu instid0(VALU_DEP_2) | instskip(NEXT) | instid1(VALU_DEP_2)
	v_sub_f32_e32 v40, v41, v40
	v_mul_f32_e32 v36, v38, v36
	s_delay_alu instid0(VALU_DEP_1) | instskip(NEXT) | instid1(VALU_DEP_1)
	v_add_f32_e32 v36, v40, v36
	v_add_f32_e32 v38, v39, v36
	s_delay_alu instid0(VALU_DEP_1) | instskip(SKIP_1) | instid1(VALU_DEP_1)
	v_mul_f32_e32 v40, v38, v38
	s_wait_alu 0xfffe
	v_fmaak_f32 v41, s15, v40, 0x3ecc95a3
	v_mul_f32_e32 v42, v38, v40
	v_cmp_neq_f32_e64 s15, 0x7f800000, v37
	s_delay_alu instid0(VALU_DEP_3) | instskip(SKIP_2) | instid1(VALU_DEP_3)
	v_fmaak_f32 v40, v40, v41, 0x3f2aaada
	v_ldexp_f32 v41, v38, 1
	v_sub_f32_e32 v38, v38, v39
	v_mul_f32_e32 v40, v42, v40
	v_mul_f32_e32 v42, 0x3f317218, v35
	s_delay_alu instid0(VALU_DEP_2) | instskip(NEXT) | instid1(VALU_DEP_1)
	v_dual_sub_f32 v36, v36, v38 :: v_dual_add_f32 v39, v41, v40
	v_ldexp_f32 v36, v36, 1
	s_delay_alu instid0(VALU_DEP_2) | instskip(NEXT) | instid1(VALU_DEP_4)
	v_sub_f32_e32 v38, v39, v41
	v_fma_f32 v41, 0x3f317218, v35, -v42
	s_delay_alu instid0(VALU_DEP_1) | instskip(NEXT) | instid1(VALU_DEP_1)
	v_dual_sub_f32 v38, v40, v38 :: v_dual_fmamk_f32 v35, v35, 0xb102e308, v41
	v_add_f32_e32 v36, v36, v38
	s_delay_alu instid0(VALU_DEP_2) | instskip(NEXT) | instid1(VALU_DEP_2)
	v_add_f32_e32 v38, v42, v35
	v_add_f32_e32 v40, v39, v36
	s_delay_alu instid0(VALU_DEP_2) | instskip(NEXT) | instid1(VALU_DEP_2)
	v_sub_f32_e32 v42, v38, v42
	v_add_f32_e32 v41, v38, v40
	v_sub_f32_e32 v39, v40, v39
	s_delay_alu instid0(VALU_DEP_3) | instskip(NEXT) | instid1(VALU_DEP_2)
	v_sub_f32_e32 v35, v35, v42
	v_dual_sub_f32 v43, v41, v38 :: v_dual_sub_f32 v36, v36, v39
	s_delay_alu instid0(VALU_DEP_1) | instskip(NEXT) | instid1(VALU_DEP_2)
	v_sub_f32_e32 v44, v41, v43
	v_dual_sub_f32 v39, v40, v43 :: v_dual_add_f32 v40, v35, v36
	s_delay_alu instid0(VALU_DEP_2) | instskip(NEXT) | instid1(VALU_DEP_1)
	v_sub_f32_e32 v38, v38, v44
	v_dual_add_f32 v38, v39, v38 :: v_dual_sub_f32 v39, v40, v35
	s_delay_alu instid0(VALU_DEP_1) | instskip(NEXT) | instid1(VALU_DEP_2)
	v_add_f32_e32 v38, v40, v38
	v_sub_f32_e32 v40, v40, v39
	v_sub_f32_e32 v36, v36, v39
	s_delay_alu instid0(VALU_DEP_2) | instskip(NEXT) | instid1(VALU_DEP_1)
	v_dual_add_f32 v42, v41, v38 :: v_dual_sub_f32 v35, v35, v40
	v_sub_f32_e32 v39, v42, v41
	s_delay_alu instid0(VALU_DEP_2) | instskip(NEXT) | instid1(VALU_DEP_2)
	v_add_f32_e32 v35, v36, v35
	v_sub_f32_e32 v36, v38, v39
	s_delay_alu instid0(VALU_DEP_1) | instskip(NEXT) | instid1(VALU_DEP_1)
	v_add_f32_e32 v35, v35, v36
	v_add_f32_e32 v35, v42, v35
	s_wait_alu 0xf1ff
	s_delay_alu instid0(VALU_DEP_1) | instskip(SKIP_2) | instid1(VALU_DEP_1)
	v_cndmask_b32_e64 v35, 0x7f800000, v35, s15
	v_cmp_gt_f32_e64 s15, 0x33800000, |v37|
	s_wait_alu 0xf1ff
	v_cndmask_b32_e64 v35, v35, v37, s15
	s_delay_alu instid0(VALU_DEP_1)
	v_add_f32_e32 v35, v34, v35
.LBB508_237:
	s_or_b32 exec_lo, exec_lo, s17
	ds_load_u16 v34, v30 offset:10
	v_bfe_u32 v36, v35, 16, 1
	v_cmp_o_f32_e64 s15, v35, v35
	s_delay_alu instid0(VALU_DEP_2) | instskip(SKIP_2) | instid1(VALU_DEP_1)
	v_add3_u32 v36, v35, v36, 0x7fff
	s_wait_dscnt 0x0
	v_lshlrev_b32_e32 v34, 16, v34
	v_dual_max_num_f32 v37, v34, v34 :: v_dual_and_b32 v36, 0xffff0000, v36
	s_wait_alu 0xf1ff
	s_delay_alu instid0(VALU_DEP_1) | instskip(NEXT) | instid1(VALU_DEP_1)
	v_cndmask_b32_e64 v35, 0x7fc00000, v36, s15
	v_max_num_f32_e32 v36, v35, v35
	v_cmp_u_f32_e64 s15, v35, v35
	s_delay_alu instid0(VALU_DEP_2) | instskip(SKIP_2) | instid1(VALU_DEP_2)
	v_min_num_f32_e32 v38, v36, v37
	v_max_num_f32_e32 v36, v36, v37
	s_wait_alu 0xf1ff
	v_cndmask_b32_e64 v37, v38, v35, s15
	s_delay_alu instid0(VALU_DEP_2) | instskip(SKIP_2) | instid1(VALU_DEP_1)
	v_cndmask_b32_e64 v38, v36, v35, s15
	v_cmp_u_f32_e64 s15, v34, v34
	s_wait_alu 0xf1ff
	v_cndmask_b32_e64 v36, v37, v34, s15
	s_delay_alu instid0(VALU_DEP_3) | instskip(NEXT) | instid1(VALU_DEP_2)
	v_cndmask_b32_e64 v34, v38, v34, s15
	v_cmp_class_f32_e64 s17, v36, 0x1f8
	s_delay_alu instid0(VALU_DEP_2)
	v_cmp_neq_f32_e64 s15, v36, v34
	s_or_b32 s15, s15, s17
	s_wait_alu 0xfffe
	s_and_saveexec_b32 s17, s15
	s_cbranch_execz .LBB508_239
; %bb.238:
	v_sub_f32_e32 v35, v36, v34
	s_delay_alu instid0(VALU_DEP_1) | instskip(SKIP_1) | instid1(VALU_DEP_2)
	v_mul_f32_e32 v36, 0x3fb8aa3b, v35
	v_cmp_ngt_f32_e64 s15, 0xc2ce8ed0, v35
	v_fma_f32 v37, 0x3fb8aa3b, v35, -v36
	v_rndne_f32_e32 v38, v36
	s_delay_alu instid0(VALU_DEP_1) | instskip(NEXT) | instid1(VALU_DEP_1)
	v_dual_fmamk_f32 v37, v35, 0x32a5705f, v37 :: v_dual_sub_f32 v36, v36, v38
	v_add_f32_e32 v36, v36, v37
	v_cvt_i32_f32_e32 v37, v38
	s_delay_alu instid0(VALU_DEP_2) | instskip(NEXT) | instid1(TRANS32_DEP_1)
	v_exp_f32_e32 v36, v36
	v_ldexp_f32 v36, v36, v37
	s_wait_alu 0xf1ff
	s_delay_alu instid0(VALU_DEP_1) | instskip(SKIP_2) | instid1(VALU_DEP_1)
	v_cndmask_b32_e64 v36, 0, v36, s15
	v_cmp_nlt_f32_e64 s15, 0x42b17218, v35
	s_wait_alu 0xf1ff
	v_cndmask_b32_e64 v37, 0x7f800000, v36, s15
	s_delay_alu instid0(VALU_DEP_1) | instskip(NEXT) | instid1(VALU_DEP_1)
	v_add_f32_e32 v38, 1.0, v37
	v_cvt_f64_f32_e32 v[35:36], v38
	s_delay_alu instid0(VALU_DEP_1) | instskip(SKIP_1) | instid1(VALU_DEP_1)
	v_frexp_exp_i32_f64_e32 v35, v[35:36]
	v_frexp_mant_f32_e32 v36, v38
	v_cmp_gt_f32_e64 s15, 0x3f2aaaab, v36
	v_add_f32_e32 v36, -1.0, v38
	s_delay_alu instid0(VALU_DEP_1)
	v_sub_f32_e32 v40, v36, v38
	v_sub_f32_e32 v36, v37, v36
	s_wait_alu 0xf1ff
	v_subrev_co_ci_u32_e64 v35, null, 0, v35, s15
	s_mov_b32 s15, 0x3e9b6dac
	v_sub_nc_u32_e32 v39, 0, v35
	v_cvt_f32_i32_e32 v35, v35
	s_delay_alu instid0(VALU_DEP_2) | instskip(NEXT) | instid1(VALU_DEP_1)
	v_ldexp_f32 v38, v38, v39
	v_dual_add_f32 v41, 1.0, v38 :: v_dual_add_f32 v40, 1.0, v40
	s_delay_alu instid0(VALU_DEP_1) | instskip(NEXT) | instid1(VALU_DEP_2)
	v_add_f32_e32 v36, v36, v40
	v_add_f32_e32 v40, -1.0, v41
	s_delay_alu instid0(VALU_DEP_2) | instskip(NEXT) | instid1(VALU_DEP_2)
	v_ldexp_f32 v36, v36, v39
	v_dual_add_f32 v39, -1.0, v38 :: v_dual_sub_f32 v40, v38, v40
	s_delay_alu instid0(VALU_DEP_1) | instskip(NEXT) | instid1(VALU_DEP_2)
	v_add_f32_e32 v42, 1.0, v39
	v_add_f32_e32 v40, v36, v40
	s_delay_alu instid0(VALU_DEP_2) | instskip(NEXT) | instid1(VALU_DEP_2)
	v_sub_f32_e32 v38, v38, v42
	v_add_f32_e32 v42, v41, v40
	s_delay_alu instid0(VALU_DEP_2) | instskip(NEXT) | instid1(VALU_DEP_2)
	v_add_f32_e32 v36, v36, v38
	v_rcp_f32_e32 v38, v42
	v_sub_f32_e32 v41, v41, v42
	s_delay_alu instid0(VALU_DEP_1) | instskip(NEXT) | instid1(VALU_DEP_1)
	v_dual_add_f32 v43, v39, v36 :: v_dual_add_f32 v40, v40, v41
	v_sub_f32_e32 v39, v39, v43
	s_delay_alu instid0(TRANS32_DEP_1) | instskip(NEXT) | instid1(VALU_DEP_1)
	v_mul_f32_e32 v44, v43, v38
	v_dual_add_f32 v36, v36, v39 :: v_dual_mul_f32 v45, v42, v44
	s_delay_alu instid0(VALU_DEP_1) | instskip(NEXT) | instid1(VALU_DEP_1)
	v_fma_f32 v41, v44, v42, -v45
	v_fmac_f32_e32 v41, v44, v40
	s_delay_alu instid0(VALU_DEP_1) | instskip(NEXT) | instid1(VALU_DEP_1)
	v_add_f32_e32 v46, v45, v41
	v_sub_f32_e32 v47, v43, v46
	v_sub_f32_e32 v39, v46, v45
	s_delay_alu instid0(VALU_DEP_2) | instskip(NEXT) | instid1(VALU_DEP_2)
	v_sub_f32_e32 v43, v43, v47
	v_sub_f32_e32 v39, v39, v41
	s_delay_alu instid0(VALU_DEP_2) | instskip(NEXT) | instid1(VALU_DEP_1)
	v_sub_f32_e32 v43, v43, v46
	v_add_f32_e32 v36, v36, v43
	s_delay_alu instid0(VALU_DEP_1) | instskip(NEXT) | instid1(VALU_DEP_1)
	v_add_f32_e32 v36, v39, v36
	v_add_f32_e32 v39, v47, v36
	s_delay_alu instid0(VALU_DEP_1) | instskip(NEXT) | instid1(VALU_DEP_1)
	v_mul_f32_e32 v41, v38, v39
	v_dual_sub_f32 v46, v47, v39 :: v_dual_mul_f32 v43, v42, v41
	s_delay_alu instid0(VALU_DEP_1) | instskip(NEXT) | instid1(VALU_DEP_2)
	v_add_f32_e32 v36, v36, v46
	v_fma_f32 v42, v41, v42, -v43
	s_delay_alu instid0(VALU_DEP_1) | instskip(NEXT) | instid1(VALU_DEP_1)
	v_fmac_f32_e32 v42, v41, v40
	v_add_f32_e32 v40, v43, v42
	s_delay_alu instid0(VALU_DEP_1) | instskip(SKIP_1) | instid1(VALU_DEP_2)
	v_sub_f32_e32 v45, v39, v40
	v_sub_f32_e32 v43, v40, v43
	;; [unrolled: 1-line block ×3, first 2 shown]
	s_delay_alu instid0(VALU_DEP_1) | instskip(NEXT) | instid1(VALU_DEP_3)
	v_sub_f32_e32 v39, v39, v40
	v_sub_f32_e32 v40, v43, v42
	s_delay_alu instid0(VALU_DEP_2) | instskip(SKIP_1) | instid1(VALU_DEP_2)
	v_add_f32_e32 v36, v36, v39
	v_add_f32_e32 v39, v44, v41
	;; [unrolled: 1-line block ×3, first 2 shown]
	s_delay_alu instid0(VALU_DEP_2) | instskip(NEXT) | instid1(VALU_DEP_2)
	v_sub_f32_e32 v40, v39, v44
	v_add_f32_e32 v36, v45, v36
	s_delay_alu instid0(VALU_DEP_2) | instskip(NEXT) | instid1(VALU_DEP_2)
	v_sub_f32_e32 v40, v41, v40
	v_mul_f32_e32 v36, v38, v36
	s_delay_alu instid0(VALU_DEP_1) | instskip(NEXT) | instid1(VALU_DEP_1)
	v_add_f32_e32 v36, v40, v36
	v_add_f32_e32 v38, v39, v36
	s_delay_alu instid0(VALU_DEP_1) | instskip(SKIP_1) | instid1(VALU_DEP_1)
	v_mul_f32_e32 v40, v38, v38
	s_wait_alu 0xfffe
	v_fmaak_f32 v41, s15, v40, 0x3ecc95a3
	v_mul_f32_e32 v42, v38, v40
	v_cmp_neq_f32_e64 s15, 0x7f800000, v37
	s_delay_alu instid0(VALU_DEP_3) | instskip(SKIP_2) | instid1(VALU_DEP_3)
	v_fmaak_f32 v40, v40, v41, 0x3f2aaada
	v_ldexp_f32 v41, v38, 1
	v_sub_f32_e32 v38, v38, v39
	v_mul_f32_e32 v40, v42, v40
	v_mul_f32_e32 v42, 0x3f317218, v35
	s_delay_alu instid0(VALU_DEP_2) | instskip(NEXT) | instid1(VALU_DEP_1)
	v_dual_sub_f32 v36, v36, v38 :: v_dual_add_f32 v39, v41, v40
	v_ldexp_f32 v36, v36, 1
	s_delay_alu instid0(VALU_DEP_2) | instskip(NEXT) | instid1(VALU_DEP_4)
	v_sub_f32_e32 v38, v39, v41
	v_fma_f32 v41, 0x3f317218, v35, -v42
	s_delay_alu instid0(VALU_DEP_1) | instskip(NEXT) | instid1(VALU_DEP_1)
	v_dual_sub_f32 v38, v40, v38 :: v_dual_fmamk_f32 v35, v35, 0xb102e308, v41
	v_add_f32_e32 v36, v36, v38
	s_delay_alu instid0(VALU_DEP_2) | instskip(NEXT) | instid1(VALU_DEP_2)
	v_add_f32_e32 v38, v42, v35
	v_add_f32_e32 v40, v39, v36
	s_delay_alu instid0(VALU_DEP_2) | instskip(NEXT) | instid1(VALU_DEP_2)
	v_sub_f32_e32 v42, v38, v42
	v_add_f32_e32 v41, v38, v40
	v_sub_f32_e32 v39, v40, v39
	s_delay_alu instid0(VALU_DEP_3) | instskip(NEXT) | instid1(VALU_DEP_2)
	v_sub_f32_e32 v35, v35, v42
	v_dual_sub_f32 v43, v41, v38 :: v_dual_sub_f32 v36, v36, v39
	s_delay_alu instid0(VALU_DEP_1) | instskip(NEXT) | instid1(VALU_DEP_2)
	v_sub_f32_e32 v44, v41, v43
	v_dual_sub_f32 v39, v40, v43 :: v_dual_add_f32 v40, v35, v36
	s_delay_alu instid0(VALU_DEP_2) | instskip(NEXT) | instid1(VALU_DEP_1)
	v_sub_f32_e32 v38, v38, v44
	v_dual_add_f32 v38, v39, v38 :: v_dual_sub_f32 v39, v40, v35
	s_delay_alu instid0(VALU_DEP_1) | instskip(NEXT) | instid1(VALU_DEP_2)
	v_add_f32_e32 v38, v40, v38
	v_sub_f32_e32 v40, v40, v39
	v_sub_f32_e32 v36, v36, v39
	s_delay_alu instid0(VALU_DEP_2) | instskip(NEXT) | instid1(VALU_DEP_1)
	v_dual_add_f32 v42, v41, v38 :: v_dual_sub_f32 v35, v35, v40
	v_sub_f32_e32 v39, v42, v41
	s_delay_alu instid0(VALU_DEP_2) | instskip(NEXT) | instid1(VALU_DEP_2)
	v_add_f32_e32 v35, v36, v35
	v_sub_f32_e32 v36, v38, v39
	s_delay_alu instid0(VALU_DEP_1) | instskip(NEXT) | instid1(VALU_DEP_1)
	v_add_f32_e32 v35, v35, v36
	v_add_f32_e32 v35, v42, v35
	s_wait_alu 0xf1ff
	s_delay_alu instid0(VALU_DEP_1) | instskip(SKIP_2) | instid1(VALU_DEP_1)
	v_cndmask_b32_e64 v35, 0x7f800000, v35, s15
	v_cmp_gt_f32_e64 s15, 0x33800000, |v37|
	s_wait_alu 0xf1ff
	v_cndmask_b32_e64 v35, v35, v37, s15
	s_delay_alu instid0(VALU_DEP_1)
	v_add_f32_e32 v35, v34, v35
.LBB508_239:
	s_or_b32 exec_lo, exec_lo, s17
	ds_load_u16 v34, v30 offset:12
	v_bfe_u32 v36, v35, 16, 1
	v_cmp_o_f32_e64 s15, v35, v35
	s_delay_alu instid0(VALU_DEP_2) | instskip(SKIP_2) | instid1(VALU_DEP_1)
	v_add3_u32 v36, v35, v36, 0x7fff
	s_wait_dscnt 0x0
	v_lshlrev_b32_e32 v34, 16, v34
	v_dual_max_num_f32 v37, v34, v34 :: v_dual_and_b32 v36, 0xffff0000, v36
	s_wait_alu 0xf1ff
	s_delay_alu instid0(VALU_DEP_1) | instskip(NEXT) | instid1(VALU_DEP_1)
	v_cndmask_b32_e64 v35, 0x7fc00000, v36, s15
	v_max_num_f32_e32 v36, v35, v35
	v_cmp_u_f32_e64 s15, v35, v35
	s_delay_alu instid0(VALU_DEP_2) | instskip(SKIP_2) | instid1(VALU_DEP_2)
	v_min_num_f32_e32 v38, v36, v37
	v_max_num_f32_e32 v36, v36, v37
	s_wait_alu 0xf1ff
	v_cndmask_b32_e64 v37, v38, v35, s15
	s_delay_alu instid0(VALU_DEP_2) | instskip(SKIP_2) | instid1(VALU_DEP_1)
	v_cndmask_b32_e64 v38, v36, v35, s15
	v_cmp_u_f32_e64 s15, v34, v34
	s_wait_alu 0xf1ff
	v_cndmask_b32_e64 v36, v37, v34, s15
	s_delay_alu instid0(VALU_DEP_3) | instskip(NEXT) | instid1(VALU_DEP_2)
	v_cndmask_b32_e64 v34, v38, v34, s15
	v_cmp_class_f32_e64 s17, v36, 0x1f8
	s_delay_alu instid0(VALU_DEP_2)
	v_cmp_neq_f32_e64 s15, v36, v34
	s_or_b32 s15, s15, s17
	s_wait_alu 0xfffe
	s_and_saveexec_b32 s17, s15
	s_cbranch_execz .LBB508_241
; %bb.240:
	v_sub_f32_e32 v35, v36, v34
	s_delay_alu instid0(VALU_DEP_1) | instskip(SKIP_1) | instid1(VALU_DEP_2)
	v_mul_f32_e32 v36, 0x3fb8aa3b, v35
	v_cmp_ngt_f32_e64 s15, 0xc2ce8ed0, v35
	v_fma_f32 v37, 0x3fb8aa3b, v35, -v36
	v_rndne_f32_e32 v38, v36
	s_delay_alu instid0(VALU_DEP_1) | instskip(NEXT) | instid1(VALU_DEP_1)
	v_dual_fmamk_f32 v37, v35, 0x32a5705f, v37 :: v_dual_sub_f32 v36, v36, v38
	v_add_f32_e32 v36, v36, v37
	v_cvt_i32_f32_e32 v37, v38
	s_delay_alu instid0(VALU_DEP_2) | instskip(NEXT) | instid1(TRANS32_DEP_1)
	v_exp_f32_e32 v36, v36
	v_ldexp_f32 v36, v36, v37
	s_wait_alu 0xf1ff
	s_delay_alu instid0(VALU_DEP_1) | instskip(SKIP_2) | instid1(VALU_DEP_1)
	v_cndmask_b32_e64 v36, 0, v36, s15
	v_cmp_nlt_f32_e64 s15, 0x42b17218, v35
	s_wait_alu 0xf1ff
	v_cndmask_b32_e64 v37, 0x7f800000, v36, s15
	s_delay_alu instid0(VALU_DEP_1) | instskip(NEXT) | instid1(VALU_DEP_1)
	v_add_f32_e32 v38, 1.0, v37
	v_cvt_f64_f32_e32 v[35:36], v38
	s_delay_alu instid0(VALU_DEP_1) | instskip(SKIP_1) | instid1(VALU_DEP_1)
	v_frexp_exp_i32_f64_e32 v35, v[35:36]
	v_frexp_mant_f32_e32 v36, v38
	v_cmp_gt_f32_e64 s15, 0x3f2aaaab, v36
	v_add_f32_e32 v36, -1.0, v38
	s_delay_alu instid0(VALU_DEP_1)
	v_sub_f32_e32 v40, v36, v38
	v_sub_f32_e32 v36, v37, v36
	s_wait_alu 0xf1ff
	v_subrev_co_ci_u32_e64 v35, null, 0, v35, s15
	s_mov_b32 s15, 0x3e9b6dac
	v_sub_nc_u32_e32 v39, 0, v35
	v_cvt_f32_i32_e32 v35, v35
	s_delay_alu instid0(VALU_DEP_2) | instskip(NEXT) | instid1(VALU_DEP_1)
	v_ldexp_f32 v38, v38, v39
	v_dual_add_f32 v41, 1.0, v38 :: v_dual_add_f32 v40, 1.0, v40
	s_delay_alu instid0(VALU_DEP_1) | instskip(NEXT) | instid1(VALU_DEP_2)
	v_add_f32_e32 v36, v36, v40
	v_add_f32_e32 v40, -1.0, v41
	s_delay_alu instid0(VALU_DEP_2) | instskip(NEXT) | instid1(VALU_DEP_2)
	v_ldexp_f32 v36, v36, v39
	v_dual_add_f32 v39, -1.0, v38 :: v_dual_sub_f32 v40, v38, v40
	s_delay_alu instid0(VALU_DEP_1) | instskip(NEXT) | instid1(VALU_DEP_2)
	v_add_f32_e32 v42, 1.0, v39
	v_add_f32_e32 v40, v36, v40
	s_delay_alu instid0(VALU_DEP_2) | instskip(NEXT) | instid1(VALU_DEP_2)
	v_sub_f32_e32 v38, v38, v42
	v_add_f32_e32 v42, v41, v40
	s_delay_alu instid0(VALU_DEP_2) | instskip(NEXT) | instid1(VALU_DEP_2)
	v_add_f32_e32 v36, v36, v38
	v_rcp_f32_e32 v38, v42
	v_sub_f32_e32 v41, v41, v42
	s_delay_alu instid0(VALU_DEP_1) | instskip(NEXT) | instid1(VALU_DEP_1)
	v_dual_add_f32 v43, v39, v36 :: v_dual_add_f32 v40, v40, v41
	v_sub_f32_e32 v39, v39, v43
	s_delay_alu instid0(TRANS32_DEP_1) | instskip(NEXT) | instid1(VALU_DEP_1)
	v_mul_f32_e32 v44, v43, v38
	v_dual_add_f32 v36, v36, v39 :: v_dual_mul_f32 v45, v42, v44
	s_delay_alu instid0(VALU_DEP_1) | instskip(NEXT) | instid1(VALU_DEP_1)
	v_fma_f32 v41, v44, v42, -v45
	v_fmac_f32_e32 v41, v44, v40
	s_delay_alu instid0(VALU_DEP_1) | instskip(NEXT) | instid1(VALU_DEP_1)
	v_add_f32_e32 v46, v45, v41
	v_sub_f32_e32 v47, v43, v46
	v_sub_f32_e32 v39, v46, v45
	s_delay_alu instid0(VALU_DEP_2) | instskip(NEXT) | instid1(VALU_DEP_2)
	v_sub_f32_e32 v43, v43, v47
	v_sub_f32_e32 v39, v39, v41
	s_delay_alu instid0(VALU_DEP_2) | instskip(NEXT) | instid1(VALU_DEP_1)
	v_sub_f32_e32 v43, v43, v46
	v_add_f32_e32 v36, v36, v43
	s_delay_alu instid0(VALU_DEP_1) | instskip(NEXT) | instid1(VALU_DEP_1)
	v_add_f32_e32 v36, v39, v36
	v_add_f32_e32 v39, v47, v36
	s_delay_alu instid0(VALU_DEP_1) | instskip(NEXT) | instid1(VALU_DEP_1)
	v_mul_f32_e32 v41, v38, v39
	v_dual_sub_f32 v46, v47, v39 :: v_dual_mul_f32 v43, v42, v41
	s_delay_alu instid0(VALU_DEP_1) | instskip(NEXT) | instid1(VALU_DEP_2)
	v_add_f32_e32 v36, v36, v46
	v_fma_f32 v42, v41, v42, -v43
	s_delay_alu instid0(VALU_DEP_1) | instskip(NEXT) | instid1(VALU_DEP_1)
	v_fmac_f32_e32 v42, v41, v40
	v_add_f32_e32 v40, v43, v42
	s_delay_alu instid0(VALU_DEP_1) | instskip(SKIP_1) | instid1(VALU_DEP_2)
	v_sub_f32_e32 v45, v39, v40
	v_sub_f32_e32 v43, v40, v43
	;; [unrolled: 1-line block ×3, first 2 shown]
	s_delay_alu instid0(VALU_DEP_1) | instskip(NEXT) | instid1(VALU_DEP_3)
	v_sub_f32_e32 v39, v39, v40
	v_sub_f32_e32 v40, v43, v42
	s_delay_alu instid0(VALU_DEP_2) | instskip(SKIP_1) | instid1(VALU_DEP_2)
	v_add_f32_e32 v36, v36, v39
	v_add_f32_e32 v39, v44, v41
	;; [unrolled: 1-line block ×3, first 2 shown]
	s_delay_alu instid0(VALU_DEP_2) | instskip(NEXT) | instid1(VALU_DEP_2)
	v_sub_f32_e32 v40, v39, v44
	v_add_f32_e32 v36, v45, v36
	s_delay_alu instid0(VALU_DEP_2) | instskip(NEXT) | instid1(VALU_DEP_2)
	v_sub_f32_e32 v40, v41, v40
	v_mul_f32_e32 v36, v38, v36
	s_delay_alu instid0(VALU_DEP_1) | instskip(NEXT) | instid1(VALU_DEP_1)
	v_add_f32_e32 v36, v40, v36
	v_add_f32_e32 v38, v39, v36
	s_delay_alu instid0(VALU_DEP_1) | instskip(SKIP_1) | instid1(VALU_DEP_1)
	v_mul_f32_e32 v40, v38, v38
	s_wait_alu 0xfffe
	v_fmaak_f32 v41, s15, v40, 0x3ecc95a3
	v_mul_f32_e32 v42, v38, v40
	v_cmp_neq_f32_e64 s15, 0x7f800000, v37
	s_delay_alu instid0(VALU_DEP_3) | instskip(SKIP_2) | instid1(VALU_DEP_3)
	v_fmaak_f32 v40, v40, v41, 0x3f2aaada
	v_ldexp_f32 v41, v38, 1
	v_sub_f32_e32 v38, v38, v39
	v_mul_f32_e32 v40, v42, v40
	v_mul_f32_e32 v42, 0x3f317218, v35
	s_delay_alu instid0(VALU_DEP_2) | instskip(NEXT) | instid1(VALU_DEP_1)
	v_dual_sub_f32 v36, v36, v38 :: v_dual_add_f32 v39, v41, v40
	v_ldexp_f32 v36, v36, 1
	s_delay_alu instid0(VALU_DEP_2) | instskip(NEXT) | instid1(VALU_DEP_4)
	v_sub_f32_e32 v38, v39, v41
	v_fma_f32 v41, 0x3f317218, v35, -v42
	s_delay_alu instid0(VALU_DEP_1) | instskip(NEXT) | instid1(VALU_DEP_1)
	v_dual_sub_f32 v38, v40, v38 :: v_dual_fmamk_f32 v35, v35, 0xb102e308, v41
	v_add_f32_e32 v36, v36, v38
	s_delay_alu instid0(VALU_DEP_2) | instskip(NEXT) | instid1(VALU_DEP_2)
	v_add_f32_e32 v38, v42, v35
	v_add_f32_e32 v40, v39, v36
	s_delay_alu instid0(VALU_DEP_2) | instskip(NEXT) | instid1(VALU_DEP_2)
	v_sub_f32_e32 v42, v38, v42
	v_add_f32_e32 v41, v38, v40
	v_sub_f32_e32 v39, v40, v39
	s_delay_alu instid0(VALU_DEP_3) | instskip(NEXT) | instid1(VALU_DEP_2)
	v_sub_f32_e32 v35, v35, v42
	v_dual_sub_f32 v43, v41, v38 :: v_dual_sub_f32 v36, v36, v39
	s_delay_alu instid0(VALU_DEP_1) | instskip(NEXT) | instid1(VALU_DEP_2)
	v_sub_f32_e32 v44, v41, v43
	v_dual_sub_f32 v39, v40, v43 :: v_dual_add_f32 v40, v35, v36
	s_delay_alu instid0(VALU_DEP_2) | instskip(NEXT) | instid1(VALU_DEP_1)
	v_sub_f32_e32 v38, v38, v44
	v_dual_add_f32 v38, v39, v38 :: v_dual_sub_f32 v39, v40, v35
	s_delay_alu instid0(VALU_DEP_1) | instskip(NEXT) | instid1(VALU_DEP_2)
	v_add_f32_e32 v38, v40, v38
	v_sub_f32_e32 v40, v40, v39
	v_sub_f32_e32 v36, v36, v39
	s_delay_alu instid0(VALU_DEP_2) | instskip(NEXT) | instid1(VALU_DEP_1)
	v_dual_add_f32 v42, v41, v38 :: v_dual_sub_f32 v35, v35, v40
	v_sub_f32_e32 v39, v42, v41
	s_delay_alu instid0(VALU_DEP_2) | instskip(NEXT) | instid1(VALU_DEP_2)
	v_add_f32_e32 v35, v36, v35
	v_sub_f32_e32 v36, v38, v39
	s_delay_alu instid0(VALU_DEP_1) | instskip(NEXT) | instid1(VALU_DEP_1)
	v_add_f32_e32 v35, v35, v36
	v_add_f32_e32 v35, v42, v35
	s_wait_alu 0xf1ff
	s_delay_alu instid0(VALU_DEP_1) | instskip(SKIP_2) | instid1(VALU_DEP_1)
	v_cndmask_b32_e64 v35, 0x7f800000, v35, s15
	v_cmp_gt_f32_e64 s15, 0x33800000, |v37|
	s_wait_alu 0xf1ff
	v_cndmask_b32_e64 v35, v35, v37, s15
	s_delay_alu instid0(VALU_DEP_1)
	v_add_f32_e32 v35, v34, v35
.LBB508_241:
	s_or_b32 exec_lo, exec_lo, s17
	ds_load_u16 v34, v30 offset:14
	v_bfe_u32 v36, v35, 16, 1
	v_cmp_o_f32_e64 s15, v35, v35
	s_delay_alu instid0(VALU_DEP_2) | instskip(SKIP_2) | instid1(VALU_DEP_1)
	v_add3_u32 v36, v35, v36, 0x7fff
	s_wait_dscnt 0x0
	v_lshlrev_b32_e32 v34, 16, v34
	v_dual_max_num_f32 v37, v34, v34 :: v_dual_and_b32 v36, 0xffff0000, v36
	s_wait_alu 0xf1ff
	s_delay_alu instid0(VALU_DEP_1) | instskip(NEXT) | instid1(VALU_DEP_1)
	v_cndmask_b32_e64 v35, 0x7fc00000, v36, s15
	v_max_num_f32_e32 v36, v35, v35
	v_cmp_u_f32_e64 s15, v35, v35
	s_delay_alu instid0(VALU_DEP_2) | instskip(SKIP_2) | instid1(VALU_DEP_2)
	v_min_num_f32_e32 v38, v36, v37
	v_max_num_f32_e32 v36, v36, v37
	s_wait_alu 0xf1ff
	v_cndmask_b32_e64 v37, v38, v35, s15
	s_delay_alu instid0(VALU_DEP_2) | instskip(SKIP_2) | instid1(VALU_DEP_1)
	v_cndmask_b32_e64 v38, v36, v35, s15
	v_cmp_u_f32_e64 s15, v34, v34
	s_wait_alu 0xf1ff
	v_cndmask_b32_e64 v36, v37, v34, s15
	s_delay_alu instid0(VALU_DEP_3) | instskip(NEXT) | instid1(VALU_DEP_2)
	v_cndmask_b32_e64 v34, v38, v34, s15
	v_cmp_class_f32_e64 s17, v36, 0x1f8
	s_delay_alu instid0(VALU_DEP_2)
	v_cmp_neq_f32_e64 s15, v36, v34
	s_or_b32 s15, s15, s17
	s_wait_alu 0xfffe
	s_and_saveexec_b32 s17, s15
	s_cbranch_execz .LBB508_243
; %bb.242:
	v_sub_f32_e32 v35, v36, v34
	s_delay_alu instid0(VALU_DEP_1) | instskip(SKIP_1) | instid1(VALU_DEP_2)
	v_mul_f32_e32 v36, 0x3fb8aa3b, v35
	v_cmp_ngt_f32_e64 s15, 0xc2ce8ed0, v35
	v_fma_f32 v37, 0x3fb8aa3b, v35, -v36
	v_rndne_f32_e32 v38, v36
	s_delay_alu instid0(VALU_DEP_1) | instskip(NEXT) | instid1(VALU_DEP_1)
	v_dual_fmamk_f32 v37, v35, 0x32a5705f, v37 :: v_dual_sub_f32 v36, v36, v38
	v_add_f32_e32 v36, v36, v37
	v_cvt_i32_f32_e32 v37, v38
	s_delay_alu instid0(VALU_DEP_2) | instskip(NEXT) | instid1(TRANS32_DEP_1)
	v_exp_f32_e32 v36, v36
	v_ldexp_f32 v36, v36, v37
	s_wait_alu 0xf1ff
	s_delay_alu instid0(VALU_DEP_1) | instskip(SKIP_2) | instid1(VALU_DEP_1)
	v_cndmask_b32_e64 v36, 0, v36, s15
	v_cmp_nlt_f32_e64 s15, 0x42b17218, v35
	s_wait_alu 0xf1ff
	v_cndmask_b32_e64 v37, 0x7f800000, v36, s15
	s_delay_alu instid0(VALU_DEP_1) | instskip(NEXT) | instid1(VALU_DEP_1)
	v_add_f32_e32 v38, 1.0, v37
	v_cvt_f64_f32_e32 v[35:36], v38
	s_delay_alu instid0(VALU_DEP_1) | instskip(SKIP_1) | instid1(VALU_DEP_1)
	v_frexp_exp_i32_f64_e32 v35, v[35:36]
	v_frexp_mant_f32_e32 v36, v38
	v_cmp_gt_f32_e64 s15, 0x3f2aaaab, v36
	v_add_f32_e32 v36, -1.0, v38
	s_delay_alu instid0(VALU_DEP_1)
	v_sub_f32_e32 v40, v36, v38
	v_sub_f32_e32 v36, v37, v36
	s_wait_alu 0xf1ff
	v_subrev_co_ci_u32_e64 v35, null, 0, v35, s15
	s_mov_b32 s15, 0x3e9b6dac
	v_sub_nc_u32_e32 v39, 0, v35
	v_cvt_f32_i32_e32 v35, v35
	s_delay_alu instid0(VALU_DEP_2) | instskip(NEXT) | instid1(VALU_DEP_1)
	v_ldexp_f32 v38, v38, v39
	v_dual_add_f32 v41, 1.0, v38 :: v_dual_add_f32 v40, 1.0, v40
	s_delay_alu instid0(VALU_DEP_1) | instskip(NEXT) | instid1(VALU_DEP_2)
	v_add_f32_e32 v36, v36, v40
	v_add_f32_e32 v40, -1.0, v41
	s_delay_alu instid0(VALU_DEP_2) | instskip(NEXT) | instid1(VALU_DEP_2)
	v_ldexp_f32 v36, v36, v39
	v_dual_add_f32 v39, -1.0, v38 :: v_dual_sub_f32 v40, v38, v40
	s_delay_alu instid0(VALU_DEP_1) | instskip(NEXT) | instid1(VALU_DEP_2)
	v_add_f32_e32 v42, 1.0, v39
	v_add_f32_e32 v40, v36, v40
	s_delay_alu instid0(VALU_DEP_2) | instskip(NEXT) | instid1(VALU_DEP_2)
	v_sub_f32_e32 v38, v38, v42
	v_add_f32_e32 v42, v41, v40
	s_delay_alu instid0(VALU_DEP_2) | instskip(NEXT) | instid1(VALU_DEP_2)
	v_add_f32_e32 v36, v36, v38
	v_rcp_f32_e32 v38, v42
	v_sub_f32_e32 v41, v41, v42
	s_delay_alu instid0(VALU_DEP_1) | instskip(NEXT) | instid1(VALU_DEP_1)
	v_dual_add_f32 v43, v39, v36 :: v_dual_add_f32 v40, v40, v41
	v_sub_f32_e32 v39, v39, v43
	s_delay_alu instid0(TRANS32_DEP_1) | instskip(NEXT) | instid1(VALU_DEP_1)
	v_mul_f32_e32 v44, v43, v38
	v_dual_add_f32 v36, v36, v39 :: v_dual_mul_f32 v45, v42, v44
	s_delay_alu instid0(VALU_DEP_1) | instskip(NEXT) | instid1(VALU_DEP_1)
	v_fma_f32 v41, v44, v42, -v45
	v_fmac_f32_e32 v41, v44, v40
	s_delay_alu instid0(VALU_DEP_1) | instskip(NEXT) | instid1(VALU_DEP_1)
	v_add_f32_e32 v46, v45, v41
	v_sub_f32_e32 v47, v43, v46
	v_sub_f32_e32 v39, v46, v45
	s_delay_alu instid0(VALU_DEP_2) | instskip(NEXT) | instid1(VALU_DEP_2)
	v_sub_f32_e32 v43, v43, v47
	v_sub_f32_e32 v39, v39, v41
	s_delay_alu instid0(VALU_DEP_2) | instskip(NEXT) | instid1(VALU_DEP_1)
	v_sub_f32_e32 v43, v43, v46
	v_add_f32_e32 v36, v36, v43
	s_delay_alu instid0(VALU_DEP_1) | instskip(NEXT) | instid1(VALU_DEP_1)
	v_add_f32_e32 v36, v39, v36
	v_add_f32_e32 v39, v47, v36
	s_delay_alu instid0(VALU_DEP_1) | instskip(NEXT) | instid1(VALU_DEP_1)
	v_mul_f32_e32 v41, v38, v39
	v_dual_sub_f32 v46, v47, v39 :: v_dual_mul_f32 v43, v42, v41
	s_delay_alu instid0(VALU_DEP_1) | instskip(NEXT) | instid1(VALU_DEP_2)
	v_add_f32_e32 v36, v36, v46
	v_fma_f32 v42, v41, v42, -v43
	s_delay_alu instid0(VALU_DEP_1) | instskip(NEXT) | instid1(VALU_DEP_1)
	v_fmac_f32_e32 v42, v41, v40
	v_add_f32_e32 v40, v43, v42
	s_delay_alu instid0(VALU_DEP_1) | instskip(SKIP_1) | instid1(VALU_DEP_2)
	v_sub_f32_e32 v45, v39, v40
	v_sub_f32_e32 v43, v40, v43
	;; [unrolled: 1-line block ×3, first 2 shown]
	s_delay_alu instid0(VALU_DEP_1) | instskip(NEXT) | instid1(VALU_DEP_3)
	v_sub_f32_e32 v39, v39, v40
	v_sub_f32_e32 v40, v43, v42
	s_delay_alu instid0(VALU_DEP_2) | instskip(SKIP_1) | instid1(VALU_DEP_2)
	v_add_f32_e32 v36, v36, v39
	v_add_f32_e32 v39, v44, v41
	;; [unrolled: 1-line block ×3, first 2 shown]
	s_delay_alu instid0(VALU_DEP_2) | instskip(NEXT) | instid1(VALU_DEP_2)
	v_sub_f32_e32 v40, v39, v44
	v_add_f32_e32 v36, v45, v36
	s_delay_alu instid0(VALU_DEP_2) | instskip(NEXT) | instid1(VALU_DEP_2)
	v_sub_f32_e32 v40, v41, v40
	v_mul_f32_e32 v36, v38, v36
	s_delay_alu instid0(VALU_DEP_1) | instskip(NEXT) | instid1(VALU_DEP_1)
	v_add_f32_e32 v36, v40, v36
	v_add_f32_e32 v38, v39, v36
	s_delay_alu instid0(VALU_DEP_1) | instskip(SKIP_1) | instid1(VALU_DEP_1)
	v_mul_f32_e32 v40, v38, v38
	s_wait_alu 0xfffe
	v_fmaak_f32 v41, s15, v40, 0x3ecc95a3
	v_mul_f32_e32 v42, v38, v40
	v_cmp_neq_f32_e64 s15, 0x7f800000, v37
	s_delay_alu instid0(VALU_DEP_3) | instskip(SKIP_2) | instid1(VALU_DEP_3)
	v_fmaak_f32 v40, v40, v41, 0x3f2aaada
	v_ldexp_f32 v41, v38, 1
	v_sub_f32_e32 v38, v38, v39
	v_mul_f32_e32 v40, v42, v40
	v_mul_f32_e32 v42, 0x3f317218, v35
	s_delay_alu instid0(VALU_DEP_2) | instskip(NEXT) | instid1(VALU_DEP_1)
	v_dual_sub_f32 v36, v36, v38 :: v_dual_add_f32 v39, v41, v40
	v_ldexp_f32 v36, v36, 1
	s_delay_alu instid0(VALU_DEP_2) | instskip(NEXT) | instid1(VALU_DEP_4)
	v_sub_f32_e32 v38, v39, v41
	v_fma_f32 v41, 0x3f317218, v35, -v42
	s_delay_alu instid0(VALU_DEP_1) | instskip(NEXT) | instid1(VALU_DEP_1)
	v_dual_sub_f32 v38, v40, v38 :: v_dual_fmamk_f32 v35, v35, 0xb102e308, v41
	v_add_f32_e32 v36, v36, v38
	s_delay_alu instid0(VALU_DEP_2) | instskip(NEXT) | instid1(VALU_DEP_2)
	v_add_f32_e32 v38, v42, v35
	v_add_f32_e32 v40, v39, v36
	s_delay_alu instid0(VALU_DEP_2) | instskip(NEXT) | instid1(VALU_DEP_2)
	v_sub_f32_e32 v42, v38, v42
	v_add_f32_e32 v41, v38, v40
	v_sub_f32_e32 v39, v40, v39
	s_delay_alu instid0(VALU_DEP_3) | instskip(NEXT) | instid1(VALU_DEP_2)
	v_sub_f32_e32 v35, v35, v42
	v_dual_sub_f32 v43, v41, v38 :: v_dual_sub_f32 v36, v36, v39
	s_delay_alu instid0(VALU_DEP_1) | instskip(NEXT) | instid1(VALU_DEP_2)
	v_sub_f32_e32 v44, v41, v43
	v_dual_sub_f32 v39, v40, v43 :: v_dual_add_f32 v40, v35, v36
	s_delay_alu instid0(VALU_DEP_2) | instskip(NEXT) | instid1(VALU_DEP_1)
	v_sub_f32_e32 v38, v38, v44
	v_dual_add_f32 v38, v39, v38 :: v_dual_sub_f32 v39, v40, v35
	s_delay_alu instid0(VALU_DEP_1) | instskip(NEXT) | instid1(VALU_DEP_2)
	v_add_f32_e32 v38, v40, v38
	v_sub_f32_e32 v40, v40, v39
	v_sub_f32_e32 v36, v36, v39
	s_delay_alu instid0(VALU_DEP_2) | instskip(NEXT) | instid1(VALU_DEP_1)
	v_dual_add_f32 v42, v41, v38 :: v_dual_sub_f32 v35, v35, v40
	v_sub_f32_e32 v39, v42, v41
	s_delay_alu instid0(VALU_DEP_2) | instskip(NEXT) | instid1(VALU_DEP_2)
	v_add_f32_e32 v35, v36, v35
	v_sub_f32_e32 v36, v38, v39
	s_delay_alu instid0(VALU_DEP_1) | instskip(NEXT) | instid1(VALU_DEP_1)
	v_add_f32_e32 v35, v35, v36
	v_add_f32_e32 v35, v42, v35
	s_wait_alu 0xf1ff
	s_delay_alu instid0(VALU_DEP_1) | instskip(SKIP_2) | instid1(VALU_DEP_1)
	v_cndmask_b32_e64 v35, 0x7f800000, v35, s15
	v_cmp_gt_f32_e64 s15, 0x33800000, |v37|
	s_wait_alu 0xf1ff
	v_cndmask_b32_e64 v35, v35, v37, s15
	s_delay_alu instid0(VALU_DEP_1)
	v_add_f32_e32 v35, v34, v35
.LBB508_243:
	s_or_b32 exec_lo, exec_lo, s17
	s_delay_alu instid0(VALU_DEP_1) | instskip(SKIP_3) | instid1(VALU_DEP_1)
	v_bfe_u32 v34, v35, 16, 1
	v_cmp_o_f32_e64 s15, v35, v35
	s_mov_b32 s17, exec_lo
	v_add3_u32 v34, v35, v34, 0x7fff
	v_lshrrev_b32_e32 v34, 16, v34
	s_wait_alu 0xf1ff
	s_delay_alu instid0(VALU_DEP_1) | instskip(SKIP_1) | instid1(VALU_DEP_2)
	v_cndmask_b32_e64 v36, 0x7fc0, v34, s15
	v_mbcnt_lo_u32_b32 v34, -1, 0
	v_and_b32_e32 v37, 0xffff, v36
	s_delay_alu instid0(VALU_DEP_2) | instskip(NEXT) | instid1(VALU_DEP_2)
	v_and_b32_e32 v35, 15, v34
	v_mov_b32_dpp v38, v37 row_shr:1 row_mask:0xf bank_mask:0xf
	s_delay_alu instid0(VALU_DEP_2)
	v_cmpx_ne_u32_e32 0, v35
	s_xor_b32 s17, exec_lo, s17
	s_cbranch_execz .LBB508_247
; %bb.244:
	v_lshlrev_b32_e32 v36, 16, v37
	s_delay_alu instid0(VALU_DEP_1) | instskip(NEXT) | instid1(VALU_DEP_1)
	v_dual_max_num_f32 v38, v36, v36 :: v_dual_lshlrev_b32 v37, 16, v38
	v_max_num_f32_e32 v39, v37, v37
	v_cmp_u_f32_e64 s15, v37, v37
	s_delay_alu instid0(VALU_DEP_2) | instskip(SKIP_2) | instid1(VALU_DEP_2)
	v_min_num_f32_e32 v40, v39, v38
	v_max_num_f32_e32 v38, v39, v38
	s_wait_alu 0xf1ff
	v_cndmask_b32_e64 v39, v40, v37, s15
	s_delay_alu instid0(VALU_DEP_2) | instskip(SKIP_2) | instid1(VALU_DEP_1)
	v_cndmask_b32_e64 v40, v38, v37, s15
	v_cmp_u_f32_e64 s15, v36, v36
	s_wait_alu 0xf1ff
	v_cndmask_b32_e64 v38, v39, v36, s15
	s_delay_alu instid0(VALU_DEP_3) | instskip(NEXT) | instid1(VALU_DEP_2)
	v_cndmask_b32_e64 v36, v40, v36, s15
	v_cmp_class_f32_e64 s20, v38, 0x1f8
	s_delay_alu instid0(VALU_DEP_2)
	v_cmp_neq_f32_e64 s15, v38, v36
	s_or_b32 s15, s15, s20
	s_wait_alu 0xfffe
	s_and_saveexec_b32 s20, s15
	s_cbranch_execz .LBB508_246
; %bb.245:
	v_sub_f32_e32 v37, v38, v36
	s_delay_alu instid0(VALU_DEP_1) | instskip(SKIP_1) | instid1(VALU_DEP_2)
	v_mul_f32_e32 v38, 0x3fb8aa3b, v37
	v_cmp_ngt_f32_e64 s15, 0xc2ce8ed0, v37
	v_fma_f32 v39, 0x3fb8aa3b, v37, -v38
	v_rndne_f32_e32 v40, v38
	s_delay_alu instid0(VALU_DEP_1) | instskip(NEXT) | instid1(VALU_DEP_1)
	v_dual_fmamk_f32 v39, v37, 0x32a5705f, v39 :: v_dual_sub_f32 v38, v38, v40
	v_add_f32_e32 v38, v38, v39
	v_cvt_i32_f32_e32 v39, v40
	s_delay_alu instid0(VALU_DEP_2) | instskip(NEXT) | instid1(TRANS32_DEP_1)
	v_exp_f32_e32 v38, v38
	v_ldexp_f32 v38, v38, v39
	s_wait_alu 0xf1ff
	s_delay_alu instid0(VALU_DEP_1) | instskip(SKIP_2) | instid1(VALU_DEP_1)
	v_cndmask_b32_e64 v38, 0, v38, s15
	v_cmp_nlt_f32_e64 s15, 0x42b17218, v37
	s_wait_alu 0xf1ff
	v_cndmask_b32_e64 v39, 0x7f800000, v38, s15
	s_delay_alu instid0(VALU_DEP_1) | instskip(NEXT) | instid1(VALU_DEP_1)
	v_add_f32_e32 v40, 1.0, v39
	v_cvt_f64_f32_e32 v[37:38], v40
	s_delay_alu instid0(VALU_DEP_1) | instskip(SKIP_1) | instid1(VALU_DEP_1)
	v_frexp_exp_i32_f64_e32 v37, v[37:38]
	v_frexp_mant_f32_e32 v38, v40
	v_cmp_gt_f32_e64 s15, 0x3f2aaaab, v38
	v_add_f32_e32 v38, -1.0, v40
	s_delay_alu instid0(VALU_DEP_1)
	v_sub_f32_e32 v42, v38, v40
	v_sub_f32_e32 v38, v39, v38
	s_wait_alu 0xf1ff
	v_subrev_co_ci_u32_e64 v37, null, 0, v37, s15
	s_mov_b32 s15, 0x3e9b6dac
	v_sub_nc_u32_e32 v41, 0, v37
	v_cvt_f32_i32_e32 v37, v37
	s_delay_alu instid0(VALU_DEP_2) | instskip(NEXT) | instid1(VALU_DEP_1)
	v_ldexp_f32 v40, v40, v41
	v_dual_add_f32 v43, 1.0, v40 :: v_dual_add_f32 v42, 1.0, v42
	s_delay_alu instid0(VALU_DEP_1) | instskip(NEXT) | instid1(VALU_DEP_2)
	v_add_f32_e32 v38, v38, v42
	v_add_f32_e32 v42, -1.0, v43
	s_delay_alu instid0(VALU_DEP_2) | instskip(NEXT) | instid1(VALU_DEP_2)
	v_ldexp_f32 v38, v38, v41
	v_dual_add_f32 v41, -1.0, v40 :: v_dual_sub_f32 v42, v40, v42
	s_delay_alu instid0(VALU_DEP_1) | instskip(NEXT) | instid1(VALU_DEP_2)
	v_add_f32_e32 v44, 1.0, v41
	v_add_f32_e32 v42, v38, v42
	s_delay_alu instid0(VALU_DEP_2) | instskip(NEXT) | instid1(VALU_DEP_2)
	v_sub_f32_e32 v40, v40, v44
	v_add_f32_e32 v44, v43, v42
	s_delay_alu instid0(VALU_DEP_2) | instskip(NEXT) | instid1(VALU_DEP_2)
	v_add_f32_e32 v38, v38, v40
	v_rcp_f32_e32 v40, v44
	v_sub_f32_e32 v43, v43, v44
	s_delay_alu instid0(VALU_DEP_1) | instskip(NEXT) | instid1(VALU_DEP_1)
	v_dual_add_f32 v45, v41, v38 :: v_dual_add_f32 v42, v42, v43
	v_sub_f32_e32 v41, v41, v45
	s_delay_alu instid0(TRANS32_DEP_1) | instskip(NEXT) | instid1(VALU_DEP_1)
	v_mul_f32_e32 v46, v45, v40
	v_dual_add_f32 v38, v38, v41 :: v_dual_mul_f32 v47, v44, v46
	s_delay_alu instid0(VALU_DEP_1) | instskip(NEXT) | instid1(VALU_DEP_1)
	v_fma_f32 v43, v46, v44, -v47
	v_fmac_f32_e32 v43, v46, v42
	s_delay_alu instid0(VALU_DEP_1) | instskip(NEXT) | instid1(VALU_DEP_1)
	v_add_f32_e32 v48, v47, v43
	v_sub_f32_e32 v49, v45, v48
	v_sub_f32_e32 v41, v48, v47
	s_delay_alu instid0(VALU_DEP_2) | instskip(NEXT) | instid1(VALU_DEP_2)
	v_sub_f32_e32 v45, v45, v49
	v_sub_f32_e32 v41, v41, v43
	s_delay_alu instid0(VALU_DEP_2) | instskip(NEXT) | instid1(VALU_DEP_1)
	v_sub_f32_e32 v45, v45, v48
	v_add_f32_e32 v38, v38, v45
	s_delay_alu instid0(VALU_DEP_1) | instskip(NEXT) | instid1(VALU_DEP_1)
	v_add_f32_e32 v38, v41, v38
	v_add_f32_e32 v41, v49, v38
	s_delay_alu instid0(VALU_DEP_1) | instskip(NEXT) | instid1(VALU_DEP_1)
	v_mul_f32_e32 v43, v40, v41
	v_dual_sub_f32 v48, v49, v41 :: v_dual_mul_f32 v45, v44, v43
	s_delay_alu instid0(VALU_DEP_1) | instskip(NEXT) | instid1(VALU_DEP_2)
	v_add_f32_e32 v38, v38, v48
	v_fma_f32 v44, v43, v44, -v45
	s_delay_alu instid0(VALU_DEP_1) | instskip(NEXT) | instid1(VALU_DEP_1)
	v_fmac_f32_e32 v44, v43, v42
	v_add_f32_e32 v42, v45, v44
	s_delay_alu instid0(VALU_DEP_1) | instskip(SKIP_1) | instid1(VALU_DEP_2)
	v_sub_f32_e32 v47, v41, v42
	v_sub_f32_e32 v45, v42, v45
	;; [unrolled: 1-line block ×3, first 2 shown]
	s_delay_alu instid0(VALU_DEP_1) | instskip(NEXT) | instid1(VALU_DEP_3)
	v_sub_f32_e32 v41, v41, v42
	v_sub_f32_e32 v42, v45, v44
	s_delay_alu instid0(VALU_DEP_2) | instskip(SKIP_1) | instid1(VALU_DEP_2)
	v_add_f32_e32 v38, v38, v41
	v_add_f32_e32 v41, v46, v43
	;; [unrolled: 1-line block ×3, first 2 shown]
	s_delay_alu instid0(VALU_DEP_2) | instskip(NEXT) | instid1(VALU_DEP_2)
	v_sub_f32_e32 v42, v41, v46
	v_add_f32_e32 v38, v47, v38
	s_delay_alu instid0(VALU_DEP_2) | instskip(NEXT) | instid1(VALU_DEP_2)
	v_sub_f32_e32 v42, v43, v42
	v_mul_f32_e32 v38, v40, v38
	s_delay_alu instid0(VALU_DEP_1) | instskip(NEXT) | instid1(VALU_DEP_1)
	v_add_f32_e32 v38, v42, v38
	v_add_f32_e32 v40, v41, v38
	s_delay_alu instid0(VALU_DEP_1) | instskip(SKIP_1) | instid1(VALU_DEP_1)
	v_mul_f32_e32 v42, v40, v40
	s_wait_alu 0xfffe
	v_fmaak_f32 v43, s15, v42, 0x3ecc95a3
	v_mul_f32_e32 v44, v40, v42
	v_cmp_neq_f32_e64 s15, 0x7f800000, v39
	s_delay_alu instid0(VALU_DEP_3) | instskip(SKIP_2) | instid1(VALU_DEP_3)
	v_fmaak_f32 v42, v42, v43, 0x3f2aaada
	v_ldexp_f32 v43, v40, 1
	v_sub_f32_e32 v40, v40, v41
	v_mul_f32_e32 v42, v44, v42
	v_mul_f32_e32 v44, 0x3f317218, v37
	s_delay_alu instid0(VALU_DEP_2) | instskip(NEXT) | instid1(VALU_DEP_1)
	v_dual_sub_f32 v38, v38, v40 :: v_dual_add_f32 v41, v43, v42
	v_ldexp_f32 v38, v38, 1
	s_delay_alu instid0(VALU_DEP_2) | instskip(NEXT) | instid1(VALU_DEP_4)
	v_sub_f32_e32 v40, v41, v43
	v_fma_f32 v43, 0x3f317218, v37, -v44
	s_delay_alu instid0(VALU_DEP_1) | instskip(NEXT) | instid1(VALU_DEP_1)
	v_dual_sub_f32 v40, v42, v40 :: v_dual_fmamk_f32 v37, v37, 0xb102e308, v43
	v_add_f32_e32 v38, v38, v40
	s_delay_alu instid0(VALU_DEP_2) | instskip(NEXT) | instid1(VALU_DEP_2)
	v_add_f32_e32 v40, v44, v37
	v_add_f32_e32 v42, v41, v38
	s_delay_alu instid0(VALU_DEP_2) | instskip(NEXT) | instid1(VALU_DEP_2)
	v_sub_f32_e32 v44, v40, v44
	v_add_f32_e32 v43, v40, v42
	v_sub_f32_e32 v41, v42, v41
	s_delay_alu instid0(VALU_DEP_3) | instskip(NEXT) | instid1(VALU_DEP_2)
	v_sub_f32_e32 v37, v37, v44
	v_dual_sub_f32 v45, v43, v40 :: v_dual_sub_f32 v38, v38, v41
	s_delay_alu instid0(VALU_DEP_1) | instskip(NEXT) | instid1(VALU_DEP_2)
	v_sub_f32_e32 v46, v43, v45
	v_dual_sub_f32 v41, v42, v45 :: v_dual_add_f32 v42, v37, v38
	s_delay_alu instid0(VALU_DEP_2) | instskip(NEXT) | instid1(VALU_DEP_1)
	v_sub_f32_e32 v40, v40, v46
	v_dual_add_f32 v40, v41, v40 :: v_dual_sub_f32 v41, v42, v37
	s_delay_alu instid0(VALU_DEP_1) | instskip(NEXT) | instid1(VALU_DEP_2)
	v_add_f32_e32 v40, v42, v40
	v_sub_f32_e32 v42, v42, v41
	v_sub_f32_e32 v38, v38, v41
	s_delay_alu instid0(VALU_DEP_2) | instskip(NEXT) | instid1(VALU_DEP_1)
	v_dual_add_f32 v44, v43, v40 :: v_dual_sub_f32 v37, v37, v42
	v_sub_f32_e32 v41, v44, v43
	s_delay_alu instid0(VALU_DEP_2) | instskip(NEXT) | instid1(VALU_DEP_2)
	v_add_f32_e32 v37, v38, v37
	v_sub_f32_e32 v38, v40, v41
	s_delay_alu instid0(VALU_DEP_1) | instskip(NEXT) | instid1(VALU_DEP_1)
	v_add_f32_e32 v37, v37, v38
	v_add_f32_e32 v37, v44, v37
	s_wait_alu 0xf1ff
	s_delay_alu instid0(VALU_DEP_1) | instskip(SKIP_2) | instid1(VALU_DEP_1)
	v_cndmask_b32_e64 v37, 0x7f800000, v37, s15
	v_cmp_gt_f32_e64 s15, 0x33800000, |v39|
	s_wait_alu 0xf1ff
	v_cndmask_b32_e64 v37, v37, v39, s15
	s_delay_alu instid0(VALU_DEP_1)
	v_add_f32_e32 v37, v36, v37
.LBB508_246:
	s_or_b32 exec_lo, exec_lo, s20
	s_delay_alu instid0(VALU_DEP_1) | instskip(SKIP_1) | instid1(VALU_DEP_2)
	v_bfe_u32 v36, v37, 16, 1
	v_cmp_o_f32_e64 s15, v37, v37
	v_add3_u32 v36, v37, v36, 0x7fff
	s_delay_alu instid0(VALU_DEP_1) | instskip(SKIP_1) | instid1(VALU_DEP_1)
	v_lshrrev_b32_e32 v36, 16, v36
	s_wait_alu 0xf1ff
	v_cndmask_b32_e64 v36, 0x7fc0, v36, s15
	s_delay_alu instid0(VALU_DEP_1)
	v_and_b32_e32 v37, 0xffff, v36
.LBB508_247:
	s_or_b32 exec_lo, exec_lo, s17
	s_delay_alu instid0(VALU_DEP_1)
	v_mov_b32_dpp v38, v37 row_shr:2 row_mask:0xf bank_mask:0xf
	s_mov_b32 s17, exec_lo
	v_cmpx_lt_u32_e32 1, v35
	s_cbranch_execz .LBB508_251
; %bb.248:
	v_lshlrev_b32_e32 v36, 16, v37
	s_delay_alu instid0(VALU_DEP_1) | instskip(NEXT) | instid1(VALU_DEP_1)
	v_dual_max_num_f32 v38, v36, v36 :: v_dual_lshlrev_b32 v37, 16, v38
	v_max_num_f32_e32 v39, v37, v37
	v_cmp_u_f32_e64 s15, v37, v37
	s_delay_alu instid0(VALU_DEP_2) | instskip(SKIP_2) | instid1(VALU_DEP_2)
	v_min_num_f32_e32 v40, v39, v38
	v_max_num_f32_e32 v38, v39, v38
	s_wait_alu 0xf1ff
	v_cndmask_b32_e64 v39, v40, v37, s15
	s_delay_alu instid0(VALU_DEP_2) | instskip(SKIP_2) | instid1(VALU_DEP_1)
	v_cndmask_b32_e64 v40, v38, v37, s15
	v_cmp_u_f32_e64 s15, v36, v36
	s_wait_alu 0xf1ff
	v_cndmask_b32_e64 v38, v39, v36, s15
	s_delay_alu instid0(VALU_DEP_3) | instskip(NEXT) | instid1(VALU_DEP_2)
	v_cndmask_b32_e64 v36, v40, v36, s15
	v_cmp_class_f32_e64 s20, v38, 0x1f8
	s_delay_alu instid0(VALU_DEP_2)
	v_cmp_neq_f32_e64 s15, v38, v36
	s_or_b32 s15, s15, s20
	s_wait_alu 0xfffe
	s_and_saveexec_b32 s20, s15
	s_cbranch_execz .LBB508_250
; %bb.249:
	v_sub_f32_e32 v37, v38, v36
	s_delay_alu instid0(VALU_DEP_1) | instskip(SKIP_1) | instid1(VALU_DEP_2)
	v_mul_f32_e32 v38, 0x3fb8aa3b, v37
	v_cmp_ngt_f32_e64 s15, 0xc2ce8ed0, v37
	v_fma_f32 v39, 0x3fb8aa3b, v37, -v38
	v_rndne_f32_e32 v40, v38
	s_delay_alu instid0(VALU_DEP_1) | instskip(NEXT) | instid1(VALU_DEP_1)
	v_dual_fmamk_f32 v39, v37, 0x32a5705f, v39 :: v_dual_sub_f32 v38, v38, v40
	v_add_f32_e32 v38, v38, v39
	v_cvt_i32_f32_e32 v39, v40
	s_delay_alu instid0(VALU_DEP_2) | instskip(NEXT) | instid1(TRANS32_DEP_1)
	v_exp_f32_e32 v38, v38
	v_ldexp_f32 v38, v38, v39
	s_wait_alu 0xf1ff
	s_delay_alu instid0(VALU_DEP_1) | instskip(SKIP_2) | instid1(VALU_DEP_1)
	v_cndmask_b32_e64 v38, 0, v38, s15
	v_cmp_nlt_f32_e64 s15, 0x42b17218, v37
	s_wait_alu 0xf1ff
	v_cndmask_b32_e64 v39, 0x7f800000, v38, s15
	s_delay_alu instid0(VALU_DEP_1) | instskip(NEXT) | instid1(VALU_DEP_1)
	v_add_f32_e32 v40, 1.0, v39
	v_cvt_f64_f32_e32 v[37:38], v40
	s_delay_alu instid0(VALU_DEP_1) | instskip(SKIP_1) | instid1(VALU_DEP_1)
	v_frexp_exp_i32_f64_e32 v37, v[37:38]
	v_frexp_mant_f32_e32 v38, v40
	v_cmp_gt_f32_e64 s15, 0x3f2aaaab, v38
	v_add_f32_e32 v38, -1.0, v40
	s_delay_alu instid0(VALU_DEP_1)
	v_sub_f32_e32 v42, v38, v40
	v_sub_f32_e32 v38, v39, v38
	s_wait_alu 0xf1ff
	v_subrev_co_ci_u32_e64 v37, null, 0, v37, s15
	s_mov_b32 s15, 0x3e9b6dac
	v_sub_nc_u32_e32 v41, 0, v37
	v_cvt_f32_i32_e32 v37, v37
	s_delay_alu instid0(VALU_DEP_2) | instskip(NEXT) | instid1(VALU_DEP_1)
	v_ldexp_f32 v40, v40, v41
	v_dual_add_f32 v43, 1.0, v40 :: v_dual_add_f32 v42, 1.0, v42
	s_delay_alu instid0(VALU_DEP_1) | instskip(NEXT) | instid1(VALU_DEP_2)
	v_add_f32_e32 v38, v38, v42
	v_add_f32_e32 v42, -1.0, v43
	s_delay_alu instid0(VALU_DEP_2) | instskip(NEXT) | instid1(VALU_DEP_2)
	v_ldexp_f32 v38, v38, v41
	v_dual_add_f32 v41, -1.0, v40 :: v_dual_sub_f32 v42, v40, v42
	s_delay_alu instid0(VALU_DEP_1) | instskip(NEXT) | instid1(VALU_DEP_2)
	v_add_f32_e32 v44, 1.0, v41
	v_add_f32_e32 v42, v38, v42
	s_delay_alu instid0(VALU_DEP_2) | instskip(NEXT) | instid1(VALU_DEP_2)
	v_sub_f32_e32 v40, v40, v44
	v_add_f32_e32 v44, v43, v42
	s_delay_alu instid0(VALU_DEP_2) | instskip(NEXT) | instid1(VALU_DEP_2)
	v_add_f32_e32 v38, v38, v40
	v_rcp_f32_e32 v40, v44
	v_sub_f32_e32 v43, v43, v44
	s_delay_alu instid0(VALU_DEP_1) | instskip(NEXT) | instid1(VALU_DEP_1)
	v_dual_add_f32 v45, v41, v38 :: v_dual_add_f32 v42, v42, v43
	v_sub_f32_e32 v41, v41, v45
	s_delay_alu instid0(TRANS32_DEP_1) | instskip(NEXT) | instid1(VALU_DEP_1)
	v_mul_f32_e32 v46, v45, v40
	v_dual_add_f32 v38, v38, v41 :: v_dual_mul_f32 v47, v44, v46
	s_delay_alu instid0(VALU_DEP_1) | instskip(NEXT) | instid1(VALU_DEP_1)
	v_fma_f32 v43, v46, v44, -v47
	v_fmac_f32_e32 v43, v46, v42
	s_delay_alu instid0(VALU_DEP_1) | instskip(NEXT) | instid1(VALU_DEP_1)
	v_add_f32_e32 v48, v47, v43
	v_sub_f32_e32 v49, v45, v48
	v_sub_f32_e32 v41, v48, v47
	s_delay_alu instid0(VALU_DEP_2) | instskip(NEXT) | instid1(VALU_DEP_2)
	v_sub_f32_e32 v45, v45, v49
	v_sub_f32_e32 v41, v41, v43
	s_delay_alu instid0(VALU_DEP_2) | instskip(NEXT) | instid1(VALU_DEP_1)
	v_sub_f32_e32 v45, v45, v48
	v_add_f32_e32 v38, v38, v45
	s_delay_alu instid0(VALU_DEP_1) | instskip(NEXT) | instid1(VALU_DEP_1)
	v_add_f32_e32 v38, v41, v38
	v_add_f32_e32 v41, v49, v38
	s_delay_alu instid0(VALU_DEP_1) | instskip(NEXT) | instid1(VALU_DEP_1)
	v_mul_f32_e32 v43, v40, v41
	v_dual_sub_f32 v48, v49, v41 :: v_dual_mul_f32 v45, v44, v43
	s_delay_alu instid0(VALU_DEP_1) | instskip(NEXT) | instid1(VALU_DEP_2)
	v_add_f32_e32 v38, v38, v48
	v_fma_f32 v44, v43, v44, -v45
	s_delay_alu instid0(VALU_DEP_1) | instskip(NEXT) | instid1(VALU_DEP_1)
	v_fmac_f32_e32 v44, v43, v42
	v_add_f32_e32 v42, v45, v44
	s_delay_alu instid0(VALU_DEP_1) | instskip(SKIP_1) | instid1(VALU_DEP_2)
	v_sub_f32_e32 v47, v41, v42
	v_sub_f32_e32 v45, v42, v45
	;; [unrolled: 1-line block ×3, first 2 shown]
	s_delay_alu instid0(VALU_DEP_1) | instskip(NEXT) | instid1(VALU_DEP_3)
	v_sub_f32_e32 v41, v41, v42
	v_sub_f32_e32 v42, v45, v44
	s_delay_alu instid0(VALU_DEP_2) | instskip(SKIP_1) | instid1(VALU_DEP_2)
	v_add_f32_e32 v38, v38, v41
	v_add_f32_e32 v41, v46, v43
	;; [unrolled: 1-line block ×3, first 2 shown]
	s_delay_alu instid0(VALU_DEP_2) | instskip(NEXT) | instid1(VALU_DEP_2)
	v_sub_f32_e32 v42, v41, v46
	v_add_f32_e32 v38, v47, v38
	s_delay_alu instid0(VALU_DEP_2) | instskip(NEXT) | instid1(VALU_DEP_2)
	v_sub_f32_e32 v42, v43, v42
	v_mul_f32_e32 v38, v40, v38
	s_delay_alu instid0(VALU_DEP_1) | instskip(NEXT) | instid1(VALU_DEP_1)
	v_add_f32_e32 v38, v42, v38
	v_add_f32_e32 v40, v41, v38
	s_delay_alu instid0(VALU_DEP_1) | instskip(SKIP_1) | instid1(VALU_DEP_1)
	v_mul_f32_e32 v42, v40, v40
	s_wait_alu 0xfffe
	v_fmaak_f32 v43, s15, v42, 0x3ecc95a3
	v_mul_f32_e32 v44, v40, v42
	v_cmp_neq_f32_e64 s15, 0x7f800000, v39
	s_delay_alu instid0(VALU_DEP_3) | instskip(SKIP_2) | instid1(VALU_DEP_3)
	v_fmaak_f32 v42, v42, v43, 0x3f2aaada
	v_ldexp_f32 v43, v40, 1
	v_sub_f32_e32 v40, v40, v41
	v_mul_f32_e32 v42, v44, v42
	v_mul_f32_e32 v44, 0x3f317218, v37
	s_delay_alu instid0(VALU_DEP_2) | instskip(NEXT) | instid1(VALU_DEP_1)
	v_dual_sub_f32 v38, v38, v40 :: v_dual_add_f32 v41, v43, v42
	v_ldexp_f32 v38, v38, 1
	s_delay_alu instid0(VALU_DEP_2) | instskip(NEXT) | instid1(VALU_DEP_4)
	v_sub_f32_e32 v40, v41, v43
	v_fma_f32 v43, 0x3f317218, v37, -v44
	s_delay_alu instid0(VALU_DEP_1) | instskip(NEXT) | instid1(VALU_DEP_1)
	v_dual_sub_f32 v40, v42, v40 :: v_dual_fmamk_f32 v37, v37, 0xb102e308, v43
	v_add_f32_e32 v38, v38, v40
	s_delay_alu instid0(VALU_DEP_2) | instskip(NEXT) | instid1(VALU_DEP_2)
	v_add_f32_e32 v40, v44, v37
	v_add_f32_e32 v42, v41, v38
	s_delay_alu instid0(VALU_DEP_2) | instskip(NEXT) | instid1(VALU_DEP_2)
	v_sub_f32_e32 v44, v40, v44
	v_add_f32_e32 v43, v40, v42
	v_sub_f32_e32 v41, v42, v41
	s_delay_alu instid0(VALU_DEP_3) | instskip(NEXT) | instid1(VALU_DEP_2)
	v_sub_f32_e32 v37, v37, v44
	v_dual_sub_f32 v45, v43, v40 :: v_dual_sub_f32 v38, v38, v41
	s_delay_alu instid0(VALU_DEP_1) | instskip(NEXT) | instid1(VALU_DEP_2)
	v_sub_f32_e32 v46, v43, v45
	v_dual_sub_f32 v41, v42, v45 :: v_dual_add_f32 v42, v37, v38
	s_delay_alu instid0(VALU_DEP_2) | instskip(NEXT) | instid1(VALU_DEP_1)
	v_sub_f32_e32 v40, v40, v46
	v_dual_add_f32 v40, v41, v40 :: v_dual_sub_f32 v41, v42, v37
	s_delay_alu instid0(VALU_DEP_1) | instskip(NEXT) | instid1(VALU_DEP_2)
	v_add_f32_e32 v40, v42, v40
	v_sub_f32_e32 v42, v42, v41
	v_sub_f32_e32 v38, v38, v41
	s_delay_alu instid0(VALU_DEP_2) | instskip(NEXT) | instid1(VALU_DEP_1)
	v_dual_add_f32 v44, v43, v40 :: v_dual_sub_f32 v37, v37, v42
	v_sub_f32_e32 v41, v44, v43
	s_delay_alu instid0(VALU_DEP_2) | instskip(NEXT) | instid1(VALU_DEP_2)
	v_add_f32_e32 v37, v38, v37
	v_sub_f32_e32 v38, v40, v41
	s_delay_alu instid0(VALU_DEP_1) | instskip(NEXT) | instid1(VALU_DEP_1)
	v_add_f32_e32 v37, v37, v38
	v_add_f32_e32 v37, v44, v37
	s_wait_alu 0xf1ff
	s_delay_alu instid0(VALU_DEP_1) | instskip(SKIP_2) | instid1(VALU_DEP_1)
	v_cndmask_b32_e64 v37, 0x7f800000, v37, s15
	v_cmp_gt_f32_e64 s15, 0x33800000, |v39|
	s_wait_alu 0xf1ff
	v_cndmask_b32_e64 v37, v37, v39, s15
	s_delay_alu instid0(VALU_DEP_1)
	v_add_f32_e32 v37, v36, v37
.LBB508_250:
	s_or_b32 exec_lo, exec_lo, s20
	s_delay_alu instid0(VALU_DEP_1) | instskip(SKIP_1) | instid1(VALU_DEP_2)
	v_bfe_u32 v36, v37, 16, 1
	v_cmp_o_f32_e64 s15, v37, v37
	v_add3_u32 v36, v37, v36, 0x7fff
	s_delay_alu instid0(VALU_DEP_1) | instskip(SKIP_1) | instid1(VALU_DEP_1)
	v_lshrrev_b32_e32 v36, 16, v36
	s_wait_alu 0xf1ff
	v_cndmask_b32_e64 v36, 0x7fc0, v36, s15
	s_delay_alu instid0(VALU_DEP_1)
	v_and_b32_e32 v37, 0xffff, v36
.LBB508_251:
	s_or_b32 exec_lo, exec_lo, s17
	s_delay_alu instid0(VALU_DEP_1)
	v_mov_b32_dpp v38, v37 row_shr:4 row_mask:0xf bank_mask:0xf
	s_mov_b32 s17, exec_lo
	v_cmpx_lt_u32_e32 3, v35
	s_cbranch_execz .LBB508_255
; %bb.252:
	v_lshlrev_b32_e32 v36, 16, v37
	s_delay_alu instid0(VALU_DEP_1) | instskip(NEXT) | instid1(VALU_DEP_1)
	v_dual_max_num_f32 v38, v36, v36 :: v_dual_lshlrev_b32 v37, 16, v38
	v_max_num_f32_e32 v39, v37, v37
	v_cmp_u_f32_e64 s15, v37, v37
	s_delay_alu instid0(VALU_DEP_2) | instskip(SKIP_2) | instid1(VALU_DEP_2)
	v_min_num_f32_e32 v40, v39, v38
	v_max_num_f32_e32 v38, v39, v38
	s_wait_alu 0xf1ff
	v_cndmask_b32_e64 v39, v40, v37, s15
	s_delay_alu instid0(VALU_DEP_2) | instskip(SKIP_2) | instid1(VALU_DEP_1)
	v_cndmask_b32_e64 v40, v38, v37, s15
	v_cmp_u_f32_e64 s15, v36, v36
	s_wait_alu 0xf1ff
	v_cndmask_b32_e64 v38, v39, v36, s15
	s_delay_alu instid0(VALU_DEP_3) | instskip(NEXT) | instid1(VALU_DEP_2)
	v_cndmask_b32_e64 v36, v40, v36, s15
	v_cmp_class_f32_e64 s20, v38, 0x1f8
	s_delay_alu instid0(VALU_DEP_2)
	v_cmp_neq_f32_e64 s15, v38, v36
	s_or_b32 s15, s15, s20
	s_wait_alu 0xfffe
	s_and_saveexec_b32 s20, s15
	s_cbranch_execz .LBB508_254
; %bb.253:
	v_sub_f32_e32 v37, v38, v36
	s_delay_alu instid0(VALU_DEP_1) | instskip(SKIP_1) | instid1(VALU_DEP_2)
	v_mul_f32_e32 v38, 0x3fb8aa3b, v37
	v_cmp_ngt_f32_e64 s15, 0xc2ce8ed0, v37
	v_fma_f32 v39, 0x3fb8aa3b, v37, -v38
	v_rndne_f32_e32 v40, v38
	s_delay_alu instid0(VALU_DEP_1) | instskip(NEXT) | instid1(VALU_DEP_1)
	v_dual_fmamk_f32 v39, v37, 0x32a5705f, v39 :: v_dual_sub_f32 v38, v38, v40
	v_add_f32_e32 v38, v38, v39
	v_cvt_i32_f32_e32 v39, v40
	s_delay_alu instid0(VALU_DEP_2) | instskip(NEXT) | instid1(TRANS32_DEP_1)
	v_exp_f32_e32 v38, v38
	v_ldexp_f32 v38, v38, v39
	s_wait_alu 0xf1ff
	s_delay_alu instid0(VALU_DEP_1) | instskip(SKIP_2) | instid1(VALU_DEP_1)
	v_cndmask_b32_e64 v38, 0, v38, s15
	v_cmp_nlt_f32_e64 s15, 0x42b17218, v37
	s_wait_alu 0xf1ff
	v_cndmask_b32_e64 v39, 0x7f800000, v38, s15
	s_delay_alu instid0(VALU_DEP_1) | instskip(NEXT) | instid1(VALU_DEP_1)
	v_add_f32_e32 v40, 1.0, v39
	v_cvt_f64_f32_e32 v[37:38], v40
	s_delay_alu instid0(VALU_DEP_1) | instskip(SKIP_1) | instid1(VALU_DEP_1)
	v_frexp_exp_i32_f64_e32 v37, v[37:38]
	v_frexp_mant_f32_e32 v38, v40
	v_cmp_gt_f32_e64 s15, 0x3f2aaaab, v38
	v_add_f32_e32 v38, -1.0, v40
	s_delay_alu instid0(VALU_DEP_1)
	v_sub_f32_e32 v42, v38, v40
	v_sub_f32_e32 v38, v39, v38
	s_wait_alu 0xf1ff
	v_subrev_co_ci_u32_e64 v37, null, 0, v37, s15
	s_mov_b32 s15, 0x3e9b6dac
	v_sub_nc_u32_e32 v41, 0, v37
	v_cvt_f32_i32_e32 v37, v37
	s_delay_alu instid0(VALU_DEP_2) | instskip(NEXT) | instid1(VALU_DEP_1)
	v_ldexp_f32 v40, v40, v41
	v_dual_add_f32 v43, 1.0, v40 :: v_dual_add_f32 v42, 1.0, v42
	s_delay_alu instid0(VALU_DEP_1) | instskip(NEXT) | instid1(VALU_DEP_2)
	v_add_f32_e32 v38, v38, v42
	v_add_f32_e32 v42, -1.0, v43
	s_delay_alu instid0(VALU_DEP_2) | instskip(NEXT) | instid1(VALU_DEP_2)
	v_ldexp_f32 v38, v38, v41
	v_dual_add_f32 v41, -1.0, v40 :: v_dual_sub_f32 v42, v40, v42
	s_delay_alu instid0(VALU_DEP_1) | instskip(NEXT) | instid1(VALU_DEP_2)
	v_add_f32_e32 v44, 1.0, v41
	v_add_f32_e32 v42, v38, v42
	s_delay_alu instid0(VALU_DEP_2) | instskip(NEXT) | instid1(VALU_DEP_2)
	v_sub_f32_e32 v40, v40, v44
	v_add_f32_e32 v44, v43, v42
	s_delay_alu instid0(VALU_DEP_2) | instskip(NEXT) | instid1(VALU_DEP_2)
	v_add_f32_e32 v38, v38, v40
	v_rcp_f32_e32 v40, v44
	v_sub_f32_e32 v43, v43, v44
	s_delay_alu instid0(VALU_DEP_1) | instskip(NEXT) | instid1(VALU_DEP_1)
	v_dual_add_f32 v45, v41, v38 :: v_dual_add_f32 v42, v42, v43
	v_sub_f32_e32 v41, v41, v45
	s_delay_alu instid0(TRANS32_DEP_1) | instskip(NEXT) | instid1(VALU_DEP_1)
	v_mul_f32_e32 v46, v45, v40
	v_dual_add_f32 v38, v38, v41 :: v_dual_mul_f32 v47, v44, v46
	s_delay_alu instid0(VALU_DEP_1) | instskip(NEXT) | instid1(VALU_DEP_1)
	v_fma_f32 v43, v46, v44, -v47
	v_fmac_f32_e32 v43, v46, v42
	s_delay_alu instid0(VALU_DEP_1) | instskip(NEXT) | instid1(VALU_DEP_1)
	v_add_f32_e32 v48, v47, v43
	v_sub_f32_e32 v49, v45, v48
	v_sub_f32_e32 v41, v48, v47
	s_delay_alu instid0(VALU_DEP_2) | instskip(NEXT) | instid1(VALU_DEP_2)
	v_sub_f32_e32 v45, v45, v49
	v_sub_f32_e32 v41, v41, v43
	s_delay_alu instid0(VALU_DEP_2) | instskip(NEXT) | instid1(VALU_DEP_1)
	v_sub_f32_e32 v45, v45, v48
	v_add_f32_e32 v38, v38, v45
	s_delay_alu instid0(VALU_DEP_1) | instskip(NEXT) | instid1(VALU_DEP_1)
	v_add_f32_e32 v38, v41, v38
	v_add_f32_e32 v41, v49, v38
	s_delay_alu instid0(VALU_DEP_1) | instskip(NEXT) | instid1(VALU_DEP_1)
	v_mul_f32_e32 v43, v40, v41
	v_dual_sub_f32 v48, v49, v41 :: v_dual_mul_f32 v45, v44, v43
	s_delay_alu instid0(VALU_DEP_1) | instskip(NEXT) | instid1(VALU_DEP_2)
	v_add_f32_e32 v38, v38, v48
	v_fma_f32 v44, v43, v44, -v45
	s_delay_alu instid0(VALU_DEP_1) | instskip(NEXT) | instid1(VALU_DEP_1)
	v_fmac_f32_e32 v44, v43, v42
	v_add_f32_e32 v42, v45, v44
	s_delay_alu instid0(VALU_DEP_1) | instskip(SKIP_1) | instid1(VALU_DEP_2)
	v_sub_f32_e32 v47, v41, v42
	v_sub_f32_e32 v45, v42, v45
	;; [unrolled: 1-line block ×3, first 2 shown]
	s_delay_alu instid0(VALU_DEP_1) | instskip(NEXT) | instid1(VALU_DEP_3)
	v_sub_f32_e32 v41, v41, v42
	v_sub_f32_e32 v42, v45, v44
	s_delay_alu instid0(VALU_DEP_2) | instskip(SKIP_1) | instid1(VALU_DEP_2)
	v_add_f32_e32 v38, v38, v41
	v_add_f32_e32 v41, v46, v43
	;; [unrolled: 1-line block ×3, first 2 shown]
	s_delay_alu instid0(VALU_DEP_2) | instskip(NEXT) | instid1(VALU_DEP_2)
	v_sub_f32_e32 v42, v41, v46
	v_add_f32_e32 v38, v47, v38
	s_delay_alu instid0(VALU_DEP_2) | instskip(NEXT) | instid1(VALU_DEP_2)
	v_sub_f32_e32 v42, v43, v42
	v_mul_f32_e32 v38, v40, v38
	s_delay_alu instid0(VALU_DEP_1) | instskip(NEXT) | instid1(VALU_DEP_1)
	v_add_f32_e32 v38, v42, v38
	v_add_f32_e32 v40, v41, v38
	s_delay_alu instid0(VALU_DEP_1) | instskip(SKIP_1) | instid1(VALU_DEP_1)
	v_mul_f32_e32 v42, v40, v40
	s_wait_alu 0xfffe
	v_fmaak_f32 v43, s15, v42, 0x3ecc95a3
	v_mul_f32_e32 v44, v40, v42
	v_cmp_neq_f32_e64 s15, 0x7f800000, v39
	s_delay_alu instid0(VALU_DEP_3) | instskip(SKIP_2) | instid1(VALU_DEP_3)
	v_fmaak_f32 v42, v42, v43, 0x3f2aaada
	v_ldexp_f32 v43, v40, 1
	v_sub_f32_e32 v40, v40, v41
	v_mul_f32_e32 v42, v44, v42
	v_mul_f32_e32 v44, 0x3f317218, v37
	s_delay_alu instid0(VALU_DEP_2) | instskip(NEXT) | instid1(VALU_DEP_1)
	v_dual_sub_f32 v38, v38, v40 :: v_dual_add_f32 v41, v43, v42
	v_ldexp_f32 v38, v38, 1
	s_delay_alu instid0(VALU_DEP_2) | instskip(NEXT) | instid1(VALU_DEP_4)
	v_sub_f32_e32 v40, v41, v43
	v_fma_f32 v43, 0x3f317218, v37, -v44
	s_delay_alu instid0(VALU_DEP_1) | instskip(NEXT) | instid1(VALU_DEP_1)
	v_dual_sub_f32 v40, v42, v40 :: v_dual_fmamk_f32 v37, v37, 0xb102e308, v43
	v_add_f32_e32 v38, v38, v40
	s_delay_alu instid0(VALU_DEP_2) | instskip(NEXT) | instid1(VALU_DEP_2)
	v_add_f32_e32 v40, v44, v37
	v_add_f32_e32 v42, v41, v38
	s_delay_alu instid0(VALU_DEP_2) | instskip(NEXT) | instid1(VALU_DEP_2)
	v_sub_f32_e32 v44, v40, v44
	v_add_f32_e32 v43, v40, v42
	v_sub_f32_e32 v41, v42, v41
	s_delay_alu instid0(VALU_DEP_3) | instskip(NEXT) | instid1(VALU_DEP_2)
	v_sub_f32_e32 v37, v37, v44
	v_dual_sub_f32 v45, v43, v40 :: v_dual_sub_f32 v38, v38, v41
	s_delay_alu instid0(VALU_DEP_1) | instskip(NEXT) | instid1(VALU_DEP_2)
	v_sub_f32_e32 v46, v43, v45
	v_dual_sub_f32 v41, v42, v45 :: v_dual_add_f32 v42, v37, v38
	s_delay_alu instid0(VALU_DEP_2) | instskip(NEXT) | instid1(VALU_DEP_1)
	v_sub_f32_e32 v40, v40, v46
	v_dual_add_f32 v40, v41, v40 :: v_dual_sub_f32 v41, v42, v37
	s_delay_alu instid0(VALU_DEP_1) | instskip(NEXT) | instid1(VALU_DEP_2)
	v_add_f32_e32 v40, v42, v40
	v_sub_f32_e32 v42, v42, v41
	v_sub_f32_e32 v38, v38, v41
	s_delay_alu instid0(VALU_DEP_2) | instskip(NEXT) | instid1(VALU_DEP_1)
	v_dual_add_f32 v44, v43, v40 :: v_dual_sub_f32 v37, v37, v42
	v_sub_f32_e32 v41, v44, v43
	s_delay_alu instid0(VALU_DEP_2) | instskip(NEXT) | instid1(VALU_DEP_2)
	v_add_f32_e32 v37, v38, v37
	v_sub_f32_e32 v38, v40, v41
	s_delay_alu instid0(VALU_DEP_1) | instskip(NEXT) | instid1(VALU_DEP_1)
	v_add_f32_e32 v37, v37, v38
	v_add_f32_e32 v37, v44, v37
	s_wait_alu 0xf1ff
	s_delay_alu instid0(VALU_DEP_1) | instskip(SKIP_2) | instid1(VALU_DEP_1)
	v_cndmask_b32_e64 v37, 0x7f800000, v37, s15
	v_cmp_gt_f32_e64 s15, 0x33800000, |v39|
	s_wait_alu 0xf1ff
	v_cndmask_b32_e64 v37, v37, v39, s15
	s_delay_alu instid0(VALU_DEP_1)
	v_add_f32_e32 v37, v36, v37
.LBB508_254:
	s_or_b32 exec_lo, exec_lo, s20
	s_delay_alu instid0(VALU_DEP_1) | instskip(SKIP_1) | instid1(VALU_DEP_2)
	v_bfe_u32 v36, v37, 16, 1
	v_cmp_o_f32_e64 s15, v37, v37
	v_add3_u32 v36, v37, v36, 0x7fff
	s_delay_alu instid0(VALU_DEP_1) | instskip(SKIP_1) | instid1(VALU_DEP_1)
	v_lshrrev_b32_e32 v36, 16, v36
	s_wait_alu 0xf1ff
	v_cndmask_b32_e64 v36, 0x7fc0, v36, s15
	s_delay_alu instid0(VALU_DEP_1)
	v_and_b32_e32 v37, 0xffff, v36
.LBB508_255:
	s_or_b32 exec_lo, exec_lo, s17
	s_delay_alu instid0(VALU_DEP_1)
	v_mov_b32_dpp v38, v37 row_shr:8 row_mask:0xf bank_mask:0xf
	s_mov_b32 s17, exec_lo
	v_cmpx_lt_u32_e32 7, v35
	s_cbranch_execz .LBB508_259
; %bb.256:
	s_delay_alu instid0(VALU_DEP_2) | instskip(NEXT) | instid1(VALU_DEP_1)
	v_lshlrev_b32_e32 v36, 16, v38
	v_dual_max_num_f32 v38, v36, v36 :: v_dual_lshlrev_b32 v35, 16, v37
	s_delay_alu instid0(VALU_DEP_1) | instskip(SKIP_1) | instid1(VALU_DEP_2)
	v_max_num_f32_e32 v37, v35, v35
	v_cmp_u_f32_e64 s15, v36, v36
	v_min_num_f32_e32 v39, v38, v37
	v_max_num_f32_e32 v37, v38, v37
	s_wait_alu 0xf1ff
	s_delay_alu instid0(VALU_DEP_2) | instskip(NEXT) | instid1(VALU_DEP_2)
	v_cndmask_b32_e64 v38, v39, v36, s15
	v_cndmask_b32_e64 v39, v37, v36, s15
	v_cmp_u_f32_e64 s15, v35, v35
	s_wait_alu 0xf1ff
	s_delay_alu instid0(VALU_DEP_1) | instskip(NEXT) | instid1(VALU_DEP_3)
	v_cndmask_b32_e64 v37, v38, v35, s15
	v_cndmask_b32_e64 v35, v39, v35, s15
	s_delay_alu instid0(VALU_DEP_2) | instskip(NEXT) | instid1(VALU_DEP_2)
	v_cmp_class_f32_e64 s20, v37, 0x1f8
	v_cmp_neq_f32_e64 s15, v37, v35
	s_or_b32 s15, s15, s20
	s_wait_alu 0xfffe
	s_and_saveexec_b32 s20, s15
	s_cbranch_execz .LBB508_258
; %bb.257:
	v_sub_f32_e32 v36, v37, v35
	s_delay_alu instid0(VALU_DEP_1) | instskip(SKIP_1) | instid1(VALU_DEP_2)
	v_mul_f32_e32 v37, 0x3fb8aa3b, v36
	v_cmp_ngt_f32_e64 s15, 0xc2ce8ed0, v36
	v_fma_f32 v38, 0x3fb8aa3b, v36, -v37
	v_rndne_f32_e32 v39, v37
	s_delay_alu instid0(VALU_DEP_1) | instskip(NEXT) | instid1(VALU_DEP_1)
	v_dual_fmamk_f32 v38, v36, 0x32a5705f, v38 :: v_dual_sub_f32 v37, v37, v39
	v_add_f32_e32 v37, v37, v38
	v_cvt_i32_f32_e32 v38, v39
	s_delay_alu instid0(VALU_DEP_2) | instskip(NEXT) | instid1(TRANS32_DEP_1)
	v_exp_f32_e32 v37, v37
	v_ldexp_f32 v37, v37, v38
	s_wait_alu 0xf1ff
	s_delay_alu instid0(VALU_DEP_1) | instskip(SKIP_2) | instid1(VALU_DEP_1)
	v_cndmask_b32_e64 v37, 0, v37, s15
	v_cmp_nlt_f32_e64 s15, 0x42b17218, v36
	s_wait_alu 0xf1ff
	v_cndmask_b32_e64 v38, 0x7f800000, v37, s15
	s_delay_alu instid0(VALU_DEP_1) | instskip(NEXT) | instid1(VALU_DEP_1)
	v_add_f32_e32 v39, 1.0, v38
	v_cvt_f64_f32_e32 v[36:37], v39
	s_delay_alu instid0(VALU_DEP_1) | instskip(SKIP_1) | instid1(VALU_DEP_1)
	v_frexp_exp_i32_f64_e32 v36, v[36:37]
	v_frexp_mant_f32_e32 v37, v39
	v_cmp_gt_f32_e64 s15, 0x3f2aaaab, v37
	v_add_f32_e32 v37, -1.0, v39
	s_delay_alu instid0(VALU_DEP_1)
	v_sub_f32_e32 v41, v37, v39
	v_sub_f32_e32 v37, v38, v37
	s_wait_alu 0xf1ff
	v_subrev_co_ci_u32_e64 v36, null, 0, v36, s15
	s_mov_b32 s15, 0x3e9b6dac
	v_sub_nc_u32_e32 v40, 0, v36
	v_cvt_f32_i32_e32 v36, v36
	s_delay_alu instid0(VALU_DEP_2) | instskip(NEXT) | instid1(VALU_DEP_1)
	v_ldexp_f32 v39, v39, v40
	v_dual_add_f32 v42, 1.0, v39 :: v_dual_add_f32 v41, 1.0, v41
	s_delay_alu instid0(VALU_DEP_1) | instskip(NEXT) | instid1(VALU_DEP_2)
	v_add_f32_e32 v37, v37, v41
	v_add_f32_e32 v41, -1.0, v42
	s_delay_alu instid0(VALU_DEP_2) | instskip(NEXT) | instid1(VALU_DEP_2)
	v_ldexp_f32 v37, v37, v40
	v_dual_add_f32 v40, -1.0, v39 :: v_dual_sub_f32 v41, v39, v41
	s_delay_alu instid0(VALU_DEP_1) | instskip(NEXT) | instid1(VALU_DEP_2)
	v_add_f32_e32 v43, 1.0, v40
	v_add_f32_e32 v41, v37, v41
	s_delay_alu instid0(VALU_DEP_2) | instskip(NEXT) | instid1(VALU_DEP_2)
	v_sub_f32_e32 v39, v39, v43
	v_add_f32_e32 v43, v42, v41
	s_delay_alu instid0(VALU_DEP_2) | instskip(NEXT) | instid1(VALU_DEP_2)
	v_add_f32_e32 v37, v37, v39
	v_rcp_f32_e32 v39, v43
	v_sub_f32_e32 v42, v42, v43
	s_delay_alu instid0(VALU_DEP_1) | instskip(NEXT) | instid1(VALU_DEP_1)
	v_dual_add_f32 v44, v40, v37 :: v_dual_add_f32 v41, v41, v42
	v_sub_f32_e32 v40, v40, v44
	s_delay_alu instid0(TRANS32_DEP_1) | instskip(NEXT) | instid1(VALU_DEP_1)
	v_mul_f32_e32 v45, v44, v39
	v_dual_add_f32 v37, v37, v40 :: v_dual_mul_f32 v46, v43, v45
	s_delay_alu instid0(VALU_DEP_1) | instskip(NEXT) | instid1(VALU_DEP_1)
	v_fma_f32 v42, v45, v43, -v46
	v_fmac_f32_e32 v42, v45, v41
	s_delay_alu instid0(VALU_DEP_1) | instskip(NEXT) | instid1(VALU_DEP_1)
	v_add_f32_e32 v47, v46, v42
	v_sub_f32_e32 v48, v44, v47
	v_sub_f32_e32 v40, v47, v46
	s_delay_alu instid0(VALU_DEP_2) | instskip(NEXT) | instid1(VALU_DEP_2)
	v_sub_f32_e32 v44, v44, v48
	v_sub_f32_e32 v40, v40, v42
	s_delay_alu instid0(VALU_DEP_2) | instskip(NEXT) | instid1(VALU_DEP_1)
	v_sub_f32_e32 v44, v44, v47
	v_add_f32_e32 v37, v37, v44
	s_delay_alu instid0(VALU_DEP_1) | instskip(NEXT) | instid1(VALU_DEP_1)
	v_add_f32_e32 v37, v40, v37
	v_add_f32_e32 v40, v48, v37
	s_delay_alu instid0(VALU_DEP_1) | instskip(NEXT) | instid1(VALU_DEP_1)
	v_mul_f32_e32 v42, v39, v40
	v_dual_sub_f32 v47, v48, v40 :: v_dual_mul_f32 v44, v43, v42
	s_delay_alu instid0(VALU_DEP_1) | instskip(NEXT) | instid1(VALU_DEP_2)
	v_add_f32_e32 v37, v37, v47
	v_fma_f32 v43, v42, v43, -v44
	s_delay_alu instid0(VALU_DEP_1) | instskip(NEXT) | instid1(VALU_DEP_1)
	v_fmac_f32_e32 v43, v42, v41
	v_add_f32_e32 v41, v44, v43
	s_delay_alu instid0(VALU_DEP_1) | instskip(SKIP_1) | instid1(VALU_DEP_2)
	v_sub_f32_e32 v46, v40, v41
	v_sub_f32_e32 v44, v41, v44
	v_sub_f32_e32 v40, v40, v46
	s_delay_alu instid0(VALU_DEP_1) | instskip(NEXT) | instid1(VALU_DEP_3)
	v_sub_f32_e32 v40, v40, v41
	v_sub_f32_e32 v41, v44, v43
	s_delay_alu instid0(VALU_DEP_2) | instskip(SKIP_1) | instid1(VALU_DEP_2)
	v_add_f32_e32 v37, v37, v40
	v_add_f32_e32 v40, v45, v42
	;; [unrolled: 1-line block ×3, first 2 shown]
	s_delay_alu instid0(VALU_DEP_2) | instskip(NEXT) | instid1(VALU_DEP_2)
	v_sub_f32_e32 v41, v40, v45
	v_add_f32_e32 v37, v46, v37
	s_delay_alu instid0(VALU_DEP_2) | instskip(NEXT) | instid1(VALU_DEP_2)
	v_sub_f32_e32 v41, v42, v41
	v_mul_f32_e32 v37, v39, v37
	s_delay_alu instid0(VALU_DEP_1) | instskip(NEXT) | instid1(VALU_DEP_1)
	v_add_f32_e32 v37, v41, v37
	v_add_f32_e32 v39, v40, v37
	s_delay_alu instid0(VALU_DEP_1) | instskip(SKIP_1) | instid1(VALU_DEP_1)
	v_mul_f32_e32 v41, v39, v39
	s_wait_alu 0xfffe
	v_fmaak_f32 v42, s15, v41, 0x3ecc95a3
	v_mul_f32_e32 v43, v39, v41
	v_cmp_neq_f32_e64 s15, 0x7f800000, v38
	s_delay_alu instid0(VALU_DEP_3) | instskip(SKIP_2) | instid1(VALU_DEP_3)
	v_fmaak_f32 v41, v41, v42, 0x3f2aaada
	v_ldexp_f32 v42, v39, 1
	v_sub_f32_e32 v39, v39, v40
	v_mul_f32_e32 v41, v43, v41
	v_mul_f32_e32 v43, 0x3f317218, v36
	s_delay_alu instid0(VALU_DEP_2) | instskip(NEXT) | instid1(VALU_DEP_1)
	v_dual_sub_f32 v37, v37, v39 :: v_dual_add_f32 v40, v42, v41
	v_ldexp_f32 v37, v37, 1
	s_delay_alu instid0(VALU_DEP_2) | instskip(NEXT) | instid1(VALU_DEP_4)
	v_sub_f32_e32 v39, v40, v42
	v_fma_f32 v42, 0x3f317218, v36, -v43
	s_delay_alu instid0(VALU_DEP_1) | instskip(NEXT) | instid1(VALU_DEP_1)
	v_dual_sub_f32 v39, v41, v39 :: v_dual_fmamk_f32 v36, v36, 0xb102e308, v42
	v_add_f32_e32 v37, v37, v39
	s_delay_alu instid0(VALU_DEP_2) | instskip(NEXT) | instid1(VALU_DEP_2)
	v_add_f32_e32 v39, v43, v36
	v_add_f32_e32 v41, v40, v37
	s_delay_alu instid0(VALU_DEP_2) | instskip(NEXT) | instid1(VALU_DEP_2)
	v_sub_f32_e32 v43, v39, v43
	v_add_f32_e32 v42, v39, v41
	v_sub_f32_e32 v40, v41, v40
	s_delay_alu instid0(VALU_DEP_3) | instskip(NEXT) | instid1(VALU_DEP_2)
	v_sub_f32_e32 v36, v36, v43
	v_dual_sub_f32 v44, v42, v39 :: v_dual_sub_f32 v37, v37, v40
	s_delay_alu instid0(VALU_DEP_1) | instskip(NEXT) | instid1(VALU_DEP_2)
	v_sub_f32_e32 v45, v42, v44
	v_dual_sub_f32 v40, v41, v44 :: v_dual_add_f32 v41, v36, v37
	s_delay_alu instid0(VALU_DEP_2) | instskip(NEXT) | instid1(VALU_DEP_1)
	v_sub_f32_e32 v39, v39, v45
	v_dual_add_f32 v39, v40, v39 :: v_dual_sub_f32 v40, v41, v36
	s_delay_alu instid0(VALU_DEP_1) | instskip(NEXT) | instid1(VALU_DEP_2)
	v_add_f32_e32 v39, v41, v39
	v_sub_f32_e32 v41, v41, v40
	v_sub_f32_e32 v37, v37, v40
	s_delay_alu instid0(VALU_DEP_2) | instskip(NEXT) | instid1(VALU_DEP_1)
	v_dual_add_f32 v43, v42, v39 :: v_dual_sub_f32 v36, v36, v41
	v_sub_f32_e32 v40, v43, v42
	s_delay_alu instid0(VALU_DEP_2) | instskip(NEXT) | instid1(VALU_DEP_2)
	v_add_f32_e32 v36, v37, v36
	v_sub_f32_e32 v37, v39, v40
	s_delay_alu instid0(VALU_DEP_1) | instskip(NEXT) | instid1(VALU_DEP_1)
	v_add_f32_e32 v36, v36, v37
	v_add_f32_e32 v36, v43, v36
	s_wait_alu 0xf1ff
	s_delay_alu instid0(VALU_DEP_1) | instskip(SKIP_2) | instid1(VALU_DEP_1)
	v_cndmask_b32_e64 v36, 0x7f800000, v36, s15
	v_cmp_gt_f32_e64 s15, 0x33800000, |v38|
	s_wait_alu 0xf1ff
	v_cndmask_b32_e64 v36, v36, v38, s15
	s_delay_alu instid0(VALU_DEP_1)
	v_add_f32_e32 v36, v35, v36
.LBB508_258:
	s_or_b32 exec_lo, exec_lo, s20
	s_delay_alu instid0(VALU_DEP_1) | instskip(SKIP_1) | instid1(VALU_DEP_2)
	v_bfe_u32 v35, v36, 16, 1
	v_cmp_o_f32_e64 s15, v36, v36
	v_add3_u32 v35, v36, v35, 0x7fff
	s_delay_alu instid0(VALU_DEP_1) | instskip(SKIP_1) | instid1(VALU_DEP_1)
	v_lshrrev_b32_e32 v35, 16, v35
	s_wait_alu 0xf1ff
	v_cndmask_b32_e64 v36, 0x7fc0, v35, s15
	s_delay_alu instid0(VALU_DEP_1)
	v_and_b32_e32 v37, 0xffff, v36
.LBB508_259:
	s_or_b32 exec_lo, exec_lo, s17
	ds_swizzle_b32 v35, v37 offset:swizzle(BROADCAST,32,15)
	v_and_b32_e32 v38, 16, v34
	s_mov_b32 s17, exec_lo
	s_delay_alu instid0(VALU_DEP_1)
	v_cmpx_ne_u32_e32 0, v38
	s_cbranch_execz .LBB508_263
; %bb.260:
	s_wait_dscnt 0x0
	v_lshlrev_b32_e32 v36, 16, v35
	s_delay_alu instid0(VALU_DEP_1) | instskip(NEXT) | instid1(VALU_DEP_1)
	v_dual_max_num_f32 v37, v36, v36 :: v_dual_lshlrev_b32 v38, 16, v37
	v_max_num_f32_e32 v35, v38, v38
	v_cmp_u_f32_e64 s15, v36, v36
	s_delay_alu instid0(VALU_DEP_2) | instskip(SKIP_2) | instid1(VALU_DEP_2)
	v_min_num_f32_e32 v39, v37, v35
	v_max_num_f32_e32 v35, v37, v35
	s_wait_alu 0xf1ff
	v_cndmask_b32_e64 v37, v39, v36, s15
	s_delay_alu instid0(VALU_DEP_2) | instskip(SKIP_2) | instid1(VALU_DEP_1)
	v_cndmask_b32_e64 v35, v35, v36, s15
	v_cmp_u_f32_e64 s15, v38, v38
	s_wait_alu 0xf1ff
	v_cndmask_b32_e64 v37, v37, v38, s15
	s_delay_alu instid0(VALU_DEP_3) | instskip(NEXT) | instid1(VALU_DEP_2)
	v_cndmask_b32_e64 v35, v35, v38, s15
	v_cmp_class_f32_e64 s20, v37, 0x1f8
	s_delay_alu instid0(VALU_DEP_2)
	v_cmp_neq_f32_e64 s15, v37, v35
	s_or_b32 s15, s15, s20
	s_wait_alu 0xfffe
	s_and_saveexec_b32 s20, s15
	s_cbranch_execz .LBB508_262
; %bb.261:
	v_sub_f32_e32 v36, v37, v35
	s_delay_alu instid0(VALU_DEP_1) | instskip(SKIP_1) | instid1(VALU_DEP_2)
	v_mul_f32_e32 v37, 0x3fb8aa3b, v36
	v_cmp_ngt_f32_e64 s15, 0xc2ce8ed0, v36
	v_fma_f32 v38, 0x3fb8aa3b, v36, -v37
	v_rndne_f32_e32 v39, v37
	s_delay_alu instid0(VALU_DEP_1) | instskip(NEXT) | instid1(VALU_DEP_1)
	v_dual_fmamk_f32 v38, v36, 0x32a5705f, v38 :: v_dual_sub_f32 v37, v37, v39
	v_add_f32_e32 v37, v37, v38
	v_cvt_i32_f32_e32 v38, v39
	s_delay_alu instid0(VALU_DEP_2) | instskip(NEXT) | instid1(TRANS32_DEP_1)
	v_exp_f32_e32 v37, v37
	v_ldexp_f32 v37, v37, v38
	s_wait_alu 0xf1ff
	s_delay_alu instid0(VALU_DEP_1) | instskip(SKIP_2) | instid1(VALU_DEP_1)
	v_cndmask_b32_e64 v37, 0, v37, s15
	v_cmp_nlt_f32_e64 s15, 0x42b17218, v36
	s_wait_alu 0xf1ff
	v_cndmask_b32_e64 v38, 0x7f800000, v37, s15
	s_delay_alu instid0(VALU_DEP_1) | instskip(NEXT) | instid1(VALU_DEP_1)
	v_add_f32_e32 v39, 1.0, v38
	v_cvt_f64_f32_e32 v[36:37], v39
	s_delay_alu instid0(VALU_DEP_1) | instskip(SKIP_1) | instid1(VALU_DEP_1)
	v_frexp_exp_i32_f64_e32 v36, v[36:37]
	v_frexp_mant_f32_e32 v37, v39
	v_cmp_gt_f32_e64 s15, 0x3f2aaaab, v37
	v_add_f32_e32 v37, -1.0, v39
	s_delay_alu instid0(VALU_DEP_1)
	v_sub_f32_e32 v41, v37, v39
	v_sub_f32_e32 v37, v38, v37
	s_wait_alu 0xf1ff
	v_subrev_co_ci_u32_e64 v36, null, 0, v36, s15
	s_mov_b32 s15, 0x3e9b6dac
	v_sub_nc_u32_e32 v40, 0, v36
	v_cvt_f32_i32_e32 v36, v36
	s_delay_alu instid0(VALU_DEP_2) | instskip(NEXT) | instid1(VALU_DEP_1)
	v_ldexp_f32 v39, v39, v40
	v_dual_add_f32 v42, 1.0, v39 :: v_dual_add_f32 v41, 1.0, v41
	s_delay_alu instid0(VALU_DEP_1) | instskip(NEXT) | instid1(VALU_DEP_2)
	v_add_f32_e32 v37, v37, v41
	v_add_f32_e32 v41, -1.0, v42
	s_delay_alu instid0(VALU_DEP_2) | instskip(NEXT) | instid1(VALU_DEP_2)
	v_ldexp_f32 v37, v37, v40
	v_dual_add_f32 v40, -1.0, v39 :: v_dual_sub_f32 v41, v39, v41
	s_delay_alu instid0(VALU_DEP_1) | instskip(NEXT) | instid1(VALU_DEP_2)
	v_add_f32_e32 v43, 1.0, v40
	v_add_f32_e32 v41, v37, v41
	s_delay_alu instid0(VALU_DEP_2) | instskip(NEXT) | instid1(VALU_DEP_2)
	v_sub_f32_e32 v39, v39, v43
	v_add_f32_e32 v43, v42, v41
	s_delay_alu instid0(VALU_DEP_2) | instskip(NEXT) | instid1(VALU_DEP_2)
	v_add_f32_e32 v37, v37, v39
	v_rcp_f32_e32 v39, v43
	v_sub_f32_e32 v42, v42, v43
	s_delay_alu instid0(VALU_DEP_1) | instskip(NEXT) | instid1(VALU_DEP_1)
	v_dual_add_f32 v44, v40, v37 :: v_dual_add_f32 v41, v41, v42
	v_sub_f32_e32 v40, v40, v44
	s_delay_alu instid0(TRANS32_DEP_1) | instskip(NEXT) | instid1(VALU_DEP_1)
	v_mul_f32_e32 v45, v44, v39
	v_dual_add_f32 v37, v37, v40 :: v_dual_mul_f32 v46, v43, v45
	s_delay_alu instid0(VALU_DEP_1) | instskip(NEXT) | instid1(VALU_DEP_1)
	v_fma_f32 v42, v45, v43, -v46
	v_fmac_f32_e32 v42, v45, v41
	s_delay_alu instid0(VALU_DEP_1) | instskip(NEXT) | instid1(VALU_DEP_1)
	v_add_f32_e32 v47, v46, v42
	v_sub_f32_e32 v48, v44, v47
	v_sub_f32_e32 v40, v47, v46
	s_delay_alu instid0(VALU_DEP_2) | instskip(NEXT) | instid1(VALU_DEP_2)
	v_sub_f32_e32 v44, v44, v48
	v_sub_f32_e32 v40, v40, v42
	s_delay_alu instid0(VALU_DEP_2) | instskip(NEXT) | instid1(VALU_DEP_1)
	v_sub_f32_e32 v44, v44, v47
	v_add_f32_e32 v37, v37, v44
	s_delay_alu instid0(VALU_DEP_1) | instskip(NEXT) | instid1(VALU_DEP_1)
	v_add_f32_e32 v37, v40, v37
	v_add_f32_e32 v40, v48, v37
	s_delay_alu instid0(VALU_DEP_1) | instskip(NEXT) | instid1(VALU_DEP_1)
	v_mul_f32_e32 v42, v39, v40
	v_dual_sub_f32 v47, v48, v40 :: v_dual_mul_f32 v44, v43, v42
	s_delay_alu instid0(VALU_DEP_1) | instskip(NEXT) | instid1(VALU_DEP_2)
	v_add_f32_e32 v37, v37, v47
	v_fma_f32 v43, v42, v43, -v44
	s_delay_alu instid0(VALU_DEP_1) | instskip(NEXT) | instid1(VALU_DEP_1)
	v_fmac_f32_e32 v43, v42, v41
	v_add_f32_e32 v41, v44, v43
	s_delay_alu instid0(VALU_DEP_1) | instskip(SKIP_1) | instid1(VALU_DEP_2)
	v_sub_f32_e32 v46, v40, v41
	v_sub_f32_e32 v44, v41, v44
	;; [unrolled: 1-line block ×3, first 2 shown]
	s_delay_alu instid0(VALU_DEP_1) | instskip(NEXT) | instid1(VALU_DEP_3)
	v_sub_f32_e32 v40, v40, v41
	v_sub_f32_e32 v41, v44, v43
	s_delay_alu instid0(VALU_DEP_2) | instskip(SKIP_1) | instid1(VALU_DEP_2)
	v_add_f32_e32 v37, v37, v40
	v_add_f32_e32 v40, v45, v42
	;; [unrolled: 1-line block ×3, first 2 shown]
	s_delay_alu instid0(VALU_DEP_2) | instskip(NEXT) | instid1(VALU_DEP_2)
	v_sub_f32_e32 v41, v40, v45
	v_add_f32_e32 v37, v46, v37
	s_delay_alu instid0(VALU_DEP_2) | instskip(NEXT) | instid1(VALU_DEP_2)
	v_sub_f32_e32 v41, v42, v41
	v_mul_f32_e32 v37, v39, v37
	s_delay_alu instid0(VALU_DEP_1) | instskip(NEXT) | instid1(VALU_DEP_1)
	v_add_f32_e32 v37, v41, v37
	v_add_f32_e32 v39, v40, v37
	s_delay_alu instid0(VALU_DEP_1) | instskip(SKIP_1) | instid1(VALU_DEP_1)
	v_mul_f32_e32 v41, v39, v39
	s_wait_alu 0xfffe
	v_fmaak_f32 v42, s15, v41, 0x3ecc95a3
	v_mul_f32_e32 v43, v39, v41
	v_cmp_neq_f32_e64 s15, 0x7f800000, v38
	s_delay_alu instid0(VALU_DEP_3) | instskip(SKIP_2) | instid1(VALU_DEP_3)
	v_fmaak_f32 v41, v41, v42, 0x3f2aaada
	v_ldexp_f32 v42, v39, 1
	v_sub_f32_e32 v39, v39, v40
	v_mul_f32_e32 v41, v43, v41
	v_mul_f32_e32 v43, 0x3f317218, v36
	s_delay_alu instid0(VALU_DEP_2) | instskip(NEXT) | instid1(VALU_DEP_1)
	v_dual_sub_f32 v37, v37, v39 :: v_dual_add_f32 v40, v42, v41
	v_ldexp_f32 v37, v37, 1
	s_delay_alu instid0(VALU_DEP_2) | instskip(NEXT) | instid1(VALU_DEP_4)
	v_sub_f32_e32 v39, v40, v42
	v_fma_f32 v42, 0x3f317218, v36, -v43
	s_delay_alu instid0(VALU_DEP_1) | instskip(NEXT) | instid1(VALU_DEP_1)
	v_dual_sub_f32 v39, v41, v39 :: v_dual_fmamk_f32 v36, v36, 0xb102e308, v42
	v_add_f32_e32 v37, v37, v39
	s_delay_alu instid0(VALU_DEP_2) | instskip(NEXT) | instid1(VALU_DEP_2)
	v_add_f32_e32 v39, v43, v36
	v_add_f32_e32 v41, v40, v37
	s_delay_alu instid0(VALU_DEP_2) | instskip(NEXT) | instid1(VALU_DEP_2)
	v_sub_f32_e32 v43, v39, v43
	v_add_f32_e32 v42, v39, v41
	v_sub_f32_e32 v40, v41, v40
	s_delay_alu instid0(VALU_DEP_3) | instskip(NEXT) | instid1(VALU_DEP_2)
	v_sub_f32_e32 v36, v36, v43
	v_dual_sub_f32 v44, v42, v39 :: v_dual_sub_f32 v37, v37, v40
	s_delay_alu instid0(VALU_DEP_1) | instskip(NEXT) | instid1(VALU_DEP_2)
	v_sub_f32_e32 v45, v42, v44
	v_dual_sub_f32 v40, v41, v44 :: v_dual_add_f32 v41, v36, v37
	s_delay_alu instid0(VALU_DEP_2) | instskip(NEXT) | instid1(VALU_DEP_1)
	v_sub_f32_e32 v39, v39, v45
	v_dual_add_f32 v39, v40, v39 :: v_dual_sub_f32 v40, v41, v36
	s_delay_alu instid0(VALU_DEP_1) | instskip(NEXT) | instid1(VALU_DEP_2)
	v_add_f32_e32 v39, v41, v39
	v_sub_f32_e32 v41, v41, v40
	v_sub_f32_e32 v37, v37, v40
	s_delay_alu instid0(VALU_DEP_2) | instskip(NEXT) | instid1(VALU_DEP_1)
	v_dual_add_f32 v43, v42, v39 :: v_dual_sub_f32 v36, v36, v41
	v_sub_f32_e32 v40, v43, v42
	s_delay_alu instid0(VALU_DEP_2) | instskip(NEXT) | instid1(VALU_DEP_2)
	v_add_f32_e32 v36, v37, v36
	v_sub_f32_e32 v37, v39, v40
	s_delay_alu instid0(VALU_DEP_1) | instskip(NEXT) | instid1(VALU_DEP_1)
	v_add_f32_e32 v36, v36, v37
	v_add_f32_e32 v36, v43, v36
	s_wait_alu 0xf1ff
	s_delay_alu instid0(VALU_DEP_1) | instskip(SKIP_2) | instid1(VALU_DEP_1)
	v_cndmask_b32_e64 v36, 0x7f800000, v36, s15
	v_cmp_gt_f32_e64 s15, 0x33800000, |v38|
	s_wait_alu 0xf1ff
	v_cndmask_b32_e64 v36, v36, v38, s15
	s_delay_alu instid0(VALU_DEP_1)
	v_add_f32_e32 v36, v35, v36
.LBB508_262:
	s_or_b32 exec_lo, exec_lo, s20
	s_delay_alu instid0(VALU_DEP_1) | instskip(SKIP_1) | instid1(VALU_DEP_2)
	v_bfe_u32 v35, v36, 16, 1
	v_cmp_o_f32_e64 s15, v36, v36
	v_add3_u32 v35, v36, v35, 0x7fff
	s_delay_alu instid0(VALU_DEP_1) | instskip(SKIP_1) | instid1(VALU_DEP_1)
	v_lshrrev_b32_e32 v35, 16, v35
	s_wait_alu 0xf1ff
	v_cndmask_b32_e64 v36, 0x7fc0, v35, s15
.LBB508_263:
	s_or_b32 exec_lo, exec_lo, s17
	s_wait_dscnt 0x0
	v_add_nc_u32_e32 v35, -1, v34
	s_delay_alu instid0(VALU_DEP_1) | instskip(SKIP_1) | instid1(VALU_DEP_1)
	v_cmp_gt_i32_e64 s15, 0, v35
	s_wait_alu 0xf1ff
	v_cndmask_b32_e64 v34, v35, v34, s15
	v_and_b32_e32 v35, 0xffff, v36
	s_delay_alu instid0(VALU_DEP_2) | instskip(SKIP_3) | instid1(VALU_DEP_1)
	v_lshlrev_b32_e32 v34, 2, v34
	ds_bpermute_b32 v34, v34, v35
	s_wait_dscnt 0x0
	v_lshlrev_b32_e32 v34, 16, v34
	v_max_num_f32_e32 v35, v34, v34
	v_cmp_u_f32_e64 s15, v34, v34
	s_delay_alu instid0(VALU_DEP_2) | instskip(SKIP_2) | instid1(VALU_DEP_2)
	v_min_num_f32_e32 v36, v35, v33
	v_max_num_f32_e32 v33, v35, v33
	s_wait_alu 0xf1ff
	v_cndmask_b32_e64 v35, v36, v34, s15
	s_delay_alu instid0(VALU_DEP_2) | instskip(NEXT) | instid1(VALU_DEP_2)
	v_cndmask_b32_e64 v36, v33, v34, s15
	v_cndmask_b32_e64 v33, v35, v32, s14
	s_delay_alu instid0(VALU_DEP_2) | instskip(NEXT) | instid1(VALU_DEP_2)
	v_cndmask_b32_e64 v32, v36, v32, s14
	v_cmp_class_f32_e64 s15, v33, 0x1f8
	s_delay_alu instid0(VALU_DEP_2)
	v_cmp_neq_f32_e64 s14, v33, v32
	s_or_b32 s14, s14, s15
	s_wait_alu 0xfffe
	s_and_saveexec_b32 s15, s14
	s_cbranch_execz .LBB508_265
; %bb.264:
	v_sub_f32_e32 v33, v33, v32
	s_delay_alu instid0(VALU_DEP_1) | instskip(NEXT) | instid1(VALU_DEP_1)
	v_mul_f32_e32 v34, 0x3fb8aa3b, v33
	v_fma_f32 v35, 0x3fb8aa3b, v33, -v34
	v_rndne_f32_e32 v36, v34
	s_delay_alu instid0(VALU_DEP_1) | instskip(NEXT) | instid1(VALU_DEP_1)
	v_dual_fmamk_f32 v35, v33, 0x32a5705f, v35 :: v_dual_sub_f32 v34, v34, v36
	v_add_f32_e32 v34, v34, v35
	v_cvt_i32_f32_e32 v35, v36
	v_cmp_ngt_f32_e64 s14, 0xc2ce8ed0, v33
	s_delay_alu instid0(VALU_DEP_3) | instskip(NEXT) | instid1(TRANS32_DEP_1)
	v_exp_f32_e32 v34, v34
	v_ldexp_f32 v34, v34, v35
	s_wait_alu 0xf1ff
	s_delay_alu instid0(VALU_DEP_1) | instskip(SKIP_2) | instid1(VALU_DEP_1)
	v_cndmask_b32_e64 v34, 0, v34, s14
	v_cmp_nlt_f32_e64 s14, 0x42b17218, v33
	s_wait_alu 0xf1ff
	v_cndmask_b32_e64 v35, 0x7f800000, v34, s14
	s_delay_alu instid0(VALU_DEP_1) | instskip(NEXT) | instid1(VALU_DEP_1)
	v_add_f32_e32 v36, 1.0, v35
	v_cvt_f64_f32_e32 v[33:34], v36
	s_delay_alu instid0(VALU_DEP_1) | instskip(SKIP_1) | instid1(VALU_DEP_1)
	v_frexp_exp_i32_f64_e32 v33, v[33:34]
	v_frexp_mant_f32_e32 v34, v36
	v_cmp_gt_f32_e64 s14, 0x3f2aaaab, v34
	v_add_f32_e32 v34, -1.0, v36
	s_delay_alu instid0(VALU_DEP_1) | instskip(SKIP_1) | instid1(VALU_DEP_3)
	v_sub_f32_e32 v38, v34, v36
	s_wait_alu 0xf1ff
	v_subrev_co_ci_u32_e64 v33, null, 0, v33, s14
	s_mov_b32 s14, 0x3e9b6dac
	v_sub_nc_u32_e32 v37, 0, v33
	v_cvt_f32_i32_e32 v33, v33
	s_delay_alu instid0(VALU_DEP_2) | instskip(NEXT) | instid1(VALU_DEP_1)
	v_ldexp_f32 v36, v36, v37
	v_dual_sub_f32 v34, v35, v34 :: v_dual_add_f32 v39, 1.0, v36
	v_add_f32_e32 v38, 1.0, v38
	s_delay_alu instid0(VALU_DEP_1) | instskip(NEXT) | instid1(VALU_DEP_3)
	v_add_f32_e32 v34, v34, v38
	v_add_f32_e32 v38, -1.0, v39
	s_delay_alu instid0(VALU_DEP_2) | instskip(NEXT) | instid1(VALU_DEP_2)
	v_ldexp_f32 v34, v34, v37
	v_dual_add_f32 v37, -1.0, v36 :: v_dual_sub_f32 v38, v36, v38
	s_delay_alu instid0(VALU_DEP_1) | instskip(NEXT) | instid1(VALU_DEP_2)
	v_add_f32_e32 v40, 1.0, v37
	v_add_f32_e32 v38, v34, v38
	s_delay_alu instid0(VALU_DEP_2) | instskip(NEXT) | instid1(VALU_DEP_2)
	v_sub_f32_e32 v36, v36, v40
	v_add_f32_e32 v40, v39, v38
	s_delay_alu instid0(VALU_DEP_2) | instskip(NEXT) | instid1(VALU_DEP_2)
	v_add_f32_e32 v34, v34, v36
	v_rcp_f32_e32 v36, v40
	v_sub_f32_e32 v39, v39, v40
	s_delay_alu instid0(VALU_DEP_1) | instskip(NEXT) | instid1(VALU_DEP_1)
	v_dual_add_f32 v41, v37, v34 :: v_dual_add_f32 v38, v38, v39
	v_sub_f32_e32 v37, v37, v41
	s_delay_alu instid0(TRANS32_DEP_1) | instskip(NEXT) | instid1(VALU_DEP_1)
	v_mul_f32_e32 v42, v41, v36
	v_dual_add_f32 v34, v34, v37 :: v_dual_mul_f32 v43, v40, v42
	s_delay_alu instid0(VALU_DEP_1) | instskip(NEXT) | instid1(VALU_DEP_1)
	v_fma_f32 v39, v42, v40, -v43
	v_fmac_f32_e32 v39, v42, v38
	s_delay_alu instid0(VALU_DEP_1) | instskip(NEXT) | instid1(VALU_DEP_1)
	v_add_f32_e32 v44, v43, v39
	v_sub_f32_e32 v45, v41, v44
	v_sub_f32_e32 v37, v44, v43
	s_delay_alu instid0(VALU_DEP_2) | instskip(NEXT) | instid1(VALU_DEP_2)
	v_sub_f32_e32 v41, v41, v45
	v_sub_f32_e32 v37, v37, v39
	s_delay_alu instid0(VALU_DEP_2) | instskip(NEXT) | instid1(VALU_DEP_1)
	v_sub_f32_e32 v41, v41, v44
	v_add_f32_e32 v34, v34, v41
	s_delay_alu instid0(VALU_DEP_1) | instskip(NEXT) | instid1(VALU_DEP_1)
	v_add_f32_e32 v34, v37, v34
	v_add_f32_e32 v37, v45, v34
	s_delay_alu instid0(VALU_DEP_1) | instskip(NEXT) | instid1(VALU_DEP_1)
	v_mul_f32_e32 v39, v36, v37
	v_dual_sub_f32 v44, v45, v37 :: v_dual_mul_f32 v41, v40, v39
	s_delay_alu instid0(VALU_DEP_1) | instskip(NEXT) | instid1(VALU_DEP_2)
	v_add_f32_e32 v34, v34, v44
	v_fma_f32 v40, v39, v40, -v41
	s_delay_alu instid0(VALU_DEP_1) | instskip(NEXT) | instid1(VALU_DEP_1)
	v_fmac_f32_e32 v40, v39, v38
	v_add_f32_e32 v38, v41, v40
	s_delay_alu instid0(VALU_DEP_1) | instskip(SKIP_1) | instid1(VALU_DEP_2)
	v_sub_f32_e32 v43, v37, v38
	v_sub_f32_e32 v41, v38, v41
	;; [unrolled: 1-line block ×3, first 2 shown]
	s_delay_alu instid0(VALU_DEP_1) | instskip(NEXT) | instid1(VALU_DEP_3)
	v_sub_f32_e32 v37, v37, v38
	v_sub_f32_e32 v38, v41, v40
	s_delay_alu instid0(VALU_DEP_2) | instskip(SKIP_1) | instid1(VALU_DEP_2)
	v_add_f32_e32 v34, v34, v37
	v_add_f32_e32 v37, v42, v39
	;; [unrolled: 1-line block ×3, first 2 shown]
	s_delay_alu instid0(VALU_DEP_2) | instskip(NEXT) | instid1(VALU_DEP_2)
	v_sub_f32_e32 v38, v37, v42
	v_add_f32_e32 v34, v43, v34
	s_delay_alu instid0(VALU_DEP_2) | instskip(NEXT) | instid1(VALU_DEP_2)
	v_sub_f32_e32 v38, v39, v38
	v_mul_f32_e32 v34, v36, v34
	s_delay_alu instid0(VALU_DEP_1) | instskip(NEXT) | instid1(VALU_DEP_1)
	v_add_f32_e32 v34, v38, v34
	v_add_f32_e32 v36, v37, v34
	s_delay_alu instid0(VALU_DEP_1) | instskip(SKIP_1) | instid1(VALU_DEP_1)
	v_mul_f32_e32 v38, v36, v36
	s_wait_alu 0xfffe
	v_fmaak_f32 v39, s14, v38, 0x3ecc95a3
	v_mul_f32_e32 v40, v36, v38
	v_cmp_neq_f32_e64 s14, 0x7f800000, v35
	s_delay_alu instid0(VALU_DEP_3) | instskip(SKIP_2) | instid1(VALU_DEP_3)
	v_fmaak_f32 v38, v38, v39, 0x3f2aaada
	v_ldexp_f32 v39, v36, 1
	v_sub_f32_e32 v36, v36, v37
	v_mul_f32_e32 v38, v40, v38
	v_mul_f32_e32 v40, 0x3f317218, v33
	s_delay_alu instid0(VALU_DEP_2) | instskip(NEXT) | instid1(VALU_DEP_1)
	v_dual_sub_f32 v34, v34, v36 :: v_dual_add_f32 v37, v39, v38
	v_ldexp_f32 v34, v34, 1
	s_delay_alu instid0(VALU_DEP_2) | instskip(NEXT) | instid1(VALU_DEP_4)
	v_sub_f32_e32 v36, v37, v39
	v_fma_f32 v39, 0x3f317218, v33, -v40
	s_delay_alu instid0(VALU_DEP_1) | instskip(NEXT) | instid1(VALU_DEP_1)
	v_dual_sub_f32 v36, v38, v36 :: v_dual_fmamk_f32 v33, v33, 0xb102e308, v39
	v_add_f32_e32 v34, v34, v36
	s_delay_alu instid0(VALU_DEP_2) | instskip(NEXT) | instid1(VALU_DEP_2)
	v_add_f32_e32 v36, v40, v33
	v_add_f32_e32 v38, v37, v34
	s_delay_alu instid0(VALU_DEP_2) | instskip(NEXT) | instid1(VALU_DEP_2)
	v_sub_f32_e32 v40, v36, v40
	v_add_f32_e32 v39, v36, v38
	v_sub_f32_e32 v37, v38, v37
	s_delay_alu instid0(VALU_DEP_3) | instskip(NEXT) | instid1(VALU_DEP_2)
	v_sub_f32_e32 v33, v33, v40
	v_dual_sub_f32 v41, v39, v36 :: v_dual_sub_f32 v34, v34, v37
	s_delay_alu instid0(VALU_DEP_1) | instskip(NEXT) | instid1(VALU_DEP_2)
	v_sub_f32_e32 v42, v39, v41
	v_dual_sub_f32 v37, v38, v41 :: v_dual_add_f32 v38, v33, v34
	s_delay_alu instid0(VALU_DEP_2) | instskip(NEXT) | instid1(VALU_DEP_1)
	v_sub_f32_e32 v36, v36, v42
	v_dual_add_f32 v36, v37, v36 :: v_dual_sub_f32 v37, v38, v33
	s_delay_alu instid0(VALU_DEP_1) | instskip(NEXT) | instid1(VALU_DEP_2)
	v_add_f32_e32 v36, v38, v36
	v_sub_f32_e32 v38, v38, v37
	v_sub_f32_e32 v34, v34, v37
	s_delay_alu instid0(VALU_DEP_2) | instskip(NEXT) | instid1(VALU_DEP_1)
	v_dual_add_f32 v40, v39, v36 :: v_dual_sub_f32 v33, v33, v38
	v_sub_f32_e32 v37, v40, v39
	s_delay_alu instid0(VALU_DEP_2) | instskip(NEXT) | instid1(VALU_DEP_2)
	v_add_f32_e32 v33, v34, v33
	v_sub_f32_e32 v34, v36, v37
	s_delay_alu instid0(VALU_DEP_1) | instskip(NEXT) | instid1(VALU_DEP_1)
	v_add_f32_e32 v33, v33, v34
	v_add_f32_e32 v33, v40, v33
	s_wait_alu 0xf1ff
	s_delay_alu instid0(VALU_DEP_1) | instskip(SKIP_2) | instid1(VALU_DEP_1)
	v_cndmask_b32_e64 v33, 0x7f800000, v33, s14
	v_cmp_gt_f32_e64 s14, 0x33800000, |v35|
	s_wait_alu 0xf1ff
	v_cndmask_b32_e64 v33, v33, v35, s14
	s_delay_alu instid0(VALU_DEP_1)
	v_add_f32_e32 v34, v32, v33
.LBB508_265:
	s_wait_alu 0xfffe
	s_or_b32 exec_lo, exec_lo, s15
	s_delay_alu instid0(VALU_DEP_1) | instskip(SKIP_1) | instid1(VALU_DEP_2)
	v_bfe_u32 v32, v34, 16, 1
	v_cmp_o_f32_e64 s14, v34, v34
	; wave barrier
	v_add3_u32 v32, v34, v32, 0x7fff
	s_delay_alu instid0(VALU_DEP_1) | instskip(SKIP_1) | instid1(VALU_DEP_1)
	v_lshrrev_b32_e32 v32, 16, v32
	s_wait_alu 0xf1ff
	v_cndmask_b32_e64 v32, 0x7fc0, v32, s14
	s_delay_alu instid0(VALU_DEP_1)
	v_cndmask_b32_e64 v31, v32, v31, s3
	ds_store_b16 v30, v31
	; wave barrier
	ds_load_u16 v33, v30 offset:2
	v_lshlrev_b32_e32 v32, 16, v31
	s_wait_dscnt 0x0
	v_lshlrev_b32_e32 v31, 16, v33
	s_delay_alu instid0(VALU_DEP_1) | instskip(NEXT) | instid1(VALU_DEP_1)
	v_dual_max_num_f32 v33, v32, v32 :: v_dual_max_num_f32 v34, v31, v31
	v_min_num_f32_e32 v35, v33, v34
	v_max_num_f32_e32 v33, v33, v34
	v_cmp_u_f32_e64 s3, v32, v32
	s_wait_alu 0xf1ff
	s_delay_alu instid0(VALU_DEP_1) | instskip(NEXT) | instid1(VALU_DEP_3)
	v_cndmask_b32_e64 v34, v35, v32, s3
	v_cndmask_b32_e64 v35, v33, v32, s3
	v_cmp_u_f32_e64 s3, v31, v31
	s_wait_alu 0xf1ff
	s_delay_alu instid0(VALU_DEP_1) | instskip(NEXT) | instid1(VALU_DEP_3)
	v_cndmask_b32_e64 v33, v34, v31, s3
	v_cndmask_b32_e64 v31, v35, v31, s3
	s_delay_alu instid0(VALU_DEP_2) | instskip(NEXT) | instid1(VALU_DEP_2)
	v_cmp_class_f32_e64 s14, v33, 0x1f8
	v_cmp_neq_f32_e64 s3, v33, v31
	s_or_b32 s3, s3, s14
	s_wait_alu 0xfffe
	s_and_saveexec_b32 s14, s3
	s_cbranch_execz .LBB508_267
; %bb.266:
	v_sub_f32_e32 v32, v33, v31
	s_delay_alu instid0(VALU_DEP_1) | instskip(SKIP_1) | instid1(VALU_DEP_2)
	v_mul_f32_e32 v33, 0x3fb8aa3b, v32
	v_cmp_ngt_f32_e64 s3, 0xc2ce8ed0, v32
	v_fma_f32 v34, 0x3fb8aa3b, v32, -v33
	v_rndne_f32_e32 v35, v33
	s_delay_alu instid0(VALU_DEP_1) | instskip(NEXT) | instid1(VALU_DEP_1)
	v_dual_fmamk_f32 v34, v32, 0x32a5705f, v34 :: v_dual_sub_f32 v33, v33, v35
	v_add_f32_e32 v33, v33, v34
	v_cvt_i32_f32_e32 v34, v35
	s_delay_alu instid0(VALU_DEP_2) | instskip(NEXT) | instid1(TRANS32_DEP_1)
	v_exp_f32_e32 v33, v33
	v_ldexp_f32 v33, v33, v34
	s_wait_alu 0xf1ff
	s_delay_alu instid0(VALU_DEP_1) | instskip(SKIP_2) | instid1(VALU_DEP_1)
	v_cndmask_b32_e64 v33, 0, v33, s3
	v_cmp_nlt_f32_e64 s3, 0x42b17218, v32
	s_wait_alu 0xf1ff
	v_cndmask_b32_e64 v34, 0x7f800000, v33, s3
	s_delay_alu instid0(VALU_DEP_1) | instskip(NEXT) | instid1(VALU_DEP_1)
	v_add_f32_e32 v35, 1.0, v34
	v_cvt_f64_f32_e32 v[32:33], v35
	s_delay_alu instid0(VALU_DEP_1) | instskip(SKIP_1) | instid1(VALU_DEP_1)
	v_frexp_exp_i32_f64_e32 v32, v[32:33]
	v_frexp_mant_f32_e32 v33, v35
	v_cmp_gt_f32_e64 s3, 0x3f2aaaab, v33
	v_add_f32_e32 v33, -1.0, v35
	s_delay_alu instid0(VALU_DEP_1)
	v_sub_f32_e32 v37, v33, v35
	v_sub_f32_e32 v33, v34, v33
	s_wait_alu 0xf1ff
	v_subrev_co_ci_u32_e64 v32, null, 0, v32, s3
	s_mov_b32 s3, 0x3e9b6dac
	v_sub_nc_u32_e32 v36, 0, v32
	v_cvt_f32_i32_e32 v32, v32
	s_delay_alu instid0(VALU_DEP_2) | instskip(NEXT) | instid1(VALU_DEP_1)
	v_ldexp_f32 v35, v35, v36
	v_dual_add_f32 v38, 1.0, v35 :: v_dual_add_f32 v37, 1.0, v37
	s_delay_alu instid0(VALU_DEP_1) | instskip(NEXT) | instid1(VALU_DEP_2)
	v_add_f32_e32 v33, v33, v37
	v_add_f32_e32 v37, -1.0, v38
	s_delay_alu instid0(VALU_DEP_2) | instskip(NEXT) | instid1(VALU_DEP_2)
	v_ldexp_f32 v33, v33, v36
	v_dual_add_f32 v36, -1.0, v35 :: v_dual_sub_f32 v37, v35, v37
	s_delay_alu instid0(VALU_DEP_1) | instskip(NEXT) | instid1(VALU_DEP_2)
	v_add_f32_e32 v39, 1.0, v36
	v_add_f32_e32 v37, v33, v37
	s_delay_alu instid0(VALU_DEP_2) | instskip(NEXT) | instid1(VALU_DEP_2)
	v_sub_f32_e32 v35, v35, v39
	v_add_f32_e32 v39, v38, v37
	s_delay_alu instid0(VALU_DEP_2) | instskip(NEXT) | instid1(VALU_DEP_2)
	v_add_f32_e32 v33, v33, v35
	v_rcp_f32_e32 v35, v39
	v_sub_f32_e32 v38, v38, v39
	s_delay_alu instid0(VALU_DEP_1) | instskip(NEXT) | instid1(VALU_DEP_1)
	v_dual_add_f32 v40, v36, v33 :: v_dual_add_f32 v37, v37, v38
	v_sub_f32_e32 v36, v36, v40
	s_delay_alu instid0(TRANS32_DEP_1) | instskip(NEXT) | instid1(VALU_DEP_1)
	v_mul_f32_e32 v41, v40, v35
	v_dual_add_f32 v33, v33, v36 :: v_dual_mul_f32 v42, v39, v41
	s_delay_alu instid0(VALU_DEP_1) | instskip(NEXT) | instid1(VALU_DEP_1)
	v_fma_f32 v38, v41, v39, -v42
	v_fmac_f32_e32 v38, v41, v37
	s_delay_alu instid0(VALU_DEP_1) | instskip(NEXT) | instid1(VALU_DEP_1)
	v_add_f32_e32 v43, v42, v38
	v_sub_f32_e32 v44, v40, v43
	v_sub_f32_e32 v36, v43, v42
	s_delay_alu instid0(VALU_DEP_2) | instskip(NEXT) | instid1(VALU_DEP_2)
	v_sub_f32_e32 v40, v40, v44
	v_sub_f32_e32 v36, v36, v38
	s_delay_alu instid0(VALU_DEP_2) | instskip(NEXT) | instid1(VALU_DEP_1)
	v_sub_f32_e32 v40, v40, v43
	v_add_f32_e32 v33, v33, v40
	s_delay_alu instid0(VALU_DEP_1) | instskip(NEXT) | instid1(VALU_DEP_1)
	v_add_f32_e32 v33, v36, v33
	v_add_f32_e32 v36, v44, v33
	s_delay_alu instid0(VALU_DEP_1) | instskip(NEXT) | instid1(VALU_DEP_1)
	v_mul_f32_e32 v38, v35, v36
	v_dual_sub_f32 v43, v44, v36 :: v_dual_mul_f32 v40, v39, v38
	s_delay_alu instid0(VALU_DEP_1) | instskip(NEXT) | instid1(VALU_DEP_2)
	v_add_f32_e32 v33, v33, v43
	v_fma_f32 v39, v38, v39, -v40
	s_delay_alu instid0(VALU_DEP_1) | instskip(NEXT) | instid1(VALU_DEP_1)
	v_fmac_f32_e32 v39, v38, v37
	v_add_f32_e32 v37, v40, v39
	s_delay_alu instid0(VALU_DEP_1) | instskip(SKIP_1) | instid1(VALU_DEP_2)
	v_sub_f32_e32 v42, v36, v37
	v_sub_f32_e32 v40, v37, v40
	;; [unrolled: 1-line block ×3, first 2 shown]
	s_delay_alu instid0(VALU_DEP_1) | instskip(NEXT) | instid1(VALU_DEP_3)
	v_sub_f32_e32 v36, v36, v37
	v_sub_f32_e32 v37, v40, v39
	s_delay_alu instid0(VALU_DEP_2) | instskip(SKIP_1) | instid1(VALU_DEP_2)
	v_add_f32_e32 v33, v33, v36
	v_add_f32_e32 v36, v41, v38
	;; [unrolled: 1-line block ×3, first 2 shown]
	s_delay_alu instid0(VALU_DEP_2) | instskip(NEXT) | instid1(VALU_DEP_2)
	v_sub_f32_e32 v37, v36, v41
	v_add_f32_e32 v33, v42, v33
	s_delay_alu instid0(VALU_DEP_2) | instskip(NEXT) | instid1(VALU_DEP_2)
	v_sub_f32_e32 v37, v38, v37
	v_mul_f32_e32 v33, v35, v33
	s_delay_alu instid0(VALU_DEP_1) | instskip(NEXT) | instid1(VALU_DEP_1)
	v_add_f32_e32 v33, v37, v33
	v_add_f32_e32 v35, v36, v33
	s_delay_alu instid0(VALU_DEP_1) | instskip(SKIP_1) | instid1(VALU_DEP_1)
	v_mul_f32_e32 v37, v35, v35
	s_wait_alu 0xfffe
	v_fmaak_f32 v38, s3, v37, 0x3ecc95a3
	v_mul_f32_e32 v39, v35, v37
	v_cmp_neq_f32_e64 s3, 0x7f800000, v34
	s_delay_alu instid0(VALU_DEP_3) | instskip(SKIP_2) | instid1(VALU_DEP_3)
	v_fmaak_f32 v37, v37, v38, 0x3f2aaada
	v_ldexp_f32 v38, v35, 1
	v_sub_f32_e32 v35, v35, v36
	v_mul_f32_e32 v37, v39, v37
	v_mul_f32_e32 v39, 0x3f317218, v32
	s_delay_alu instid0(VALU_DEP_2) | instskip(NEXT) | instid1(VALU_DEP_1)
	v_dual_sub_f32 v33, v33, v35 :: v_dual_add_f32 v36, v38, v37
	v_ldexp_f32 v33, v33, 1
	s_delay_alu instid0(VALU_DEP_2) | instskip(NEXT) | instid1(VALU_DEP_4)
	v_sub_f32_e32 v35, v36, v38
	v_fma_f32 v38, 0x3f317218, v32, -v39
	s_delay_alu instid0(VALU_DEP_1) | instskip(NEXT) | instid1(VALU_DEP_1)
	v_dual_sub_f32 v35, v37, v35 :: v_dual_fmamk_f32 v32, v32, 0xb102e308, v38
	v_add_f32_e32 v33, v33, v35
	s_delay_alu instid0(VALU_DEP_2) | instskip(NEXT) | instid1(VALU_DEP_2)
	v_add_f32_e32 v35, v39, v32
	v_add_f32_e32 v37, v36, v33
	s_delay_alu instid0(VALU_DEP_2) | instskip(NEXT) | instid1(VALU_DEP_2)
	v_sub_f32_e32 v39, v35, v39
	v_add_f32_e32 v38, v35, v37
	v_sub_f32_e32 v36, v37, v36
	s_delay_alu instid0(VALU_DEP_3) | instskip(NEXT) | instid1(VALU_DEP_2)
	v_sub_f32_e32 v32, v32, v39
	v_dual_sub_f32 v40, v38, v35 :: v_dual_sub_f32 v33, v33, v36
	s_delay_alu instid0(VALU_DEP_1) | instskip(NEXT) | instid1(VALU_DEP_2)
	v_sub_f32_e32 v41, v38, v40
	v_dual_sub_f32 v36, v37, v40 :: v_dual_add_f32 v37, v32, v33
	s_delay_alu instid0(VALU_DEP_2) | instskip(NEXT) | instid1(VALU_DEP_1)
	v_sub_f32_e32 v35, v35, v41
	v_dual_add_f32 v35, v36, v35 :: v_dual_sub_f32 v36, v37, v32
	s_delay_alu instid0(VALU_DEP_1) | instskip(NEXT) | instid1(VALU_DEP_2)
	v_add_f32_e32 v35, v37, v35
	v_sub_f32_e32 v37, v37, v36
	v_sub_f32_e32 v33, v33, v36
	s_delay_alu instid0(VALU_DEP_2) | instskip(NEXT) | instid1(VALU_DEP_1)
	v_dual_add_f32 v39, v38, v35 :: v_dual_sub_f32 v32, v32, v37
	v_sub_f32_e32 v36, v39, v38
	s_delay_alu instid0(VALU_DEP_2) | instskip(NEXT) | instid1(VALU_DEP_2)
	v_add_f32_e32 v32, v33, v32
	v_sub_f32_e32 v33, v35, v36
	s_delay_alu instid0(VALU_DEP_1) | instskip(NEXT) | instid1(VALU_DEP_1)
	v_add_f32_e32 v32, v32, v33
	v_add_f32_e32 v32, v39, v32
	s_wait_alu 0xf1ff
	s_delay_alu instid0(VALU_DEP_1) | instskip(SKIP_2) | instid1(VALU_DEP_1)
	v_cndmask_b32_e64 v32, 0x7f800000, v32, s3
	v_cmp_gt_f32_e64 s3, 0x33800000, |v34|
	s_wait_alu 0xf1ff
	v_cndmask_b32_e64 v32, v32, v34, s3
	s_delay_alu instid0(VALU_DEP_1)
	v_add_f32_e32 v32, v31, v32
.LBB508_267:
	s_wait_alu 0xfffe
	s_or_b32 exec_lo, exec_lo, s14
	s_delay_alu instid0(VALU_DEP_1) | instskip(SKIP_3) | instid1(VALU_DEP_1)
	v_bfe_u32 v31, v32, 16, 1
	ds_load_u16 v33, v30 offset:4
	v_cmp_o_f32_e64 s3, v32, v32
	v_add3_u32 v31, v32, v31, 0x7fff
	v_lshrrev_b32_e32 v31, 16, v31
	s_wait_alu 0xf1ff
	s_delay_alu instid0(VALU_DEP_1) | instskip(SKIP_3) | instid1(VALU_DEP_1)
	v_cndmask_b32_e64 v34, 0x7fc0, v31, s3
	ds_store_b16 v30, v34 offset:2
	s_wait_dscnt 0x1
	v_lshlrev_b32_e32 v31, 16, v33
	v_dual_max_num_f32 v35, v31, v31 :: v_dual_lshlrev_b32 v32, 16, v34
	s_delay_alu instid0(VALU_DEP_1) | instskip(SKIP_1) | instid1(VALU_DEP_2)
	v_max_num_f32_e32 v33, v32, v32
	v_cmp_u_f32_e64 s3, v32, v32
	v_min_num_f32_e32 v36, v33, v35
	v_max_num_f32_e32 v33, v33, v35
	s_wait_alu 0xf1ff
	s_delay_alu instid0(VALU_DEP_2) | instskip(NEXT) | instid1(VALU_DEP_2)
	v_cndmask_b32_e64 v35, v36, v32, s3
	v_cndmask_b32_e64 v36, v33, v32, s3
	v_cmp_u_f32_e64 s3, v31, v31
	s_wait_alu 0xf1ff
	s_delay_alu instid0(VALU_DEP_1) | instskip(NEXT) | instid1(VALU_DEP_3)
	v_cndmask_b32_e64 v33, v35, v31, s3
	v_cndmask_b32_e64 v31, v36, v31, s3
	s_delay_alu instid0(VALU_DEP_2) | instskip(NEXT) | instid1(VALU_DEP_2)
	v_cmp_class_f32_e64 s14, v33, 0x1f8
	v_cmp_neq_f32_e64 s3, v33, v31
	s_or_b32 s3, s3, s14
	s_wait_alu 0xfffe
	s_and_saveexec_b32 s14, s3
	s_cbranch_execz .LBB508_269
; %bb.268:
	v_sub_f32_e32 v32, v33, v31
	s_delay_alu instid0(VALU_DEP_1) | instskip(SKIP_1) | instid1(VALU_DEP_2)
	v_mul_f32_e32 v33, 0x3fb8aa3b, v32
	v_cmp_ngt_f32_e64 s3, 0xc2ce8ed0, v32
	v_fma_f32 v34, 0x3fb8aa3b, v32, -v33
	v_rndne_f32_e32 v35, v33
	s_delay_alu instid0(VALU_DEP_1) | instskip(NEXT) | instid1(VALU_DEP_1)
	v_dual_fmamk_f32 v34, v32, 0x32a5705f, v34 :: v_dual_sub_f32 v33, v33, v35
	v_add_f32_e32 v33, v33, v34
	v_cvt_i32_f32_e32 v34, v35
	s_delay_alu instid0(VALU_DEP_2) | instskip(NEXT) | instid1(TRANS32_DEP_1)
	v_exp_f32_e32 v33, v33
	v_ldexp_f32 v33, v33, v34
	s_wait_alu 0xf1ff
	s_delay_alu instid0(VALU_DEP_1) | instskip(SKIP_2) | instid1(VALU_DEP_1)
	v_cndmask_b32_e64 v33, 0, v33, s3
	v_cmp_nlt_f32_e64 s3, 0x42b17218, v32
	s_wait_alu 0xf1ff
	v_cndmask_b32_e64 v34, 0x7f800000, v33, s3
	s_delay_alu instid0(VALU_DEP_1) | instskip(NEXT) | instid1(VALU_DEP_1)
	v_add_f32_e32 v35, 1.0, v34
	v_cvt_f64_f32_e32 v[32:33], v35
	s_delay_alu instid0(VALU_DEP_1) | instskip(SKIP_1) | instid1(VALU_DEP_1)
	v_frexp_exp_i32_f64_e32 v32, v[32:33]
	v_frexp_mant_f32_e32 v33, v35
	v_cmp_gt_f32_e64 s3, 0x3f2aaaab, v33
	v_add_f32_e32 v33, -1.0, v35
	s_delay_alu instid0(VALU_DEP_1)
	v_sub_f32_e32 v37, v33, v35
	v_sub_f32_e32 v33, v34, v33
	s_wait_alu 0xf1ff
	v_subrev_co_ci_u32_e64 v32, null, 0, v32, s3
	s_mov_b32 s3, 0x3e9b6dac
	v_sub_nc_u32_e32 v36, 0, v32
	v_cvt_f32_i32_e32 v32, v32
	s_delay_alu instid0(VALU_DEP_2) | instskip(NEXT) | instid1(VALU_DEP_1)
	v_ldexp_f32 v35, v35, v36
	v_dual_add_f32 v38, 1.0, v35 :: v_dual_add_f32 v37, 1.0, v37
	s_delay_alu instid0(VALU_DEP_1) | instskip(NEXT) | instid1(VALU_DEP_2)
	v_add_f32_e32 v33, v33, v37
	v_add_f32_e32 v37, -1.0, v38
	s_delay_alu instid0(VALU_DEP_2) | instskip(NEXT) | instid1(VALU_DEP_2)
	v_ldexp_f32 v33, v33, v36
	v_dual_add_f32 v36, -1.0, v35 :: v_dual_sub_f32 v37, v35, v37
	s_delay_alu instid0(VALU_DEP_1) | instskip(NEXT) | instid1(VALU_DEP_2)
	v_add_f32_e32 v39, 1.0, v36
	v_add_f32_e32 v37, v33, v37
	s_delay_alu instid0(VALU_DEP_2) | instskip(NEXT) | instid1(VALU_DEP_2)
	v_sub_f32_e32 v35, v35, v39
	v_add_f32_e32 v39, v38, v37
	s_delay_alu instid0(VALU_DEP_2) | instskip(NEXT) | instid1(VALU_DEP_2)
	v_add_f32_e32 v33, v33, v35
	v_rcp_f32_e32 v35, v39
	v_sub_f32_e32 v38, v38, v39
	s_delay_alu instid0(VALU_DEP_1) | instskip(NEXT) | instid1(VALU_DEP_1)
	v_dual_add_f32 v40, v36, v33 :: v_dual_add_f32 v37, v37, v38
	v_sub_f32_e32 v36, v36, v40
	s_delay_alu instid0(TRANS32_DEP_1) | instskip(NEXT) | instid1(VALU_DEP_1)
	v_mul_f32_e32 v41, v40, v35
	v_dual_add_f32 v33, v33, v36 :: v_dual_mul_f32 v42, v39, v41
	s_delay_alu instid0(VALU_DEP_1) | instskip(NEXT) | instid1(VALU_DEP_1)
	v_fma_f32 v38, v41, v39, -v42
	v_fmac_f32_e32 v38, v41, v37
	s_delay_alu instid0(VALU_DEP_1) | instskip(NEXT) | instid1(VALU_DEP_1)
	v_add_f32_e32 v43, v42, v38
	v_sub_f32_e32 v44, v40, v43
	v_sub_f32_e32 v36, v43, v42
	s_delay_alu instid0(VALU_DEP_2) | instskip(NEXT) | instid1(VALU_DEP_2)
	v_sub_f32_e32 v40, v40, v44
	v_sub_f32_e32 v36, v36, v38
	s_delay_alu instid0(VALU_DEP_2) | instskip(NEXT) | instid1(VALU_DEP_1)
	v_sub_f32_e32 v40, v40, v43
	v_add_f32_e32 v33, v33, v40
	s_delay_alu instid0(VALU_DEP_1) | instskip(NEXT) | instid1(VALU_DEP_1)
	v_add_f32_e32 v33, v36, v33
	v_add_f32_e32 v36, v44, v33
	s_delay_alu instid0(VALU_DEP_1) | instskip(NEXT) | instid1(VALU_DEP_1)
	v_mul_f32_e32 v38, v35, v36
	v_dual_sub_f32 v43, v44, v36 :: v_dual_mul_f32 v40, v39, v38
	s_delay_alu instid0(VALU_DEP_1) | instskip(NEXT) | instid1(VALU_DEP_2)
	v_add_f32_e32 v33, v33, v43
	v_fma_f32 v39, v38, v39, -v40
	s_delay_alu instid0(VALU_DEP_1) | instskip(NEXT) | instid1(VALU_DEP_1)
	v_fmac_f32_e32 v39, v38, v37
	v_add_f32_e32 v37, v40, v39
	s_delay_alu instid0(VALU_DEP_1) | instskip(SKIP_1) | instid1(VALU_DEP_2)
	v_sub_f32_e32 v42, v36, v37
	v_sub_f32_e32 v40, v37, v40
	;; [unrolled: 1-line block ×3, first 2 shown]
	s_delay_alu instid0(VALU_DEP_1) | instskip(NEXT) | instid1(VALU_DEP_3)
	v_sub_f32_e32 v36, v36, v37
	v_sub_f32_e32 v37, v40, v39
	s_delay_alu instid0(VALU_DEP_2) | instskip(SKIP_1) | instid1(VALU_DEP_2)
	v_add_f32_e32 v33, v33, v36
	v_add_f32_e32 v36, v41, v38
	;; [unrolled: 1-line block ×3, first 2 shown]
	s_delay_alu instid0(VALU_DEP_2) | instskip(NEXT) | instid1(VALU_DEP_2)
	v_sub_f32_e32 v37, v36, v41
	v_add_f32_e32 v33, v42, v33
	s_delay_alu instid0(VALU_DEP_2) | instskip(NEXT) | instid1(VALU_DEP_2)
	v_sub_f32_e32 v37, v38, v37
	v_mul_f32_e32 v33, v35, v33
	s_delay_alu instid0(VALU_DEP_1) | instskip(NEXT) | instid1(VALU_DEP_1)
	v_add_f32_e32 v33, v37, v33
	v_add_f32_e32 v35, v36, v33
	s_delay_alu instid0(VALU_DEP_1) | instskip(SKIP_1) | instid1(VALU_DEP_1)
	v_mul_f32_e32 v37, v35, v35
	s_wait_alu 0xfffe
	v_fmaak_f32 v38, s3, v37, 0x3ecc95a3
	v_mul_f32_e32 v39, v35, v37
	v_cmp_neq_f32_e64 s3, 0x7f800000, v34
	s_delay_alu instid0(VALU_DEP_3) | instskip(SKIP_2) | instid1(VALU_DEP_3)
	v_fmaak_f32 v37, v37, v38, 0x3f2aaada
	v_ldexp_f32 v38, v35, 1
	v_sub_f32_e32 v35, v35, v36
	v_mul_f32_e32 v37, v39, v37
	v_mul_f32_e32 v39, 0x3f317218, v32
	s_delay_alu instid0(VALU_DEP_2) | instskip(NEXT) | instid1(VALU_DEP_1)
	v_dual_sub_f32 v33, v33, v35 :: v_dual_add_f32 v36, v38, v37
	v_ldexp_f32 v33, v33, 1
	s_delay_alu instid0(VALU_DEP_2) | instskip(NEXT) | instid1(VALU_DEP_4)
	v_sub_f32_e32 v35, v36, v38
	v_fma_f32 v38, 0x3f317218, v32, -v39
	s_delay_alu instid0(VALU_DEP_1) | instskip(NEXT) | instid1(VALU_DEP_1)
	v_dual_sub_f32 v35, v37, v35 :: v_dual_fmamk_f32 v32, v32, 0xb102e308, v38
	v_add_f32_e32 v33, v33, v35
	s_delay_alu instid0(VALU_DEP_2) | instskip(NEXT) | instid1(VALU_DEP_2)
	v_add_f32_e32 v35, v39, v32
	v_add_f32_e32 v37, v36, v33
	s_delay_alu instid0(VALU_DEP_2) | instskip(NEXT) | instid1(VALU_DEP_2)
	v_sub_f32_e32 v39, v35, v39
	v_add_f32_e32 v38, v35, v37
	v_sub_f32_e32 v36, v37, v36
	s_delay_alu instid0(VALU_DEP_3) | instskip(NEXT) | instid1(VALU_DEP_2)
	v_sub_f32_e32 v32, v32, v39
	v_dual_sub_f32 v40, v38, v35 :: v_dual_sub_f32 v33, v33, v36
	s_delay_alu instid0(VALU_DEP_1) | instskip(NEXT) | instid1(VALU_DEP_2)
	v_sub_f32_e32 v41, v38, v40
	v_dual_sub_f32 v36, v37, v40 :: v_dual_add_f32 v37, v32, v33
	s_delay_alu instid0(VALU_DEP_2) | instskip(NEXT) | instid1(VALU_DEP_1)
	v_sub_f32_e32 v35, v35, v41
	v_dual_add_f32 v35, v36, v35 :: v_dual_sub_f32 v36, v37, v32
	s_delay_alu instid0(VALU_DEP_1) | instskip(NEXT) | instid1(VALU_DEP_2)
	v_add_f32_e32 v35, v37, v35
	v_sub_f32_e32 v37, v37, v36
	v_sub_f32_e32 v33, v33, v36
	s_delay_alu instid0(VALU_DEP_2) | instskip(NEXT) | instid1(VALU_DEP_1)
	v_dual_add_f32 v39, v38, v35 :: v_dual_sub_f32 v32, v32, v37
	v_sub_f32_e32 v36, v39, v38
	s_delay_alu instid0(VALU_DEP_2) | instskip(NEXT) | instid1(VALU_DEP_2)
	v_add_f32_e32 v32, v33, v32
	v_sub_f32_e32 v33, v35, v36
	s_delay_alu instid0(VALU_DEP_1) | instskip(NEXT) | instid1(VALU_DEP_1)
	v_add_f32_e32 v32, v32, v33
	v_add_f32_e32 v32, v39, v32
	s_wait_alu 0xf1ff
	s_delay_alu instid0(VALU_DEP_1) | instskip(SKIP_2) | instid1(VALU_DEP_1)
	v_cndmask_b32_e64 v32, 0x7f800000, v32, s3
	v_cmp_gt_f32_e64 s3, 0x33800000, |v34|
	s_wait_alu 0xf1ff
	v_cndmask_b32_e64 v32, v32, v34, s3
	s_delay_alu instid0(VALU_DEP_1)
	v_add_f32_e32 v32, v31, v32
.LBB508_269:
	s_wait_alu 0xfffe
	s_or_b32 exec_lo, exec_lo, s14
	s_delay_alu instid0(VALU_DEP_1) | instskip(SKIP_3) | instid1(VALU_DEP_1)
	v_bfe_u32 v31, v32, 16, 1
	ds_load_u16 v33, v30 offset:6
	v_cmp_o_f32_e64 s3, v32, v32
	v_add3_u32 v31, v32, v31, 0x7fff
	v_lshrrev_b32_e32 v31, 16, v31
	s_wait_alu 0xf1ff
	s_delay_alu instid0(VALU_DEP_1) | instskip(SKIP_3) | instid1(VALU_DEP_1)
	v_cndmask_b32_e64 v34, 0x7fc0, v31, s3
	ds_store_b16 v30, v34 offset:4
	s_wait_dscnt 0x1
	v_lshlrev_b32_e32 v31, 16, v33
	v_dual_max_num_f32 v35, v31, v31 :: v_dual_lshlrev_b32 v32, 16, v34
	s_delay_alu instid0(VALU_DEP_1) | instskip(SKIP_1) | instid1(VALU_DEP_2)
	v_max_num_f32_e32 v33, v32, v32
	v_cmp_u_f32_e64 s3, v32, v32
	v_min_num_f32_e32 v36, v33, v35
	v_max_num_f32_e32 v33, v33, v35
	s_wait_alu 0xf1ff
	s_delay_alu instid0(VALU_DEP_2) | instskip(NEXT) | instid1(VALU_DEP_2)
	v_cndmask_b32_e64 v35, v36, v32, s3
	v_cndmask_b32_e64 v36, v33, v32, s3
	v_cmp_u_f32_e64 s3, v31, v31
	s_wait_alu 0xf1ff
	s_delay_alu instid0(VALU_DEP_1) | instskip(NEXT) | instid1(VALU_DEP_3)
	v_cndmask_b32_e64 v33, v35, v31, s3
	v_cndmask_b32_e64 v31, v36, v31, s3
	s_delay_alu instid0(VALU_DEP_2) | instskip(NEXT) | instid1(VALU_DEP_2)
	v_cmp_class_f32_e64 s14, v33, 0x1f8
	v_cmp_neq_f32_e64 s3, v33, v31
	s_or_b32 s3, s3, s14
	s_wait_alu 0xfffe
	s_and_saveexec_b32 s14, s3
	s_cbranch_execz .LBB508_271
; %bb.270:
	v_sub_f32_e32 v32, v33, v31
	s_delay_alu instid0(VALU_DEP_1) | instskip(SKIP_1) | instid1(VALU_DEP_2)
	v_mul_f32_e32 v33, 0x3fb8aa3b, v32
	v_cmp_ngt_f32_e64 s3, 0xc2ce8ed0, v32
	v_fma_f32 v34, 0x3fb8aa3b, v32, -v33
	v_rndne_f32_e32 v35, v33
	s_delay_alu instid0(VALU_DEP_1) | instskip(NEXT) | instid1(VALU_DEP_1)
	v_dual_fmamk_f32 v34, v32, 0x32a5705f, v34 :: v_dual_sub_f32 v33, v33, v35
	v_add_f32_e32 v33, v33, v34
	v_cvt_i32_f32_e32 v34, v35
	s_delay_alu instid0(VALU_DEP_2) | instskip(NEXT) | instid1(TRANS32_DEP_1)
	v_exp_f32_e32 v33, v33
	v_ldexp_f32 v33, v33, v34
	s_wait_alu 0xf1ff
	s_delay_alu instid0(VALU_DEP_1) | instskip(SKIP_2) | instid1(VALU_DEP_1)
	v_cndmask_b32_e64 v33, 0, v33, s3
	v_cmp_nlt_f32_e64 s3, 0x42b17218, v32
	s_wait_alu 0xf1ff
	v_cndmask_b32_e64 v34, 0x7f800000, v33, s3
	s_delay_alu instid0(VALU_DEP_1) | instskip(NEXT) | instid1(VALU_DEP_1)
	v_add_f32_e32 v35, 1.0, v34
	v_cvt_f64_f32_e32 v[32:33], v35
	s_delay_alu instid0(VALU_DEP_1) | instskip(SKIP_1) | instid1(VALU_DEP_1)
	v_frexp_exp_i32_f64_e32 v32, v[32:33]
	v_frexp_mant_f32_e32 v33, v35
	v_cmp_gt_f32_e64 s3, 0x3f2aaaab, v33
	v_add_f32_e32 v33, -1.0, v35
	s_delay_alu instid0(VALU_DEP_1)
	v_sub_f32_e32 v37, v33, v35
	v_sub_f32_e32 v33, v34, v33
	s_wait_alu 0xf1ff
	v_subrev_co_ci_u32_e64 v32, null, 0, v32, s3
	s_mov_b32 s3, 0x3e9b6dac
	v_sub_nc_u32_e32 v36, 0, v32
	v_cvt_f32_i32_e32 v32, v32
	s_delay_alu instid0(VALU_DEP_2) | instskip(NEXT) | instid1(VALU_DEP_1)
	v_ldexp_f32 v35, v35, v36
	v_dual_add_f32 v38, 1.0, v35 :: v_dual_add_f32 v37, 1.0, v37
	s_delay_alu instid0(VALU_DEP_1) | instskip(NEXT) | instid1(VALU_DEP_2)
	v_add_f32_e32 v33, v33, v37
	v_add_f32_e32 v37, -1.0, v38
	s_delay_alu instid0(VALU_DEP_2) | instskip(NEXT) | instid1(VALU_DEP_2)
	v_ldexp_f32 v33, v33, v36
	v_dual_add_f32 v36, -1.0, v35 :: v_dual_sub_f32 v37, v35, v37
	s_delay_alu instid0(VALU_DEP_1) | instskip(NEXT) | instid1(VALU_DEP_2)
	v_add_f32_e32 v39, 1.0, v36
	v_add_f32_e32 v37, v33, v37
	s_delay_alu instid0(VALU_DEP_2) | instskip(NEXT) | instid1(VALU_DEP_2)
	v_sub_f32_e32 v35, v35, v39
	v_add_f32_e32 v39, v38, v37
	s_delay_alu instid0(VALU_DEP_2) | instskip(NEXT) | instid1(VALU_DEP_2)
	v_add_f32_e32 v33, v33, v35
	v_rcp_f32_e32 v35, v39
	v_sub_f32_e32 v38, v38, v39
	s_delay_alu instid0(VALU_DEP_1) | instskip(NEXT) | instid1(VALU_DEP_1)
	v_dual_add_f32 v40, v36, v33 :: v_dual_add_f32 v37, v37, v38
	v_sub_f32_e32 v36, v36, v40
	s_delay_alu instid0(TRANS32_DEP_1) | instskip(NEXT) | instid1(VALU_DEP_1)
	v_mul_f32_e32 v41, v40, v35
	v_dual_add_f32 v33, v33, v36 :: v_dual_mul_f32 v42, v39, v41
	s_delay_alu instid0(VALU_DEP_1) | instskip(NEXT) | instid1(VALU_DEP_1)
	v_fma_f32 v38, v41, v39, -v42
	v_fmac_f32_e32 v38, v41, v37
	s_delay_alu instid0(VALU_DEP_1) | instskip(NEXT) | instid1(VALU_DEP_1)
	v_add_f32_e32 v43, v42, v38
	v_sub_f32_e32 v44, v40, v43
	v_sub_f32_e32 v36, v43, v42
	s_delay_alu instid0(VALU_DEP_2) | instskip(NEXT) | instid1(VALU_DEP_2)
	v_sub_f32_e32 v40, v40, v44
	v_sub_f32_e32 v36, v36, v38
	s_delay_alu instid0(VALU_DEP_2) | instskip(NEXT) | instid1(VALU_DEP_1)
	v_sub_f32_e32 v40, v40, v43
	v_add_f32_e32 v33, v33, v40
	s_delay_alu instid0(VALU_DEP_1) | instskip(NEXT) | instid1(VALU_DEP_1)
	v_add_f32_e32 v33, v36, v33
	v_add_f32_e32 v36, v44, v33
	s_delay_alu instid0(VALU_DEP_1) | instskip(NEXT) | instid1(VALU_DEP_1)
	v_mul_f32_e32 v38, v35, v36
	v_dual_sub_f32 v43, v44, v36 :: v_dual_mul_f32 v40, v39, v38
	s_delay_alu instid0(VALU_DEP_1) | instskip(NEXT) | instid1(VALU_DEP_2)
	v_add_f32_e32 v33, v33, v43
	v_fma_f32 v39, v38, v39, -v40
	s_delay_alu instid0(VALU_DEP_1) | instskip(NEXT) | instid1(VALU_DEP_1)
	v_fmac_f32_e32 v39, v38, v37
	v_add_f32_e32 v37, v40, v39
	s_delay_alu instid0(VALU_DEP_1) | instskip(SKIP_1) | instid1(VALU_DEP_2)
	v_sub_f32_e32 v42, v36, v37
	v_sub_f32_e32 v40, v37, v40
	;; [unrolled: 1-line block ×3, first 2 shown]
	s_delay_alu instid0(VALU_DEP_1) | instskip(NEXT) | instid1(VALU_DEP_3)
	v_sub_f32_e32 v36, v36, v37
	v_sub_f32_e32 v37, v40, v39
	s_delay_alu instid0(VALU_DEP_2) | instskip(SKIP_1) | instid1(VALU_DEP_2)
	v_add_f32_e32 v33, v33, v36
	v_add_f32_e32 v36, v41, v38
	;; [unrolled: 1-line block ×3, first 2 shown]
	s_delay_alu instid0(VALU_DEP_2) | instskip(NEXT) | instid1(VALU_DEP_2)
	v_sub_f32_e32 v37, v36, v41
	v_add_f32_e32 v33, v42, v33
	s_delay_alu instid0(VALU_DEP_2) | instskip(NEXT) | instid1(VALU_DEP_2)
	v_sub_f32_e32 v37, v38, v37
	v_mul_f32_e32 v33, v35, v33
	s_delay_alu instid0(VALU_DEP_1) | instskip(NEXT) | instid1(VALU_DEP_1)
	v_add_f32_e32 v33, v37, v33
	v_add_f32_e32 v35, v36, v33
	s_delay_alu instid0(VALU_DEP_1) | instskip(SKIP_1) | instid1(VALU_DEP_1)
	v_mul_f32_e32 v37, v35, v35
	s_wait_alu 0xfffe
	v_fmaak_f32 v38, s3, v37, 0x3ecc95a3
	v_mul_f32_e32 v39, v35, v37
	v_cmp_neq_f32_e64 s3, 0x7f800000, v34
	s_delay_alu instid0(VALU_DEP_3) | instskip(SKIP_2) | instid1(VALU_DEP_3)
	v_fmaak_f32 v37, v37, v38, 0x3f2aaada
	v_ldexp_f32 v38, v35, 1
	v_sub_f32_e32 v35, v35, v36
	v_mul_f32_e32 v37, v39, v37
	v_mul_f32_e32 v39, 0x3f317218, v32
	s_delay_alu instid0(VALU_DEP_2) | instskip(NEXT) | instid1(VALU_DEP_1)
	v_dual_sub_f32 v33, v33, v35 :: v_dual_add_f32 v36, v38, v37
	v_ldexp_f32 v33, v33, 1
	s_delay_alu instid0(VALU_DEP_2) | instskip(NEXT) | instid1(VALU_DEP_4)
	v_sub_f32_e32 v35, v36, v38
	v_fma_f32 v38, 0x3f317218, v32, -v39
	s_delay_alu instid0(VALU_DEP_1) | instskip(NEXT) | instid1(VALU_DEP_1)
	v_dual_sub_f32 v35, v37, v35 :: v_dual_fmamk_f32 v32, v32, 0xb102e308, v38
	v_add_f32_e32 v33, v33, v35
	s_delay_alu instid0(VALU_DEP_2) | instskip(NEXT) | instid1(VALU_DEP_2)
	v_add_f32_e32 v35, v39, v32
	v_add_f32_e32 v37, v36, v33
	s_delay_alu instid0(VALU_DEP_2) | instskip(NEXT) | instid1(VALU_DEP_2)
	v_sub_f32_e32 v39, v35, v39
	v_add_f32_e32 v38, v35, v37
	v_sub_f32_e32 v36, v37, v36
	s_delay_alu instid0(VALU_DEP_3) | instskip(NEXT) | instid1(VALU_DEP_2)
	v_sub_f32_e32 v32, v32, v39
	v_dual_sub_f32 v40, v38, v35 :: v_dual_sub_f32 v33, v33, v36
	s_delay_alu instid0(VALU_DEP_1) | instskip(NEXT) | instid1(VALU_DEP_2)
	v_sub_f32_e32 v41, v38, v40
	v_dual_sub_f32 v36, v37, v40 :: v_dual_add_f32 v37, v32, v33
	s_delay_alu instid0(VALU_DEP_2) | instskip(NEXT) | instid1(VALU_DEP_1)
	v_sub_f32_e32 v35, v35, v41
	v_dual_add_f32 v35, v36, v35 :: v_dual_sub_f32 v36, v37, v32
	s_delay_alu instid0(VALU_DEP_1) | instskip(NEXT) | instid1(VALU_DEP_2)
	v_add_f32_e32 v35, v37, v35
	v_sub_f32_e32 v37, v37, v36
	v_sub_f32_e32 v33, v33, v36
	s_delay_alu instid0(VALU_DEP_2) | instskip(NEXT) | instid1(VALU_DEP_1)
	v_dual_add_f32 v39, v38, v35 :: v_dual_sub_f32 v32, v32, v37
	v_sub_f32_e32 v36, v39, v38
	s_delay_alu instid0(VALU_DEP_2) | instskip(NEXT) | instid1(VALU_DEP_2)
	v_add_f32_e32 v32, v33, v32
	v_sub_f32_e32 v33, v35, v36
	s_delay_alu instid0(VALU_DEP_1) | instskip(NEXT) | instid1(VALU_DEP_1)
	v_add_f32_e32 v32, v32, v33
	v_add_f32_e32 v32, v39, v32
	s_wait_alu 0xf1ff
	s_delay_alu instid0(VALU_DEP_1) | instskip(SKIP_2) | instid1(VALU_DEP_1)
	v_cndmask_b32_e64 v32, 0x7f800000, v32, s3
	v_cmp_gt_f32_e64 s3, 0x33800000, |v34|
	s_wait_alu 0xf1ff
	v_cndmask_b32_e64 v32, v32, v34, s3
	s_delay_alu instid0(VALU_DEP_1)
	v_add_f32_e32 v32, v31, v32
.LBB508_271:
	s_wait_alu 0xfffe
	s_or_b32 exec_lo, exec_lo, s14
	s_delay_alu instid0(VALU_DEP_1) | instskip(SKIP_3) | instid1(VALU_DEP_1)
	v_bfe_u32 v31, v32, 16, 1
	ds_load_u16 v33, v30 offset:8
	v_cmp_o_f32_e64 s3, v32, v32
	v_add3_u32 v31, v32, v31, 0x7fff
	v_lshrrev_b32_e32 v31, 16, v31
	s_wait_alu 0xf1ff
	s_delay_alu instid0(VALU_DEP_1) | instskip(SKIP_3) | instid1(VALU_DEP_1)
	v_cndmask_b32_e64 v34, 0x7fc0, v31, s3
	ds_store_b16 v30, v34 offset:6
	s_wait_dscnt 0x1
	v_lshlrev_b32_e32 v31, 16, v33
	v_dual_max_num_f32 v35, v31, v31 :: v_dual_lshlrev_b32 v32, 16, v34
	s_delay_alu instid0(VALU_DEP_1) | instskip(SKIP_1) | instid1(VALU_DEP_2)
	v_max_num_f32_e32 v33, v32, v32
	v_cmp_u_f32_e64 s3, v32, v32
	v_min_num_f32_e32 v36, v33, v35
	v_max_num_f32_e32 v33, v33, v35
	s_wait_alu 0xf1ff
	s_delay_alu instid0(VALU_DEP_2) | instskip(NEXT) | instid1(VALU_DEP_2)
	v_cndmask_b32_e64 v35, v36, v32, s3
	v_cndmask_b32_e64 v36, v33, v32, s3
	v_cmp_u_f32_e64 s3, v31, v31
	s_wait_alu 0xf1ff
	s_delay_alu instid0(VALU_DEP_1) | instskip(NEXT) | instid1(VALU_DEP_3)
	v_cndmask_b32_e64 v33, v35, v31, s3
	v_cndmask_b32_e64 v31, v36, v31, s3
	s_delay_alu instid0(VALU_DEP_2) | instskip(NEXT) | instid1(VALU_DEP_2)
	v_cmp_class_f32_e64 s14, v33, 0x1f8
	v_cmp_neq_f32_e64 s3, v33, v31
	s_or_b32 s3, s3, s14
	s_wait_alu 0xfffe
	s_and_saveexec_b32 s14, s3
	s_cbranch_execz .LBB508_273
; %bb.272:
	v_sub_f32_e32 v32, v33, v31
	s_delay_alu instid0(VALU_DEP_1) | instskip(SKIP_1) | instid1(VALU_DEP_2)
	v_mul_f32_e32 v33, 0x3fb8aa3b, v32
	v_cmp_ngt_f32_e64 s3, 0xc2ce8ed0, v32
	v_fma_f32 v34, 0x3fb8aa3b, v32, -v33
	v_rndne_f32_e32 v35, v33
	s_delay_alu instid0(VALU_DEP_1) | instskip(NEXT) | instid1(VALU_DEP_1)
	v_dual_fmamk_f32 v34, v32, 0x32a5705f, v34 :: v_dual_sub_f32 v33, v33, v35
	v_add_f32_e32 v33, v33, v34
	v_cvt_i32_f32_e32 v34, v35
	s_delay_alu instid0(VALU_DEP_2) | instskip(NEXT) | instid1(TRANS32_DEP_1)
	v_exp_f32_e32 v33, v33
	v_ldexp_f32 v33, v33, v34
	s_wait_alu 0xf1ff
	s_delay_alu instid0(VALU_DEP_1) | instskip(SKIP_2) | instid1(VALU_DEP_1)
	v_cndmask_b32_e64 v33, 0, v33, s3
	v_cmp_nlt_f32_e64 s3, 0x42b17218, v32
	s_wait_alu 0xf1ff
	v_cndmask_b32_e64 v34, 0x7f800000, v33, s3
	s_delay_alu instid0(VALU_DEP_1) | instskip(NEXT) | instid1(VALU_DEP_1)
	v_add_f32_e32 v35, 1.0, v34
	v_cvt_f64_f32_e32 v[32:33], v35
	s_delay_alu instid0(VALU_DEP_1) | instskip(SKIP_1) | instid1(VALU_DEP_1)
	v_frexp_exp_i32_f64_e32 v32, v[32:33]
	v_frexp_mant_f32_e32 v33, v35
	v_cmp_gt_f32_e64 s3, 0x3f2aaaab, v33
	v_add_f32_e32 v33, -1.0, v35
	s_delay_alu instid0(VALU_DEP_1)
	v_sub_f32_e32 v37, v33, v35
	v_sub_f32_e32 v33, v34, v33
	s_wait_alu 0xf1ff
	v_subrev_co_ci_u32_e64 v32, null, 0, v32, s3
	s_mov_b32 s3, 0x3e9b6dac
	v_sub_nc_u32_e32 v36, 0, v32
	v_cvt_f32_i32_e32 v32, v32
	s_delay_alu instid0(VALU_DEP_2) | instskip(NEXT) | instid1(VALU_DEP_1)
	v_ldexp_f32 v35, v35, v36
	v_dual_add_f32 v38, 1.0, v35 :: v_dual_add_f32 v37, 1.0, v37
	s_delay_alu instid0(VALU_DEP_1) | instskip(NEXT) | instid1(VALU_DEP_2)
	v_add_f32_e32 v33, v33, v37
	v_add_f32_e32 v37, -1.0, v38
	s_delay_alu instid0(VALU_DEP_2) | instskip(NEXT) | instid1(VALU_DEP_2)
	v_ldexp_f32 v33, v33, v36
	v_dual_add_f32 v36, -1.0, v35 :: v_dual_sub_f32 v37, v35, v37
	s_delay_alu instid0(VALU_DEP_1) | instskip(NEXT) | instid1(VALU_DEP_2)
	v_add_f32_e32 v39, 1.0, v36
	v_add_f32_e32 v37, v33, v37
	s_delay_alu instid0(VALU_DEP_2) | instskip(NEXT) | instid1(VALU_DEP_2)
	v_sub_f32_e32 v35, v35, v39
	v_add_f32_e32 v39, v38, v37
	s_delay_alu instid0(VALU_DEP_2) | instskip(NEXT) | instid1(VALU_DEP_2)
	v_add_f32_e32 v33, v33, v35
	v_rcp_f32_e32 v35, v39
	v_sub_f32_e32 v38, v38, v39
	s_delay_alu instid0(VALU_DEP_1) | instskip(NEXT) | instid1(VALU_DEP_1)
	v_dual_add_f32 v40, v36, v33 :: v_dual_add_f32 v37, v37, v38
	v_sub_f32_e32 v36, v36, v40
	s_delay_alu instid0(TRANS32_DEP_1) | instskip(NEXT) | instid1(VALU_DEP_1)
	v_mul_f32_e32 v41, v40, v35
	v_dual_add_f32 v33, v33, v36 :: v_dual_mul_f32 v42, v39, v41
	s_delay_alu instid0(VALU_DEP_1) | instskip(NEXT) | instid1(VALU_DEP_1)
	v_fma_f32 v38, v41, v39, -v42
	v_fmac_f32_e32 v38, v41, v37
	s_delay_alu instid0(VALU_DEP_1) | instskip(NEXT) | instid1(VALU_DEP_1)
	v_add_f32_e32 v43, v42, v38
	v_sub_f32_e32 v44, v40, v43
	v_sub_f32_e32 v36, v43, v42
	s_delay_alu instid0(VALU_DEP_2) | instskip(NEXT) | instid1(VALU_DEP_2)
	v_sub_f32_e32 v40, v40, v44
	v_sub_f32_e32 v36, v36, v38
	s_delay_alu instid0(VALU_DEP_2) | instskip(NEXT) | instid1(VALU_DEP_1)
	v_sub_f32_e32 v40, v40, v43
	v_add_f32_e32 v33, v33, v40
	s_delay_alu instid0(VALU_DEP_1) | instskip(NEXT) | instid1(VALU_DEP_1)
	v_add_f32_e32 v33, v36, v33
	v_add_f32_e32 v36, v44, v33
	s_delay_alu instid0(VALU_DEP_1) | instskip(NEXT) | instid1(VALU_DEP_1)
	v_mul_f32_e32 v38, v35, v36
	v_dual_sub_f32 v43, v44, v36 :: v_dual_mul_f32 v40, v39, v38
	s_delay_alu instid0(VALU_DEP_1) | instskip(NEXT) | instid1(VALU_DEP_2)
	v_add_f32_e32 v33, v33, v43
	v_fma_f32 v39, v38, v39, -v40
	s_delay_alu instid0(VALU_DEP_1) | instskip(NEXT) | instid1(VALU_DEP_1)
	v_fmac_f32_e32 v39, v38, v37
	v_add_f32_e32 v37, v40, v39
	s_delay_alu instid0(VALU_DEP_1) | instskip(SKIP_1) | instid1(VALU_DEP_2)
	v_sub_f32_e32 v42, v36, v37
	v_sub_f32_e32 v40, v37, v40
	;; [unrolled: 1-line block ×3, first 2 shown]
	s_delay_alu instid0(VALU_DEP_1) | instskip(NEXT) | instid1(VALU_DEP_3)
	v_sub_f32_e32 v36, v36, v37
	v_sub_f32_e32 v37, v40, v39
	s_delay_alu instid0(VALU_DEP_2) | instskip(SKIP_1) | instid1(VALU_DEP_2)
	v_add_f32_e32 v33, v33, v36
	v_add_f32_e32 v36, v41, v38
	;; [unrolled: 1-line block ×3, first 2 shown]
	s_delay_alu instid0(VALU_DEP_2) | instskip(NEXT) | instid1(VALU_DEP_2)
	v_sub_f32_e32 v37, v36, v41
	v_add_f32_e32 v33, v42, v33
	s_delay_alu instid0(VALU_DEP_2) | instskip(NEXT) | instid1(VALU_DEP_2)
	v_sub_f32_e32 v37, v38, v37
	v_mul_f32_e32 v33, v35, v33
	s_delay_alu instid0(VALU_DEP_1) | instskip(NEXT) | instid1(VALU_DEP_1)
	v_add_f32_e32 v33, v37, v33
	v_add_f32_e32 v35, v36, v33
	s_delay_alu instid0(VALU_DEP_1) | instskip(SKIP_1) | instid1(VALU_DEP_1)
	v_mul_f32_e32 v37, v35, v35
	s_wait_alu 0xfffe
	v_fmaak_f32 v38, s3, v37, 0x3ecc95a3
	v_mul_f32_e32 v39, v35, v37
	v_cmp_neq_f32_e64 s3, 0x7f800000, v34
	s_delay_alu instid0(VALU_DEP_3) | instskip(SKIP_2) | instid1(VALU_DEP_3)
	v_fmaak_f32 v37, v37, v38, 0x3f2aaada
	v_ldexp_f32 v38, v35, 1
	v_sub_f32_e32 v35, v35, v36
	v_mul_f32_e32 v37, v39, v37
	v_mul_f32_e32 v39, 0x3f317218, v32
	s_delay_alu instid0(VALU_DEP_2) | instskip(NEXT) | instid1(VALU_DEP_1)
	v_dual_sub_f32 v33, v33, v35 :: v_dual_add_f32 v36, v38, v37
	v_ldexp_f32 v33, v33, 1
	s_delay_alu instid0(VALU_DEP_2) | instskip(NEXT) | instid1(VALU_DEP_4)
	v_sub_f32_e32 v35, v36, v38
	v_fma_f32 v38, 0x3f317218, v32, -v39
	s_delay_alu instid0(VALU_DEP_1) | instskip(NEXT) | instid1(VALU_DEP_1)
	v_dual_sub_f32 v35, v37, v35 :: v_dual_fmamk_f32 v32, v32, 0xb102e308, v38
	v_add_f32_e32 v33, v33, v35
	s_delay_alu instid0(VALU_DEP_2) | instskip(NEXT) | instid1(VALU_DEP_2)
	v_add_f32_e32 v35, v39, v32
	v_add_f32_e32 v37, v36, v33
	s_delay_alu instid0(VALU_DEP_2) | instskip(NEXT) | instid1(VALU_DEP_2)
	v_sub_f32_e32 v39, v35, v39
	v_add_f32_e32 v38, v35, v37
	v_sub_f32_e32 v36, v37, v36
	s_delay_alu instid0(VALU_DEP_3) | instskip(NEXT) | instid1(VALU_DEP_2)
	v_sub_f32_e32 v32, v32, v39
	v_dual_sub_f32 v40, v38, v35 :: v_dual_sub_f32 v33, v33, v36
	s_delay_alu instid0(VALU_DEP_1) | instskip(NEXT) | instid1(VALU_DEP_2)
	v_sub_f32_e32 v41, v38, v40
	v_dual_sub_f32 v36, v37, v40 :: v_dual_add_f32 v37, v32, v33
	s_delay_alu instid0(VALU_DEP_2) | instskip(NEXT) | instid1(VALU_DEP_1)
	v_sub_f32_e32 v35, v35, v41
	v_dual_add_f32 v35, v36, v35 :: v_dual_sub_f32 v36, v37, v32
	s_delay_alu instid0(VALU_DEP_1) | instskip(NEXT) | instid1(VALU_DEP_2)
	v_add_f32_e32 v35, v37, v35
	v_sub_f32_e32 v37, v37, v36
	v_sub_f32_e32 v33, v33, v36
	s_delay_alu instid0(VALU_DEP_2) | instskip(NEXT) | instid1(VALU_DEP_1)
	v_dual_add_f32 v39, v38, v35 :: v_dual_sub_f32 v32, v32, v37
	v_sub_f32_e32 v36, v39, v38
	s_delay_alu instid0(VALU_DEP_2) | instskip(NEXT) | instid1(VALU_DEP_2)
	v_add_f32_e32 v32, v33, v32
	v_sub_f32_e32 v33, v35, v36
	s_delay_alu instid0(VALU_DEP_1) | instskip(NEXT) | instid1(VALU_DEP_1)
	v_add_f32_e32 v32, v32, v33
	v_add_f32_e32 v32, v39, v32
	s_wait_alu 0xf1ff
	s_delay_alu instid0(VALU_DEP_1) | instskip(SKIP_2) | instid1(VALU_DEP_1)
	v_cndmask_b32_e64 v32, 0x7f800000, v32, s3
	v_cmp_gt_f32_e64 s3, 0x33800000, |v34|
	s_wait_alu 0xf1ff
	v_cndmask_b32_e64 v32, v32, v34, s3
	s_delay_alu instid0(VALU_DEP_1)
	v_add_f32_e32 v32, v31, v32
.LBB508_273:
	s_wait_alu 0xfffe
	s_or_b32 exec_lo, exec_lo, s14
	s_delay_alu instid0(VALU_DEP_1) | instskip(SKIP_3) | instid1(VALU_DEP_1)
	v_bfe_u32 v31, v32, 16, 1
	ds_load_u16 v33, v30 offset:10
	v_cmp_o_f32_e64 s3, v32, v32
	v_add3_u32 v31, v32, v31, 0x7fff
	v_lshrrev_b32_e32 v31, 16, v31
	s_wait_alu 0xf1ff
	s_delay_alu instid0(VALU_DEP_1) | instskip(SKIP_3) | instid1(VALU_DEP_1)
	v_cndmask_b32_e64 v34, 0x7fc0, v31, s3
	ds_store_b16 v30, v34 offset:8
	s_wait_dscnt 0x1
	v_lshlrev_b32_e32 v31, 16, v33
	v_dual_max_num_f32 v35, v31, v31 :: v_dual_lshlrev_b32 v32, 16, v34
	s_delay_alu instid0(VALU_DEP_1) | instskip(SKIP_1) | instid1(VALU_DEP_2)
	v_max_num_f32_e32 v33, v32, v32
	v_cmp_u_f32_e64 s3, v32, v32
	v_min_num_f32_e32 v36, v33, v35
	v_max_num_f32_e32 v33, v33, v35
	s_wait_alu 0xf1ff
	s_delay_alu instid0(VALU_DEP_2) | instskip(NEXT) | instid1(VALU_DEP_2)
	v_cndmask_b32_e64 v35, v36, v32, s3
	v_cndmask_b32_e64 v36, v33, v32, s3
	v_cmp_u_f32_e64 s3, v31, v31
	s_wait_alu 0xf1ff
	s_delay_alu instid0(VALU_DEP_1) | instskip(NEXT) | instid1(VALU_DEP_3)
	v_cndmask_b32_e64 v33, v35, v31, s3
	v_cndmask_b32_e64 v31, v36, v31, s3
	s_delay_alu instid0(VALU_DEP_2) | instskip(NEXT) | instid1(VALU_DEP_2)
	v_cmp_class_f32_e64 s14, v33, 0x1f8
	v_cmp_neq_f32_e64 s3, v33, v31
	s_or_b32 s3, s3, s14
	s_wait_alu 0xfffe
	s_and_saveexec_b32 s14, s3
	s_cbranch_execz .LBB508_275
; %bb.274:
	v_sub_f32_e32 v32, v33, v31
	s_delay_alu instid0(VALU_DEP_1) | instskip(SKIP_1) | instid1(VALU_DEP_2)
	v_mul_f32_e32 v33, 0x3fb8aa3b, v32
	v_cmp_ngt_f32_e64 s3, 0xc2ce8ed0, v32
	v_fma_f32 v34, 0x3fb8aa3b, v32, -v33
	v_rndne_f32_e32 v35, v33
	s_delay_alu instid0(VALU_DEP_1) | instskip(NEXT) | instid1(VALU_DEP_1)
	v_dual_fmamk_f32 v34, v32, 0x32a5705f, v34 :: v_dual_sub_f32 v33, v33, v35
	v_add_f32_e32 v33, v33, v34
	v_cvt_i32_f32_e32 v34, v35
	s_delay_alu instid0(VALU_DEP_2) | instskip(NEXT) | instid1(TRANS32_DEP_1)
	v_exp_f32_e32 v33, v33
	v_ldexp_f32 v33, v33, v34
	s_wait_alu 0xf1ff
	s_delay_alu instid0(VALU_DEP_1) | instskip(SKIP_2) | instid1(VALU_DEP_1)
	v_cndmask_b32_e64 v33, 0, v33, s3
	v_cmp_nlt_f32_e64 s3, 0x42b17218, v32
	s_wait_alu 0xf1ff
	v_cndmask_b32_e64 v34, 0x7f800000, v33, s3
	s_delay_alu instid0(VALU_DEP_1) | instskip(NEXT) | instid1(VALU_DEP_1)
	v_add_f32_e32 v35, 1.0, v34
	v_cvt_f64_f32_e32 v[32:33], v35
	s_delay_alu instid0(VALU_DEP_1) | instskip(SKIP_1) | instid1(VALU_DEP_1)
	v_frexp_exp_i32_f64_e32 v32, v[32:33]
	v_frexp_mant_f32_e32 v33, v35
	v_cmp_gt_f32_e64 s3, 0x3f2aaaab, v33
	v_add_f32_e32 v33, -1.0, v35
	s_delay_alu instid0(VALU_DEP_1)
	v_sub_f32_e32 v37, v33, v35
	v_sub_f32_e32 v33, v34, v33
	s_wait_alu 0xf1ff
	v_subrev_co_ci_u32_e64 v32, null, 0, v32, s3
	s_mov_b32 s3, 0x3e9b6dac
	v_sub_nc_u32_e32 v36, 0, v32
	v_cvt_f32_i32_e32 v32, v32
	s_delay_alu instid0(VALU_DEP_2) | instskip(NEXT) | instid1(VALU_DEP_1)
	v_ldexp_f32 v35, v35, v36
	v_dual_add_f32 v38, 1.0, v35 :: v_dual_add_f32 v37, 1.0, v37
	s_delay_alu instid0(VALU_DEP_1) | instskip(NEXT) | instid1(VALU_DEP_2)
	v_add_f32_e32 v33, v33, v37
	v_add_f32_e32 v37, -1.0, v38
	s_delay_alu instid0(VALU_DEP_2) | instskip(NEXT) | instid1(VALU_DEP_2)
	v_ldexp_f32 v33, v33, v36
	v_dual_add_f32 v36, -1.0, v35 :: v_dual_sub_f32 v37, v35, v37
	s_delay_alu instid0(VALU_DEP_1) | instskip(NEXT) | instid1(VALU_DEP_2)
	v_add_f32_e32 v39, 1.0, v36
	v_add_f32_e32 v37, v33, v37
	s_delay_alu instid0(VALU_DEP_2) | instskip(NEXT) | instid1(VALU_DEP_2)
	v_sub_f32_e32 v35, v35, v39
	v_add_f32_e32 v39, v38, v37
	s_delay_alu instid0(VALU_DEP_2) | instskip(NEXT) | instid1(VALU_DEP_2)
	v_add_f32_e32 v33, v33, v35
	v_rcp_f32_e32 v35, v39
	v_sub_f32_e32 v38, v38, v39
	s_delay_alu instid0(VALU_DEP_1) | instskip(NEXT) | instid1(VALU_DEP_1)
	v_dual_add_f32 v40, v36, v33 :: v_dual_add_f32 v37, v37, v38
	v_sub_f32_e32 v36, v36, v40
	s_delay_alu instid0(TRANS32_DEP_1) | instskip(NEXT) | instid1(VALU_DEP_1)
	v_mul_f32_e32 v41, v40, v35
	v_dual_add_f32 v33, v33, v36 :: v_dual_mul_f32 v42, v39, v41
	s_delay_alu instid0(VALU_DEP_1) | instskip(NEXT) | instid1(VALU_DEP_1)
	v_fma_f32 v38, v41, v39, -v42
	v_fmac_f32_e32 v38, v41, v37
	s_delay_alu instid0(VALU_DEP_1) | instskip(NEXT) | instid1(VALU_DEP_1)
	v_add_f32_e32 v43, v42, v38
	v_sub_f32_e32 v44, v40, v43
	v_sub_f32_e32 v36, v43, v42
	s_delay_alu instid0(VALU_DEP_2) | instskip(NEXT) | instid1(VALU_DEP_2)
	v_sub_f32_e32 v40, v40, v44
	v_sub_f32_e32 v36, v36, v38
	s_delay_alu instid0(VALU_DEP_2) | instskip(NEXT) | instid1(VALU_DEP_1)
	v_sub_f32_e32 v40, v40, v43
	v_add_f32_e32 v33, v33, v40
	s_delay_alu instid0(VALU_DEP_1) | instskip(NEXT) | instid1(VALU_DEP_1)
	v_add_f32_e32 v33, v36, v33
	v_add_f32_e32 v36, v44, v33
	s_delay_alu instid0(VALU_DEP_1) | instskip(NEXT) | instid1(VALU_DEP_1)
	v_mul_f32_e32 v38, v35, v36
	v_dual_sub_f32 v43, v44, v36 :: v_dual_mul_f32 v40, v39, v38
	s_delay_alu instid0(VALU_DEP_1) | instskip(NEXT) | instid1(VALU_DEP_2)
	v_add_f32_e32 v33, v33, v43
	v_fma_f32 v39, v38, v39, -v40
	s_delay_alu instid0(VALU_DEP_1) | instskip(NEXT) | instid1(VALU_DEP_1)
	v_fmac_f32_e32 v39, v38, v37
	v_add_f32_e32 v37, v40, v39
	s_delay_alu instid0(VALU_DEP_1) | instskip(SKIP_1) | instid1(VALU_DEP_2)
	v_sub_f32_e32 v42, v36, v37
	v_sub_f32_e32 v40, v37, v40
	;; [unrolled: 1-line block ×3, first 2 shown]
	s_delay_alu instid0(VALU_DEP_1) | instskip(NEXT) | instid1(VALU_DEP_3)
	v_sub_f32_e32 v36, v36, v37
	v_sub_f32_e32 v37, v40, v39
	s_delay_alu instid0(VALU_DEP_2) | instskip(SKIP_1) | instid1(VALU_DEP_2)
	v_add_f32_e32 v33, v33, v36
	v_add_f32_e32 v36, v41, v38
	v_add_f32_e32 v33, v37, v33
	s_delay_alu instid0(VALU_DEP_2) | instskip(NEXT) | instid1(VALU_DEP_2)
	v_sub_f32_e32 v37, v36, v41
	v_add_f32_e32 v33, v42, v33
	s_delay_alu instid0(VALU_DEP_2) | instskip(NEXT) | instid1(VALU_DEP_2)
	v_sub_f32_e32 v37, v38, v37
	v_mul_f32_e32 v33, v35, v33
	s_delay_alu instid0(VALU_DEP_1) | instskip(NEXT) | instid1(VALU_DEP_1)
	v_add_f32_e32 v33, v37, v33
	v_add_f32_e32 v35, v36, v33
	s_delay_alu instid0(VALU_DEP_1) | instskip(SKIP_1) | instid1(VALU_DEP_1)
	v_mul_f32_e32 v37, v35, v35
	s_wait_alu 0xfffe
	v_fmaak_f32 v38, s3, v37, 0x3ecc95a3
	v_mul_f32_e32 v39, v35, v37
	v_cmp_neq_f32_e64 s3, 0x7f800000, v34
	s_delay_alu instid0(VALU_DEP_3) | instskip(SKIP_2) | instid1(VALU_DEP_3)
	v_fmaak_f32 v37, v37, v38, 0x3f2aaada
	v_ldexp_f32 v38, v35, 1
	v_sub_f32_e32 v35, v35, v36
	v_mul_f32_e32 v37, v39, v37
	v_mul_f32_e32 v39, 0x3f317218, v32
	s_delay_alu instid0(VALU_DEP_2) | instskip(NEXT) | instid1(VALU_DEP_1)
	v_dual_sub_f32 v33, v33, v35 :: v_dual_add_f32 v36, v38, v37
	v_ldexp_f32 v33, v33, 1
	s_delay_alu instid0(VALU_DEP_2) | instskip(NEXT) | instid1(VALU_DEP_4)
	v_sub_f32_e32 v35, v36, v38
	v_fma_f32 v38, 0x3f317218, v32, -v39
	s_delay_alu instid0(VALU_DEP_1) | instskip(NEXT) | instid1(VALU_DEP_1)
	v_dual_sub_f32 v35, v37, v35 :: v_dual_fmamk_f32 v32, v32, 0xb102e308, v38
	v_add_f32_e32 v33, v33, v35
	s_delay_alu instid0(VALU_DEP_2) | instskip(NEXT) | instid1(VALU_DEP_2)
	v_add_f32_e32 v35, v39, v32
	v_add_f32_e32 v37, v36, v33
	s_delay_alu instid0(VALU_DEP_2) | instskip(NEXT) | instid1(VALU_DEP_2)
	v_sub_f32_e32 v39, v35, v39
	v_add_f32_e32 v38, v35, v37
	v_sub_f32_e32 v36, v37, v36
	s_delay_alu instid0(VALU_DEP_3) | instskip(NEXT) | instid1(VALU_DEP_2)
	v_sub_f32_e32 v32, v32, v39
	v_dual_sub_f32 v40, v38, v35 :: v_dual_sub_f32 v33, v33, v36
	s_delay_alu instid0(VALU_DEP_1) | instskip(NEXT) | instid1(VALU_DEP_2)
	v_sub_f32_e32 v41, v38, v40
	v_dual_sub_f32 v36, v37, v40 :: v_dual_add_f32 v37, v32, v33
	s_delay_alu instid0(VALU_DEP_2) | instskip(NEXT) | instid1(VALU_DEP_1)
	v_sub_f32_e32 v35, v35, v41
	v_dual_add_f32 v35, v36, v35 :: v_dual_sub_f32 v36, v37, v32
	s_delay_alu instid0(VALU_DEP_1) | instskip(NEXT) | instid1(VALU_DEP_2)
	v_add_f32_e32 v35, v37, v35
	v_sub_f32_e32 v37, v37, v36
	v_sub_f32_e32 v33, v33, v36
	s_delay_alu instid0(VALU_DEP_2) | instskip(NEXT) | instid1(VALU_DEP_1)
	v_dual_add_f32 v39, v38, v35 :: v_dual_sub_f32 v32, v32, v37
	v_sub_f32_e32 v36, v39, v38
	s_delay_alu instid0(VALU_DEP_2) | instskip(NEXT) | instid1(VALU_DEP_2)
	v_add_f32_e32 v32, v33, v32
	v_sub_f32_e32 v33, v35, v36
	s_delay_alu instid0(VALU_DEP_1) | instskip(NEXT) | instid1(VALU_DEP_1)
	v_add_f32_e32 v32, v32, v33
	v_add_f32_e32 v32, v39, v32
	s_wait_alu 0xf1ff
	s_delay_alu instid0(VALU_DEP_1) | instskip(SKIP_2) | instid1(VALU_DEP_1)
	v_cndmask_b32_e64 v32, 0x7f800000, v32, s3
	v_cmp_gt_f32_e64 s3, 0x33800000, |v34|
	s_wait_alu 0xf1ff
	v_cndmask_b32_e64 v32, v32, v34, s3
	s_delay_alu instid0(VALU_DEP_1)
	v_add_f32_e32 v32, v31, v32
.LBB508_275:
	s_wait_alu 0xfffe
	s_or_b32 exec_lo, exec_lo, s14
	s_delay_alu instid0(VALU_DEP_1) | instskip(SKIP_3) | instid1(VALU_DEP_1)
	v_bfe_u32 v31, v32, 16, 1
	ds_load_u16 v33, v30 offset:12
	v_cmp_o_f32_e64 s3, v32, v32
	v_add3_u32 v31, v32, v31, 0x7fff
	v_lshrrev_b32_e32 v31, 16, v31
	s_wait_alu 0xf1ff
	s_delay_alu instid0(VALU_DEP_1) | instskip(SKIP_3) | instid1(VALU_DEP_1)
	v_cndmask_b32_e64 v34, 0x7fc0, v31, s3
	ds_store_b16 v30, v34 offset:10
	s_wait_dscnt 0x1
	v_lshlrev_b32_e32 v31, 16, v33
	v_dual_max_num_f32 v35, v31, v31 :: v_dual_lshlrev_b32 v32, 16, v34
	s_delay_alu instid0(VALU_DEP_1) | instskip(SKIP_1) | instid1(VALU_DEP_2)
	v_max_num_f32_e32 v33, v32, v32
	v_cmp_u_f32_e64 s3, v32, v32
	v_min_num_f32_e32 v36, v33, v35
	v_max_num_f32_e32 v33, v33, v35
	s_wait_alu 0xf1ff
	s_delay_alu instid0(VALU_DEP_2) | instskip(NEXT) | instid1(VALU_DEP_2)
	v_cndmask_b32_e64 v35, v36, v32, s3
	v_cndmask_b32_e64 v36, v33, v32, s3
	v_cmp_u_f32_e64 s3, v31, v31
	s_wait_alu 0xf1ff
	s_delay_alu instid0(VALU_DEP_1) | instskip(NEXT) | instid1(VALU_DEP_3)
	v_cndmask_b32_e64 v33, v35, v31, s3
	v_cndmask_b32_e64 v31, v36, v31, s3
	s_delay_alu instid0(VALU_DEP_2) | instskip(NEXT) | instid1(VALU_DEP_2)
	v_cmp_class_f32_e64 s14, v33, 0x1f8
	v_cmp_neq_f32_e64 s3, v33, v31
	s_or_b32 s3, s3, s14
	s_wait_alu 0xfffe
	s_and_saveexec_b32 s14, s3
	s_cbranch_execz .LBB508_277
; %bb.276:
	v_sub_f32_e32 v32, v33, v31
	s_delay_alu instid0(VALU_DEP_1) | instskip(SKIP_1) | instid1(VALU_DEP_2)
	v_mul_f32_e32 v33, 0x3fb8aa3b, v32
	v_cmp_ngt_f32_e64 s3, 0xc2ce8ed0, v32
	v_fma_f32 v34, 0x3fb8aa3b, v32, -v33
	v_rndne_f32_e32 v35, v33
	s_delay_alu instid0(VALU_DEP_1) | instskip(NEXT) | instid1(VALU_DEP_1)
	v_dual_fmamk_f32 v34, v32, 0x32a5705f, v34 :: v_dual_sub_f32 v33, v33, v35
	v_add_f32_e32 v33, v33, v34
	v_cvt_i32_f32_e32 v34, v35
	s_delay_alu instid0(VALU_DEP_2) | instskip(NEXT) | instid1(TRANS32_DEP_1)
	v_exp_f32_e32 v33, v33
	v_ldexp_f32 v33, v33, v34
	s_wait_alu 0xf1ff
	s_delay_alu instid0(VALU_DEP_1) | instskip(SKIP_2) | instid1(VALU_DEP_1)
	v_cndmask_b32_e64 v33, 0, v33, s3
	v_cmp_nlt_f32_e64 s3, 0x42b17218, v32
	s_wait_alu 0xf1ff
	v_cndmask_b32_e64 v34, 0x7f800000, v33, s3
	s_delay_alu instid0(VALU_DEP_1) | instskip(NEXT) | instid1(VALU_DEP_1)
	v_add_f32_e32 v35, 1.0, v34
	v_cvt_f64_f32_e32 v[32:33], v35
	s_delay_alu instid0(VALU_DEP_1) | instskip(SKIP_1) | instid1(VALU_DEP_1)
	v_frexp_exp_i32_f64_e32 v32, v[32:33]
	v_frexp_mant_f32_e32 v33, v35
	v_cmp_gt_f32_e64 s3, 0x3f2aaaab, v33
	v_add_f32_e32 v33, -1.0, v35
	s_delay_alu instid0(VALU_DEP_1)
	v_sub_f32_e32 v37, v33, v35
	v_sub_f32_e32 v33, v34, v33
	s_wait_alu 0xf1ff
	v_subrev_co_ci_u32_e64 v32, null, 0, v32, s3
	s_mov_b32 s3, 0x3e9b6dac
	v_sub_nc_u32_e32 v36, 0, v32
	v_cvt_f32_i32_e32 v32, v32
	s_delay_alu instid0(VALU_DEP_2) | instskip(NEXT) | instid1(VALU_DEP_1)
	v_ldexp_f32 v35, v35, v36
	v_dual_add_f32 v38, 1.0, v35 :: v_dual_add_f32 v37, 1.0, v37
	s_delay_alu instid0(VALU_DEP_1) | instskip(NEXT) | instid1(VALU_DEP_2)
	v_add_f32_e32 v33, v33, v37
	v_add_f32_e32 v37, -1.0, v38
	s_delay_alu instid0(VALU_DEP_2) | instskip(NEXT) | instid1(VALU_DEP_2)
	v_ldexp_f32 v33, v33, v36
	v_dual_add_f32 v36, -1.0, v35 :: v_dual_sub_f32 v37, v35, v37
	s_delay_alu instid0(VALU_DEP_1) | instskip(NEXT) | instid1(VALU_DEP_2)
	v_add_f32_e32 v39, 1.0, v36
	v_add_f32_e32 v37, v33, v37
	s_delay_alu instid0(VALU_DEP_2) | instskip(NEXT) | instid1(VALU_DEP_2)
	v_sub_f32_e32 v35, v35, v39
	v_add_f32_e32 v39, v38, v37
	s_delay_alu instid0(VALU_DEP_2) | instskip(NEXT) | instid1(VALU_DEP_2)
	v_add_f32_e32 v33, v33, v35
	v_rcp_f32_e32 v35, v39
	v_sub_f32_e32 v38, v38, v39
	s_delay_alu instid0(VALU_DEP_1) | instskip(NEXT) | instid1(VALU_DEP_1)
	v_dual_add_f32 v40, v36, v33 :: v_dual_add_f32 v37, v37, v38
	v_sub_f32_e32 v36, v36, v40
	s_delay_alu instid0(TRANS32_DEP_1) | instskip(NEXT) | instid1(VALU_DEP_1)
	v_mul_f32_e32 v41, v40, v35
	v_dual_add_f32 v33, v33, v36 :: v_dual_mul_f32 v42, v39, v41
	s_delay_alu instid0(VALU_DEP_1) | instskip(NEXT) | instid1(VALU_DEP_1)
	v_fma_f32 v38, v41, v39, -v42
	v_fmac_f32_e32 v38, v41, v37
	s_delay_alu instid0(VALU_DEP_1) | instskip(NEXT) | instid1(VALU_DEP_1)
	v_add_f32_e32 v43, v42, v38
	v_sub_f32_e32 v44, v40, v43
	v_sub_f32_e32 v36, v43, v42
	s_delay_alu instid0(VALU_DEP_2) | instskip(NEXT) | instid1(VALU_DEP_2)
	v_sub_f32_e32 v40, v40, v44
	v_sub_f32_e32 v36, v36, v38
	s_delay_alu instid0(VALU_DEP_2) | instskip(NEXT) | instid1(VALU_DEP_1)
	v_sub_f32_e32 v40, v40, v43
	v_add_f32_e32 v33, v33, v40
	s_delay_alu instid0(VALU_DEP_1) | instskip(NEXT) | instid1(VALU_DEP_1)
	v_add_f32_e32 v33, v36, v33
	v_add_f32_e32 v36, v44, v33
	s_delay_alu instid0(VALU_DEP_1) | instskip(NEXT) | instid1(VALU_DEP_1)
	v_mul_f32_e32 v38, v35, v36
	v_dual_sub_f32 v43, v44, v36 :: v_dual_mul_f32 v40, v39, v38
	s_delay_alu instid0(VALU_DEP_1) | instskip(NEXT) | instid1(VALU_DEP_2)
	v_add_f32_e32 v33, v33, v43
	v_fma_f32 v39, v38, v39, -v40
	s_delay_alu instid0(VALU_DEP_1) | instskip(NEXT) | instid1(VALU_DEP_1)
	v_fmac_f32_e32 v39, v38, v37
	v_add_f32_e32 v37, v40, v39
	s_delay_alu instid0(VALU_DEP_1) | instskip(SKIP_1) | instid1(VALU_DEP_2)
	v_sub_f32_e32 v42, v36, v37
	v_sub_f32_e32 v40, v37, v40
	;; [unrolled: 1-line block ×3, first 2 shown]
	s_delay_alu instid0(VALU_DEP_1) | instskip(NEXT) | instid1(VALU_DEP_3)
	v_sub_f32_e32 v36, v36, v37
	v_sub_f32_e32 v37, v40, v39
	s_delay_alu instid0(VALU_DEP_2) | instskip(SKIP_1) | instid1(VALU_DEP_2)
	v_add_f32_e32 v33, v33, v36
	v_add_f32_e32 v36, v41, v38
	;; [unrolled: 1-line block ×3, first 2 shown]
	s_delay_alu instid0(VALU_DEP_2) | instskip(NEXT) | instid1(VALU_DEP_2)
	v_sub_f32_e32 v37, v36, v41
	v_add_f32_e32 v33, v42, v33
	s_delay_alu instid0(VALU_DEP_2) | instskip(NEXT) | instid1(VALU_DEP_2)
	v_sub_f32_e32 v37, v38, v37
	v_mul_f32_e32 v33, v35, v33
	s_delay_alu instid0(VALU_DEP_1) | instskip(NEXT) | instid1(VALU_DEP_1)
	v_add_f32_e32 v33, v37, v33
	v_add_f32_e32 v35, v36, v33
	s_delay_alu instid0(VALU_DEP_1) | instskip(SKIP_1) | instid1(VALU_DEP_1)
	v_mul_f32_e32 v37, v35, v35
	s_wait_alu 0xfffe
	v_fmaak_f32 v38, s3, v37, 0x3ecc95a3
	v_mul_f32_e32 v39, v35, v37
	v_cmp_neq_f32_e64 s3, 0x7f800000, v34
	s_delay_alu instid0(VALU_DEP_3) | instskip(SKIP_2) | instid1(VALU_DEP_3)
	v_fmaak_f32 v37, v37, v38, 0x3f2aaada
	v_ldexp_f32 v38, v35, 1
	v_sub_f32_e32 v35, v35, v36
	v_mul_f32_e32 v37, v39, v37
	v_mul_f32_e32 v39, 0x3f317218, v32
	s_delay_alu instid0(VALU_DEP_2) | instskip(NEXT) | instid1(VALU_DEP_1)
	v_dual_sub_f32 v33, v33, v35 :: v_dual_add_f32 v36, v38, v37
	v_ldexp_f32 v33, v33, 1
	s_delay_alu instid0(VALU_DEP_2) | instskip(NEXT) | instid1(VALU_DEP_4)
	v_sub_f32_e32 v35, v36, v38
	v_fma_f32 v38, 0x3f317218, v32, -v39
	s_delay_alu instid0(VALU_DEP_1) | instskip(NEXT) | instid1(VALU_DEP_1)
	v_dual_sub_f32 v35, v37, v35 :: v_dual_fmamk_f32 v32, v32, 0xb102e308, v38
	v_add_f32_e32 v33, v33, v35
	s_delay_alu instid0(VALU_DEP_2) | instskip(NEXT) | instid1(VALU_DEP_2)
	v_add_f32_e32 v35, v39, v32
	v_add_f32_e32 v37, v36, v33
	s_delay_alu instid0(VALU_DEP_2) | instskip(NEXT) | instid1(VALU_DEP_2)
	v_sub_f32_e32 v39, v35, v39
	v_add_f32_e32 v38, v35, v37
	v_sub_f32_e32 v36, v37, v36
	s_delay_alu instid0(VALU_DEP_3) | instskip(NEXT) | instid1(VALU_DEP_2)
	v_sub_f32_e32 v32, v32, v39
	v_dual_sub_f32 v40, v38, v35 :: v_dual_sub_f32 v33, v33, v36
	s_delay_alu instid0(VALU_DEP_1) | instskip(NEXT) | instid1(VALU_DEP_2)
	v_sub_f32_e32 v41, v38, v40
	v_dual_sub_f32 v36, v37, v40 :: v_dual_add_f32 v37, v32, v33
	s_delay_alu instid0(VALU_DEP_2) | instskip(NEXT) | instid1(VALU_DEP_1)
	v_sub_f32_e32 v35, v35, v41
	v_dual_add_f32 v35, v36, v35 :: v_dual_sub_f32 v36, v37, v32
	s_delay_alu instid0(VALU_DEP_1) | instskip(NEXT) | instid1(VALU_DEP_2)
	v_add_f32_e32 v35, v37, v35
	v_sub_f32_e32 v37, v37, v36
	v_sub_f32_e32 v33, v33, v36
	s_delay_alu instid0(VALU_DEP_2) | instskip(NEXT) | instid1(VALU_DEP_1)
	v_dual_add_f32 v39, v38, v35 :: v_dual_sub_f32 v32, v32, v37
	v_sub_f32_e32 v36, v39, v38
	s_delay_alu instid0(VALU_DEP_2) | instskip(NEXT) | instid1(VALU_DEP_2)
	v_add_f32_e32 v32, v33, v32
	v_sub_f32_e32 v33, v35, v36
	s_delay_alu instid0(VALU_DEP_1) | instskip(NEXT) | instid1(VALU_DEP_1)
	v_add_f32_e32 v32, v32, v33
	v_add_f32_e32 v32, v39, v32
	s_wait_alu 0xf1ff
	s_delay_alu instid0(VALU_DEP_1) | instskip(SKIP_2) | instid1(VALU_DEP_1)
	v_cndmask_b32_e64 v32, 0x7f800000, v32, s3
	v_cmp_gt_f32_e64 s3, 0x33800000, |v34|
	s_wait_alu 0xf1ff
	v_cndmask_b32_e64 v32, v32, v34, s3
	s_delay_alu instid0(VALU_DEP_1)
	v_add_f32_e32 v32, v31, v32
.LBB508_277:
	s_wait_alu 0xfffe
	s_or_b32 exec_lo, exec_lo, s14
	s_delay_alu instid0(VALU_DEP_1) | instskip(SKIP_3) | instid1(VALU_DEP_1)
	v_bfe_u32 v31, v32, 16, 1
	ds_load_u16 v33, v30 offset:14
	v_cmp_o_f32_e64 s3, v32, v32
	v_add3_u32 v31, v32, v31, 0x7fff
	v_lshrrev_b32_e32 v31, 16, v31
	s_wait_alu 0xf1ff
	s_delay_alu instid0(VALU_DEP_1) | instskip(SKIP_3) | instid1(VALU_DEP_1)
	v_cndmask_b32_e64 v34, 0x7fc0, v31, s3
	ds_store_b16 v30, v34 offset:12
	s_wait_dscnt 0x1
	v_lshlrev_b32_e32 v31, 16, v33
	v_dual_max_num_f32 v35, v31, v31 :: v_dual_lshlrev_b32 v32, 16, v34
	s_delay_alu instid0(VALU_DEP_1) | instskip(SKIP_1) | instid1(VALU_DEP_2)
	v_max_num_f32_e32 v33, v32, v32
	v_cmp_u_f32_e64 s3, v32, v32
	v_min_num_f32_e32 v36, v33, v35
	v_max_num_f32_e32 v33, v33, v35
	s_wait_alu 0xf1ff
	s_delay_alu instid0(VALU_DEP_2) | instskip(NEXT) | instid1(VALU_DEP_2)
	v_cndmask_b32_e64 v35, v36, v32, s3
	v_cndmask_b32_e64 v36, v33, v32, s3
	v_cmp_u_f32_e64 s3, v31, v31
	s_wait_alu 0xf1ff
	s_delay_alu instid0(VALU_DEP_1) | instskip(NEXT) | instid1(VALU_DEP_3)
	v_cndmask_b32_e64 v33, v35, v31, s3
	v_cndmask_b32_e64 v31, v36, v31, s3
	s_delay_alu instid0(VALU_DEP_2) | instskip(NEXT) | instid1(VALU_DEP_2)
	v_cmp_class_f32_e64 s14, v33, 0x1f8
	v_cmp_neq_f32_e64 s3, v33, v31
	s_or_b32 s3, s3, s14
	s_wait_alu 0xfffe
	s_and_saveexec_b32 s14, s3
	s_cbranch_execz .LBB508_279
; %bb.278:
	v_sub_f32_e32 v32, v33, v31
	s_delay_alu instid0(VALU_DEP_1) | instskip(SKIP_1) | instid1(VALU_DEP_2)
	v_mul_f32_e32 v33, 0x3fb8aa3b, v32
	v_cmp_ngt_f32_e64 s3, 0xc2ce8ed0, v32
	v_fma_f32 v34, 0x3fb8aa3b, v32, -v33
	v_rndne_f32_e32 v35, v33
	s_delay_alu instid0(VALU_DEP_1) | instskip(NEXT) | instid1(VALU_DEP_1)
	v_dual_fmamk_f32 v34, v32, 0x32a5705f, v34 :: v_dual_sub_f32 v33, v33, v35
	v_add_f32_e32 v33, v33, v34
	v_cvt_i32_f32_e32 v34, v35
	s_delay_alu instid0(VALU_DEP_2) | instskip(NEXT) | instid1(TRANS32_DEP_1)
	v_exp_f32_e32 v33, v33
	v_ldexp_f32 v33, v33, v34
	s_wait_alu 0xf1ff
	s_delay_alu instid0(VALU_DEP_1) | instskip(SKIP_2) | instid1(VALU_DEP_1)
	v_cndmask_b32_e64 v33, 0, v33, s3
	v_cmp_nlt_f32_e64 s3, 0x42b17218, v32
	s_wait_alu 0xf1ff
	v_cndmask_b32_e64 v34, 0x7f800000, v33, s3
	s_delay_alu instid0(VALU_DEP_1) | instskip(NEXT) | instid1(VALU_DEP_1)
	v_add_f32_e32 v35, 1.0, v34
	v_cvt_f64_f32_e32 v[32:33], v35
	s_delay_alu instid0(VALU_DEP_1) | instskip(SKIP_1) | instid1(VALU_DEP_1)
	v_frexp_exp_i32_f64_e32 v32, v[32:33]
	v_frexp_mant_f32_e32 v33, v35
	v_cmp_gt_f32_e64 s3, 0x3f2aaaab, v33
	v_add_f32_e32 v33, -1.0, v35
	s_delay_alu instid0(VALU_DEP_1)
	v_sub_f32_e32 v37, v33, v35
	v_sub_f32_e32 v33, v34, v33
	s_wait_alu 0xf1ff
	v_subrev_co_ci_u32_e64 v32, null, 0, v32, s3
	s_mov_b32 s3, 0x3e9b6dac
	v_sub_nc_u32_e32 v36, 0, v32
	v_cvt_f32_i32_e32 v32, v32
	s_delay_alu instid0(VALU_DEP_2) | instskip(NEXT) | instid1(VALU_DEP_1)
	v_ldexp_f32 v35, v35, v36
	v_dual_add_f32 v38, 1.0, v35 :: v_dual_add_f32 v37, 1.0, v37
	s_delay_alu instid0(VALU_DEP_1) | instskip(NEXT) | instid1(VALU_DEP_2)
	v_add_f32_e32 v33, v33, v37
	v_add_f32_e32 v37, -1.0, v38
	s_delay_alu instid0(VALU_DEP_2) | instskip(NEXT) | instid1(VALU_DEP_2)
	v_ldexp_f32 v33, v33, v36
	v_dual_add_f32 v36, -1.0, v35 :: v_dual_sub_f32 v37, v35, v37
	s_delay_alu instid0(VALU_DEP_1) | instskip(NEXT) | instid1(VALU_DEP_2)
	v_add_f32_e32 v39, 1.0, v36
	v_add_f32_e32 v37, v33, v37
	s_delay_alu instid0(VALU_DEP_2) | instskip(NEXT) | instid1(VALU_DEP_2)
	v_sub_f32_e32 v35, v35, v39
	v_add_f32_e32 v39, v38, v37
	s_delay_alu instid0(VALU_DEP_2) | instskip(NEXT) | instid1(VALU_DEP_2)
	v_add_f32_e32 v33, v33, v35
	v_rcp_f32_e32 v35, v39
	v_sub_f32_e32 v38, v38, v39
	s_delay_alu instid0(VALU_DEP_1) | instskip(NEXT) | instid1(VALU_DEP_1)
	v_dual_add_f32 v40, v36, v33 :: v_dual_add_f32 v37, v37, v38
	v_sub_f32_e32 v36, v36, v40
	s_delay_alu instid0(TRANS32_DEP_1) | instskip(NEXT) | instid1(VALU_DEP_1)
	v_mul_f32_e32 v41, v40, v35
	v_dual_add_f32 v33, v33, v36 :: v_dual_mul_f32 v42, v39, v41
	s_delay_alu instid0(VALU_DEP_1) | instskip(NEXT) | instid1(VALU_DEP_1)
	v_fma_f32 v38, v41, v39, -v42
	v_fmac_f32_e32 v38, v41, v37
	s_delay_alu instid0(VALU_DEP_1) | instskip(NEXT) | instid1(VALU_DEP_1)
	v_add_f32_e32 v43, v42, v38
	v_sub_f32_e32 v44, v40, v43
	v_sub_f32_e32 v36, v43, v42
	s_delay_alu instid0(VALU_DEP_2) | instskip(NEXT) | instid1(VALU_DEP_2)
	v_sub_f32_e32 v40, v40, v44
	v_sub_f32_e32 v36, v36, v38
	s_delay_alu instid0(VALU_DEP_2) | instskip(NEXT) | instid1(VALU_DEP_1)
	v_sub_f32_e32 v40, v40, v43
	v_add_f32_e32 v33, v33, v40
	s_delay_alu instid0(VALU_DEP_1) | instskip(NEXT) | instid1(VALU_DEP_1)
	v_add_f32_e32 v33, v36, v33
	v_add_f32_e32 v36, v44, v33
	s_delay_alu instid0(VALU_DEP_1) | instskip(NEXT) | instid1(VALU_DEP_1)
	v_mul_f32_e32 v38, v35, v36
	v_dual_sub_f32 v43, v44, v36 :: v_dual_mul_f32 v40, v39, v38
	s_delay_alu instid0(VALU_DEP_1) | instskip(NEXT) | instid1(VALU_DEP_2)
	v_add_f32_e32 v33, v33, v43
	v_fma_f32 v39, v38, v39, -v40
	s_delay_alu instid0(VALU_DEP_1) | instskip(NEXT) | instid1(VALU_DEP_1)
	v_fmac_f32_e32 v39, v38, v37
	v_add_f32_e32 v37, v40, v39
	s_delay_alu instid0(VALU_DEP_1) | instskip(SKIP_1) | instid1(VALU_DEP_2)
	v_sub_f32_e32 v42, v36, v37
	v_sub_f32_e32 v40, v37, v40
	;; [unrolled: 1-line block ×3, first 2 shown]
	s_delay_alu instid0(VALU_DEP_1) | instskip(NEXT) | instid1(VALU_DEP_3)
	v_sub_f32_e32 v36, v36, v37
	v_sub_f32_e32 v37, v40, v39
	s_delay_alu instid0(VALU_DEP_2) | instskip(SKIP_1) | instid1(VALU_DEP_2)
	v_add_f32_e32 v33, v33, v36
	v_add_f32_e32 v36, v41, v38
	v_add_f32_e32 v33, v37, v33
	s_delay_alu instid0(VALU_DEP_2) | instskip(NEXT) | instid1(VALU_DEP_2)
	v_sub_f32_e32 v37, v36, v41
	v_add_f32_e32 v33, v42, v33
	s_delay_alu instid0(VALU_DEP_2) | instskip(NEXT) | instid1(VALU_DEP_2)
	v_sub_f32_e32 v37, v38, v37
	v_mul_f32_e32 v33, v35, v33
	s_delay_alu instid0(VALU_DEP_1) | instskip(NEXT) | instid1(VALU_DEP_1)
	v_add_f32_e32 v33, v37, v33
	v_add_f32_e32 v35, v36, v33
	s_delay_alu instid0(VALU_DEP_1) | instskip(SKIP_1) | instid1(VALU_DEP_1)
	v_mul_f32_e32 v37, v35, v35
	s_wait_alu 0xfffe
	v_fmaak_f32 v38, s3, v37, 0x3ecc95a3
	v_mul_f32_e32 v39, v35, v37
	v_cmp_neq_f32_e64 s3, 0x7f800000, v34
	s_delay_alu instid0(VALU_DEP_3) | instskip(SKIP_2) | instid1(VALU_DEP_3)
	v_fmaak_f32 v37, v37, v38, 0x3f2aaada
	v_ldexp_f32 v38, v35, 1
	v_sub_f32_e32 v35, v35, v36
	v_mul_f32_e32 v37, v39, v37
	v_mul_f32_e32 v39, 0x3f317218, v32
	s_delay_alu instid0(VALU_DEP_2) | instskip(NEXT) | instid1(VALU_DEP_1)
	v_dual_sub_f32 v33, v33, v35 :: v_dual_add_f32 v36, v38, v37
	v_ldexp_f32 v33, v33, 1
	s_delay_alu instid0(VALU_DEP_2) | instskip(NEXT) | instid1(VALU_DEP_4)
	v_sub_f32_e32 v35, v36, v38
	v_fma_f32 v38, 0x3f317218, v32, -v39
	s_delay_alu instid0(VALU_DEP_1) | instskip(NEXT) | instid1(VALU_DEP_1)
	v_dual_sub_f32 v35, v37, v35 :: v_dual_fmamk_f32 v32, v32, 0xb102e308, v38
	v_add_f32_e32 v33, v33, v35
	s_delay_alu instid0(VALU_DEP_2) | instskip(NEXT) | instid1(VALU_DEP_2)
	v_add_f32_e32 v35, v39, v32
	v_add_f32_e32 v37, v36, v33
	s_delay_alu instid0(VALU_DEP_2) | instskip(NEXT) | instid1(VALU_DEP_2)
	v_sub_f32_e32 v39, v35, v39
	v_add_f32_e32 v38, v35, v37
	v_sub_f32_e32 v36, v37, v36
	s_delay_alu instid0(VALU_DEP_3) | instskip(NEXT) | instid1(VALU_DEP_2)
	v_sub_f32_e32 v32, v32, v39
	v_dual_sub_f32 v40, v38, v35 :: v_dual_sub_f32 v33, v33, v36
	s_delay_alu instid0(VALU_DEP_1) | instskip(NEXT) | instid1(VALU_DEP_2)
	v_sub_f32_e32 v41, v38, v40
	v_dual_sub_f32 v36, v37, v40 :: v_dual_add_f32 v37, v32, v33
	s_delay_alu instid0(VALU_DEP_2) | instskip(NEXT) | instid1(VALU_DEP_1)
	v_sub_f32_e32 v35, v35, v41
	v_dual_add_f32 v35, v36, v35 :: v_dual_sub_f32 v36, v37, v32
	s_delay_alu instid0(VALU_DEP_1) | instskip(NEXT) | instid1(VALU_DEP_2)
	v_add_f32_e32 v35, v37, v35
	v_sub_f32_e32 v37, v37, v36
	v_sub_f32_e32 v33, v33, v36
	s_delay_alu instid0(VALU_DEP_2) | instskip(NEXT) | instid1(VALU_DEP_1)
	v_dual_add_f32 v39, v38, v35 :: v_dual_sub_f32 v32, v32, v37
	v_sub_f32_e32 v36, v39, v38
	s_delay_alu instid0(VALU_DEP_2) | instskip(NEXT) | instid1(VALU_DEP_2)
	v_add_f32_e32 v32, v33, v32
	v_sub_f32_e32 v33, v35, v36
	s_delay_alu instid0(VALU_DEP_1) | instskip(NEXT) | instid1(VALU_DEP_1)
	v_add_f32_e32 v32, v32, v33
	v_add_f32_e32 v32, v39, v32
	s_wait_alu 0xf1ff
	s_delay_alu instid0(VALU_DEP_1) | instskip(SKIP_2) | instid1(VALU_DEP_1)
	v_cndmask_b32_e64 v32, 0x7f800000, v32, s3
	v_cmp_gt_f32_e64 s3, 0x33800000, |v34|
	s_wait_alu 0xf1ff
	v_cndmask_b32_e64 v32, v32, v34, s3
	s_delay_alu instid0(VALU_DEP_1)
	v_add_f32_e32 v32, v31, v32
.LBB508_279:
	s_wait_alu 0xfffe
	s_or_b32 exec_lo, exec_lo, s14
	s_delay_alu instid0(VALU_DEP_1) | instskip(SKIP_1) | instid1(VALU_DEP_2)
	v_bfe_u32 v31, v32, 16, 1
	v_cmp_o_f32_e64 s3, v32, v32
	v_add3_u32 v31, v32, v31, 0x7fff
	s_delay_alu instid0(VALU_DEP_1) | instskip(SKIP_1) | instid1(VALU_DEP_1)
	v_lshrrev_b32_e32 v31, 16, v31
	s_wait_alu 0xf1ff
	v_cndmask_b32_e64 v31, 0x7fc0, v31, s3
	ds_store_b16 v30, v31 offset:14
.LBB508_280:
	s_or_b32 exec_lo, exec_lo, s16
	s_wait_loadcnt_dscnt 0x0
	s_barrier_signal -1
	s_barrier_wait -1
	global_inv scope:SCOPE_SE
	s_and_saveexec_b32 s3, s2
	s_cbranch_execz .LBB508_284
; %bb.281:
	v_add_nc_u32_e32 v3, -1, v0
	s_delay_alu instid0(VALU_DEP_1) | instskip(NEXT) | instid1(VALU_DEP_1)
	v_lshrrev_b32_e32 v27, 4, v3
	v_and_b32_e32 v27, 0xffffffe, v27
	s_delay_alu instid0(VALU_DEP_1) | instskip(SKIP_3) | instid1(VALU_DEP_1)
	v_lshl_add_u32 v3, v3, 1, v27
	ds_load_u16 v3, v3
	s_wait_dscnt 0x0
	v_lshlrev_b32_e32 v27, 16, v3
	v_max_num_f32_e32 v3, v27, v27
	v_cmp_u_f32_e64 s2, v27, v27
	s_delay_alu instid0(VALU_DEP_2) | instskip(SKIP_2) | instid1(VALU_DEP_2)
	v_min_num_f32_e32 v28, v3, v29
	v_max_num_f32_e32 v3, v3, v29
	s_wait_alu 0xf1ff
	v_cndmask_b32_e64 v28, v28, v27, s2
	s_delay_alu instid0(VALU_DEP_2) | instskip(NEXT) | instid1(VALU_DEP_2)
	v_cndmask_b32_e64 v3, v3, v27, s2
	v_cndmask_b32_e64 v28, v28, v26, s13
	s_delay_alu instid0(VALU_DEP_2) | instskip(NEXT) | instid1(VALU_DEP_2)
	v_cndmask_b32_e64 v3, v3, v26, s13
	v_cmp_class_f32_e64 s13, v28, 0x1f8
	s_delay_alu instid0(VALU_DEP_2)
	v_cmp_neq_f32_e64 s2, v28, v3
	s_or_b32 s2, s2, s13
	s_wait_alu 0xfffe
	s_and_saveexec_b32 s13, s2
	s_cbranch_execz .LBB508_283
; %bb.282:
	v_sub_f32_e32 v26, v28, v3
	s_delay_alu instid0(VALU_DEP_1) | instskip(NEXT) | instid1(VALU_DEP_1)
	v_mul_f32_e32 v27, 0x3fb8aa3b, v26
	v_fma_f32 v28, 0x3fb8aa3b, v26, -v27
	v_rndne_f32_e32 v29, v27
	s_delay_alu instid0(VALU_DEP_1) | instskip(SKIP_1) | instid1(VALU_DEP_2)
	v_dual_sub_f32 v27, v27, v29 :: v_dual_fmamk_f32 v28, v26, 0x32a5705f, v28
	v_cmp_ngt_f32_e64 s2, 0xc2ce8ed0, v26
	v_add_f32_e32 v27, v27, v28
	v_cvt_i32_f32_e32 v28, v29
	s_delay_alu instid0(VALU_DEP_2) | instskip(NEXT) | instid1(TRANS32_DEP_1)
	v_exp_f32_e32 v27, v27
	v_ldexp_f32 v27, v27, v28
	s_wait_alu 0xf1ff
	s_delay_alu instid0(VALU_DEP_1) | instskip(SKIP_2) | instid1(VALU_DEP_1)
	v_cndmask_b32_e64 v27, 0, v27, s2
	v_cmp_nlt_f32_e64 s2, 0x42b17218, v26
	s_wait_alu 0xf1ff
	v_cndmask_b32_e64 v28, 0x7f800000, v27, s2
	s_delay_alu instid0(VALU_DEP_1) | instskip(NEXT) | instid1(VALU_DEP_1)
	v_add_f32_e32 v29, 1.0, v28
	v_cvt_f64_f32_e32 v[26:27], v29
	s_delay_alu instid0(VALU_DEP_1) | instskip(SKIP_1) | instid1(VALU_DEP_1)
	v_frexp_exp_i32_f64_e32 v26, v[26:27]
	v_frexp_mant_f32_e32 v27, v29
	v_cmp_gt_f32_e64 s2, 0x3f2aaaab, v27
	v_add_f32_e32 v27, -1.0, v29
	s_delay_alu instid0(VALU_DEP_1)
	v_sub_f32_e32 v31, v27, v29
	v_sub_f32_e32 v27, v28, v27
	s_wait_alu 0xf1ff
	v_subrev_co_ci_u32_e64 v26, null, 0, v26, s2
	s_mov_b32 s2, 0x3e9b6dac
	v_sub_nc_u32_e32 v30, 0, v26
	v_cvt_f32_i32_e32 v26, v26
	s_delay_alu instid0(VALU_DEP_2) | instskip(NEXT) | instid1(VALU_DEP_1)
	v_ldexp_f32 v29, v29, v30
	v_dual_add_f32 v32, 1.0, v29 :: v_dual_add_f32 v31, 1.0, v31
	s_delay_alu instid0(VALU_DEP_1) | instskip(NEXT) | instid1(VALU_DEP_2)
	v_add_f32_e32 v27, v27, v31
	v_add_f32_e32 v31, -1.0, v32
	s_delay_alu instid0(VALU_DEP_2) | instskip(NEXT) | instid1(VALU_DEP_2)
	v_ldexp_f32 v27, v27, v30
	v_dual_add_f32 v30, -1.0, v29 :: v_dual_sub_f32 v31, v29, v31
	s_delay_alu instid0(VALU_DEP_1) | instskip(NEXT) | instid1(VALU_DEP_2)
	v_add_f32_e32 v33, 1.0, v30
	v_add_f32_e32 v31, v27, v31
	s_delay_alu instid0(VALU_DEP_2) | instskip(NEXT) | instid1(VALU_DEP_2)
	v_sub_f32_e32 v29, v29, v33
	v_add_f32_e32 v33, v32, v31
	s_delay_alu instid0(VALU_DEP_2) | instskip(NEXT) | instid1(VALU_DEP_2)
	v_add_f32_e32 v27, v27, v29
	v_rcp_f32_e32 v29, v33
	v_sub_f32_e32 v32, v32, v33
	s_delay_alu instid0(VALU_DEP_1) | instskip(NEXT) | instid1(VALU_DEP_1)
	v_dual_add_f32 v34, v30, v27 :: v_dual_add_f32 v31, v31, v32
	v_sub_f32_e32 v30, v30, v34
	s_delay_alu instid0(TRANS32_DEP_1) | instskip(NEXT) | instid1(VALU_DEP_1)
	v_mul_f32_e32 v35, v34, v29
	v_dual_add_f32 v27, v27, v30 :: v_dual_mul_f32 v36, v33, v35
	s_delay_alu instid0(VALU_DEP_1) | instskip(NEXT) | instid1(VALU_DEP_1)
	v_fma_f32 v32, v35, v33, -v36
	v_fmac_f32_e32 v32, v35, v31
	s_delay_alu instid0(VALU_DEP_1) | instskip(NEXT) | instid1(VALU_DEP_1)
	v_add_f32_e32 v37, v36, v32
	v_sub_f32_e32 v38, v34, v37
	v_sub_f32_e32 v30, v37, v36
	s_delay_alu instid0(VALU_DEP_2) | instskip(NEXT) | instid1(VALU_DEP_2)
	v_sub_f32_e32 v34, v34, v38
	v_sub_f32_e32 v30, v30, v32
	s_delay_alu instid0(VALU_DEP_2) | instskip(NEXT) | instid1(VALU_DEP_1)
	v_sub_f32_e32 v34, v34, v37
	v_add_f32_e32 v27, v27, v34
	s_delay_alu instid0(VALU_DEP_1) | instskip(NEXT) | instid1(VALU_DEP_1)
	v_add_f32_e32 v27, v30, v27
	v_add_f32_e32 v30, v38, v27
	s_delay_alu instid0(VALU_DEP_1) | instskip(NEXT) | instid1(VALU_DEP_1)
	v_mul_f32_e32 v32, v29, v30
	v_dual_sub_f32 v37, v38, v30 :: v_dual_mul_f32 v34, v33, v32
	s_delay_alu instid0(VALU_DEP_1) | instskip(NEXT) | instid1(VALU_DEP_2)
	v_add_f32_e32 v27, v27, v37
	v_fma_f32 v33, v32, v33, -v34
	s_delay_alu instid0(VALU_DEP_1) | instskip(NEXT) | instid1(VALU_DEP_1)
	v_fmac_f32_e32 v33, v32, v31
	v_add_f32_e32 v31, v34, v33
	s_delay_alu instid0(VALU_DEP_1) | instskip(SKIP_1) | instid1(VALU_DEP_2)
	v_sub_f32_e32 v36, v30, v31
	v_sub_f32_e32 v34, v31, v34
	;; [unrolled: 1-line block ×3, first 2 shown]
	s_delay_alu instid0(VALU_DEP_1) | instskip(NEXT) | instid1(VALU_DEP_3)
	v_sub_f32_e32 v30, v30, v31
	v_sub_f32_e32 v31, v34, v33
	s_delay_alu instid0(VALU_DEP_2) | instskip(SKIP_1) | instid1(VALU_DEP_2)
	v_add_f32_e32 v27, v27, v30
	v_add_f32_e32 v30, v35, v32
	;; [unrolled: 1-line block ×3, first 2 shown]
	s_delay_alu instid0(VALU_DEP_2) | instskip(NEXT) | instid1(VALU_DEP_2)
	v_sub_f32_e32 v31, v30, v35
	v_add_f32_e32 v27, v36, v27
	s_delay_alu instid0(VALU_DEP_2) | instskip(NEXT) | instid1(VALU_DEP_2)
	v_sub_f32_e32 v31, v32, v31
	v_mul_f32_e32 v27, v29, v27
	s_delay_alu instid0(VALU_DEP_1) | instskip(NEXT) | instid1(VALU_DEP_1)
	v_add_f32_e32 v27, v31, v27
	v_add_f32_e32 v29, v30, v27
	s_delay_alu instid0(VALU_DEP_1) | instskip(SKIP_1) | instid1(VALU_DEP_1)
	v_mul_f32_e32 v31, v29, v29
	s_wait_alu 0xfffe
	v_fmaak_f32 v32, s2, v31, 0x3ecc95a3
	v_mul_f32_e32 v33, v29, v31
	v_cmp_neq_f32_e64 s2, 0x7f800000, v28
	s_delay_alu instid0(VALU_DEP_3) | instskip(SKIP_2) | instid1(VALU_DEP_3)
	v_fmaak_f32 v31, v31, v32, 0x3f2aaada
	v_ldexp_f32 v32, v29, 1
	v_sub_f32_e32 v29, v29, v30
	v_mul_f32_e32 v31, v33, v31
	v_mul_f32_e32 v33, 0x3f317218, v26
	s_delay_alu instid0(VALU_DEP_2) | instskip(NEXT) | instid1(VALU_DEP_1)
	v_dual_sub_f32 v27, v27, v29 :: v_dual_add_f32 v30, v32, v31
	v_ldexp_f32 v27, v27, 1
	s_delay_alu instid0(VALU_DEP_2) | instskip(NEXT) | instid1(VALU_DEP_4)
	v_sub_f32_e32 v29, v30, v32
	v_fma_f32 v32, 0x3f317218, v26, -v33
	s_delay_alu instid0(VALU_DEP_1) | instskip(NEXT) | instid1(VALU_DEP_1)
	v_dual_sub_f32 v29, v31, v29 :: v_dual_fmamk_f32 v26, v26, 0xb102e308, v32
	v_add_f32_e32 v27, v27, v29
	s_delay_alu instid0(VALU_DEP_2) | instskip(NEXT) | instid1(VALU_DEP_2)
	v_add_f32_e32 v29, v33, v26
	v_add_f32_e32 v31, v30, v27
	s_delay_alu instid0(VALU_DEP_2) | instskip(NEXT) | instid1(VALU_DEP_2)
	v_sub_f32_e32 v33, v29, v33
	v_add_f32_e32 v32, v29, v31
	v_sub_f32_e32 v30, v31, v30
	s_delay_alu instid0(VALU_DEP_3) | instskip(NEXT) | instid1(VALU_DEP_2)
	v_sub_f32_e32 v26, v26, v33
	v_dual_sub_f32 v34, v32, v29 :: v_dual_sub_f32 v27, v27, v30
	s_delay_alu instid0(VALU_DEP_1) | instskip(NEXT) | instid1(VALU_DEP_2)
	v_sub_f32_e32 v35, v32, v34
	v_dual_sub_f32 v30, v31, v34 :: v_dual_add_f32 v31, v26, v27
	s_delay_alu instid0(VALU_DEP_2) | instskip(NEXT) | instid1(VALU_DEP_1)
	v_sub_f32_e32 v29, v29, v35
	v_dual_add_f32 v29, v30, v29 :: v_dual_sub_f32 v30, v31, v26
	s_delay_alu instid0(VALU_DEP_1) | instskip(NEXT) | instid1(VALU_DEP_2)
	v_add_f32_e32 v29, v31, v29
	v_sub_f32_e32 v31, v31, v30
	v_sub_f32_e32 v27, v27, v30
	s_delay_alu instid0(VALU_DEP_2) | instskip(NEXT) | instid1(VALU_DEP_1)
	v_dual_add_f32 v33, v32, v29 :: v_dual_sub_f32 v26, v26, v31
	v_sub_f32_e32 v30, v33, v32
	s_delay_alu instid0(VALU_DEP_2) | instskip(NEXT) | instid1(VALU_DEP_2)
	v_add_f32_e32 v26, v27, v26
	v_sub_f32_e32 v27, v29, v30
	s_delay_alu instid0(VALU_DEP_1) | instskip(NEXT) | instid1(VALU_DEP_1)
	v_add_f32_e32 v26, v26, v27
	v_add_f32_e32 v26, v33, v26
	s_wait_alu 0xf1ff
	s_delay_alu instid0(VALU_DEP_1) | instskip(SKIP_2) | instid1(VALU_DEP_1)
	v_cndmask_b32_e64 v26, 0x7f800000, v26, s2
	v_cmp_gt_f32_e64 s2, 0x33800000, |v28|
	s_wait_alu 0xf1ff
	v_cndmask_b32_e64 v26, v26, v28, s2
	s_delay_alu instid0(VALU_DEP_1)
	v_add_f32_e32 v27, v3, v26
.LBB508_283:
	s_wait_alu 0xfffe
	s_or_b32 exec_lo, exec_lo, s13
	s_delay_alu instid0(VALU_DEP_1) | instskip(SKIP_2) | instid1(VALU_DEP_2)
	v_bfe_u32 v3, v27, 16, 1
	v_cmp_o_f32_e64 s2, v27, v27
	;;#ASMSTART
	;;#ASMEND
	v_add3_u32 v3, v27, v3, 0x7fff
	s_delay_alu instid0(VALU_DEP_1) | instskip(SKIP_1) | instid1(VALU_DEP_1)
	v_lshrrev_b32_e32 v3, 16, v3
	s_wait_alu 0xf1ff
	v_cndmask_b32_e64 v3, 0x7fc0, v3, s2
	s_delay_alu instid0(VALU_DEP_1) | instskip(NEXT) | instid1(VALU_DEP_1)
	v_lshlrev_b32_e32 v26, 16, v3
	v_max_num_f32_e32 v28, v26, v26
	s_delay_alu instid0(VALU_DEP_1)
	v_min_num_f32_e32 v27, v28, v19
	v_max_num_f32_e32 v28, v28, v19
.LBB508_284:
	s_wait_alu 0xfffe
	s_or_b32 exec_lo, exec_lo, s3
	v_cmp_u_f32_e64 s2, v26, v26
	s_wait_alu 0xf1ff
	s_delay_alu instid0(VALU_DEP_1) | instskip(SKIP_1) | instid1(VALU_DEP_2)
	v_cndmask_b32_e64 v19, v27, v26, s2
	v_cndmask_b32_e64 v27, v28, v26, s2
	v_cndmask_b32_e32 v19, v19, v6, vcc_lo
	s_delay_alu instid0(VALU_DEP_2) | instskip(NEXT) | instid1(VALU_DEP_2)
	v_cndmask_b32_e32 v6, v27, v6, vcc_lo
	v_cmp_class_f32_e64 s2, v19, 0x1f8
	s_delay_alu instid0(VALU_DEP_2)
	v_cmp_neq_f32_e32 vcc_lo, v19, v6
	s_or_b32 s3, vcc_lo, s2
	s_wait_alu 0xfffe
	s_and_saveexec_b32 s2, s3
	s_cbranch_execz .LBB508_286
; %bb.285:
	v_sub_f32_e32 v19, v19, v6
	s_mov_b32 s3, 0x3e9b6dac
	s_delay_alu instid0(VALU_DEP_1) | instskip(NEXT) | instid1(VALU_DEP_1)
	v_mul_f32_e32 v26, 0x3fb8aa3b, v19
	v_fma_f32 v27, 0x3fb8aa3b, v19, -v26
	v_rndne_f32_e32 v28, v26
	s_delay_alu instid0(VALU_DEP_1) | instskip(SKIP_1) | instid1(VALU_DEP_4)
	v_sub_f32_e32 v26, v26, v28
	v_cmp_ngt_f32_e32 vcc_lo, 0xc2ce8ed0, v19
	v_fmamk_f32 v27, v19, 0x32a5705f, v27
	s_delay_alu instid0(VALU_DEP_1) | instskip(SKIP_1) | instid1(VALU_DEP_2)
	v_add_f32_e32 v26, v26, v27
	v_cvt_i32_f32_e32 v27, v28
	v_exp_f32_e32 v26, v26
	s_delay_alu instid0(TRANS32_DEP_1) | instskip(SKIP_1) | instid1(VALU_DEP_1)
	v_ldexp_f32 v26, v26, v27
	s_wait_alu 0xfffd
	v_cndmask_b32_e32 v26, 0, v26, vcc_lo
	v_cmp_nlt_f32_e32 vcc_lo, 0x42b17218, v19
	s_wait_alu 0xfffd
	s_delay_alu instid0(VALU_DEP_2) | instskip(NEXT) | instid1(VALU_DEP_1)
	v_cndmask_b32_e32 v19, 0x7f800000, v26, vcc_lo
	v_add_f32_e32 v28, 1.0, v19
	s_delay_alu instid0(VALU_DEP_1) | instskip(NEXT) | instid1(VALU_DEP_1)
	v_cvt_f64_f32_e32 v[26:27], v28
	v_frexp_exp_i32_f64_e32 v26, v[26:27]
	v_frexp_mant_f32_e32 v27, v28
	s_delay_alu instid0(VALU_DEP_1) | instskip(SKIP_1) | instid1(VALU_DEP_1)
	v_cmp_gt_f32_e32 vcc_lo, 0x3f2aaaab, v27
	v_add_f32_e32 v27, -1.0, v28
	v_sub_f32_e32 v30, v27, v28
	s_delay_alu instid0(VALU_DEP_1) | instskip(NEXT) | instid1(VALU_DEP_1)
	v_dual_sub_f32 v27, v19, v27 :: v_dual_add_f32 v30, 1.0, v30
	v_add_f32_e32 v27, v27, v30
	s_wait_alu 0xfffd
	v_subrev_co_ci_u32_e64 v26, null, 0, v26, vcc_lo
	v_cmp_neq_f32_e32 vcc_lo, 0x7f800000, v19
	s_delay_alu instid0(VALU_DEP_2) | instskip(SKIP_1) | instid1(VALU_DEP_2)
	v_sub_nc_u32_e32 v29, 0, v26
	v_cvt_f32_i32_e32 v26, v26
	v_ldexp_f32 v28, v28, v29
	v_ldexp_f32 v27, v27, v29
	s_delay_alu instid0(VALU_DEP_2) | instskip(NEXT) | instid1(VALU_DEP_1)
	v_add_f32_e32 v31, 1.0, v28
	v_dual_add_f32 v29, -1.0, v28 :: v_dual_add_f32 v30, -1.0, v31
	s_delay_alu instid0(VALU_DEP_1) | instskip(NEXT) | instid1(VALU_DEP_2)
	v_add_f32_e32 v32, 1.0, v29
	v_sub_f32_e32 v30, v28, v30
	s_delay_alu instid0(VALU_DEP_2) | instskip(NEXT) | instid1(VALU_DEP_2)
	v_sub_f32_e32 v28, v28, v32
	v_add_f32_e32 v30, v27, v30
	s_delay_alu instid0(VALU_DEP_2) | instskip(NEXT) | instid1(VALU_DEP_1)
	v_add_f32_e32 v27, v27, v28
	v_dual_add_f32 v33, v29, v27 :: v_dual_add_f32 v32, v31, v30
	s_delay_alu instid0(VALU_DEP_1) | instskip(NEXT) | instid1(VALU_DEP_2)
	v_sub_f32_e32 v29, v29, v33
	v_rcp_f32_e32 v28, v32
	v_sub_f32_e32 v31, v31, v32
	s_delay_alu instid0(VALU_DEP_1) | instskip(NEXT) | instid1(TRANS32_DEP_1)
	v_dual_add_f32 v27, v27, v29 :: v_dual_add_f32 v30, v30, v31
	v_mul_f32_e32 v34, v33, v28
	s_delay_alu instid0(VALU_DEP_1) | instskip(NEXT) | instid1(VALU_DEP_1)
	v_mul_f32_e32 v35, v32, v34
	v_fma_f32 v31, v34, v32, -v35
	s_delay_alu instid0(VALU_DEP_1) | instskip(NEXT) | instid1(VALU_DEP_1)
	v_fmac_f32_e32 v31, v34, v30
	v_add_f32_e32 v36, v35, v31
	s_delay_alu instid0(VALU_DEP_1) | instskip(NEXT) | instid1(VALU_DEP_1)
	v_sub_f32_e32 v37, v33, v36
	v_sub_f32_e32 v33, v33, v37
	;; [unrolled: 1-line block ×3, first 2 shown]
	s_delay_alu instid0(VALU_DEP_2) | instskip(NEXT) | instid1(VALU_DEP_2)
	v_sub_f32_e32 v33, v33, v36
	v_sub_f32_e32 v29, v29, v31
	s_delay_alu instid0(VALU_DEP_2) | instskip(NEXT) | instid1(VALU_DEP_1)
	v_add_f32_e32 v27, v27, v33
	v_add_f32_e32 v27, v29, v27
	s_delay_alu instid0(VALU_DEP_1) | instskip(NEXT) | instid1(VALU_DEP_1)
	v_add_f32_e32 v29, v37, v27
	v_mul_f32_e32 v31, v28, v29
	s_delay_alu instid0(VALU_DEP_1) | instskip(NEXT) | instid1(VALU_DEP_1)
	v_dual_sub_f32 v36, v37, v29 :: v_dual_mul_f32 v33, v32, v31
	v_add_f32_e32 v27, v27, v36
	s_delay_alu instid0(VALU_DEP_2) | instskip(NEXT) | instid1(VALU_DEP_1)
	v_fma_f32 v32, v31, v32, -v33
	v_fmac_f32_e32 v32, v31, v30
	s_delay_alu instid0(VALU_DEP_1) | instskip(NEXT) | instid1(VALU_DEP_1)
	v_add_f32_e32 v30, v33, v32
	v_sub_f32_e32 v35, v29, v30
	v_sub_f32_e32 v33, v30, v33
	s_delay_alu instid0(VALU_DEP_2) | instskip(NEXT) | instid1(VALU_DEP_1)
	v_sub_f32_e32 v29, v29, v35
	v_sub_f32_e32 v29, v29, v30
	s_delay_alu instid0(VALU_DEP_1) | instskip(SKIP_1) | instid1(VALU_DEP_1)
	v_dual_sub_f32 v30, v33, v32 :: v_dual_add_f32 v27, v27, v29
	v_add_f32_e32 v29, v34, v31
	v_dual_add_f32 v27, v30, v27 :: v_dual_sub_f32 v30, v29, v34
	s_delay_alu instid0(VALU_DEP_1) | instskip(NEXT) | instid1(VALU_DEP_1)
	v_add_f32_e32 v27, v35, v27
	v_dual_sub_f32 v30, v31, v30 :: v_dual_mul_f32 v27, v28, v27
	s_delay_alu instid0(VALU_DEP_1) | instskip(NEXT) | instid1(VALU_DEP_1)
	v_add_f32_e32 v27, v30, v27
	v_add_f32_e32 v28, v29, v27
	s_delay_alu instid0(VALU_DEP_1) | instskip(SKIP_1) | instid1(VALU_DEP_1)
	v_mul_f32_e32 v30, v28, v28
	s_wait_alu 0xfffe
	v_fmaak_f32 v31, s3, v30, 0x3ecc95a3
	v_mul_f32_e32 v32, v28, v30
	s_delay_alu instid0(VALU_DEP_2) | instskip(SKIP_2) | instid1(VALU_DEP_3)
	v_fmaak_f32 v30, v30, v31, 0x3f2aaada
	v_ldexp_f32 v31, v28, 1
	v_sub_f32_e32 v28, v28, v29
	v_mul_f32_e32 v30, v32, v30
	s_delay_alu instid0(VALU_DEP_2) | instskip(NEXT) | instid1(VALU_DEP_2)
	v_dual_mul_f32 v32, 0x3f317218, v26 :: v_dual_sub_f32 v27, v27, v28
	v_add_f32_e32 v29, v31, v30
	s_delay_alu instid0(VALU_DEP_2) | instskip(NEXT) | instid1(VALU_DEP_2)
	v_ldexp_f32 v27, v27, 1
	v_sub_f32_e32 v28, v29, v31
	s_delay_alu instid0(VALU_DEP_4) | instskip(NEXT) | instid1(VALU_DEP_2)
	v_fma_f32 v31, 0x3f317218, v26, -v32
	v_sub_f32_e32 v28, v30, v28
	s_delay_alu instid0(VALU_DEP_1) | instskip(NEXT) | instid1(VALU_DEP_1)
	v_dual_fmamk_f32 v26, v26, 0xb102e308, v31 :: v_dual_add_f32 v27, v27, v28
	v_add_f32_e32 v28, v32, v26
	s_delay_alu instid0(VALU_DEP_1) | instskip(NEXT) | instid1(VALU_DEP_1)
	v_sub_f32_e32 v32, v28, v32
	v_sub_f32_e32 v26, v26, v32
	s_delay_alu instid0(VALU_DEP_4) | instskip(NEXT) | instid1(VALU_DEP_1)
	v_add_f32_e32 v30, v29, v27
	v_sub_f32_e32 v29, v30, v29
	s_delay_alu instid0(VALU_DEP_1) | instskip(SKIP_1) | instid1(VALU_DEP_1)
	v_sub_f32_e32 v27, v27, v29
	v_add_f32_e32 v31, v28, v30
	v_sub_f32_e32 v33, v31, v28
	s_delay_alu instid0(VALU_DEP_1) | instskip(NEXT) | instid1(VALU_DEP_4)
	v_sub_f32_e32 v29, v30, v33
	v_add_f32_e32 v30, v26, v27
	v_sub_f32_e32 v34, v31, v33
	s_delay_alu instid0(VALU_DEP_1) | instskip(NEXT) | instid1(VALU_DEP_1)
	v_sub_f32_e32 v28, v28, v34
	v_dual_add_f32 v28, v29, v28 :: v_dual_sub_f32 v29, v30, v26
	s_delay_alu instid0(VALU_DEP_1) | instskip(SKIP_1) | instid1(VALU_DEP_2)
	v_dual_add_f32 v28, v30, v28 :: v_dual_sub_f32 v27, v27, v29
	v_sub_f32_e32 v30, v30, v29
	v_add_f32_e32 v32, v31, v28
	s_delay_alu instid0(VALU_DEP_1) | instskip(NEXT) | instid1(VALU_DEP_1)
	v_dual_sub_f32 v26, v26, v30 :: v_dual_sub_f32 v29, v32, v31
	v_dual_add_f32 v26, v27, v26 :: v_dual_sub_f32 v27, v28, v29
	s_delay_alu instid0(VALU_DEP_1) | instskip(NEXT) | instid1(VALU_DEP_1)
	v_add_f32_e32 v26, v26, v27
	v_add_f32_e32 v26, v32, v26
	s_wait_alu 0xfffd
	s_delay_alu instid0(VALU_DEP_1) | instskip(SKIP_2) | instid1(VALU_DEP_2)
	v_cndmask_b32_e32 v26, 0x7f800000, v26, vcc_lo
	v_cmp_gt_f32_e64 vcc_lo, 0x33800000, |v19|
	s_wait_alu 0xfffd
	v_cndmask_b32_e32 v19, v26, v19, vcc_lo
	s_delay_alu instid0(VALU_DEP_1)
	v_add_f32_e32 v26, v6, v19
.LBB508_286:
	s_wait_alu 0xfffe
	s_or_b32 exec_lo, exec_lo, s2
	s_delay_alu instid0(VALU_DEP_1) | instskip(SKIP_1) | instid1(VALU_DEP_2)
	v_bfe_u32 v6, v26, 16, 1
	v_cmp_o_f32_e32 vcc_lo, v26, v26
	v_add3_u32 v6, v26, v6, 0x7fff
	s_delay_alu instid0(VALU_DEP_1) | instskip(SKIP_1) | instid1(VALU_DEP_1)
	v_lshrrev_b32_e32 v6, 16, v6
	s_wait_alu 0xfffd
	v_cndmask_b32_e32 v40, 0x7fc0, v6, vcc_lo
	s_delay_alu instid0(VALU_DEP_1) | instskip(NEXT) | instid1(VALU_DEP_1)
	v_lshlrev_b32_e32 v6, 16, v40
	v_max_num_f32_e32 v19, v6, v6
	v_cmp_u_f32_e32 vcc_lo, v6, v6
	s_delay_alu instid0(VALU_DEP_2) | instskip(SKIP_2) | instid1(VALU_DEP_2)
	v_min_num_f32_e32 v26, v19, v5
	v_max_num_f32_e32 v5, v19, v5
	s_wait_alu 0xfffd
	v_cndmask_b32_e32 v19, v26, v6, vcc_lo
	s_delay_alu instid0(VALU_DEP_2) | instskip(NEXT) | instid1(VALU_DEP_2)
	v_cndmask_b32_e32 v26, v5, v6, vcc_lo
	v_cndmask_b32_e64 v5, v19, v1, s1
	s_delay_alu instid0(VALU_DEP_2) | instskip(NEXT) | instid1(VALU_DEP_2)
	v_cndmask_b32_e64 v1, v26, v1, s1
	v_cmp_class_f32_e64 s1, v5, 0x1f8
	s_delay_alu instid0(VALU_DEP_2)
	v_cmp_neq_f32_e32 vcc_lo, v5, v1
	s_or_b32 s2, vcc_lo, s1
	s_wait_alu 0xfffe
	s_and_saveexec_b32 s1, s2
	s_cbranch_execz .LBB508_288
; %bb.287:
	v_sub_f32_e32 v5, v5, v1
	s_mov_b32 s2, 0x3e9b6dac
	s_delay_alu instid0(VALU_DEP_1) | instskip(NEXT) | instid1(VALU_DEP_1)
	v_mul_f32_e32 v6, 0x3fb8aa3b, v5
	v_fma_f32 v19, 0x3fb8aa3b, v5, -v6
	v_rndne_f32_e32 v26, v6
	s_delay_alu instid0(VALU_DEP_1) | instskip(SKIP_1) | instid1(VALU_DEP_4)
	v_sub_f32_e32 v6, v6, v26
	v_cmp_ngt_f32_e32 vcc_lo, 0xc2ce8ed0, v5
	v_fmamk_f32 v19, v5, 0x32a5705f, v19
	s_delay_alu instid0(VALU_DEP_1) | instskip(SKIP_1) | instid1(VALU_DEP_2)
	v_add_f32_e32 v6, v6, v19
	v_cvt_i32_f32_e32 v19, v26
	v_exp_f32_e32 v6, v6
	s_delay_alu instid0(TRANS32_DEP_1) | instskip(SKIP_1) | instid1(VALU_DEP_1)
	v_ldexp_f32 v6, v6, v19
	s_wait_alu 0xfffd
	v_cndmask_b32_e32 v6, 0, v6, vcc_lo
	v_cmp_nlt_f32_e32 vcc_lo, 0x42b17218, v5
	s_wait_alu 0xfffd
	s_delay_alu instid0(VALU_DEP_2) | instskip(NEXT) | instid1(VALU_DEP_1)
	v_cndmask_b32_e32 v19, 0x7f800000, v6, vcc_lo
	v_add_f32_e32 v26, 1.0, v19
	s_delay_alu instid0(VALU_DEP_1) | instskip(NEXT) | instid1(VALU_DEP_1)
	v_cvt_f64_f32_e32 v[5:6], v26
	v_frexp_exp_i32_f64_e32 v5, v[5:6]
	v_frexp_mant_f32_e32 v6, v26
	s_delay_alu instid0(VALU_DEP_1) | instskip(SKIP_1) | instid1(VALU_DEP_1)
	v_cmp_gt_f32_e32 vcc_lo, 0x3f2aaaab, v6
	v_add_f32_e32 v6, -1.0, v26
	v_sub_f32_e32 v28, v6, v26
	s_delay_alu instid0(VALU_DEP_1) | instskip(SKIP_4) | instid1(VALU_DEP_2)
	v_add_f32_e32 v28, 1.0, v28
	v_sub_f32_e32 v6, v19, v6
	s_wait_alu 0xfffd
	v_subrev_co_ci_u32_e64 v5, null, 0, v5, vcc_lo
	v_cmp_neq_f32_e32 vcc_lo, 0x7f800000, v19
	v_sub_nc_u32_e32 v27, 0, v5
	v_cvt_f32_i32_e32 v5, v5
	s_delay_alu instid0(VALU_DEP_2) | instskip(NEXT) | instid1(VALU_DEP_1)
	v_ldexp_f32 v26, v26, v27
	v_dual_add_f32 v29, 1.0, v26 :: v_dual_add_f32 v6, v6, v28
	s_delay_alu instid0(VALU_DEP_1) | instskip(NEXT) | instid1(VALU_DEP_2)
	v_add_f32_e32 v28, -1.0, v29
	v_ldexp_f32 v6, v6, v27
	s_delay_alu instid0(VALU_DEP_2) | instskip(NEXT) | instid1(VALU_DEP_1)
	v_dual_add_f32 v27, -1.0, v26 :: v_dual_sub_f32 v28, v26, v28
	v_add_f32_e32 v30, 1.0, v27
	s_delay_alu instid0(VALU_DEP_2) | instskip(NEXT) | instid1(VALU_DEP_2)
	v_add_f32_e32 v28, v6, v28
	v_sub_f32_e32 v26, v26, v30
	s_delay_alu instid0(VALU_DEP_2) | instskip(NEXT) | instid1(VALU_DEP_2)
	v_add_f32_e32 v30, v29, v28
	v_add_f32_e32 v6, v6, v26
	s_delay_alu instid0(VALU_DEP_2) | instskip(SKIP_1) | instid1(VALU_DEP_1)
	v_rcp_f32_e32 v26, v30
	v_sub_f32_e32 v29, v29, v30
	v_dual_add_f32 v31, v27, v6 :: v_dual_add_f32 v28, v28, v29
	s_delay_alu instid0(VALU_DEP_1) | instskip(NEXT) | instid1(TRANS32_DEP_1)
	v_sub_f32_e32 v27, v27, v31
	v_mul_f32_e32 v32, v31, v26
	s_delay_alu instid0(VALU_DEP_2) | instskip(NEXT) | instid1(VALU_DEP_2)
	v_add_f32_e32 v6, v6, v27
	v_mul_f32_e32 v33, v30, v32
	s_delay_alu instid0(VALU_DEP_1) | instskip(NEXT) | instid1(VALU_DEP_1)
	v_fma_f32 v29, v32, v30, -v33
	v_fmac_f32_e32 v29, v32, v28
	s_delay_alu instid0(VALU_DEP_1) | instskip(NEXT) | instid1(VALU_DEP_1)
	v_add_f32_e32 v34, v33, v29
	v_sub_f32_e32 v35, v31, v34
	v_sub_f32_e32 v27, v34, v33
	s_delay_alu instid0(VALU_DEP_2) | instskip(NEXT) | instid1(VALU_DEP_2)
	v_sub_f32_e32 v31, v31, v35
	v_sub_f32_e32 v27, v27, v29
	s_delay_alu instid0(VALU_DEP_2) | instskip(NEXT) | instid1(VALU_DEP_1)
	v_sub_f32_e32 v31, v31, v34
	v_add_f32_e32 v6, v6, v31
	s_delay_alu instid0(VALU_DEP_1) | instskip(NEXT) | instid1(VALU_DEP_1)
	v_add_f32_e32 v6, v27, v6
	v_add_f32_e32 v27, v35, v6
	s_delay_alu instid0(VALU_DEP_1) | instskip(NEXT) | instid1(VALU_DEP_1)
	v_mul_f32_e32 v29, v26, v27
	v_dual_sub_f32 v34, v35, v27 :: v_dual_mul_f32 v31, v30, v29
	s_delay_alu instid0(VALU_DEP_1) | instskip(NEXT) | instid1(VALU_DEP_2)
	v_add_f32_e32 v6, v6, v34
	v_fma_f32 v30, v29, v30, -v31
	s_delay_alu instid0(VALU_DEP_1) | instskip(NEXT) | instid1(VALU_DEP_1)
	v_fmac_f32_e32 v30, v29, v28
	v_add_f32_e32 v28, v31, v30
	s_delay_alu instid0(VALU_DEP_1) | instskip(SKIP_1) | instid1(VALU_DEP_2)
	v_sub_f32_e32 v33, v27, v28
	v_sub_f32_e32 v31, v28, v31
	;; [unrolled: 1-line block ×3, first 2 shown]
	s_delay_alu instid0(VALU_DEP_1) | instskip(NEXT) | instid1(VALU_DEP_1)
	v_sub_f32_e32 v27, v27, v28
	v_dual_add_f32 v6, v6, v27 :: v_dual_add_f32 v27, v32, v29
	s_delay_alu instid0(VALU_DEP_4) | instskip(NEXT) | instid1(VALU_DEP_1)
	v_sub_f32_e32 v28, v31, v30
	v_add_f32_e32 v6, v28, v6
	s_delay_alu instid0(VALU_DEP_3) | instskip(NEXT) | instid1(VALU_DEP_2)
	v_sub_f32_e32 v28, v27, v32
	v_add_f32_e32 v6, v33, v6
	s_delay_alu instid0(VALU_DEP_2) | instskip(NEXT) | instid1(VALU_DEP_2)
	v_sub_f32_e32 v28, v29, v28
	v_mul_f32_e32 v6, v26, v6
	s_delay_alu instid0(VALU_DEP_1) | instskip(NEXT) | instid1(VALU_DEP_1)
	v_add_f32_e32 v6, v28, v6
	v_add_f32_e32 v26, v27, v6
	s_delay_alu instid0(VALU_DEP_1) | instskip(SKIP_1) | instid1(VALU_DEP_1)
	v_mul_f32_e32 v28, v26, v26
	s_wait_alu 0xfffe
	v_fmaak_f32 v29, s2, v28, 0x3ecc95a3
	v_mul_f32_e32 v30, v26, v28
	s_delay_alu instid0(VALU_DEP_2) | instskip(SKIP_2) | instid1(VALU_DEP_3)
	v_fmaak_f32 v28, v28, v29, 0x3f2aaada
	v_ldexp_f32 v29, v26, 1
	v_sub_f32_e32 v26, v26, v27
	v_mul_f32_e32 v28, v30, v28
	v_mul_f32_e32 v30, 0x3f317218, v5
	s_delay_alu instid0(VALU_DEP_2) | instskip(NEXT) | instid1(VALU_DEP_1)
	v_dual_sub_f32 v6, v6, v26 :: v_dual_add_f32 v27, v29, v28
	v_ldexp_f32 v6, v6, 1
	s_delay_alu instid0(VALU_DEP_2) | instskip(NEXT) | instid1(VALU_DEP_4)
	v_sub_f32_e32 v26, v27, v29
	v_fma_f32 v29, 0x3f317218, v5, -v30
	s_delay_alu instid0(VALU_DEP_1) | instskip(NEXT) | instid1(VALU_DEP_1)
	v_dual_sub_f32 v26, v28, v26 :: v_dual_fmamk_f32 v5, v5, 0xb102e308, v29
	v_add_f32_e32 v6, v6, v26
	s_delay_alu instid0(VALU_DEP_2) | instskip(NEXT) | instid1(VALU_DEP_2)
	v_add_f32_e32 v26, v30, v5
	v_add_f32_e32 v28, v27, v6
	s_delay_alu instid0(VALU_DEP_2) | instskip(NEXT) | instid1(VALU_DEP_2)
	v_sub_f32_e32 v30, v26, v30
	v_add_f32_e32 v29, v26, v28
	v_sub_f32_e32 v27, v28, v27
	s_delay_alu instid0(VALU_DEP_3) | instskip(NEXT) | instid1(VALU_DEP_2)
	v_sub_f32_e32 v5, v5, v30
	v_dual_sub_f32 v31, v29, v26 :: v_dual_sub_f32 v6, v6, v27
	s_delay_alu instid0(VALU_DEP_1) | instskip(NEXT) | instid1(VALU_DEP_2)
	v_sub_f32_e32 v32, v29, v31
	v_dual_sub_f32 v27, v28, v31 :: v_dual_add_f32 v28, v5, v6
	s_delay_alu instid0(VALU_DEP_2) | instskip(NEXT) | instid1(VALU_DEP_1)
	v_sub_f32_e32 v26, v26, v32
	v_dual_add_f32 v26, v27, v26 :: v_dual_sub_f32 v27, v28, v5
	s_delay_alu instid0(VALU_DEP_1) | instskip(NEXT) | instid1(VALU_DEP_2)
	v_add_f32_e32 v26, v28, v26
	v_sub_f32_e32 v28, v28, v27
	v_sub_f32_e32 v6, v6, v27
	s_delay_alu instid0(VALU_DEP_3) | instskip(NEXT) | instid1(VALU_DEP_3)
	v_add_f32_e32 v30, v29, v26
	v_sub_f32_e32 v5, v5, v28
	s_delay_alu instid0(VALU_DEP_2) | instskip(NEXT) | instid1(VALU_DEP_2)
	v_sub_f32_e32 v27, v30, v29
	v_add_f32_e32 v5, v6, v5
	s_delay_alu instid0(VALU_DEP_2) | instskip(NEXT) | instid1(VALU_DEP_1)
	v_sub_f32_e32 v6, v26, v27
	v_add_f32_e32 v5, v5, v6
	s_delay_alu instid0(VALU_DEP_1) | instskip(SKIP_1) | instid1(VALU_DEP_1)
	v_add_f32_e32 v5, v30, v5
	s_wait_alu 0xfffd
	v_cndmask_b32_e32 v5, 0x7f800000, v5, vcc_lo
	v_cmp_gt_f32_e64 vcc_lo, 0x33800000, |v19|
	s_wait_alu 0xfffd
	s_delay_alu instid0(VALU_DEP_2) | instskip(NEXT) | instid1(VALU_DEP_1)
	v_cndmask_b32_e32 v5, v5, v19, vcc_lo
	v_add_f32_e32 v6, v1, v5
.LBB508_288:
	s_wait_alu 0xfffe
	s_or_b32 exec_lo, exec_lo, s1
	s_delay_alu instid0(VALU_DEP_1) | instskip(SKIP_1) | instid1(VALU_DEP_2)
	v_bfe_u32 v1, v6, 16, 1
	v_cmp_o_f32_e32 vcc_lo, v6, v6
	v_add3_u32 v1, v6, v1, 0x7fff
	s_delay_alu instid0(VALU_DEP_1) | instskip(SKIP_1) | instid1(VALU_DEP_1)
	v_lshrrev_b32_e32 v1, 16, v1
	s_wait_alu 0xfffd
	v_cndmask_b32_e32 v5, 0x7fc0, v1, vcc_lo
	s_delay_alu instid0(VALU_DEP_1) | instskip(NEXT) | instid1(VALU_DEP_1)
	v_lshlrev_b32_e32 v6, 16, v5
	v_max_num_f32_e32 v1, v6, v6
	v_cmp_u_f32_e32 vcc_lo, v6, v6
	s_delay_alu instid0(VALU_DEP_2) | instskip(SKIP_2) | instid1(VALU_DEP_2)
	v_min_num_f32_e32 v19, v1, v17
	v_max_num_f32_e32 v1, v1, v17
	s_wait_alu 0xfffd
	v_cndmask_b32_e32 v17, v19, v6, vcc_lo
	s_delay_alu instid0(VALU_DEP_2) | instskip(NEXT) | instid1(VALU_DEP_2)
	v_cndmask_b32_e32 v1, v1, v6, vcc_lo
	v_cndmask_b32_e64 v17, v17, v2, s4
	s_delay_alu instid0(VALU_DEP_2) | instskip(NEXT) | instid1(VALU_DEP_2)
	v_cndmask_b32_e64 v1, v1, v2, s4
	v_cmp_class_f32_e64 s1, v17, 0x1f8
	s_delay_alu instid0(VALU_DEP_2)
	v_cmp_neq_f32_e32 vcc_lo, v17, v1
	s_or_b32 s2, vcc_lo, s1
	s_wait_alu 0xfffe
	s_and_saveexec_b32 s1, s2
	s_cbranch_execz .LBB508_290
; %bb.289:
	v_sub_f32_e32 v2, v17, v1
	s_mov_b32 s2, 0x3e9b6dac
	s_delay_alu instid0(VALU_DEP_1) | instskip(SKIP_1) | instid1(VALU_DEP_2)
	v_mul_f32_e32 v6, 0x3fb8aa3b, v2
	v_cmp_ngt_f32_e32 vcc_lo, 0xc2ce8ed0, v2
	v_fma_f32 v17, 0x3fb8aa3b, v2, -v6
	v_rndne_f32_e32 v19, v6
	s_delay_alu instid0(VALU_DEP_2) | instskip(NEXT) | instid1(VALU_DEP_2)
	v_fmamk_f32 v17, v2, 0x32a5705f, v17
	v_sub_f32_e32 v6, v6, v19
	s_delay_alu instid0(VALU_DEP_1) | instskip(SKIP_1) | instid1(VALU_DEP_2)
	v_add_f32_e32 v6, v6, v17
	v_cvt_i32_f32_e32 v17, v19
	v_exp_f32_e32 v6, v6
	s_delay_alu instid0(TRANS32_DEP_1) | instskip(SKIP_1) | instid1(VALU_DEP_1)
	v_ldexp_f32 v6, v6, v17
	s_wait_alu 0xfffd
	v_cndmask_b32_e32 v6, 0, v6, vcc_lo
	v_cmp_nlt_f32_e32 vcc_lo, 0x42b17218, v2
	s_wait_alu 0xfffd
	s_delay_alu instid0(VALU_DEP_2) | instskip(NEXT) | instid1(VALU_DEP_1)
	v_cndmask_b32_e32 v2, 0x7f800000, v6, vcc_lo
	v_add_f32_e32 v6, 1.0, v2
	s_delay_alu instid0(VALU_DEP_1) | instskip(SKIP_1) | instid1(VALU_DEP_1)
	v_cvt_f64_f32_e32 v[26:27], v6
	v_frexp_mant_f32_e32 v19, v6
	v_cmp_gt_f32_e32 vcc_lo, 0x3f2aaaab, v19
	v_add_f32_e32 v19, -1.0, v6
	s_delay_alu instid0(VALU_DEP_4) | instskip(NEXT) | instid1(VALU_DEP_2)
	v_frexp_exp_i32_f64_e32 v17, v[26:27]
	v_sub_f32_e32 v27, v19, v6
	v_sub_f32_e32 v19, v2, v19
	s_delay_alu instid0(VALU_DEP_2) | instskip(NEXT) | instid1(VALU_DEP_1)
	v_add_f32_e32 v27, 1.0, v27
	v_add_f32_e32 v19, v19, v27
	s_wait_alu 0xfffd
	v_subrev_co_ci_u32_e64 v17, null, 0, v17, vcc_lo
	v_cmp_neq_f32_e32 vcc_lo, 0x7f800000, v2
	s_delay_alu instid0(VALU_DEP_2) | instskip(SKIP_1) | instid1(VALU_DEP_2)
	v_sub_nc_u32_e32 v26, 0, v17
	v_cvt_f32_i32_e32 v17, v17
	v_ldexp_f32 v6, v6, v26
	v_ldexp_f32 v19, v19, v26
	s_delay_alu instid0(VALU_DEP_2) | instskip(NEXT) | instid1(VALU_DEP_1)
	v_add_f32_e32 v28, 1.0, v6
	v_add_f32_e32 v27, -1.0, v28
	s_delay_alu instid0(VALU_DEP_1) | instskip(NEXT) | instid1(VALU_DEP_1)
	v_sub_f32_e32 v27, v6, v27
	v_dual_add_f32 v27, v19, v27 :: v_dual_add_f32 v26, -1.0, v6
	s_delay_alu instid0(VALU_DEP_1) | instskip(NEXT) | instid1(VALU_DEP_1)
	v_add_f32_e32 v29, 1.0, v26
	v_dual_sub_f32 v6, v6, v29 :: v_dual_add_f32 v29, v28, v27
	s_delay_alu instid0(VALU_DEP_1) | instskip(NEXT) | instid1(VALU_DEP_2)
	v_add_f32_e32 v6, v19, v6
	v_rcp_f32_e32 v19, v29
	v_sub_f32_e32 v28, v28, v29
	s_delay_alu instid0(VALU_DEP_1) | instskip(NEXT) | instid1(VALU_DEP_1)
	v_dual_add_f32 v30, v26, v6 :: v_dual_add_f32 v27, v27, v28
	v_sub_f32_e32 v26, v26, v30
	s_delay_alu instid0(TRANS32_DEP_1) | instskip(NEXT) | instid1(VALU_DEP_2)
	v_mul_f32_e32 v31, v30, v19
	v_add_f32_e32 v6, v6, v26
	s_delay_alu instid0(VALU_DEP_2) | instskip(NEXT) | instid1(VALU_DEP_1)
	v_mul_f32_e32 v32, v29, v31
	v_fma_f32 v28, v31, v29, -v32
	s_delay_alu instid0(VALU_DEP_1) | instskip(NEXT) | instid1(VALU_DEP_1)
	v_fmac_f32_e32 v28, v31, v27
	v_add_f32_e32 v33, v32, v28
	s_delay_alu instid0(VALU_DEP_1) | instskip(SKIP_1) | instid1(VALU_DEP_2)
	v_sub_f32_e32 v34, v30, v33
	v_sub_f32_e32 v26, v33, v32
	;; [unrolled: 1-line block ×3, first 2 shown]
	s_delay_alu instid0(VALU_DEP_2) | instskip(NEXT) | instid1(VALU_DEP_2)
	v_sub_f32_e32 v26, v26, v28
	v_sub_f32_e32 v30, v30, v33
	s_delay_alu instid0(VALU_DEP_1) | instskip(NEXT) | instid1(VALU_DEP_1)
	v_add_f32_e32 v6, v6, v30
	v_add_f32_e32 v6, v26, v6
	s_delay_alu instid0(VALU_DEP_1) | instskip(NEXT) | instid1(VALU_DEP_1)
	v_add_f32_e32 v26, v34, v6
	v_mul_f32_e32 v28, v19, v26
	s_delay_alu instid0(VALU_DEP_1) | instskip(NEXT) | instid1(VALU_DEP_1)
	v_mul_f32_e32 v30, v29, v28
	v_fma_f32 v29, v28, v29, -v30
	s_delay_alu instid0(VALU_DEP_1) | instskip(SKIP_1) | instid1(VALU_DEP_2)
	v_fmac_f32_e32 v29, v28, v27
	v_sub_f32_e32 v33, v34, v26
	v_add_f32_e32 v27, v30, v29
	s_delay_alu instid0(VALU_DEP_2) | instskip(NEXT) | instid1(VALU_DEP_2)
	v_add_f32_e32 v6, v6, v33
	v_sub_f32_e32 v32, v26, v27
	v_sub_f32_e32 v30, v27, v30
	s_delay_alu instid0(VALU_DEP_2) | instskip(NEXT) | instid1(VALU_DEP_1)
	v_sub_f32_e32 v26, v26, v32
	v_sub_f32_e32 v26, v26, v27
	s_delay_alu instid0(VALU_DEP_3) | instskip(NEXT) | instid1(VALU_DEP_2)
	v_sub_f32_e32 v27, v30, v29
	v_add_f32_e32 v6, v6, v26
	v_add_f32_e32 v26, v31, v28
	s_delay_alu instid0(VALU_DEP_1) | instskip(NEXT) | instid1(VALU_DEP_1)
	v_dual_add_f32 v6, v27, v6 :: v_dual_sub_f32 v27, v26, v31
	v_add_f32_e32 v6, v32, v6
	s_delay_alu instid0(VALU_DEP_1) | instskip(NEXT) | instid1(VALU_DEP_1)
	v_dual_sub_f32 v27, v28, v27 :: v_dual_mul_f32 v6, v19, v6
	v_add_f32_e32 v6, v27, v6
	s_delay_alu instid0(VALU_DEP_1) | instskip(NEXT) | instid1(VALU_DEP_1)
	v_add_f32_e32 v19, v26, v6
	v_mul_f32_e32 v27, v19, v19
	s_wait_alu 0xfffe
	s_delay_alu instid0(VALU_DEP_1) | instskip(SKIP_1) | instid1(VALU_DEP_2)
	v_fmaak_f32 v28, s2, v27, 0x3ecc95a3
	v_mul_f32_e32 v29, v19, v27
	v_fmaak_f32 v27, v27, v28, 0x3f2aaada
	v_ldexp_f32 v28, v19, 1
	v_sub_f32_e32 v19, v19, v26
	s_delay_alu instid0(VALU_DEP_3) | instskip(NEXT) | instid1(VALU_DEP_2)
	v_mul_f32_e32 v27, v29, v27
	v_dual_mul_f32 v29, 0x3f317218, v17 :: v_dual_sub_f32 v6, v6, v19
	s_delay_alu instid0(VALU_DEP_2) | instskip(NEXT) | instid1(VALU_DEP_2)
	v_add_f32_e32 v26, v28, v27
	v_ldexp_f32 v6, v6, 1
	s_delay_alu instid0(VALU_DEP_2) | instskip(NEXT) | instid1(VALU_DEP_4)
	v_sub_f32_e32 v19, v26, v28
	v_fma_f32 v28, 0x3f317218, v17, -v29
	s_delay_alu instid0(VALU_DEP_2) | instskip(NEXT) | instid1(VALU_DEP_1)
	v_sub_f32_e32 v19, v27, v19
	v_dual_fmamk_f32 v17, v17, 0xb102e308, v28 :: v_dual_add_f32 v6, v6, v19
	s_delay_alu instid0(VALU_DEP_1) | instskip(NEXT) | instid1(VALU_DEP_2)
	v_add_f32_e32 v19, v29, v17
	v_add_f32_e32 v27, v26, v6
	s_delay_alu instid0(VALU_DEP_2) | instskip(NEXT) | instid1(VALU_DEP_2)
	v_sub_f32_e32 v29, v19, v29
	v_add_f32_e32 v28, v19, v27
	s_delay_alu instid0(VALU_DEP_2) | instskip(NEXT) | instid1(VALU_DEP_2)
	v_dual_sub_f32 v26, v27, v26 :: v_dual_sub_f32 v17, v17, v29
	v_sub_f32_e32 v30, v28, v19
	s_delay_alu instid0(VALU_DEP_2) | instskip(NEXT) | instid1(VALU_DEP_2)
	v_sub_f32_e32 v6, v6, v26
	v_sub_f32_e32 v31, v28, v30
	;; [unrolled: 1-line block ×3, first 2 shown]
	s_delay_alu instid0(VALU_DEP_3) | instskip(NEXT) | instid1(VALU_DEP_3)
	v_add_f32_e32 v27, v17, v6
	v_sub_f32_e32 v19, v19, v31
	s_delay_alu instid0(VALU_DEP_1) | instskip(NEXT) | instid1(VALU_DEP_1)
	v_dual_add_f32 v19, v26, v19 :: v_dual_sub_f32 v26, v27, v17
	v_add_f32_e32 v19, v27, v19
	s_delay_alu instid0(VALU_DEP_2) | instskip(NEXT) | instid1(VALU_DEP_2)
	v_sub_f32_e32 v27, v27, v26
	v_dual_sub_f32 v6, v6, v26 :: v_dual_add_f32 v29, v28, v19
	s_delay_alu instid0(VALU_DEP_2) | instskip(NEXT) | instid1(VALU_DEP_2)
	v_sub_f32_e32 v17, v17, v27
	v_sub_f32_e32 v26, v29, v28
	s_delay_alu instid0(VALU_DEP_1) | instskip(NEXT) | instid1(VALU_DEP_1)
	v_dual_add_f32 v6, v6, v17 :: v_dual_sub_f32 v17, v19, v26
	v_add_f32_e32 v6, v6, v17
	s_delay_alu instid0(VALU_DEP_1) | instskip(SKIP_1) | instid1(VALU_DEP_1)
	v_add_f32_e32 v6, v29, v6
	s_wait_alu 0xfffd
	v_cndmask_b32_e32 v6, 0x7f800000, v6, vcc_lo
	v_cmp_gt_f32_e64 vcc_lo, 0x33800000, |v2|
	s_wait_alu 0xfffd
	s_delay_alu instid0(VALU_DEP_2) | instskip(NEXT) | instid1(VALU_DEP_1)
	v_cndmask_b32_e32 v2, v6, v2, vcc_lo
	v_add_f32_e32 v6, v1, v2
.LBB508_290:
	s_wait_alu 0xfffe
	s_or_b32 exec_lo, exec_lo, s1
	s_delay_alu instid0(VALU_DEP_1) | instskip(SKIP_1) | instid1(VALU_DEP_2)
	v_bfe_u32 v1, v6, 16, 1
	v_cmp_o_f32_e32 vcc_lo, v6, v6
	v_add3_u32 v1, v6, v1, 0x7fff
	s_delay_alu instid0(VALU_DEP_1) | instskip(SKIP_1) | instid1(VALU_DEP_1)
	v_lshrrev_b32_e32 v1, 16, v1
	s_wait_alu 0xfffd
	v_cndmask_b32_e32 v19, 0x7fc0, v1, vcc_lo
	s_delay_alu instid0(VALU_DEP_1) | instskip(NEXT) | instid1(VALU_DEP_1)
	v_lshlrev_b32_e32 v2, 16, v19
	v_max_num_f32_e32 v1, v2, v2
	s_delay_alu instid0(VALU_DEP_1) | instskip(SKIP_3) | instid1(VALU_DEP_3)
	v_min_num_f32_e32 v6, v1, v16
	v_max_num_f32_e32 v1, v1, v16
	v_cmp_u_f32_e32 vcc_lo, v2, v2
	s_wait_alu 0xfffd
	v_cndmask_b32_e32 v6, v6, v2, vcc_lo
	s_delay_alu instid0(VALU_DEP_3) | instskip(NEXT) | instid1(VALU_DEP_2)
	v_cndmask_b32_e32 v1, v1, v2, vcc_lo
	v_cndmask_b32_e64 v6, v6, v4, s5
	s_delay_alu instid0(VALU_DEP_2) | instskip(NEXT) | instid1(VALU_DEP_2)
	v_cndmask_b32_e64 v1, v1, v4, s5
	v_cmp_class_f32_e64 s1, v6, 0x1f8
	s_delay_alu instid0(VALU_DEP_2)
	v_cmp_neq_f32_e32 vcc_lo, v6, v1
	s_or_b32 s2, vcc_lo, s1
	s_wait_alu 0xfffe
	s_and_saveexec_b32 s1, s2
	s_cbranch_execz .LBB508_292
; %bb.291:
	v_sub_f32_e32 v2, v6, v1
	s_mov_b32 s2, 0x3e9b6dac
	s_delay_alu instid0(VALU_DEP_1) | instskip(SKIP_1) | instid1(VALU_DEP_2)
	v_mul_f32_e32 v4, 0x3fb8aa3b, v2
	v_cmp_ngt_f32_e32 vcc_lo, 0xc2ce8ed0, v2
	v_fma_f32 v6, 0x3fb8aa3b, v2, -v4
	v_rndne_f32_e32 v16, v4
	s_delay_alu instid0(VALU_DEP_2) | instskip(NEXT) | instid1(VALU_DEP_2)
	v_fmamk_f32 v6, v2, 0x32a5705f, v6
	v_sub_f32_e32 v4, v4, v16
	s_delay_alu instid0(VALU_DEP_1) | instskip(SKIP_1) | instid1(VALU_DEP_2)
	v_add_f32_e32 v4, v4, v6
	v_cvt_i32_f32_e32 v6, v16
	v_exp_f32_e32 v4, v4
	s_delay_alu instid0(TRANS32_DEP_1) | instskip(SKIP_1) | instid1(VALU_DEP_1)
	v_ldexp_f32 v4, v4, v6
	s_wait_alu 0xfffd
	v_cndmask_b32_e32 v4, 0, v4, vcc_lo
	v_cmp_nlt_f32_e32 vcc_lo, 0x42b17218, v2
	s_wait_alu 0xfffd
	s_delay_alu instid0(VALU_DEP_2) | instskip(NEXT) | instid1(VALU_DEP_1)
	v_cndmask_b32_e32 v2, 0x7f800000, v4, vcc_lo
	v_add_f32_e32 v4, 1.0, v2
	s_delay_alu instid0(VALU_DEP_1) | instskip(NEXT) | instid1(VALU_DEP_1)
	v_cvt_f64_f32_e32 v[16:17], v4
	v_frexp_exp_i32_f64_e32 v6, v[16:17]
	v_frexp_mant_f32_e32 v16, v4
	s_delay_alu instid0(VALU_DEP_1) | instskip(SKIP_1) | instid1(VALU_DEP_1)
	v_cmp_gt_f32_e32 vcc_lo, 0x3f2aaaab, v16
	v_add_f32_e32 v16, -1.0, v4
	v_sub_f32_e32 v26, v16, v4
	v_sub_f32_e32 v16, v2, v16
	s_delay_alu instid0(VALU_DEP_2) | instskip(NEXT) | instid1(VALU_DEP_1)
	v_add_f32_e32 v26, 1.0, v26
	v_add_f32_e32 v16, v16, v26
	s_wait_alu 0xfffd
	v_subrev_co_ci_u32_e64 v6, null, 0, v6, vcc_lo
	s_delay_alu instid0(VALU_DEP_1) | instskip(SKIP_1) | instid1(VALU_DEP_2)
	v_sub_nc_u32_e32 v17, 0, v6
	v_cvt_f32_i32_e32 v6, v6
	v_ldexp_f32 v4, v4, v17
	v_ldexp_f32 v16, v16, v17
	s_delay_alu instid0(VALU_DEP_2) | instskip(NEXT) | instid1(VALU_DEP_1)
	v_add_f32_e32 v27, 1.0, v4
	v_dual_add_f32 v17, -1.0, v4 :: v_dual_add_f32 v26, -1.0, v27
	s_delay_alu instid0(VALU_DEP_1) | instskip(NEXT) | instid1(VALU_DEP_2)
	v_add_f32_e32 v28, 1.0, v17
	v_sub_f32_e32 v26, v4, v26
	s_delay_alu instid0(VALU_DEP_2) | instskip(NEXT) | instid1(VALU_DEP_2)
	v_sub_f32_e32 v4, v4, v28
	v_add_f32_e32 v26, v16, v26
	s_delay_alu instid0(VALU_DEP_2) | instskip(NEXT) | instid1(VALU_DEP_1)
	v_add_f32_e32 v4, v16, v4
	v_dual_add_f32 v28, v27, v26 :: v_dual_add_f32 v29, v17, v4
	s_delay_alu instid0(VALU_DEP_1) | instskip(SKIP_1) | instid1(VALU_DEP_2)
	v_rcp_f32_e32 v16, v28
	v_sub_f32_e32 v27, v27, v28
	v_sub_f32_e32 v17, v17, v29
	v_cmp_neq_f32_e32 vcc_lo, 0x7f800000, v2
	s_delay_alu instid0(VALU_DEP_3) | instskip(NEXT) | instid1(VALU_DEP_3)
	v_add_f32_e32 v26, v26, v27
	v_add_f32_e32 v4, v4, v17
	s_delay_alu instid0(TRANS32_DEP_1) | instskip(NEXT) | instid1(VALU_DEP_1)
	v_mul_f32_e32 v30, v29, v16
	v_mul_f32_e32 v31, v28, v30
	s_delay_alu instid0(VALU_DEP_1) | instskip(NEXT) | instid1(VALU_DEP_1)
	v_fma_f32 v27, v30, v28, -v31
	v_fmac_f32_e32 v27, v30, v26
	s_delay_alu instid0(VALU_DEP_1) | instskip(NEXT) | instid1(VALU_DEP_1)
	v_add_f32_e32 v32, v31, v27
	v_sub_f32_e32 v33, v29, v32
	v_sub_f32_e32 v17, v32, v31
	s_delay_alu instid0(VALU_DEP_2) | instskip(NEXT) | instid1(VALU_DEP_2)
	v_sub_f32_e32 v29, v29, v33
	v_sub_f32_e32 v17, v17, v27
	s_delay_alu instid0(VALU_DEP_2) | instskip(NEXT) | instid1(VALU_DEP_1)
	v_sub_f32_e32 v29, v29, v32
	v_add_f32_e32 v4, v4, v29
	s_delay_alu instid0(VALU_DEP_1) | instskip(NEXT) | instid1(VALU_DEP_1)
	v_add_f32_e32 v4, v17, v4
	v_add_f32_e32 v17, v33, v4
	s_delay_alu instid0(VALU_DEP_1) | instskip(NEXT) | instid1(VALU_DEP_1)
	v_mul_f32_e32 v27, v16, v17
	v_dual_sub_f32 v32, v33, v17 :: v_dual_mul_f32 v29, v28, v27
	s_delay_alu instid0(VALU_DEP_1) | instskip(NEXT) | instid1(VALU_DEP_2)
	v_add_f32_e32 v4, v4, v32
	v_fma_f32 v28, v27, v28, -v29
	s_delay_alu instid0(VALU_DEP_1) | instskip(NEXT) | instid1(VALU_DEP_1)
	v_fmac_f32_e32 v28, v27, v26
	v_add_f32_e32 v26, v29, v28
	s_delay_alu instid0(VALU_DEP_1) | instskip(SKIP_1) | instid1(VALU_DEP_2)
	v_sub_f32_e32 v31, v17, v26
	v_sub_f32_e32 v29, v26, v29
	;; [unrolled: 1-line block ×3, first 2 shown]
	s_delay_alu instid0(VALU_DEP_1) | instskip(NEXT) | instid1(VALU_DEP_3)
	v_sub_f32_e32 v17, v17, v26
	v_sub_f32_e32 v26, v29, v28
	s_delay_alu instid0(VALU_DEP_2) | instskip(NEXT) | instid1(VALU_DEP_1)
	v_dual_add_f32 v4, v4, v17 :: v_dual_add_f32 v17, v30, v27
	v_add_f32_e32 v4, v26, v4
	s_delay_alu instid0(VALU_DEP_2) | instskip(NEXT) | instid1(VALU_DEP_2)
	v_sub_f32_e32 v26, v17, v30
	v_add_f32_e32 v4, v31, v4
	s_delay_alu instid0(VALU_DEP_2) | instskip(NEXT) | instid1(VALU_DEP_2)
	v_sub_f32_e32 v26, v27, v26
	v_mul_f32_e32 v4, v16, v4
	s_delay_alu instid0(VALU_DEP_1) | instskip(NEXT) | instid1(VALU_DEP_1)
	v_add_f32_e32 v4, v26, v4
	v_add_f32_e32 v16, v17, v4
	s_delay_alu instid0(VALU_DEP_1) | instskip(SKIP_1) | instid1(VALU_DEP_1)
	v_mul_f32_e32 v26, v16, v16
	s_wait_alu 0xfffe
	v_fmaak_f32 v27, s2, v26, 0x3ecc95a3
	v_mul_f32_e32 v28, v16, v26
	s_delay_alu instid0(VALU_DEP_2) | instskip(SKIP_2) | instid1(VALU_DEP_3)
	v_fmaak_f32 v26, v26, v27, 0x3f2aaada
	v_ldexp_f32 v27, v16, 1
	v_sub_f32_e32 v16, v16, v17
	v_mul_f32_e32 v26, v28, v26
	v_mul_f32_e32 v28, 0x3f317218, v6
	s_delay_alu instid0(VALU_DEP_2) | instskip(NEXT) | instid1(VALU_DEP_1)
	v_dual_sub_f32 v4, v4, v16 :: v_dual_add_f32 v17, v27, v26
	v_ldexp_f32 v4, v4, 1
	s_delay_alu instid0(VALU_DEP_2) | instskip(NEXT) | instid1(VALU_DEP_4)
	v_sub_f32_e32 v16, v17, v27
	v_fma_f32 v27, 0x3f317218, v6, -v28
	s_delay_alu instid0(VALU_DEP_2) | instskip(NEXT) | instid1(VALU_DEP_2)
	v_sub_f32_e32 v16, v26, v16
	v_fmamk_f32 v6, v6, 0xb102e308, v27
	s_delay_alu instid0(VALU_DEP_2) | instskip(NEXT) | instid1(VALU_DEP_2)
	v_add_f32_e32 v4, v4, v16
	v_add_f32_e32 v16, v28, v6
	s_delay_alu instid0(VALU_DEP_2) | instskip(NEXT) | instid1(VALU_DEP_2)
	v_add_f32_e32 v26, v17, v4
	v_sub_f32_e32 v28, v16, v28
	s_delay_alu instid0(VALU_DEP_2) | instskip(SKIP_1) | instid1(VALU_DEP_3)
	v_add_f32_e32 v27, v16, v26
	v_sub_f32_e32 v17, v26, v17
	v_sub_f32_e32 v6, v6, v28
	s_delay_alu instid0(VALU_DEP_2) | instskip(NEXT) | instid1(VALU_DEP_1)
	v_dual_sub_f32 v29, v27, v16 :: v_dual_sub_f32 v4, v4, v17
	v_sub_f32_e32 v30, v27, v29
	v_sub_f32_e32 v17, v26, v29
	s_delay_alu instid0(VALU_DEP_3) | instskip(NEXT) | instid1(VALU_DEP_3)
	v_add_f32_e32 v26, v6, v4
	v_sub_f32_e32 v16, v16, v30
	s_delay_alu instid0(VALU_DEP_1) | instskip(NEXT) | instid1(VALU_DEP_1)
	v_dual_add_f32 v16, v17, v16 :: v_dual_sub_f32 v17, v26, v6
	v_add_f32_e32 v16, v26, v16
	s_delay_alu instid0(VALU_DEP_2) | instskip(SKIP_1) | instid1(VALU_DEP_3)
	v_sub_f32_e32 v26, v26, v17
	v_sub_f32_e32 v4, v4, v17
	v_add_f32_e32 v28, v27, v16
	s_delay_alu instid0(VALU_DEP_1) | instskip(NEXT) | instid1(VALU_DEP_1)
	v_dual_sub_f32 v6, v6, v26 :: v_dual_sub_f32 v17, v28, v27
	v_add_f32_e32 v4, v4, v6
	s_delay_alu instid0(VALU_DEP_2) | instskip(NEXT) | instid1(VALU_DEP_1)
	v_sub_f32_e32 v6, v16, v17
	v_add_f32_e32 v4, v4, v6
	s_delay_alu instid0(VALU_DEP_1) | instskip(SKIP_1) | instid1(VALU_DEP_1)
	v_add_f32_e32 v4, v28, v4
	s_wait_alu 0xfffd
	v_cndmask_b32_e32 v4, 0x7f800000, v4, vcc_lo
	v_cmp_gt_f32_e64 vcc_lo, 0x33800000, |v2|
	s_wait_alu 0xfffd
	s_delay_alu instid0(VALU_DEP_2) | instskip(NEXT) | instid1(VALU_DEP_1)
	v_cndmask_b32_e32 v2, v4, v2, vcc_lo
	v_add_f32_e32 v2, v1, v2
.LBB508_292:
	s_wait_alu 0xfffe
	s_or_b32 exec_lo, exec_lo, s1
	s_delay_alu instid0(VALU_DEP_1) | instskip(SKIP_1) | instid1(VALU_DEP_2)
	v_bfe_u32 v1, v2, 16, 1
	v_cmp_o_f32_e32 vcc_lo, v2, v2
	v_add3_u32 v1, v2, v1, 0x7fff
	s_delay_alu instid0(VALU_DEP_1) | instskip(SKIP_1) | instid1(VALU_DEP_1)
	v_lshrrev_b32_e32 v1, 16, v1
	s_wait_alu 0xfffd
	v_cndmask_b32_e32 v4, 0x7fc0, v1, vcc_lo
	s_delay_alu instid0(VALU_DEP_1) | instskip(NEXT) | instid1(VALU_DEP_1)
	v_lshlrev_b32_e32 v2, 16, v4
	v_max_num_f32_e32 v1, v2, v2
	s_delay_alu instid0(VALU_DEP_1) | instskip(SKIP_3) | instid1(VALU_DEP_3)
	v_min_num_f32_e32 v6, v1, v18
	v_max_num_f32_e32 v1, v1, v18
	v_cmp_u_f32_e32 vcc_lo, v2, v2
	s_wait_alu 0xfffd
	v_cndmask_b32_e32 v6, v6, v2, vcc_lo
	s_delay_alu instid0(VALU_DEP_3) | instskip(NEXT) | instid1(VALU_DEP_2)
	v_cndmask_b32_e32 v1, v1, v2, vcc_lo
	v_cndmask_b32_e64 v6, v6, v15, s6
	s_delay_alu instid0(VALU_DEP_2) | instskip(NEXT) | instid1(VALU_DEP_2)
	v_cndmask_b32_e64 v1, v1, v15, s6
	v_cmp_class_f32_e64 s1, v6, 0x1f8
	s_delay_alu instid0(VALU_DEP_2)
	v_cmp_neq_f32_e32 vcc_lo, v6, v1
	s_or_b32 s2, vcc_lo, s1
	s_wait_alu 0xfffe
	s_and_saveexec_b32 s1, s2
	s_cbranch_execz .LBB508_294
; %bb.293:
	v_sub_f32_e32 v2, v6, v1
	s_mov_b32 s2, 0x3e9b6dac
	s_delay_alu instid0(VALU_DEP_1) | instskip(SKIP_1) | instid1(VALU_DEP_2)
	v_mul_f32_e32 v6, 0x3fb8aa3b, v2
	v_cmp_ngt_f32_e32 vcc_lo, 0xc2ce8ed0, v2
	v_fma_f32 v15, 0x3fb8aa3b, v2, -v6
	v_rndne_f32_e32 v16, v6
	s_delay_alu instid0(VALU_DEP_2) | instskip(NEXT) | instid1(VALU_DEP_2)
	v_fmamk_f32 v15, v2, 0x32a5705f, v15
	v_sub_f32_e32 v6, v6, v16
	s_delay_alu instid0(VALU_DEP_1) | instskip(SKIP_1) | instid1(VALU_DEP_2)
	v_add_f32_e32 v6, v6, v15
	v_cvt_i32_f32_e32 v15, v16
	v_exp_f32_e32 v6, v6
	s_delay_alu instid0(TRANS32_DEP_1) | instskip(SKIP_1) | instid1(VALU_DEP_1)
	v_ldexp_f32 v6, v6, v15
	s_wait_alu 0xfffd
	v_cndmask_b32_e32 v6, 0, v6, vcc_lo
	v_cmp_nlt_f32_e32 vcc_lo, 0x42b17218, v2
	s_wait_alu 0xfffd
	s_delay_alu instid0(VALU_DEP_2) | instskip(NEXT) | instid1(VALU_DEP_1)
	v_cndmask_b32_e32 v2, 0x7f800000, v6, vcc_lo
	v_add_f32_e32 v6, 1.0, v2
	s_delay_alu instid0(VALU_DEP_1) | instskip(NEXT) | instid1(VALU_DEP_1)
	v_cvt_f64_f32_e32 v[15:16], v6
	v_frexp_exp_i32_f64_e32 v15, v[15:16]
	v_frexp_mant_f32_e32 v16, v6
	s_delay_alu instid0(VALU_DEP_1) | instskip(SKIP_1) | instid1(VALU_DEP_3)
	v_cmp_gt_f32_e32 vcc_lo, 0x3f2aaaab, v16
	s_wait_alu 0xfffd
	v_subrev_co_ci_u32_e64 v15, null, 0, v15, vcc_lo
	s_delay_alu instid0(VALU_DEP_1) | instskip(SKIP_2) | instid1(VALU_DEP_1)
	v_sub_nc_u32_e32 v17, 0, v15
	v_cvt_f32_i32_e32 v15, v15
	v_add_f32_e32 v16, -1.0, v6
	v_sub_f32_e32 v18, v16, v6
	v_sub_f32_e32 v16, v2, v16
	v_ldexp_f32 v6, v6, v17
	s_delay_alu instid0(VALU_DEP_3) | instskip(NEXT) | instid1(VALU_DEP_2)
	v_add_f32_e32 v18, 1.0, v18
	v_add_f32_e32 v26, 1.0, v6
	s_delay_alu instid0(VALU_DEP_2) | instskip(NEXT) | instid1(VALU_DEP_2)
	v_add_f32_e32 v16, v16, v18
	v_add_f32_e32 v18, -1.0, v26
	s_delay_alu instid0(VALU_DEP_2) | instskip(SKIP_1) | instid1(VALU_DEP_1)
	v_ldexp_f32 v16, v16, v17
	v_add_f32_e32 v17, -1.0, v6
	v_dual_sub_f32 v18, v6, v18 :: v_dual_add_f32 v27, 1.0, v17
	s_delay_alu instid0(VALU_DEP_1) | instskip(NEXT) | instid1(VALU_DEP_2)
	v_add_f32_e32 v18, v16, v18
	v_sub_f32_e32 v6, v6, v27
	s_delay_alu instid0(VALU_DEP_1) | instskip(NEXT) | instid1(VALU_DEP_1)
	v_add_f32_e32 v6, v16, v6
	v_add_f32_e32 v28, v17, v6
	s_delay_alu instid0(VALU_DEP_4) | instskip(NEXT) | instid1(VALU_DEP_2)
	v_add_f32_e32 v27, v26, v18
	v_sub_f32_e32 v17, v17, v28
	s_delay_alu instid0(VALU_DEP_2) | instskip(SKIP_2) | instid1(VALU_DEP_3)
	v_rcp_f32_e32 v16, v27
	v_sub_f32_e32 v26, v26, v27
	v_cmp_neq_f32_e32 vcc_lo, 0x7f800000, v2
	v_add_f32_e32 v6, v6, v17
	s_delay_alu instid0(TRANS32_DEP_1) | instid1(VALU_DEP_3)
	v_dual_add_f32 v18, v18, v26 :: v_dual_mul_f32 v29, v28, v16
	s_delay_alu instid0(VALU_DEP_1) | instskip(NEXT) | instid1(VALU_DEP_1)
	v_mul_f32_e32 v30, v27, v29
	v_fma_f32 v26, v29, v27, -v30
	s_delay_alu instid0(VALU_DEP_1) | instskip(NEXT) | instid1(VALU_DEP_1)
	v_fmac_f32_e32 v26, v29, v18
	v_add_f32_e32 v31, v30, v26
	s_delay_alu instid0(VALU_DEP_1) | instskip(NEXT) | instid1(VALU_DEP_1)
	v_sub_f32_e32 v32, v28, v31
	v_dual_sub_f32 v28, v28, v32 :: v_dual_sub_f32 v17, v31, v30
	s_delay_alu instid0(VALU_DEP_1) | instskip(NEXT) | instid1(VALU_DEP_1)
	v_dual_sub_f32 v28, v28, v31 :: v_dual_sub_f32 v17, v17, v26
	v_add_f32_e32 v6, v6, v28
	s_delay_alu instid0(VALU_DEP_1) | instskip(NEXT) | instid1(VALU_DEP_1)
	v_add_f32_e32 v6, v17, v6
	v_add_f32_e32 v17, v32, v6
	s_delay_alu instid0(VALU_DEP_1) | instskip(NEXT) | instid1(VALU_DEP_1)
	v_mul_f32_e32 v26, v16, v17
	v_dual_sub_f32 v31, v32, v17 :: v_dual_mul_f32 v28, v27, v26
	s_delay_alu instid0(VALU_DEP_1) | instskip(NEXT) | instid1(VALU_DEP_2)
	v_add_f32_e32 v6, v6, v31
	v_fma_f32 v27, v26, v27, -v28
	s_delay_alu instid0(VALU_DEP_1) | instskip(NEXT) | instid1(VALU_DEP_1)
	v_fmac_f32_e32 v27, v26, v18
	v_add_f32_e32 v18, v28, v27
	s_delay_alu instid0(VALU_DEP_1) | instskip(NEXT) | instid1(VALU_DEP_1)
	v_sub_f32_e32 v30, v17, v18
	v_dual_sub_f32 v28, v18, v28 :: v_dual_sub_f32 v17, v17, v30
	s_delay_alu instid0(VALU_DEP_1) | instskip(NEXT) | instid1(VALU_DEP_1)
	v_dual_sub_f32 v17, v17, v18 :: v_dual_sub_f32 v18, v28, v27
	v_dual_add_f32 v6, v6, v17 :: v_dual_add_f32 v17, v29, v26
	s_delay_alu instid0(VALU_DEP_1) | instskip(NEXT) | instid1(VALU_DEP_2)
	v_add_f32_e32 v6, v18, v6
	v_sub_f32_e32 v18, v17, v29
	s_delay_alu instid0(VALU_DEP_2) | instskip(NEXT) | instid1(VALU_DEP_2)
	v_add_f32_e32 v6, v30, v6
	v_sub_f32_e32 v18, v26, v18
	s_delay_alu instid0(VALU_DEP_2) | instskip(NEXT) | instid1(VALU_DEP_1)
	v_mul_f32_e32 v6, v16, v6
	v_add_f32_e32 v6, v18, v6
	s_delay_alu instid0(VALU_DEP_1) | instskip(NEXT) | instid1(VALU_DEP_1)
	v_add_f32_e32 v16, v17, v6
	v_mul_f32_e32 v18, v16, v16
	s_wait_alu 0xfffe
	s_delay_alu instid0(VALU_DEP_1) | instskip(SKIP_1) | instid1(VALU_DEP_2)
	v_fmaak_f32 v26, s2, v18, 0x3ecc95a3
	v_mul_f32_e32 v27, v16, v18
	v_fmaak_f32 v18, v18, v26, 0x3f2aaada
	v_ldexp_f32 v26, v16, 1
	s_delay_alu instid0(VALU_DEP_2) | instskip(SKIP_1) | instid1(VALU_DEP_2)
	v_mul_f32_e32 v18, v27, v18
	v_dual_sub_f32 v16, v16, v17 :: v_dual_mul_f32 v27, 0x3f317218, v15
	v_add_f32_e32 v17, v26, v18
	s_delay_alu instid0(VALU_DEP_2) | instskip(NEXT) | instid1(VALU_DEP_2)
	v_sub_f32_e32 v6, v6, v16
	v_sub_f32_e32 v16, v17, v26
	s_delay_alu instid0(VALU_DEP_4) | instskip(NEXT) | instid1(VALU_DEP_3)
	v_fma_f32 v26, 0x3f317218, v15, -v27
	v_ldexp_f32 v6, v6, 1
	s_delay_alu instid0(VALU_DEP_2) | instskip(NEXT) | instid1(VALU_DEP_1)
	v_dual_sub_f32 v16, v18, v16 :: v_dual_fmamk_f32 v15, v15, 0xb102e308, v26
	v_add_f32_e32 v6, v6, v16
	s_delay_alu instid0(VALU_DEP_2) | instskip(NEXT) | instid1(VALU_DEP_1)
	v_add_f32_e32 v16, v27, v15
	v_dual_add_f32 v18, v17, v6 :: v_dual_sub_f32 v27, v16, v27
	s_delay_alu instid0(VALU_DEP_1) | instskip(NEXT) | instid1(VALU_DEP_1)
	v_dual_add_f32 v26, v16, v18 :: v_dual_sub_f32 v17, v18, v17
	v_dual_sub_f32 v15, v15, v27 :: v_dual_sub_f32 v28, v26, v16
	s_delay_alu instid0(VALU_DEP_2) | instskip(NEXT) | instid1(VALU_DEP_2)
	v_sub_f32_e32 v6, v6, v17
	v_sub_f32_e32 v29, v26, v28
	s_delay_alu instid0(VALU_DEP_2) | instskip(NEXT) | instid1(VALU_DEP_2)
	v_dual_sub_f32 v17, v18, v28 :: v_dual_add_f32 v18, v15, v6
	v_sub_f32_e32 v16, v16, v29
	s_delay_alu instid0(VALU_DEP_1) | instskip(NEXT) | instid1(VALU_DEP_1)
	v_dual_add_f32 v16, v17, v16 :: v_dual_sub_f32 v17, v18, v15
	v_add_f32_e32 v16, v18, v16
	s_delay_alu instid0(VALU_DEP_2) | instskip(SKIP_1) | instid1(VALU_DEP_3)
	v_sub_f32_e32 v18, v18, v17
	v_sub_f32_e32 v6, v6, v17
	v_add_f32_e32 v27, v26, v16
	s_delay_alu instid0(VALU_DEP_3) | instskip(NEXT) | instid1(VALU_DEP_1)
	v_sub_f32_e32 v15, v15, v18
	v_dual_sub_f32 v17, v27, v26 :: v_dual_add_f32 v6, v6, v15
	s_delay_alu instid0(VALU_DEP_1) | instskip(NEXT) | instid1(VALU_DEP_1)
	v_sub_f32_e32 v15, v16, v17
	v_add_f32_e32 v6, v6, v15
	s_delay_alu instid0(VALU_DEP_1) | instskip(SKIP_1) | instid1(VALU_DEP_1)
	v_add_f32_e32 v6, v27, v6
	s_wait_alu 0xfffd
	v_cndmask_b32_e32 v6, 0x7f800000, v6, vcc_lo
	v_cmp_gt_f32_e64 vcc_lo, 0x33800000, |v2|
	s_wait_alu 0xfffd
	s_delay_alu instid0(VALU_DEP_2) | instskip(NEXT) | instid1(VALU_DEP_1)
	v_cndmask_b32_e32 v2, v6, v2, vcc_lo
	v_add_f32_e32 v2, v1, v2
.LBB508_294:
	s_wait_alu 0xfffe
	s_or_b32 exec_lo, exec_lo, s1
	s_delay_alu instid0(VALU_DEP_1) | instskip(SKIP_1) | instid1(VALU_DEP_2)
	v_bfe_u32 v1, v2, 16, 1
	v_cmp_o_f32_e32 vcc_lo, v2, v2
	v_add3_u32 v1, v2, v1, 0x7fff
	s_delay_alu instid0(VALU_DEP_1) | instskip(SKIP_1) | instid1(VALU_DEP_1)
	v_lshrrev_b32_e32 v1, 16, v1
	s_wait_alu 0xfffd
	v_cndmask_b32_e32 v27, 0x7fc0, v1, vcc_lo
	s_delay_alu instid0(VALU_DEP_1) | instskip(NEXT) | instid1(VALU_DEP_1)
	v_lshlrev_b32_e32 v2, 16, v27
	v_max_num_f32_e32 v1, v2, v2
	s_delay_alu instid0(VALU_DEP_1) | instskip(SKIP_3) | instid1(VALU_DEP_3)
	v_min_num_f32_e32 v6, v1, v20
	v_max_num_f32_e32 v1, v1, v20
	v_cmp_u_f32_e32 vcc_lo, v2, v2
	s_wait_alu 0xfffd
	v_cndmask_b32_e32 v6, v6, v2, vcc_lo
	s_delay_alu instid0(VALU_DEP_3) | instskip(NEXT) | instid1(VALU_DEP_2)
	v_cndmask_b32_e32 v1, v1, v2, vcc_lo
	v_cndmask_b32_e64 v6, v6, v14, s7
	s_delay_alu instid0(VALU_DEP_2) | instskip(NEXT) | instid1(VALU_DEP_2)
	v_cndmask_b32_e64 v1, v1, v14, s7
	v_cmp_class_f32_e64 s1, v6, 0x1f8
	s_delay_alu instid0(VALU_DEP_2)
	v_cmp_neq_f32_e32 vcc_lo, v6, v1
	s_or_b32 s2, vcc_lo, s1
	s_wait_alu 0xfffe
	s_and_saveexec_b32 s1, s2
	s_cbranch_execz .LBB508_296
; %bb.295:
	v_sub_f32_e32 v2, v6, v1
	s_mov_b32 s2, 0x3e9b6dac
	s_delay_alu instid0(VALU_DEP_1) | instskip(SKIP_1) | instid1(VALU_DEP_2)
	v_mul_f32_e32 v6, 0x3fb8aa3b, v2
	v_cmp_ngt_f32_e32 vcc_lo, 0xc2ce8ed0, v2
	v_fma_f32 v14, 0x3fb8aa3b, v2, -v6
	v_rndne_f32_e32 v15, v6
	s_delay_alu instid0(VALU_DEP_2) | instskip(NEXT) | instid1(VALU_DEP_2)
	v_fmamk_f32 v14, v2, 0x32a5705f, v14
	v_sub_f32_e32 v6, v6, v15
	s_delay_alu instid0(VALU_DEP_1) | instskip(SKIP_1) | instid1(VALU_DEP_2)
	v_add_f32_e32 v6, v6, v14
	v_cvt_i32_f32_e32 v14, v15
	v_exp_f32_e32 v6, v6
	s_delay_alu instid0(TRANS32_DEP_1) | instskip(SKIP_1) | instid1(VALU_DEP_1)
	v_ldexp_f32 v6, v6, v14
	s_wait_alu 0xfffd
	v_cndmask_b32_e32 v6, 0, v6, vcc_lo
	v_cmp_nlt_f32_e32 vcc_lo, 0x42b17218, v2
	s_wait_alu 0xfffd
	s_delay_alu instid0(VALU_DEP_2) | instskip(NEXT) | instid1(VALU_DEP_1)
	v_cndmask_b32_e32 v2, 0x7f800000, v6, vcc_lo
	v_add_f32_e32 v6, 1.0, v2
	s_delay_alu instid0(VALU_DEP_1) | instskip(NEXT) | instid1(VALU_DEP_1)
	v_cvt_f64_f32_e32 v[14:15], v6
	v_frexp_exp_i32_f64_e32 v14, v[14:15]
	v_frexp_mant_f32_e32 v15, v6
	s_delay_alu instid0(VALU_DEP_1) | instskip(SKIP_1) | instid1(VALU_DEP_1)
	v_cmp_gt_f32_e32 vcc_lo, 0x3f2aaaab, v15
	v_add_f32_e32 v15, -1.0, v6
	v_sub_f32_e32 v17, v15, v6
	v_sub_f32_e32 v15, v2, v15
	s_delay_alu instid0(VALU_DEP_2) | instskip(NEXT) | instid1(VALU_DEP_1)
	v_add_f32_e32 v17, 1.0, v17
	v_add_f32_e32 v15, v15, v17
	s_wait_alu 0xfffd
	v_subrev_co_ci_u32_e64 v14, null, 0, v14, vcc_lo
	s_delay_alu instid0(VALU_DEP_1) | instskip(SKIP_1) | instid1(VALU_DEP_2)
	v_sub_nc_u32_e32 v16, 0, v14
	v_cvt_f32_i32_e32 v14, v14
	v_ldexp_f32 v6, v6, v16
	v_ldexp_f32 v15, v15, v16
	s_delay_alu instid0(VALU_DEP_2) | instskip(SKIP_1) | instid1(VALU_DEP_1)
	v_add_f32_e32 v18, 1.0, v6
	v_add_f32_e32 v16, -1.0, v6
	v_dual_add_f32 v17, -1.0, v18 :: v_dual_add_f32 v20, 1.0, v16
	s_delay_alu instid0(VALU_DEP_1) | instskip(SKIP_1) | instid1(VALU_DEP_2)
	v_sub_f32_e32 v17, v6, v17
	v_cmp_neq_f32_e32 vcc_lo, 0x7f800000, v2
	v_dual_add_f32 v17, v15, v17 :: v_dual_sub_f32 v6, v6, v20
	s_delay_alu instid0(VALU_DEP_1) | instskip(NEXT) | instid1(VALU_DEP_1)
	v_add_f32_e32 v20, v18, v17
	v_sub_f32_e32 v18, v18, v20
	s_delay_alu instid0(VALU_DEP_1) | instskip(NEXT) | instid1(VALU_DEP_4)
	v_add_f32_e32 v17, v17, v18
	v_add_f32_e32 v6, v15, v6
	v_rcp_f32_e32 v15, v20
	s_delay_alu instid0(VALU_DEP_1) | instskip(NEXT) | instid1(VALU_DEP_1)
	v_add_f32_e32 v26, v16, v6
	v_sub_f32_e32 v16, v16, v26
	s_delay_alu instid0(TRANS32_DEP_1) | instskip(NEXT) | instid1(VALU_DEP_2)
	v_mul_f32_e32 v28, v26, v15
	v_add_f32_e32 v6, v6, v16
	s_delay_alu instid0(VALU_DEP_2) | instskip(NEXT) | instid1(VALU_DEP_1)
	v_mul_f32_e32 v29, v20, v28
	v_fma_f32 v18, v28, v20, -v29
	s_delay_alu instid0(VALU_DEP_1) | instskip(NEXT) | instid1(VALU_DEP_1)
	v_fmac_f32_e32 v18, v28, v17
	v_add_f32_e32 v30, v29, v18
	s_delay_alu instid0(VALU_DEP_1) | instskip(SKIP_1) | instid1(VALU_DEP_2)
	v_sub_f32_e32 v31, v26, v30
	v_sub_f32_e32 v16, v30, v29
	;; [unrolled: 1-line block ×3, first 2 shown]
	s_delay_alu instid0(VALU_DEP_2) | instskip(NEXT) | instid1(VALU_DEP_2)
	v_sub_f32_e32 v16, v16, v18
	v_sub_f32_e32 v26, v26, v30
	s_delay_alu instid0(VALU_DEP_1) | instskip(NEXT) | instid1(VALU_DEP_1)
	v_add_f32_e32 v6, v6, v26
	v_add_f32_e32 v6, v16, v6
	s_delay_alu instid0(VALU_DEP_1) | instskip(NEXT) | instid1(VALU_DEP_1)
	v_add_f32_e32 v16, v31, v6
	v_mul_f32_e32 v18, v15, v16
	v_sub_f32_e32 v30, v31, v16
	s_delay_alu instid0(VALU_DEP_2) | instskip(NEXT) | instid1(VALU_DEP_2)
	v_mul_f32_e32 v26, v20, v18
	v_add_f32_e32 v6, v6, v30
	s_delay_alu instid0(VALU_DEP_2) | instskip(NEXT) | instid1(VALU_DEP_1)
	v_fma_f32 v20, v18, v20, -v26
	v_fmac_f32_e32 v20, v18, v17
	s_delay_alu instid0(VALU_DEP_1) | instskip(NEXT) | instid1(VALU_DEP_1)
	v_add_f32_e32 v17, v26, v20
	v_dual_sub_f32 v29, v16, v17 :: v_dual_sub_f32 v26, v17, v26
	s_delay_alu instid0(VALU_DEP_1) | instskip(NEXT) | instid1(VALU_DEP_1)
	v_sub_f32_e32 v16, v16, v29
	v_dual_sub_f32 v16, v16, v17 :: v_dual_sub_f32 v17, v26, v20
	s_delay_alu instid0(VALU_DEP_1) | instskip(SKIP_1) | instid1(VALU_DEP_1)
	v_add_f32_e32 v6, v6, v16
	v_add_f32_e32 v16, v28, v18
	v_dual_add_f32 v6, v17, v6 :: v_dual_sub_f32 v17, v16, v28
	s_delay_alu instid0(VALU_DEP_1) | instskip(NEXT) | instid1(VALU_DEP_1)
	v_dual_add_f32 v6, v29, v6 :: v_dual_sub_f32 v17, v18, v17
	v_mul_f32_e32 v6, v15, v6
	s_delay_alu instid0(VALU_DEP_1) | instskip(NEXT) | instid1(VALU_DEP_1)
	v_add_f32_e32 v6, v17, v6
	v_add_f32_e32 v15, v16, v6
	s_delay_alu instid0(VALU_DEP_1) | instskip(SKIP_1) | instid1(VALU_DEP_1)
	v_mul_f32_e32 v17, v15, v15
	s_wait_alu 0xfffe
	v_fmaak_f32 v18, s2, v17, 0x3ecc95a3
	s_delay_alu instid0(VALU_DEP_1) | instskip(SKIP_2) | instid1(VALU_DEP_3)
	v_dual_mul_f32 v20, v15, v17 :: v_dual_fmaak_f32 v17, v17, v18, 0x3f2aaada
	v_ldexp_f32 v18, v15, 1
	v_sub_f32_e32 v15, v15, v16
	v_dual_mul_f32 v17, v20, v17 :: v_dual_mul_f32 v20, 0x3f317218, v14
	s_delay_alu instid0(VALU_DEP_2) | instskip(NEXT) | instid1(VALU_DEP_2)
	v_sub_f32_e32 v6, v6, v15
	v_add_f32_e32 v16, v18, v17
	s_delay_alu instid0(VALU_DEP_2) | instskip(NEXT) | instid1(VALU_DEP_2)
	v_ldexp_f32 v6, v6, 1
	v_sub_f32_e32 v15, v16, v18
	v_fma_f32 v18, 0x3f317218, v14, -v20
	s_delay_alu instid0(VALU_DEP_1) | instskip(NEXT) | instid1(VALU_DEP_1)
	v_dual_sub_f32 v15, v17, v15 :: v_dual_fmamk_f32 v14, v14, 0xb102e308, v18
	v_dual_add_f32 v6, v6, v15 :: v_dual_add_f32 v15, v20, v14
	s_delay_alu instid0(VALU_DEP_1) | instskip(NEXT) | instid1(VALU_DEP_1)
	v_dual_add_f32 v17, v16, v6 :: v_dual_sub_f32 v20, v15, v20
	v_add_f32_e32 v18, v15, v17
	v_sub_f32_e32 v16, v17, v16
	s_delay_alu instid0(VALU_DEP_3) | instskip(NEXT) | instid1(VALU_DEP_3)
	v_sub_f32_e32 v14, v14, v20
	v_sub_f32_e32 v26, v18, v15
	s_delay_alu instid0(VALU_DEP_3) | instskip(NEXT) | instid1(VALU_DEP_2)
	v_sub_f32_e32 v6, v6, v16
	v_sub_f32_e32 v28, v18, v26
	;; [unrolled: 1-line block ×3, first 2 shown]
	s_delay_alu instid0(VALU_DEP_3) | instskip(NEXT) | instid1(VALU_DEP_3)
	v_add_f32_e32 v17, v14, v6
	v_sub_f32_e32 v15, v15, v28
	s_delay_alu instid0(VALU_DEP_1) | instskip(NEXT) | instid1(VALU_DEP_1)
	v_dual_add_f32 v15, v16, v15 :: v_dual_sub_f32 v16, v17, v14
	v_add_f32_e32 v15, v17, v15
	s_delay_alu instid0(VALU_DEP_2) | instskip(SKIP_1) | instid1(VALU_DEP_3)
	v_sub_f32_e32 v17, v17, v16
	v_sub_f32_e32 v6, v6, v16
	v_add_f32_e32 v20, v18, v15
	s_delay_alu instid0(VALU_DEP_3) | instskip(NEXT) | instid1(VALU_DEP_2)
	v_sub_f32_e32 v14, v14, v17
	v_sub_f32_e32 v16, v20, v18
	s_delay_alu instid0(VALU_DEP_2) | instskip(NEXT) | instid1(VALU_DEP_2)
	v_add_f32_e32 v6, v6, v14
	v_sub_f32_e32 v14, v15, v16
	s_delay_alu instid0(VALU_DEP_1) | instskip(NEXT) | instid1(VALU_DEP_1)
	v_add_f32_e32 v6, v6, v14
	v_add_f32_e32 v6, v20, v6
	s_wait_alu 0xfffd
	s_delay_alu instid0(VALU_DEP_1) | instskip(SKIP_2) | instid1(VALU_DEP_2)
	v_cndmask_b32_e32 v6, 0x7f800000, v6, vcc_lo
	v_cmp_gt_f32_e64 vcc_lo, 0x33800000, |v2|
	s_wait_alu 0xfffd
	v_cndmask_b32_e32 v2, v6, v2, vcc_lo
	s_delay_alu instid0(VALU_DEP_1)
	v_add_f32_e32 v2, v1, v2
.LBB508_296:
	s_wait_alu 0xfffe
	s_or_b32 exec_lo, exec_lo, s1
	s_delay_alu instid0(VALU_DEP_1) | instskip(SKIP_1) | instid1(VALU_DEP_2)
	v_bfe_u32 v1, v2, 16, 1
	v_cmp_o_f32_e32 vcc_lo, v2, v2
	v_add3_u32 v1, v2, v1, 0x7fff
	s_delay_alu instid0(VALU_DEP_1) | instskip(SKIP_1) | instid1(VALU_DEP_1)
	v_lshrrev_b32_e32 v1, 16, v1
	s_wait_alu 0xfffd
	v_cndmask_b32_e32 v2, 0x7fc0, v1, vcc_lo
	s_delay_alu instid0(VALU_DEP_1) | instskip(NEXT) | instid1(VALU_DEP_1)
	v_lshlrev_b32_e32 v6, 16, v2
	v_max_num_f32_e32 v1, v6, v6
	s_delay_alu instid0(VALU_DEP_1) | instskip(SKIP_3) | instid1(VALU_DEP_3)
	v_min_num_f32_e32 v14, v1, v21
	v_max_num_f32_e32 v1, v1, v21
	v_cmp_u_f32_e32 vcc_lo, v6, v6
	s_wait_alu 0xfffd
	v_cndmask_b32_e32 v14, v14, v6, vcc_lo
	s_delay_alu instid0(VALU_DEP_3) | instskip(NEXT) | instid1(VALU_DEP_2)
	v_cndmask_b32_e32 v1, v1, v6, vcc_lo
	v_cndmask_b32_e64 v14, v14, v13, s8
	s_delay_alu instid0(VALU_DEP_2) | instskip(NEXT) | instid1(VALU_DEP_2)
	v_cndmask_b32_e64 v1, v1, v13, s8
	v_cmp_class_f32_e64 s1, v14, 0x1f8
	s_delay_alu instid0(VALU_DEP_2)
	v_cmp_neq_f32_e32 vcc_lo, v14, v1
	s_or_b32 s2, vcc_lo, s1
	s_wait_alu 0xfffe
	s_and_saveexec_b32 s1, s2
	s_cbranch_execz .LBB508_298
; %bb.297:
	v_sub_f32_e32 v6, v14, v1
	s_mov_b32 s2, 0x3e9b6dac
	s_delay_alu instid0(VALU_DEP_1) | instskip(NEXT) | instid1(VALU_DEP_1)
	v_mul_f32_e32 v13, 0x3fb8aa3b, v6
	v_fma_f32 v14, 0x3fb8aa3b, v6, -v13
	v_rndne_f32_e32 v15, v13
	s_delay_alu instid0(VALU_DEP_1) | instskip(SKIP_1) | instid1(VALU_DEP_4)
	v_sub_f32_e32 v13, v13, v15
	v_cmp_ngt_f32_e32 vcc_lo, 0xc2ce8ed0, v6
	v_fmamk_f32 v14, v6, 0x32a5705f, v14
	s_delay_alu instid0(VALU_DEP_1) | instskip(SKIP_1) | instid1(VALU_DEP_2)
	v_add_f32_e32 v13, v13, v14
	v_cvt_i32_f32_e32 v14, v15
	v_exp_f32_e32 v13, v13
	s_delay_alu instid0(TRANS32_DEP_1) | instskip(SKIP_1) | instid1(VALU_DEP_1)
	v_ldexp_f32 v13, v13, v14
	s_wait_alu 0xfffd
	v_cndmask_b32_e32 v13, 0, v13, vcc_lo
	v_cmp_nlt_f32_e32 vcc_lo, 0x42b17218, v6
	s_wait_alu 0xfffd
	s_delay_alu instid0(VALU_DEP_2) | instskip(NEXT) | instid1(VALU_DEP_1)
	v_cndmask_b32_e32 v6, 0x7f800000, v13, vcc_lo
	v_add_f32_e32 v15, 1.0, v6
	s_delay_alu instid0(VALU_DEP_1) | instskip(NEXT) | instid1(VALU_DEP_1)
	v_cvt_f64_f32_e32 v[13:14], v15
	v_frexp_exp_i32_f64_e32 v13, v[13:14]
	v_frexp_mant_f32_e32 v14, v15
	s_delay_alu instid0(VALU_DEP_1) | instskip(SKIP_1) | instid1(VALU_DEP_1)
	v_cmp_gt_f32_e32 vcc_lo, 0x3f2aaaab, v14
	v_add_f32_e32 v14, -1.0, v15
	v_sub_f32_e32 v17, v14, v15
	s_delay_alu instid0(VALU_DEP_1) | instskip(NEXT) | instid1(VALU_DEP_1)
	v_dual_sub_f32 v14, v6, v14 :: v_dual_add_f32 v17, 1.0, v17
	v_add_f32_e32 v14, v14, v17
	s_wait_alu 0xfffd
	v_subrev_co_ci_u32_e64 v13, null, 0, v13, vcc_lo
	v_cmp_neq_f32_e32 vcc_lo, 0x7f800000, v6
	s_delay_alu instid0(VALU_DEP_2) | instskip(SKIP_1) | instid1(VALU_DEP_2)
	v_sub_nc_u32_e32 v16, 0, v13
	v_cvt_f32_i32_e32 v13, v13
	v_ldexp_f32 v15, v15, v16
	v_ldexp_f32 v14, v14, v16
	s_delay_alu instid0(VALU_DEP_2) | instskip(NEXT) | instid1(VALU_DEP_1)
	v_add_f32_e32 v18, 1.0, v15
	v_dual_add_f32 v16, -1.0, v15 :: v_dual_add_f32 v17, -1.0, v18
	s_delay_alu instid0(VALU_DEP_1) | instskip(NEXT) | instid1(VALU_DEP_1)
	v_dual_add_f32 v20, 1.0, v16 :: v_dual_sub_f32 v17, v15, v17
	v_add_f32_e32 v17, v14, v17
	s_delay_alu instid0(VALU_DEP_1) | instskip(NEXT) | instid1(VALU_DEP_1)
	v_dual_sub_f32 v15, v15, v20 :: v_dual_add_f32 v20, v18, v17
	v_sub_f32_e32 v18, v18, v20
	s_delay_alu instid0(VALU_DEP_2) | instskip(SKIP_1) | instid1(VALU_DEP_1)
	v_add_f32_e32 v14, v14, v15
	v_rcp_f32_e32 v15, v20
	v_add_f32_e32 v21, v16, v14
	s_delay_alu instid0(TRANS32_DEP_1) | instid1(VALU_DEP_1)
	v_mul_f32_e32 v26, v21, v15
	v_add_f32_e32 v17, v17, v18
	s_delay_alu instid0(VALU_DEP_2) | instskip(NEXT) | instid1(VALU_DEP_1)
	v_mul_f32_e32 v28, v20, v26
	v_fma_f32 v18, v26, v20, -v28
	s_delay_alu instid0(VALU_DEP_1) | instskip(SKIP_1) | instid1(VALU_DEP_1)
	v_fmac_f32_e32 v18, v26, v17
	v_sub_f32_e32 v16, v16, v21
	v_dual_add_f32 v29, v28, v18 :: v_dual_add_f32 v14, v14, v16
	s_delay_alu instid0(VALU_DEP_1) | instskip(NEXT) | instid1(VALU_DEP_1)
	v_sub_f32_e32 v30, v21, v29
	v_sub_f32_e32 v21, v21, v30
	s_delay_alu instid0(VALU_DEP_1) | instskip(SKIP_1) | instid1(VALU_DEP_2)
	v_sub_f32_e32 v21, v21, v29
	v_sub_f32_e32 v16, v29, v28
	v_add_f32_e32 v14, v14, v21
	s_delay_alu instid0(VALU_DEP_2) | instskip(NEXT) | instid1(VALU_DEP_1)
	v_sub_f32_e32 v16, v16, v18
	v_add_f32_e32 v14, v16, v14
	s_delay_alu instid0(VALU_DEP_1) | instskip(NEXT) | instid1(VALU_DEP_1)
	v_add_f32_e32 v16, v30, v14
	v_mul_f32_e32 v18, v15, v16
	s_delay_alu instid0(VALU_DEP_1) | instskip(SKIP_1) | instid1(VALU_DEP_2)
	v_mul_f32_e32 v21, v20, v18
	v_sub_f32_e32 v29, v30, v16
	v_fma_f32 v20, v18, v20, -v21
	s_delay_alu instid0(VALU_DEP_2) | instskip(NEXT) | instid1(VALU_DEP_2)
	v_add_f32_e32 v14, v14, v29
	v_fmac_f32_e32 v20, v18, v17
	s_delay_alu instid0(VALU_DEP_1) | instskip(NEXT) | instid1(VALU_DEP_1)
	v_add_f32_e32 v17, v21, v20
	v_sub_f32_e32 v28, v16, v17
	s_delay_alu instid0(VALU_DEP_1) | instskip(NEXT) | instid1(VALU_DEP_1)
	v_dual_sub_f32 v21, v17, v21 :: v_dual_sub_f32 v16, v16, v28
	v_dual_sub_f32 v16, v16, v17 :: v_dual_sub_f32 v17, v21, v20
	s_delay_alu instid0(VALU_DEP_1) | instskip(SKIP_1) | instid1(VALU_DEP_2)
	v_add_f32_e32 v14, v14, v16
	v_add_f32_e32 v16, v26, v18
	;; [unrolled: 1-line block ×3, first 2 shown]
	s_delay_alu instid0(VALU_DEP_2) | instskip(NEXT) | instid1(VALU_DEP_1)
	v_sub_f32_e32 v17, v16, v26
	v_dual_add_f32 v14, v28, v14 :: v_dual_sub_f32 v17, v18, v17
	s_delay_alu instid0(VALU_DEP_1) | instskip(NEXT) | instid1(VALU_DEP_1)
	v_mul_f32_e32 v14, v15, v14
	v_add_f32_e32 v14, v17, v14
	s_delay_alu instid0(VALU_DEP_1) | instskip(NEXT) | instid1(VALU_DEP_1)
	v_add_f32_e32 v15, v16, v14
	v_mul_f32_e32 v17, v15, v15
	s_wait_alu 0xfffe
	s_delay_alu instid0(VALU_DEP_1) | instskip(NEXT) | instid1(VALU_DEP_1)
	v_fmaak_f32 v18, s2, v17, 0x3ecc95a3
	v_dual_mul_f32 v20, v15, v17 :: v_dual_fmaak_f32 v17, v17, v18, 0x3f2aaada
	v_ldexp_f32 v18, v15, 1
	v_sub_f32_e32 v15, v15, v16
	s_delay_alu instid0(VALU_DEP_3) | instskip(SKIP_1) | instid1(VALU_DEP_3)
	v_mul_f32_e32 v17, v20, v17
	v_mul_f32_e32 v20, 0x3f317218, v13
	v_sub_f32_e32 v14, v14, v15
	s_delay_alu instid0(VALU_DEP_3) | instskip(NEXT) | instid1(VALU_DEP_2)
	v_add_f32_e32 v16, v18, v17
	v_ldexp_f32 v14, v14, 1
	s_delay_alu instid0(VALU_DEP_2) | instskip(SKIP_1) | instid1(VALU_DEP_2)
	v_sub_f32_e32 v15, v16, v18
	v_fma_f32 v18, 0x3f317218, v13, -v20
	v_sub_f32_e32 v15, v17, v15
	s_delay_alu instid0(VALU_DEP_1) | instskip(NEXT) | instid1(VALU_DEP_1)
	v_dual_fmamk_f32 v13, v13, 0xb102e308, v18 :: v_dual_add_f32 v14, v14, v15
	v_add_f32_e32 v15, v20, v13
	s_delay_alu instid0(VALU_DEP_1) | instskip(NEXT) | instid1(VALU_DEP_1)
	v_dual_add_f32 v17, v16, v14 :: v_dual_sub_f32 v20, v15, v20
	v_dual_add_f32 v18, v15, v17 :: v_dual_sub_f32 v13, v13, v20
	s_delay_alu instid0(VALU_DEP_1) | instskip(NEXT) | instid1(VALU_DEP_1)
	v_sub_f32_e32 v21, v18, v15
	v_sub_f32_e32 v26, v18, v21
	s_delay_alu instid0(VALU_DEP_1) | instskip(NEXT) | instid1(VALU_DEP_1)
	v_dual_sub_f32 v15, v15, v26 :: v_dual_sub_f32 v16, v17, v16
	v_sub_f32_e32 v14, v14, v16
	v_sub_f32_e32 v16, v17, v21
	s_delay_alu instid0(VALU_DEP_2) | instskip(NEXT) | instid1(VALU_DEP_1)
	v_add_f32_e32 v17, v13, v14
	v_dual_add_f32 v15, v16, v15 :: v_dual_sub_f32 v16, v17, v13
	s_delay_alu instid0(VALU_DEP_1) | instskip(NEXT) | instid1(VALU_DEP_1)
	v_add_f32_e32 v15, v17, v15
	v_dual_sub_f32 v17, v17, v16 :: v_dual_add_f32 v20, v18, v15
	s_delay_alu instid0(VALU_DEP_1) | instskip(NEXT) | instid1(VALU_DEP_1)
	v_dual_sub_f32 v14, v14, v16 :: v_dual_sub_f32 v13, v13, v17
	v_dual_sub_f32 v16, v20, v18 :: v_dual_add_f32 v13, v14, v13
	s_delay_alu instid0(VALU_DEP_1) | instskip(NEXT) | instid1(VALU_DEP_1)
	v_sub_f32_e32 v14, v15, v16
	v_add_f32_e32 v13, v13, v14
	s_delay_alu instid0(VALU_DEP_1) | instskip(SKIP_1) | instid1(VALU_DEP_1)
	v_add_f32_e32 v13, v20, v13
	s_wait_alu 0xfffd
	v_cndmask_b32_e32 v13, 0x7f800000, v13, vcc_lo
	v_cmp_gt_f32_e64 vcc_lo, 0x33800000, |v6|
	s_wait_alu 0xfffd
	s_delay_alu instid0(VALU_DEP_2) | instskip(NEXT) | instid1(VALU_DEP_1)
	v_cndmask_b32_e32 v6, v13, v6, vcc_lo
	v_add_f32_e32 v6, v1, v6
.LBB508_298:
	s_wait_alu 0xfffe
	s_or_b32 exec_lo, exec_lo, s1
	s_delay_alu instid0(VALU_DEP_1) | instskip(SKIP_1) | instid1(VALU_DEP_2)
	v_bfe_u32 v1, v6, 16, 1
	v_cmp_o_f32_e32 vcc_lo, v6, v6
	v_add3_u32 v1, v6, v1, 0x7fff
	s_delay_alu instid0(VALU_DEP_1) | instskip(SKIP_1) | instid1(VALU_DEP_1)
	v_lshrrev_b32_e32 v1, 16, v1
	s_wait_alu 0xfffd
	v_cndmask_b32_e32 v20, 0x7fc0, v1, vcc_lo
	s_delay_alu instid0(VALU_DEP_1) | instskip(NEXT) | instid1(VALU_DEP_1)
	v_lshlrev_b32_e32 v6, 16, v20
	v_max_num_f32_e32 v1, v6, v6
	s_delay_alu instid0(VALU_DEP_1) | instskip(SKIP_3) | instid1(VALU_DEP_3)
	v_min_num_f32_e32 v13, v1, v22
	v_max_num_f32_e32 v1, v1, v22
	v_cmp_u_f32_e32 vcc_lo, v6, v6
	s_wait_alu 0xfffd
	v_cndmask_b32_e32 v13, v13, v6, vcc_lo
	s_delay_alu instid0(VALU_DEP_3) | instskip(NEXT) | instid1(VALU_DEP_2)
	v_cndmask_b32_e32 v1, v1, v6, vcc_lo
	v_cndmask_b32_e64 v13, v13, v12, s9
	s_delay_alu instid0(VALU_DEP_2) | instskip(NEXT) | instid1(VALU_DEP_2)
	v_cndmask_b32_e64 v1, v1, v12, s9
	v_cmp_class_f32_e64 s1, v13, 0x1f8
	s_delay_alu instid0(VALU_DEP_2)
	v_cmp_neq_f32_e32 vcc_lo, v13, v1
	s_or_b32 s2, vcc_lo, s1
	s_wait_alu 0xfffe
	s_and_saveexec_b32 s1, s2
	s_cbranch_execz .LBB508_300
; %bb.299:
	v_sub_f32_e32 v6, v13, v1
	s_mov_b32 s2, 0x3e9b6dac
	s_delay_alu instid0(VALU_DEP_1) | instskip(SKIP_1) | instid1(VALU_DEP_2)
	v_mul_f32_e32 v12, 0x3fb8aa3b, v6
	v_cmp_ngt_f32_e32 vcc_lo, 0xc2ce8ed0, v6
	v_fma_f32 v13, 0x3fb8aa3b, v6, -v12
	v_rndne_f32_e32 v14, v12
	s_delay_alu instid0(VALU_DEP_1) | instskip(NEXT) | instid1(VALU_DEP_1)
	v_dual_fmamk_f32 v13, v6, 0x32a5705f, v13 :: v_dual_sub_f32 v12, v12, v14
	v_add_f32_e32 v12, v12, v13
	v_cvt_i32_f32_e32 v13, v14
	s_delay_alu instid0(VALU_DEP_2) | instskip(NEXT) | instid1(TRANS32_DEP_1)
	v_exp_f32_e32 v12, v12
	v_ldexp_f32 v12, v12, v13
	s_wait_alu 0xfffd
	s_delay_alu instid0(VALU_DEP_1) | instskip(SKIP_2) | instid1(VALU_DEP_2)
	v_cndmask_b32_e32 v12, 0, v12, vcc_lo
	v_cmp_nlt_f32_e32 vcc_lo, 0x42b17218, v6
	s_wait_alu 0xfffd
	v_cndmask_b32_e32 v6, 0x7f800000, v12, vcc_lo
	s_delay_alu instid0(VALU_DEP_1) | instskip(NEXT) | instid1(VALU_DEP_1)
	v_add_f32_e32 v14, 1.0, v6
	v_cvt_f64_f32_e32 v[12:13], v14
	s_delay_alu instid0(VALU_DEP_1) | instskip(SKIP_1) | instid1(VALU_DEP_1)
	v_frexp_exp_i32_f64_e32 v12, v[12:13]
	v_frexp_mant_f32_e32 v13, v14
	v_cmp_gt_f32_e32 vcc_lo, 0x3f2aaaab, v13
	v_add_f32_e32 v13, -1.0, v14
	s_delay_alu instid0(VALU_DEP_1) | instskip(NEXT) | instid1(VALU_DEP_1)
	v_dual_sub_f32 v16, v13, v14 :: v_dual_sub_f32 v13, v6, v13
	v_add_f32_e32 v16, 1.0, v16
	s_delay_alu instid0(VALU_DEP_1) | instskip(SKIP_2) | instid1(VALU_DEP_1)
	v_add_f32_e32 v13, v13, v16
	s_wait_alu 0xfffd
	v_subrev_co_ci_u32_e64 v12, null, 0, v12, vcc_lo
	v_sub_nc_u32_e32 v15, 0, v12
	v_cvt_f32_i32_e32 v12, v12
	s_delay_alu instid0(VALU_DEP_2) | instskip(SKIP_1) | instid1(VALU_DEP_2)
	v_ldexp_f32 v14, v14, v15
	v_ldexp_f32 v13, v13, v15
	v_add_f32_e32 v17, 1.0, v14
	s_delay_alu instid0(VALU_DEP_1) | instskip(NEXT) | instid1(VALU_DEP_1)
	v_dual_add_f32 v15, -1.0, v14 :: v_dual_add_f32 v16, -1.0, v17
	v_add_f32_e32 v18, 1.0, v15
	s_delay_alu instid0(VALU_DEP_2) | instskip(NEXT) | instid1(VALU_DEP_2)
	v_sub_f32_e32 v16, v14, v16
	v_sub_f32_e32 v14, v14, v18
	s_delay_alu instid0(VALU_DEP_2) | instskip(NEXT) | instid1(VALU_DEP_2)
	v_add_f32_e32 v16, v13, v16
	v_add_f32_e32 v13, v13, v14
	v_cmp_neq_f32_e32 vcc_lo, 0x7f800000, v6
	s_delay_alu instid0(VALU_DEP_2) | instskip(NEXT) | instid1(VALU_DEP_1)
	v_dual_add_f32 v18, v17, v16 :: v_dual_add_f32 v21, v15, v13
	v_rcp_f32_e32 v14, v18
	v_sub_f32_e32 v17, v17, v18
	s_delay_alu instid0(VALU_DEP_2) | instskip(NEXT) | instid1(VALU_DEP_1)
	v_sub_f32_e32 v15, v15, v21
	v_dual_add_f32 v16, v16, v17 :: v_dual_add_f32 v13, v13, v15
	s_delay_alu instid0(TRANS32_DEP_1) | instskip(NEXT) | instid1(VALU_DEP_1)
	v_mul_f32_e32 v22, v21, v14
	v_mul_f32_e32 v26, v18, v22
	s_delay_alu instid0(VALU_DEP_1) | instskip(NEXT) | instid1(VALU_DEP_1)
	v_fma_f32 v17, v22, v18, -v26
	v_fmac_f32_e32 v17, v22, v16
	s_delay_alu instid0(VALU_DEP_1) | instskip(NEXT) | instid1(VALU_DEP_1)
	v_add_f32_e32 v28, v26, v17
	v_sub_f32_e32 v29, v21, v28
	v_sub_f32_e32 v15, v28, v26
	s_delay_alu instid0(VALU_DEP_2) | instskip(NEXT) | instid1(VALU_DEP_2)
	v_sub_f32_e32 v21, v21, v29
	v_sub_f32_e32 v15, v15, v17
	s_delay_alu instid0(VALU_DEP_2) | instskip(NEXT) | instid1(VALU_DEP_1)
	v_sub_f32_e32 v21, v21, v28
	v_add_f32_e32 v13, v13, v21
	s_delay_alu instid0(VALU_DEP_1) | instskip(NEXT) | instid1(VALU_DEP_1)
	v_add_f32_e32 v13, v15, v13
	v_add_f32_e32 v15, v29, v13
	s_delay_alu instid0(VALU_DEP_1) | instskip(NEXT) | instid1(VALU_DEP_1)
	v_mul_f32_e32 v17, v14, v15
	v_mul_f32_e32 v21, v18, v17
	s_delay_alu instid0(VALU_DEP_1) | instskip(NEXT) | instid1(VALU_DEP_1)
	v_fma_f32 v18, v17, v18, -v21
	v_fmac_f32_e32 v18, v17, v16
	s_delay_alu instid0(VALU_DEP_1) | instskip(NEXT) | instid1(VALU_DEP_1)
	v_add_f32_e32 v16, v21, v18
	v_dual_sub_f32 v28, v29, v15 :: v_dual_sub_f32 v21, v16, v21
	v_sub_f32_e32 v26, v15, v16
	s_delay_alu instid0(VALU_DEP_2) | instskip(NEXT) | instid1(VALU_DEP_2)
	v_add_f32_e32 v13, v13, v28
	v_sub_f32_e32 v15, v15, v26
	s_delay_alu instid0(VALU_DEP_1) | instskip(NEXT) | instid1(VALU_DEP_1)
	v_dual_sub_f32 v15, v15, v16 :: v_dual_sub_f32 v16, v21, v18
	v_add_f32_e32 v13, v13, v15
	v_add_f32_e32 v15, v22, v17
	s_delay_alu instid0(VALU_DEP_1) | instskip(NEXT) | instid1(VALU_DEP_1)
	v_dual_add_f32 v13, v16, v13 :: v_dual_sub_f32 v16, v15, v22
	v_dual_add_f32 v13, v26, v13 :: v_dual_sub_f32 v16, v17, v16
	s_delay_alu instid0(VALU_DEP_1) | instskip(NEXT) | instid1(VALU_DEP_1)
	v_mul_f32_e32 v13, v14, v13
	v_add_f32_e32 v13, v16, v13
	s_delay_alu instid0(VALU_DEP_1) | instskip(NEXT) | instid1(VALU_DEP_1)
	v_add_f32_e32 v14, v15, v13
	v_mul_f32_e32 v16, v14, v14
	s_wait_alu 0xfffe
	s_delay_alu instid0(VALU_DEP_1) | instskip(SKIP_1) | instid1(VALU_DEP_2)
	v_fmaak_f32 v17, s2, v16, 0x3ecc95a3
	v_mul_f32_e32 v18, v14, v16
	v_fmaak_f32 v16, v16, v17, 0x3f2aaada
	v_ldexp_f32 v17, v14, 1
	v_sub_f32_e32 v14, v14, v15
	s_delay_alu instid0(VALU_DEP_1) | instskip(SKIP_1) | instid1(VALU_DEP_2)
	v_dual_sub_f32 v13, v13, v14 :: v_dual_mul_f32 v16, v18, v16
	v_mul_f32_e32 v18, 0x3f317218, v12
	v_ldexp_f32 v13, v13, 1
	s_delay_alu instid0(VALU_DEP_3) | instskip(NEXT) | instid1(VALU_DEP_1)
	v_add_f32_e32 v15, v17, v16
	v_sub_f32_e32 v14, v15, v17
	s_delay_alu instid0(VALU_DEP_4) | instskip(NEXT) | instid1(VALU_DEP_2)
	v_fma_f32 v17, 0x3f317218, v12, -v18
	v_sub_f32_e32 v14, v16, v14
	s_delay_alu instid0(VALU_DEP_1) | instskip(NEXT) | instid1(VALU_DEP_1)
	v_dual_fmamk_f32 v12, v12, 0xb102e308, v17 :: v_dual_add_f32 v13, v13, v14
	v_add_f32_e32 v14, v18, v12
	s_delay_alu instid0(VALU_DEP_2) | instskip(NEXT) | instid1(VALU_DEP_2)
	v_add_f32_e32 v16, v15, v13
	v_sub_f32_e32 v18, v14, v18
	s_delay_alu instid0(VALU_DEP_1) | instskip(NEXT) | instid1(VALU_DEP_1)
	v_dual_add_f32 v17, v14, v16 :: v_dual_sub_f32 v12, v12, v18
	v_sub_f32_e32 v21, v17, v14
	v_sub_f32_e32 v15, v16, v15
	s_delay_alu instid0(VALU_DEP_1) | instskip(NEXT) | instid1(VALU_DEP_3)
	v_sub_f32_e32 v13, v13, v15
	v_sub_f32_e32 v15, v16, v21
	s_delay_alu instid0(VALU_DEP_2) | instskip(SKIP_1) | instid1(VALU_DEP_1)
	v_add_f32_e32 v16, v12, v13
	v_sub_f32_e32 v22, v17, v21
	v_sub_f32_e32 v14, v14, v22
	s_delay_alu instid0(VALU_DEP_1) | instskip(NEXT) | instid1(VALU_DEP_1)
	v_dual_add_f32 v14, v15, v14 :: v_dual_sub_f32 v15, v16, v12
	v_add_f32_e32 v14, v16, v14
	s_delay_alu instid0(VALU_DEP_2) | instskip(SKIP_1) | instid1(VALU_DEP_3)
	v_sub_f32_e32 v16, v16, v15
	v_sub_f32_e32 v13, v13, v15
	v_add_f32_e32 v18, v17, v14
	s_delay_alu instid0(VALU_DEP_1) | instskip(NEXT) | instid1(VALU_DEP_1)
	v_dual_sub_f32 v12, v12, v16 :: v_dual_sub_f32 v15, v18, v17
	v_dual_add_f32 v12, v13, v12 :: v_dual_sub_f32 v13, v14, v15
	s_delay_alu instid0(VALU_DEP_1) | instskip(NEXT) | instid1(VALU_DEP_1)
	v_add_f32_e32 v12, v12, v13
	v_add_f32_e32 v12, v18, v12
	s_wait_alu 0xfffd
	s_delay_alu instid0(VALU_DEP_1) | instskip(SKIP_2) | instid1(VALU_DEP_2)
	v_cndmask_b32_e32 v12, 0x7f800000, v12, vcc_lo
	v_cmp_gt_f32_e64 vcc_lo, 0x33800000, |v6|
	s_wait_alu 0xfffd
	v_cndmask_b32_e32 v6, v12, v6, vcc_lo
	s_delay_alu instid0(VALU_DEP_1)
	v_add_f32_e32 v6, v1, v6
.LBB508_300:
	s_wait_alu 0xfffe
	s_or_b32 exec_lo, exec_lo, s1
	s_delay_alu instid0(VALU_DEP_1) | instskip(SKIP_1) | instid1(VALU_DEP_2)
	v_bfe_u32 v1, v6, 16, 1
	v_cmp_o_f32_e32 vcc_lo, v6, v6
	v_add3_u32 v1, v6, v1, 0x7fff
	s_delay_alu instid0(VALU_DEP_1) | instskip(SKIP_1) | instid1(VALU_DEP_1)
	v_lshrrev_b32_e32 v1, 16, v1
	s_wait_alu 0xfffd
	v_cndmask_b32_e32 v21, 0x7fc0, v1, vcc_lo
	s_delay_alu instid0(VALU_DEP_1) | instskip(NEXT) | instid1(VALU_DEP_1)
	v_lshlrev_b32_e32 v6, 16, v21
	v_max_num_f32_e32 v1, v6, v6
	s_delay_alu instid0(VALU_DEP_1) | instskip(SKIP_3) | instid1(VALU_DEP_3)
	v_min_num_f32_e32 v12, v1, v23
	v_max_num_f32_e32 v1, v1, v23
	v_cmp_u_f32_e32 vcc_lo, v6, v6
	s_wait_alu 0xfffd
	v_cndmask_b32_e32 v12, v12, v6, vcc_lo
	s_delay_alu instid0(VALU_DEP_3) | instskip(NEXT) | instid1(VALU_DEP_2)
	v_cndmask_b32_e32 v1, v1, v6, vcc_lo
	v_cndmask_b32_e64 v12, v12, v11, s10
	s_delay_alu instid0(VALU_DEP_2) | instskip(NEXT) | instid1(VALU_DEP_2)
	v_cndmask_b32_e64 v1, v1, v11, s10
	v_cmp_class_f32_e64 s1, v12, 0x1f8
	s_delay_alu instid0(VALU_DEP_2)
	v_cmp_neq_f32_e32 vcc_lo, v12, v1
	s_or_b32 s2, vcc_lo, s1
	s_wait_alu 0xfffe
	s_and_saveexec_b32 s1, s2
	s_cbranch_execz .LBB508_302
; %bb.301:
	v_sub_f32_e32 v6, v12, v1
	s_mov_b32 s2, 0x3e9b6dac
	s_delay_alu instid0(VALU_DEP_1) | instskip(NEXT) | instid1(VALU_DEP_1)
	v_mul_f32_e32 v11, 0x3fb8aa3b, v6
	v_fma_f32 v12, 0x3fb8aa3b, v6, -v11
	v_rndne_f32_e32 v13, v11
	s_delay_alu instid0(VALU_DEP_1) | instskip(NEXT) | instid1(VALU_DEP_1)
	v_dual_fmamk_f32 v12, v6, 0x32a5705f, v12 :: v_dual_sub_f32 v11, v11, v13
	v_add_f32_e32 v11, v11, v12
	v_cvt_i32_f32_e32 v12, v13
	v_cmp_ngt_f32_e32 vcc_lo, 0xc2ce8ed0, v6
	s_delay_alu instid0(VALU_DEP_3) | instskip(NEXT) | instid1(TRANS32_DEP_1)
	v_exp_f32_e32 v11, v11
	v_ldexp_f32 v11, v11, v12
	s_wait_alu 0xfffd
	s_delay_alu instid0(VALU_DEP_1) | instskip(SKIP_2) | instid1(VALU_DEP_2)
	v_cndmask_b32_e32 v11, 0, v11, vcc_lo
	v_cmp_nlt_f32_e32 vcc_lo, 0x42b17218, v6
	s_wait_alu 0xfffd
	v_cndmask_b32_e32 v6, 0x7f800000, v11, vcc_lo
	s_delay_alu instid0(VALU_DEP_1) | instskip(NEXT) | instid1(VALU_DEP_1)
	v_add_f32_e32 v13, 1.0, v6
	v_cvt_f64_f32_e32 v[11:12], v13
	s_delay_alu instid0(VALU_DEP_1) | instskip(SKIP_1) | instid1(VALU_DEP_1)
	v_frexp_exp_i32_f64_e32 v11, v[11:12]
	v_frexp_mant_f32_e32 v12, v13
	v_cmp_gt_f32_e32 vcc_lo, 0x3f2aaaab, v12
	v_add_f32_e32 v12, -1.0, v13
	s_delay_alu instid0(VALU_DEP_1) | instskip(NEXT) | instid1(VALU_DEP_1)
	v_dual_sub_f32 v15, v12, v13 :: v_dual_sub_f32 v12, v6, v12
	v_add_f32_e32 v15, 1.0, v15
	s_delay_alu instid0(VALU_DEP_1) | instskip(SKIP_3) | instid1(VALU_DEP_2)
	v_add_f32_e32 v12, v12, v15
	s_wait_alu 0xfffd
	v_subrev_co_ci_u32_e64 v11, null, 0, v11, vcc_lo
	v_cmp_neq_f32_e32 vcc_lo, 0x7f800000, v6
	v_sub_nc_u32_e32 v14, 0, v11
	v_cvt_f32_i32_e32 v11, v11
	s_delay_alu instid0(VALU_DEP_2) | instskip(SKIP_1) | instid1(VALU_DEP_2)
	v_ldexp_f32 v13, v13, v14
	v_ldexp_f32 v12, v12, v14
	v_add_f32_e32 v16, 1.0, v13
	s_delay_alu instid0(VALU_DEP_1) | instskip(NEXT) | instid1(VALU_DEP_1)
	v_dual_add_f32 v14, -1.0, v13 :: v_dual_add_f32 v15, -1.0, v16
	v_add_f32_e32 v17, 1.0, v14
	s_delay_alu instid0(VALU_DEP_2) | instskip(NEXT) | instid1(VALU_DEP_2)
	v_sub_f32_e32 v15, v13, v15
	v_sub_f32_e32 v13, v13, v17
	s_delay_alu instid0(VALU_DEP_2) | instskip(NEXT) | instid1(VALU_DEP_2)
	v_add_f32_e32 v15, v12, v15
	v_add_f32_e32 v12, v12, v13
	s_delay_alu instid0(VALU_DEP_1) | instskip(NEXT) | instid1(VALU_DEP_1)
	v_dual_add_f32 v17, v16, v15 :: v_dual_add_f32 v18, v14, v12
	v_rcp_f32_e32 v13, v17
	s_delay_alu instid0(TRANS32_DEP_1) | instskip(NEXT) | instid1(VALU_DEP_1)
	v_mul_f32_e32 v22, v18, v13
	v_dual_sub_f32 v16, v16, v17 :: v_dual_mul_f32 v23, v17, v22
	s_delay_alu instid0(VALU_DEP_1) | instskip(NEXT) | instid1(VALU_DEP_2)
	v_add_f32_e32 v15, v15, v16
	v_fma_f32 v16, v22, v17, -v23
	s_delay_alu instid0(VALU_DEP_1) | instskip(NEXT) | instid1(VALU_DEP_1)
	v_fmac_f32_e32 v16, v22, v15
	v_add_f32_e32 v26, v23, v16
	s_delay_alu instid0(VALU_DEP_1) | instskip(SKIP_1) | instid1(VALU_DEP_2)
	v_sub_f32_e32 v28, v18, v26
	v_sub_f32_e32 v14, v14, v18
	;; [unrolled: 1-line block ×3, first 2 shown]
	s_delay_alu instid0(VALU_DEP_2) | instskip(SKIP_1) | instid1(VALU_DEP_3)
	v_add_f32_e32 v12, v12, v14
	v_sub_f32_e32 v14, v26, v23
	v_sub_f32_e32 v18, v18, v26
	s_delay_alu instid0(VALU_DEP_2) | instskip(NEXT) | instid1(VALU_DEP_2)
	v_sub_f32_e32 v14, v14, v16
	v_add_f32_e32 v12, v12, v18
	s_delay_alu instid0(VALU_DEP_1) | instskip(NEXT) | instid1(VALU_DEP_1)
	v_add_f32_e32 v12, v14, v12
	v_add_f32_e32 v14, v28, v12
	s_delay_alu instid0(VALU_DEP_1) | instskip(SKIP_1) | instid1(VALU_DEP_2)
	v_mul_f32_e32 v16, v13, v14
	v_sub_f32_e32 v26, v28, v14
	v_mul_f32_e32 v18, v17, v16
	s_delay_alu instid0(VALU_DEP_2) | instskip(NEXT) | instid1(VALU_DEP_2)
	v_add_f32_e32 v12, v12, v26
	v_fma_f32 v17, v16, v17, -v18
	s_delay_alu instid0(VALU_DEP_1) | instskip(NEXT) | instid1(VALU_DEP_1)
	v_fmac_f32_e32 v17, v16, v15
	v_add_f32_e32 v15, v18, v17
	s_delay_alu instid0(VALU_DEP_1) | instskip(NEXT) | instid1(VALU_DEP_1)
	v_dual_sub_f32 v23, v14, v15 :: v_dual_sub_f32 v18, v15, v18
	v_sub_f32_e32 v14, v14, v23
	s_delay_alu instid0(VALU_DEP_1) | instskip(NEXT) | instid1(VALU_DEP_1)
	v_sub_f32_e32 v14, v14, v15
	v_dual_sub_f32 v15, v18, v17 :: v_dual_add_f32 v12, v12, v14
	v_add_f32_e32 v14, v22, v16
	s_delay_alu instid0(VALU_DEP_1) | instskip(NEXT) | instid1(VALU_DEP_1)
	v_dual_add_f32 v12, v15, v12 :: v_dual_sub_f32 v15, v14, v22
	v_dual_add_f32 v12, v23, v12 :: v_dual_sub_f32 v15, v16, v15
	s_delay_alu instid0(VALU_DEP_1) | instskip(NEXT) | instid1(VALU_DEP_1)
	v_mul_f32_e32 v12, v13, v12
	v_add_f32_e32 v12, v15, v12
	s_delay_alu instid0(VALU_DEP_1) | instskip(NEXT) | instid1(VALU_DEP_1)
	v_add_f32_e32 v13, v14, v12
	v_mul_f32_e32 v15, v13, v13
	s_wait_alu 0xfffe
	s_delay_alu instid0(VALU_DEP_1) | instskip(SKIP_1) | instid1(VALU_DEP_2)
	v_fmaak_f32 v16, s2, v15, 0x3ecc95a3
	v_mul_f32_e32 v17, v13, v15
	v_fmaak_f32 v15, v15, v16, 0x3f2aaada
	v_ldexp_f32 v16, v13, 1
	v_sub_f32_e32 v13, v13, v14
	s_delay_alu instid0(VALU_DEP_3) | instskip(NEXT) | instid1(VALU_DEP_2)
	v_mul_f32_e32 v15, v17, v15
	v_dual_mul_f32 v17, 0x3f317218, v11 :: v_dual_sub_f32 v12, v12, v13
	s_delay_alu instid0(VALU_DEP_2) | instskip(NEXT) | instid1(VALU_DEP_2)
	v_add_f32_e32 v14, v16, v15
	v_ldexp_f32 v12, v12, 1
	s_delay_alu instid0(VALU_DEP_2) | instskip(NEXT) | instid1(VALU_DEP_4)
	v_sub_f32_e32 v13, v14, v16
	v_fma_f32 v16, 0x3f317218, v11, -v17
	s_delay_alu instid0(VALU_DEP_2) | instskip(NEXT) | instid1(VALU_DEP_1)
	v_sub_f32_e32 v13, v15, v13
	v_dual_fmamk_f32 v11, v11, 0xb102e308, v16 :: v_dual_add_f32 v12, v12, v13
	s_delay_alu instid0(VALU_DEP_1) | instskip(NEXT) | instid1(VALU_DEP_2)
	v_add_f32_e32 v13, v17, v11
	v_add_f32_e32 v15, v14, v12
	s_delay_alu instid0(VALU_DEP_2) | instskip(NEXT) | instid1(VALU_DEP_2)
	v_sub_f32_e32 v17, v13, v17
	v_add_f32_e32 v16, v13, v15
	v_sub_f32_e32 v14, v15, v14
	s_delay_alu instid0(VALU_DEP_3) | instskip(NEXT) | instid1(VALU_DEP_3)
	v_sub_f32_e32 v11, v11, v17
	v_sub_f32_e32 v18, v16, v13
	s_delay_alu instid0(VALU_DEP_3) | instskip(NEXT) | instid1(VALU_DEP_2)
	v_sub_f32_e32 v12, v12, v14
	v_sub_f32_e32 v22, v16, v18
	;; [unrolled: 1-line block ×3, first 2 shown]
	s_delay_alu instid0(VALU_DEP_3) | instskip(NEXT) | instid1(VALU_DEP_3)
	v_add_f32_e32 v15, v11, v12
	v_sub_f32_e32 v13, v13, v22
	s_delay_alu instid0(VALU_DEP_1) | instskip(NEXT) | instid1(VALU_DEP_1)
	v_dual_add_f32 v13, v14, v13 :: v_dual_sub_f32 v14, v15, v11
	v_add_f32_e32 v13, v15, v13
	s_delay_alu instid0(VALU_DEP_2) | instskip(SKIP_1) | instid1(VALU_DEP_3)
	v_sub_f32_e32 v15, v15, v14
	v_sub_f32_e32 v12, v12, v14
	v_add_f32_e32 v17, v16, v13
	s_delay_alu instid0(VALU_DEP_1) | instskip(NEXT) | instid1(VALU_DEP_1)
	v_dual_sub_f32 v11, v11, v15 :: v_dual_sub_f32 v14, v17, v16
	v_dual_add_f32 v11, v12, v11 :: v_dual_sub_f32 v12, v13, v14
	s_delay_alu instid0(VALU_DEP_1) | instskip(NEXT) | instid1(VALU_DEP_1)
	v_add_f32_e32 v11, v11, v12
	v_add_f32_e32 v11, v17, v11
	s_wait_alu 0xfffd
	s_delay_alu instid0(VALU_DEP_1) | instskip(SKIP_2) | instid1(VALU_DEP_2)
	v_cndmask_b32_e32 v11, 0x7f800000, v11, vcc_lo
	v_cmp_gt_f32_e64 vcc_lo, 0x33800000, |v6|
	s_wait_alu 0xfffd
	v_cndmask_b32_e32 v6, v11, v6, vcc_lo
	s_delay_alu instid0(VALU_DEP_1)
	v_add_f32_e32 v6, v1, v6
.LBB508_302:
	s_wait_alu 0xfffe
	s_or_b32 exec_lo, exec_lo, s1
	s_delay_alu instid0(VALU_DEP_1) | instskip(SKIP_1) | instid1(VALU_DEP_2)
	v_bfe_u32 v1, v6, 16, 1
	v_cmp_o_f32_e32 vcc_lo, v6, v6
	v_add3_u32 v1, v6, v1, 0x7fff
	s_delay_alu instid0(VALU_DEP_1) | instskip(SKIP_1) | instid1(VALU_DEP_1)
	v_lshrrev_b32_e32 v1, 16, v1
	s_wait_alu 0xfffd
	v_cndmask_b32_e32 v22, 0x7fc0, v1, vcc_lo
	s_delay_alu instid0(VALU_DEP_1) | instskip(NEXT) | instid1(VALU_DEP_1)
	v_lshlrev_b32_e32 v6, 16, v22
	v_max_num_f32_e32 v1, v6, v6
	s_delay_alu instid0(VALU_DEP_1) | instskip(SKIP_3) | instid1(VALU_DEP_3)
	v_min_num_f32_e32 v11, v1, v24
	v_max_num_f32_e32 v1, v1, v24
	v_cmp_u_f32_e32 vcc_lo, v6, v6
	s_wait_alu 0xfffd
	v_cndmask_b32_e32 v11, v11, v6, vcc_lo
	s_delay_alu instid0(VALU_DEP_3) | instskip(NEXT) | instid1(VALU_DEP_2)
	v_cndmask_b32_e32 v1, v1, v6, vcc_lo
	v_cndmask_b32_e64 v11, v11, v10, s11
	s_delay_alu instid0(VALU_DEP_2) | instskip(NEXT) | instid1(VALU_DEP_2)
	v_cndmask_b32_e64 v1, v1, v10, s11
	v_cmp_class_f32_e64 s1, v11, 0x1f8
	s_delay_alu instid0(VALU_DEP_2)
	v_cmp_neq_f32_e32 vcc_lo, v11, v1
	s_or_b32 s2, vcc_lo, s1
	s_wait_alu 0xfffe
	s_and_saveexec_b32 s1, s2
	s_cbranch_execz .LBB508_304
; %bb.303:
	v_sub_f32_e32 v6, v11, v1
	s_mov_b32 s2, 0x3e9b6dac
	s_delay_alu instid0(VALU_DEP_1) | instskip(SKIP_1) | instid1(VALU_DEP_2)
	v_mul_f32_e32 v10, 0x3fb8aa3b, v6
	v_cmp_ngt_f32_e32 vcc_lo, 0xc2ce8ed0, v6
	v_fma_f32 v11, 0x3fb8aa3b, v6, -v10
	v_rndne_f32_e32 v12, v10
	s_delay_alu instid0(VALU_DEP_2) | instskip(NEXT) | instid1(VALU_DEP_2)
	v_fmamk_f32 v11, v6, 0x32a5705f, v11
	v_sub_f32_e32 v10, v10, v12
	s_delay_alu instid0(VALU_DEP_1) | instskip(SKIP_1) | instid1(VALU_DEP_2)
	v_add_f32_e32 v10, v10, v11
	v_cvt_i32_f32_e32 v11, v12
	v_exp_f32_e32 v10, v10
	s_delay_alu instid0(TRANS32_DEP_1) | instskip(SKIP_1) | instid1(VALU_DEP_1)
	v_ldexp_f32 v10, v10, v11
	s_wait_alu 0xfffd
	v_cndmask_b32_e32 v10, 0, v10, vcc_lo
	v_cmp_nlt_f32_e32 vcc_lo, 0x42b17218, v6
	s_wait_alu 0xfffd
	s_delay_alu instid0(VALU_DEP_2) | instskip(NEXT) | instid1(VALU_DEP_1)
	v_cndmask_b32_e32 v6, 0x7f800000, v10, vcc_lo
	v_add_f32_e32 v12, 1.0, v6
	s_delay_alu instid0(VALU_DEP_1) | instskip(NEXT) | instid1(VALU_DEP_1)
	v_cvt_f64_f32_e32 v[10:11], v12
	v_frexp_exp_i32_f64_e32 v10, v[10:11]
	v_frexp_mant_f32_e32 v11, v12
	s_delay_alu instid0(VALU_DEP_1) | instskip(SKIP_1) | instid1(VALU_DEP_1)
	v_cmp_gt_f32_e32 vcc_lo, 0x3f2aaaab, v11
	v_add_f32_e32 v11, -1.0, v12
	v_dual_sub_f32 v14, v11, v12 :: v_dual_sub_f32 v11, v6, v11
	s_delay_alu instid0(VALU_DEP_1) | instskip(NEXT) | instid1(VALU_DEP_1)
	v_add_f32_e32 v14, 1.0, v14
	v_add_f32_e32 v11, v11, v14
	s_wait_alu 0xfffd
	v_subrev_co_ci_u32_e64 v10, null, 0, v10, vcc_lo
	s_delay_alu instid0(VALU_DEP_1) | instskip(SKIP_1) | instid1(VALU_DEP_2)
	v_sub_nc_u32_e32 v13, 0, v10
	v_cvt_f32_i32_e32 v10, v10
	v_ldexp_f32 v12, v12, v13
	v_ldexp_f32 v11, v11, v13
	s_delay_alu instid0(VALU_DEP_2) | instskip(SKIP_2) | instid1(VALU_DEP_3)
	v_add_f32_e32 v15, 1.0, v12
	v_add_f32_e32 v13, -1.0, v12
	v_cmp_neq_f32_e32 vcc_lo, 0x7f800000, v6
	v_add_f32_e32 v14, -1.0, v15
	s_delay_alu instid0(VALU_DEP_3) | instskip(NEXT) | instid1(VALU_DEP_2)
	v_add_f32_e32 v16, 1.0, v13
	v_sub_f32_e32 v14, v12, v14
	s_delay_alu instid0(VALU_DEP_2) | instskip(NEXT) | instid1(VALU_DEP_2)
	v_sub_f32_e32 v12, v12, v16
	v_add_f32_e32 v14, v11, v14
	s_delay_alu instid0(VALU_DEP_2) | instskip(NEXT) | instid1(VALU_DEP_1)
	v_add_f32_e32 v11, v11, v12
	v_dual_add_f32 v16, v15, v14 :: v_dual_add_f32 v17, v13, v11
	s_delay_alu instid0(VALU_DEP_1) | instskip(NEXT) | instid1(VALU_DEP_1)
	v_rcp_f32_e32 v12, v16
	v_sub_f32_e32 v13, v13, v17
	v_sub_f32_e32 v15, v15, v16
	s_delay_alu instid0(VALU_DEP_1) | instskip(NEXT) | instid1(TRANS32_DEP_1)
	v_dual_add_f32 v11, v11, v13 :: v_dual_add_f32 v14, v14, v15
	v_mul_f32_e32 v18, v17, v12
	s_delay_alu instid0(VALU_DEP_1) | instskip(NEXT) | instid1(VALU_DEP_1)
	v_mul_f32_e32 v23, v16, v18
	v_fma_f32 v15, v18, v16, -v23
	s_delay_alu instid0(VALU_DEP_1) | instskip(NEXT) | instid1(VALU_DEP_1)
	v_fmac_f32_e32 v15, v18, v14
	v_add_f32_e32 v24, v23, v15
	s_delay_alu instid0(VALU_DEP_1) | instskip(NEXT) | instid1(VALU_DEP_1)
	v_dual_sub_f32 v26, v17, v24 :: v_dual_sub_f32 v13, v24, v23
	v_sub_f32_e32 v17, v17, v26
	s_delay_alu instid0(VALU_DEP_1) | instskip(NEXT) | instid1(VALU_DEP_1)
	v_sub_f32_e32 v17, v17, v24
	v_add_f32_e32 v11, v11, v17
	s_delay_alu instid0(VALU_DEP_4) | instskip(NEXT) | instid1(VALU_DEP_1)
	v_sub_f32_e32 v13, v13, v15
	v_add_f32_e32 v11, v13, v11
	s_delay_alu instid0(VALU_DEP_1) | instskip(NEXT) | instid1(VALU_DEP_1)
	v_add_f32_e32 v13, v26, v11
	v_mul_f32_e32 v15, v12, v13
	s_delay_alu instid0(VALU_DEP_1) | instskip(NEXT) | instid1(VALU_DEP_1)
	v_mul_f32_e32 v17, v16, v15
	v_fma_f32 v16, v15, v16, -v17
	s_delay_alu instid0(VALU_DEP_1) | instskip(NEXT) | instid1(VALU_DEP_1)
	v_fmac_f32_e32 v16, v15, v14
	v_add_f32_e32 v14, v17, v16
	s_delay_alu instid0(VALU_DEP_1) | instskip(NEXT) | instid1(VALU_DEP_1)
	v_dual_sub_f32 v24, v26, v13 :: v_dual_sub_f32 v23, v13, v14
	v_add_f32_e32 v11, v11, v24
	s_delay_alu instid0(VALU_DEP_2) | instskip(NEXT) | instid1(VALU_DEP_1)
	v_sub_f32_e32 v13, v13, v23
	v_sub_f32_e32 v13, v13, v14
	s_delay_alu instid0(VALU_DEP_1) | instskip(SKIP_2) | instid1(VALU_DEP_1)
	v_add_f32_e32 v11, v11, v13
	v_add_f32_e32 v13, v18, v15
	v_sub_f32_e32 v17, v14, v17
	v_sub_f32_e32 v14, v17, v16
	s_delay_alu instid0(VALU_DEP_1) | instskip(NEXT) | instid1(VALU_DEP_1)
	v_dual_add_f32 v11, v14, v11 :: v_dual_sub_f32 v14, v13, v18
	v_add_f32_e32 v11, v23, v11
	s_delay_alu instid0(VALU_DEP_1) | instskip(NEXT) | instid1(VALU_DEP_1)
	v_dual_sub_f32 v14, v15, v14 :: v_dual_mul_f32 v11, v12, v11
	v_add_f32_e32 v11, v14, v11
	s_delay_alu instid0(VALU_DEP_1) | instskip(NEXT) | instid1(VALU_DEP_1)
	v_add_f32_e32 v12, v13, v11
	v_mul_f32_e32 v14, v12, v12
	s_wait_alu 0xfffe
	s_delay_alu instid0(VALU_DEP_1) | instskip(SKIP_1) | instid1(VALU_DEP_2)
	v_fmaak_f32 v15, s2, v14, 0x3ecc95a3
	v_mul_f32_e32 v16, v12, v14
	v_fmaak_f32 v14, v14, v15, 0x3f2aaada
	v_ldexp_f32 v15, v12, 1
	s_delay_alu instid0(VALU_DEP_2) | instskip(SKIP_2) | instid1(VALU_DEP_3)
	v_mul_f32_e32 v14, v16, v14
	v_sub_f32_e32 v12, v12, v13
	v_mul_f32_e32 v16, 0x3f317218, v10
	v_add_f32_e32 v13, v15, v14
	s_delay_alu instid0(VALU_DEP_1) | instskip(NEXT) | instid1(VALU_DEP_3)
	v_dual_sub_f32 v11, v11, v12 :: v_dual_sub_f32 v12, v13, v15
	v_fma_f32 v15, 0x3f317218, v10, -v16
	s_delay_alu instid0(VALU_DEP_2) | instskip(NEXT) | instid1(VALU_DEP_3)
	v_ldexp_f32 v11, v11, 1
	v_sub_f32_e32 v12, v14, v12
	s_delay_alu instid0(VALU_DEP_1) | instskip(NEXT) | instid1(VALU_DEP_1)
	v_dual_fmamk_f32 v10, v10, 0xb102e308, v15 :: v_dual_add_f32 v11, v11, v12
	v_add_f32_e32 v12, v16, v10
	s_delay_alu instid0(VALU_DEP_2) | instskip(NEXT) | instid1(VALU_DEP_2)
	v_add_f32_e32 v14, v13, v11
	v_sub_f32_e32 v16, v12, v16
	s_delay_alu instid0(VALU_DEP_1) | instskip(NEXT) | instid1(VALU_DEP_1)
	v_dual_add_f32 v15, v12, v14 :: v_dual_sub_f32 v10, v10, v16
	v_sub_f32_e32 v17, v15, v12
	v_sub_f32_e32 v13, v14, v13
	s_delay_alu instid0(VALU_DEP_2) | instskip(NEXT) | instid1(VALU_DEP_1)
	v_sub_f32_e32 v18, v15, v17
	v_dual_sub_f32 v12, v12, v18 :: v_dual_sub_f32 v11, v11, v13
	v_sub_f32_e32 v13, v14, v17
	s_delay_alu instid0(VALU_DEP_1) | instskip(NEXT) | instid1(VALU_DEP_3)
	v_add_f32_e32 v12, v13, v12
	v_add_f32_e32 v14, v10, v11
	s_delay_alu instid0(VALU_DEP_1) | instskip(NEXT) | instid1(VALU_DEP_1)
	v_sub_f32_e32 v13, v14, v10
	v_dual_sub_f32 v11, v11, v13 :: v_dual_add_f32 v12, v14, v12
	v_sub_f32_e32 v14, v14, v13
	s_delay_alu instid0(VALU_DEP_2) | instskip(NEXT) | instid1(VALU_DEP_1)
	v_add_f32_e32 v16, v15, v12
	v_dual_sub_f32 v13, v16, v15 :: v_dual_sub_f32 v10, v10, v14
	s_delay_alu instid0(VALU_DEP_1) | instskip(NEXT) | instid1(VALU_DEP_1)
	v_dual_add_f32 v10, v11, v10 :: v_dual_sub_f32 v11, v12, v13
	v_add_f32_e32 v10, v10, v11
	s_delay_alu instid0(VALU_DEP_1) | instskip(SKIP_1) | instid1(VALU_DEP_1)
	v_add_f32_e32 v10, v16, v10
	s_wait_alu 0xfffd
	v_cndmask_b32_e32 v10, 0x7f800000, v10, vcc_lo
	v_cmp_gt_f32_e64 vcc_lo, 0x33800000, |v6|
	s_wait_alu 0xfffd
	s_delay_alu instid0(VALU_DEP_2) | instskip(NEXT) | instid1(VALU_DEP_1)
	v_cndmask_b32_e32 v6, v10, v6, vcc_lo
	v_add_f32_e32 v6, v1, v6
.LBB508_304:
	s_wait_alu 0xfffe
	s_or_b32 exec_lo, exec_lo, s1
	s_delay_alu instid0(VALU_DEP_1) | instskip(SKIP_1) | instid1(VALU_DEP_2)
	v_bfe_u32 v1, v6, 16, 1
	v_cmp_o_f32_e32 vcc_lo, v6, v6
	v_add3_u32 v1, v6, v1, 0x7fff
	s_delay_alu instid0(VALU_DEP_1) | instskip(SKIP_1) | instid1(VALU_DEP_1)
	v_lshrrev_b32_e32 v1, 16, v1
	s_wait_alu 0xfffd
	v_cndmask_b32_e32 v23, 0x7fc0, v1, vcc_lo
	s_delay_alu instid0(VALU_DEP_1) | instskip(NEXT) | instid1(VALU_DEP_1)
	v_lshlrev_b32_e32 v6, 16, v23
	v_max_num_f32_e32 v1, v6, v6
	s_delay_alu instid0(VALU_DEP_1) | instskip(SKIP_3) | instid1(VALU_DEP_3)
	v_min_num_f32_e32 v10, v1, v25
	v_max_num_f32_e32 v1, v1, v25
	v_cmp_u_f32_e32 vcc_lo, v6, v6
	s_wait_alu 0xfffd
	v_cndmask_b32_e32 v10, v10, v6, vcc_lo
	s_delay_alu instid0(VALU_DEP_3) | instskip(NEXT) | instid1(VALU_DEP_2)
	v_cndmask_b32_e32 v1, v1, v6, vcc_lo
	v_cndmask_b32_e64 v10, v10, v9, s12
	s_delay_alu instid0(VALU_DEP_2) | instskip(NEXT) | instid1(VALU_DEP_2)
	v_cndmask_b32_e64 v1, v1, v9, s12
	v_cmp_class_f32_e64 s1, v10, 0x1f8
	s_delay_alu instid0(VALU_DEP_2)
	v_cmp_neq_f32_e32 vcc_lo, v10, v1
	s_or_b32 s2, vcc_lo, s1
	s_wait_alu 0xfffe
	s_and_saveexec_b32 s1, s2
	s_cbranch_execz .LBB508_306
; %bb.305:
	v_sub_f32_e32 v6, v10, v1
	s_mov_b32 s2, 0x3e9b6dac
	s_delay_alu instid0(VALU_DEP_1) | instskip(NEXT) | instid1(VALU_DEP_1)
	v_mul_f32_e32 v9, 0x3fb8aa3b, v6
	v_fma_f32 v10, 0x3fb8aa3b, v6, -v9
	v_rndne_f32_e32 v11, v9
	s_delay_alu instid0(VALU_DEP_1) | instskip(SKIP_1) | instid1(VALU_DEP_4)
	v_sub_f32_e32 v9, v9, v11
	v_cmp_ngt_f32_e32 vcc_lo, 0xc2ce8ed0, v6
	v_fmamk_f32 v10, v6, 0x32a5705f, v10
	s_delay_alu instid0(VALU_DEP_1) | instskip(SKIP_1) | instid1(VALU_DEP_2)
	v_add_f32_e32 v9, v9, v10
	v_cvt_i32_f32_e32 v10, v11
	v_exp_f32_e32 v9, v9
	s_delay_alu instid0(TRANS32_DEP_1) | instskip(SKIP_1) | instid1(VALU_DEP_1)
	v_ldexp_f32 v9, v9, v10
	s_wait_alu 0xfffd
	v_cndmask_b32_e32 v9, 0, v9, vcc_lo
	v_cmp_nlt_f32_e32 vcc_lo, 0x42b17218, v6
	s_wait_alu 0xfffd
	s_delay_alu instid0(VALU_DEP_2) | instskip(NEXT) | instid1(VALU_DEP_1)
	v_cndmask_b32_e32 v6, 0x7f800000, v9, vcc_lo
	v_add_f32_e32 v11, 1.0, v6
	s_delay_alu instid0(VALU_DEP_1) | instskip(NEXT) | instid1(VALU_DEP_1)
	v_cvt_f64_f32_e32 v[9:10], v11
	v_frexp_exp_i32_f64_e32 v9, v[9:10]
	v_frexp_mant_f32_e32 v10, v11
	s_delay_alu instid0(VALU_DEP_1) | instskip(SKIP_1) | instid1(VALU_DEP_1)
	v_cmp_gt_f32_e32 vcc_lo, 0x3f2aaaab, v10
	v_add_f32_e32 v10, -1.0, v11
	v_sub_f32_e32 v13, v10, v11
	s_delay_alu instid0(VALU_DEP_1) | instskip(NEXT) | instid1(VALU_DEP_1)
	v_dual_sub_f32 v10, v6, v10 :: v_dual_add_f32 v13, 1.0, v13
	v_add_f32_e32 v10, v10, v13
	s_wait_alu 0xfffd
	v_subrev_co_ci_u32_e64 v9, null, 0, v9, vcc_lo
	v_cmp_neq_f32_e32 vcc_lo, 0x7f800000, v6
	s_delay_alu instid0(VALU_DEP_2) | instskip(SKIP_1) | instid1(VALU_DEP_2)
	v_sub_nc_u32_e32 v12, 0, v9
	v_cvt_f32_i32_e32 v9, v9
	v_ldexp_f32 v11, v11, v12
	v_ldexp_f32 v10, v10, v12
	s_delay_alu instid0(VALU_DEP_2) | instskip(NEXT) | instid1(VALU_DEP_1)
	v_add_f32_e32 v14, 1.0, v11
	v_dual_add_f32 v12, -1.0, v11 :: v_dual_add_f32 v13, -1.0, v14
	s_delay_alu instid0(VALU_DEP_1) | instskip(NEXT) | instid1(VALU_DEP_2)
	v_add_f32_e32 v15, 1.0, v12
	v_sub_f32_e32 v13, v11, v13
	s_delay_alu instid0(VALU_DEP_2) | instskip(NEXT) | instid1(VALU_DEP_2)
	v_sub_f32_e32 v11, v11, v15
	v_add_f32_e32 v13, v10, v13
	s_delay_alu instid0(VALU_DEP_2) | instskip(NEXT) | instid1(VALU_DEP_1)
	v_add_f32_e32 v10, v10, v11
	v_add_f32_e32 v16, v12, v10
	s_delay_alu instid0(VALU_DEP_1) | instskip(NEXT) | instid1(VALU_DEP_1)
	v_dual_sub_f32 v12, v12, v16 :: v_dual_add_f32 v15, v14, v13
	v_add_f32_e32 v10, v10, v12
	s_delay_alu instid0(VALU_DEP_2) | instskip(SKIP_1) | instid1(VALU_DEP_1)
	v_rcp_f32_e32 v11, v15
	v_sub_f32_e32 v14, v14, v15
	v_add_f32_e32 v13, v13, v14
	s_delay_alu instid0(TRANS32_DEP_1) | instskip(NEXT) | instid1(VALU_DEP_1)
	v_mul_f32_e32 v17, v16, v11
	v_mul_f32_e32 v18, v15, v17
	s_delay_alu instid0(VALU_DEP_1) | instskip(NEXT) | instid1(VALU_DEP_1)
	v_fma_f32 v14, v17, v15, -v18
	v_fmac_f32_e32 v14, v17, v13
	s_delay_alu instid0(VALU_DEP_1) | instskip(NEXT) | instid1(VALU_DEP_1)
	v_add_f32_e32 v24, v18, v14
	v_sub_f32_e32 v25, v16, v24
	v_sub_f32_e32 v12, v24, v18
	s_delay_alu instid0(VALU_DEP_2) | instskip(NEXT) | instid1(VALU_DEP_2)
	v_sub_f32_e32 v16, v16, v25
	v_sub_f32_e32 v12, v12, v14
	s_delay_alu instid0(VALU_DEP_2) | instskip(NEXT) | instid1(VALU_DEP_1)
	v_sub_f32_e32 v16, v16, v24
	v_add_f32_e32 v10, v10, v16
	s_delay_alu instid0(VALU_DEP_1) | instskip(NEXT) | instid1(VALU_DEP_1)
	v_add_f32_e32 v10, v12, v10
	v_add_f32_e32 v12, v25, v10
	s_delay_alu instid0(VALU_DEP_1) | instskip(SKIP_1) | instid1(VALU_DEP_2)
	v_mul_f32_e32 v14, v11, v12
	v_sub_f32_e32 v24, v25, v12
	v_mul_f32_e32 v16, v15, v14
	s_delay_alu instid0(VALU_DEP_2) | instskip(NEXT) | instid1(VALU_DEP_2)
	v_add_f32_e32 v10, v10, v24
	v_fma_f32 v15, v14, v15, -v16
	s_delay_alu instid0(VALU_DEP_1) | instskip(NEXT) | instid1(VALU_DEP_1)
	v_fmac_f32_e32 v15, v14, v13
	v_add_f32_e32 v13, v16, v15
	s_delay_alu instid0(VALU_DEP_1) | instskip(SKIP_1) | instid1(VALU_DEP_2)
	v_sub_f32_e32 v18, v12, v13
	v_sub_f32_e32 v16, v13, v16
	;; [unrolled: 1-line block ×3, first 2 shown]
	s_delay_alu instid0(VALU_DEP_1) | instskip(NEXT) | instid1(VALU_DEP_1)
	v_sub_f32_e32 v12, v12, v13
	v_dual_sub_f32 v13, v16, v15 :: v_dual_add_f32 v10, v10, v12
	v_add_f32_e32 v12, v17, v14
	s_delay_alu instid0(VALU_DEP_1) | instskip(NEXT) | instid1(VALU_DEP_1)
	v_dual_add_f32 v10, v13, v10 :: v_dual_sub_f32 v13, v12, v17
	v_add_f32_e32 v10, v18, v10
	s_delay_alu instid0(VALU_DEP_1) | instskip(NEXT) | instid1(VALU_DEP_1)
	v_dual_sub_f32 v13, v14, v13 :: v_dual_mul_f32 v10, v11, v10
	v_add_f32_e32 v10, v13, v10
	s_delay_alu instid0(VALU_DEP_1) | instskip(NEXT) | instid1(VALU_DEP_1)
	v_add_f32_e32 v11, v12, v10
	v_mul_f32_e32 v13, v11, v11
	s_wait_alu 0xfffe
	s_delay_alu instid0(VALU_DEP_1) | instskip(SKIP_1) | instid1(VALU_DEP_2)
	v_fmaak_f32 v14, s2, v13, 0x3ecc95a3
	v_mul_f32_e32 v15, v11, v13
	v_fmaak_f32 v13, v13, v14, 0x3f2aaada
	v_ldexp_f32 v14, v11, 1
	v_sub_f32_e32 v11, v11, v12
	s_delay_alu instid0(VALU_DEP_3) | instskip(NEXT) | instid1(VALU_DEP_2)
	v_mul_f32_e32 v13, v15, v13
	v_dual_mul_f32 v15, 0x3f317218, v9 :: v_dual_sub_f32 v10, v10, v11
	s_delay_alu instid0(VALU_DEP_2) | instskip(NEXT) | instid1(VALU_DEP_2)
	v_add_f32_e32 v12, v14, v13
	v_ldexp_f32 v10, v10, 1
	s_delay_alu instid0(VALU_DEP_2) | instskip(NEXT) | instid1(VALU_DEP_4)
	v_sub_f32_e32 v11, v12, v14
	v_fma_f32 v14, 0x3f317218, v9, -v15
	s_delay_alu instid0(VALU_DEP_2) | instskip(NEXT) | instid1(VALU_DEP_1)
	v_sub_f32_e32 v11, v13, v11
	v_dual_fmamk_f32 v9, v9, 0xb102e308, v14 :: v_dual_add_f32 v10, v10, v11
	s_delay_alu instid0(VALU_DEP_1) | instskip(NEXT) | instid1(VALU_DEP_2)
	v_add_f32_e32 v11, v15, v9
	v_add_f32_e32 v13, v12, v10
	s_delay_alu instid0(VALU_DEP_2) | instskip(NEXT) | instid1(VALU_DEP_2)
	v_sub_f32_e32 v15, v11, v15
	v_add_f32_e32 v14, v11, v13
	v_sub_f32_e32 v12, v13, v12
	s_delay_alu instid0(VALU_DEP_3) | instskip(NEXT) | instid1(VALU_DEP_3)
	v_sub_f32_e32 v9, v9, v15
	v_sub_f32_e32 v16, v14, v11
	s_delay_alu instid0(VALU_DEP_3) | instskip(NEXT) | instid1(VALU_DEP_2)
	v_sub_f32_e32 v10, v10, v12
	v_sub_f32_e32 v17, v14, v16
	;; [unrolled: 1-line block ×3, first 2 shown]
	s_delay_alu instid0(VALU_DEP_3) | instskip(NEXT) | instid1(VALU_DEP_3)
	v_add_f32_e32 v13, v9, v10
	v_sub_f32_e32 v11, v11, v17
	s_delay_alu instid0(VALU_DEP_1) | instskip(NEXT) | instid1(VALU_DEP_1)
	v_dual_add_f32 v11, v12, v11 :: v_dual_sub_f32 v12, v13, v9
	v_add_f32_e32 v11, v13, v11
	s_delay_alu instid0(VALU_DEP_2) | instskip(SKIP_1) | instid1(VALU_DEP_3)
	v_sub_f32_e32 v13, v13, v12
	v_sub_f32_e32 v10, v10, v12
	v_add_f32_e32 v15, v14, v11
	s_delay_alu instid0(VALU_DEP_1) | instskip(NEXT) | instid1(VALU_DEP_1)
	v_dual_sub_f32 v9, v9, v13 :: v_dual_sub_f32 v12, v15, v14
	v_dual_add_f32 v9, v10, v9 :: v_dual_sub_f32 v10, v11, v12
	s_delay_alu instid0(VALU_DEP_1) | instskip(NEXT) | instid1(VALU_DEP_1)
	v_add_f32_e32 v9, v9, v10
	v_add_f32_e32 v9, v15, v9
	s_wait_alu 0xfffd
	s_delay_alu instid0(VALU_DEP_1) | instskip(SKIP_2) | instid1(VALU_DEP_2)
	v_cndmask_b32_e32 v9, 0x7f800000, v9, vcc_lo
	v_cmp_gt_f32_e64 vcc_lo, 0x33800000, |v6|
	s_wait_alu 0xfffd
	v_cndmask_b32_e32 v6, v9, v6, vcc_lo
	s_delay_alu instid0(VALU_DEP_1)
	v_add_f32_e32 v6, v1, v6
.LBB508_306:
	s_wait_alu 0xfffe
	s_or_b32 exec_lo, exec_lo, s1
	s_delay_alu instid0(VALU_DEP_1) | instskip(SKIP_2) | instid1(VALU_DEP_2)
	v_bfe_u32 v1, v6, 16, 1
	v_cmp_o_f32_e32 vcc_lo, v6, v6
	s_mov_b32 s1, exec_lo
	v_add3_u32 v1, v6, v1, 0x7fff
	s_delay_alu instid0(VALU_DEP_1) | instskip(SKIP_1) | instid1(VALU_DEP_1)
	v_lshrrev_b32_e32 v1, 16, v1
	s_wait_alu 0xfffd
	v_cndmask_b32_e32 v24, 0x7fc0, v1, vcc_lo
	v_cmpx_eq_u32_e32 0xff, v0
	s_cbranch_execz .LBB508_308
; %bb.307:
	s_delay_alu instid0(VALU_DEP_2) | instskip(NEXT) | instid1(VALU_DEP_1)
	v_dual_mov_b32 v6, 0 :: v_dual_and_b32 v1, 0xffff, v24
	v_or_b32_e32 v1, 0x20000, v1
	global_store_b32 v6, v1, s[28:29] offset:128 scope:SCOPE_DEV
.LBB508_308:
	s_wait_alu 0xfffe
	s_or_b32 exec_lo, exec_lo, s1
.LBB508_309:
	v_perm_b32 v2, v20, v2, 0x5040100
	v_perm_b32 v1, v27, v4, 0x5040100
	;; [unrolled: 1-line block ×6, first 2 shown]
	s_add_nc_u64 s[2:3], s[40:41], s[30:31]
	s_and_b32 vcc_lo, exec_lo, s0
	s_wait_alu 0xfffe
	s_add_nc_u64 s[2:3], s[2:3], s[34:35]
	s_mov_b32 s0, -1
	s_wait_loadcnt 0x0
	s_wait_storecnt 0x0
	s_barrier_signal -1
	s_barrier_wait -1
	global_inv scope:SCOPE_SE
	s_cbranch_vccz .LBB508_311
; %bb.310:
	ds_store_2addr_b64 v8, v[5:6], v[1:2] offset1:1
	ds_store_b64 v8, v[3:4] offset:16
	s_wait_loadcnt_dscnt 0x0
	s_barrier_signal -1
	s_barrier_wait -1
	global_inv scope:SCOPE_SE
	ds_load_u16 v9, v7
	ds_load_u16 v10, v7 offset:512
	ds_load_u16 v11, v7 offset:1024
	ds_load_u16 v12, v7 offset:1536
	ds_load_u16 v13, v7 offset:2048
	ds_load_u16 v14, v7 offset:2560
	ds_load_u16 v15, v7 offset:3072
	ds_load_u16 v16, v7 offset:3584
	ds_load_u16 v17, v7 offset:4096
	ds_load_u16 v18, v7 offset:4608
	ds_load_u16 v19, v7 offset:5120
	ds_load_u16 v20, v7 offset:5632
	s_mov_b32 s0, 0
	s_wait_dscnt 0xb
	global_store_b16 v7, v9, s[2:3]
	s_wait_dscnt 0xa
	global_store_b16 v7, v10, s[2:3] offset:512
	s_wait_dscnt 0x9
	global_store_b16 v7, v11, s[2:3] offset:1024
	;; [unrolled: 2-line block ×11, first 2 shown]
.LBB508_311:
	s_wait_alu 0xfffe
	s_and_not1_b32 vcc_lo, exec_lo, s0
	s_wait_alu 0xfffe
	s_cbranch_vccnz .LBB508_379
; %bb.312:
	ds_store_2addr_b64 v8, v[5:6], v[1:2] offset1:1
	ds_store_b64 v8, v[3:4] offset:16
	s_wait_storecnt 0x0
	s_wait_loadcnt_dscnt 0x0
	s_barrier_signal -1
	s_barrier_wait -1
	global_inv scope:SCOPE_SE
	ds_load_u16 v5, v7
	ds_load_u16 v4, v7 offset:512
	ds_load_u16 v6, v7 offset:1024
	;; [unrolled: 1-line block ×11, first 2 shown]
	v_add_co_u32 v2, s0, s2, v7
	v_mov_b32_e32 v1, 0
	s_wait_alu 0xf1ff
	v_add_co_ci_u32_e64 v3, null, s3, 0, s0
	s_mov_b32 s0, exec_lo
	v_cmpx_gt_u32_e64 s18, v0
	s_cbranch_execz .LBB508_314
; %bb.313:
	s_wait_dscnt 0xb
	global_store_b16 v[2:3], v5, off
.LBB508_314:
	s_wait_alu 0xfffe
	s_or_b32 exec_lo, exec_lo, s0
	v_or_b32_e32 v7, 0x100, v0
	s_mov_b32 s0, exec_lo
	s_delay_alu instid0(VALU_DEP_1)
	v_cmpx_gt_u32_e64 s18, v7
	s_cbranch_execz .LBB508_316
; %bb.315:
	s_wait_dscnt 0xa
	global_store_b16 v[2:3], v4, off offset:512
.LBB508_316:
	s_wait_alu 0xfffe
	s_or_b32 exec_lo, exec_lo, s0
	v_or_b32_e32 v7, 0x200, v0
	s_mov_b32 s0, exec_lo
	s_delay_alu instid0(VALU_DEP_1)
	v_cmpx_gt_u32_e64 s18, v7
	s_cbranch_execz .LBB508_318
; %bb.317:
	s_wait_dscnt 0x9
	global_store_b16 v[2:3], v6, off offset:1024
.LBB508_318:
	;; [unrolled: 11-line block ×11, first 2 shown]
	s_wait_alu 0xfffe
	s_or_b32 exec_lo, exec_lo, s0
	v_cmp_lt_u64_e64 s0, s[26:27], 2
	s_and_b32 vcc_lo, exec_lo, s0
	s_wait_alu 0xfffe
	s_cbranch_vccnz .LBB508_379
; %bb.337:
	s_add_nc_u64 s[0:1], s[18:19], -1
	s_mov_b32 s3, 0
	s_mov_b64 s[4:5], 0xaaaaaaab
	s_wait_alu 0xfffe
	s_mov_b32 s6, s0
	s_mov_b32 s7, s3
	;; [unrolled: 1-line block ×3, first 2 shown]
	s_wait_alu 0xfffe
	s_mul_u64 s[8:9], s[6:7], s[4:5]
	s_mul_u64 s[4:5], s[2:3], s[4:5]
	s_wait_alu 0xfffe
	s_mov_b32 s8, s9
	s_mov_b32 s9, s3
	s_mov_b64 s[10:11], 0xaaaaaaaa
	s_wait_alu 0xfffe
	s_add_nc_u64 s[4:5], s[4:5], s[8:9]
	s_mul_u64 s[6:7], s[6:7], s[10:11]
	s_wait_alu 0xfffe
	s_mov_b32 s8, s5
	s_mov_b32 s5, s3
	s_wait_alu 0xfffe
	s_add_nc_u64 s[4:5], s[6:7], s[4:5]
	s_mul_u64 s[6:7], s[2:3], s[10:11]
	s_wait_alu 0xfffe
	s_mov_b32 s4, s5
	s_mov_b32 s5, s3
	s_wait_alu 0xfffe
	s_add_nc_u64 s[2:3], s[8:9], s[4:5]
	s_wait_alu 0xfffe
	s_add_nc_u64 s[2:3], s[6:7], s[2:3]
	s_wait_alu 0xfffe
	s_lshr_b64 s[2:3], s[2:3], 3
	s_wait_alu 0xfffe
	v_cmp_eq_u64_e32 vcc_lo, s[2:3], v[0:1]
	s_and_saveexec_b32 s2, vcc_lo
	s_cbranch_execz .LBB508_379
; %bb.338:
	v_mul_u32_u24_e32 v1, 12, v0
	v_mul_hi_u32_u24_e32 v2, 12, v0
	s_delay_alu instid0(VALU_DEP_2) | instskip(SKIP_1) | instid1(VALU_DEP_2)
	v_sub_co_u32 v0, vcc_lo, s0, v1
	s_wait_alu 0xfffd
	v_sub_co_ci_u32_e64 v1, null, s1, v2, vcc_lo
	s_mov_b32 s0, exec_lo
	v_cmpx_lt_i64_e32 5, v[0:1]
	s_wait_alu 0xfffe
	s_xor_b32 s0, exec_lo, s0
	s_cbranch_execz .LBB508_360
; %bb.339:
	s_mov_b32 s1, exec_lo
	v_cmpx_lt_i64_e32 8, v[0:1]
	s_wait_alu 0xfffe
	s_xor_b32 s1, exec_lo, s1
	s_cbranch_execz .LBB508_349
; %bb.340:
	s_mov_b32 s2, exec_lo
	v_cmpx_lt_i64_e32 9, v[0:1]
	s_wait_alu 0xfffe
	s_xor_b32 s2, exec_lo, s2
	s_cbranch_execz .LBB508_346
; %bb.341:
	s_mov_b32 s3, exec_lo
	v_cmpx_lt_i64_e32 10, v[0:1]
	s_wait_alu 0xfffe
	s_xor_b32 s3, exec_lo, s3
	s_cbranch_execz .LBB508_343
; %bb.342:
	v_mov_b32_e32 v0, 0
                                        ; implicit-def: $vgpr14
	s_wait_dscnt 0x0
	global_store_b16 v0, v16, s[22:23]
.LBB508_343:
	s_wait_alu 0xfffe
	s_and_not1_saveexec_b32 s3, s3
	s_cbranch_execz .LBB508_345
; %bb.344:
	v_mov_b32_e32 v0, 0
	s_wait_dscnt 0x1
	global_store_b16 v0, v14, s[22:23]
.LBB508_345:
	s_wait_alu 0xfffe
	s_or_b32 exec_lo, exec_lo, s3
                                        ; implicit-def: $vgpr15
.LBB508_346:
	s_wait_alu 0xfffe
	s_and_not1_saveexec_b32 s2, s2
	s_cbranch_execz .LBB508_348
; %bb.347:
	v_mov_b32_e32 v0, 0
	s_wait_dscnt 0x2
	global_store_b16 v0, v15, s[22:23]
.LBB508_348:
	s_wait_alu 0xfffe
	s_or_b32 exec_lo, exec_lo, s2
                                        ; implicit-def: $vgpr12
                                        ; implicit-def: $vgpr0_vgpr1
                                        ; implicit-def: $vgpr10
                                        ; implicit-def: $vgpr13
.LBB508_349:
	s_wait_alu 0xfffe
	s_and_not1_saveexec_b32 s1, s1
	s_cbranch_execz .LBB508_359
; %bb.350:
	s_mov_b32 s2, exec_lo
	v_cmpx_lt_i64_e32 6, v[0:1]
	s_wait_alu 0xfffe
	s_xor_b32 s2, exec_lo, s2
	s_cbranch_execz .LBB508_356
; %bb.351:
	s_mov_b32 s3, exec_lo
	v_cmpx_lt_i64_e32 7, v[0:1]
	s_wait_alu 0xfffe
	s_xor_b32 s3, exec_lo, s3
	s_cbranch_execz .LBB508_353
; %bb.352:
	v_mov_b32_e32 v0, 0
                                        ; implicit-def: $vgpr10
	s_wait_dscnt 0x3
	global_store_b16 v0, v13, s[22:23]
.LBB508_353:
	s_wait_alu 0xfffe
	s_and_not1_saveexec_b32 s3, s3
	s_cbranch_execz .LBB508_355
; %bb.354:
	v_mov_b32_e32 v0, 0
	s_wait_dscnt 0x4
	global_store_b16 v0, v10, s[22:23]
.LBB508_355:
	s_wait_alu 0xfffe
	s_or_b32 exec_lo, exec_lo, s3
                                        ; implicit-def: $vgpr12
.LBB508_356:
	s_wait_alu 0xfffe
	s_and_not1_saveexec_b32 s2, s2
	s_cbranch_execz .LBB508_358
; %bb.357:
	v_mov_b32_e32 v0, 0
	s_wait_dscnt 0x5
	global_store_b16 v0, v12, s[22:23]
.LBB508_358:
	s_wait_alu 0xfffe
	s_or_b32 exec_lo, exec_lo, s2
.LBB508_359:
	s_wait_alu 0xfffe
	s_or_b32 exec_lo, exec_lo, s1
                                        ; implicit-def: $vgpr0_vgpr1
                                        ; implicit-def: $vgpr9
                                        ; implicit-def: $vgpr6
                                        ; implicit-def: $vgpr4
                                        ; implicit-def: $vgpr5
                                        ; implicit-def: $vgpr8
                                        ; implicit-def: $vgpr11
.LBB508_360:
	s_wait_alu 0xfffe
	s_and_not1_saveexec_b32 s0, s0
	s_cbranch_execz .LBB508_379
; %bb.361:
	s_mov_b32 s0, exec_lo
	v_cmpx_lt_i64_e32 2, v[0:1]
	s_wait_alu 0xfffe
	s_xor_b32 s0, exec_lo, s0
	s_cbranch_execz .LBB508_371
; %bb.362:
	s_mov_b32 s1, exec_lo
	v_cmpx_lt_i64_e32 3, v[0:1]
	s_wait_alu 0xfffe
	s_xor_b32 s1, exec_lo, s1
	;; [unrolled: 6-line block ×3, first 2 shown]
	s_cbranch_execz .LBB508_365
; %bb.364:
	v_mov_b32_e32 v0, 0
                                        ; implicit-def: $vgpr8
	s_wait_dscnt 0x6
	global_store_b16 v0, v11, s[22:23]
.LBB508_365:
	s_wait_alu 0xfffe
	s_and_not1_saveexec_b32 s2, s2
	s_cbranch_execz .LBB508_367
; %bb.366:
	v_mov_b32_e32 v0, 0
	s_wait_dscnt 0x7
	global_store_b16 v0, v8, s[22:23]
.LBB508_367:
	s_wait_alu 0xfffe
	s_or_b32 exec_lo, exec_lo, s2
                                        ; implicit-def: $vgpr9
.LBB508_368:
	s_wait_alu 0xfffe
	s_and_not1_saveexec_b32 s1, s1
	s_cbranch_execz .LBB508_370
; %bb.369:
	v_mov_b32_e32 v0, 0
	s_wait_dscnt 0x8
	global_store_b16 v0, v9, s[22:23]
.LBB508_370:
	s_wait_alu 0xfffe
	s_or_b32 exec_lo, exec_lo, s1
                                        ; implicit-def: $vgpr0_vgpr1
                                        ; implicit-def: $vgpr6
                                        ; implicit-def: $vgpr4
                                        ; implicit-def: $vgpr5
.LBB508_371:
	s_wait_alu 0xfffe
	s_and_not1_saveexec_b32 s0, s0
	s_cbranch_execz .LBB508_379
; %bb.372:
	s_mov_b32 s0, exec_lo
	v_cmpx_lt_i64_e32 1, v[0:1]
	s_wait_alu 0xfffe
	s_xor_b32 s0, exec_lo, s0
	s_cbranch_execz .LBB508_374
; %bb.373:
	v_mov_b32_e32 v0, 0
                                        ; implicit-def: $vgpr4
                                        ; implicit-def: $vgpr5
	s_wait_dscnt 0x9
	global_store_b16 v0, v6, s[22:23]
                                        ; implicit-def: $vgpr0_vgpr1
.LBB508_374:
	s_wait_alu 0xfffe
	s_and_not1_saveexec_b32 s0, s0
	s_cbranch_execz .LBB508_379
; %bb.375:
	s_mov_b32 s0, exec_lo
	v_cmpx_ne_u64_e32 1, v[0:1]
	s_wait_alu 0xfffe
	s_xor_b32 s0, exec_lo, s0
	s_cbranch_execz .LBB508_377
; %bb.376:
	v_mov_b32_e32 v0, 0
                                        ; implicit-def: $vgpr4
	s_wait_dscnt 0xb
	global_store_b16 v0, v5, s[22:23]
.LBB508_377:
	s_wait_alu 0xfffe
	s_and_not1_saveexec_b32 s0, s0
	s_cbranch_execz .LBB508_379
; %bb.378:
	v_mov_b32_e32 v0, 0
	s_wait_dscnt 0xa
	global_store_b16 v0, v4, s[22:23]
.LBB508_379:
	s_endpgm
	.section	.rodata,"a",@progbits
	.p2align	6, 0x0
	.amdhsa_kernel _ZN7rocprim17ROCPRIM_400000_NS6detail17trampoline_kernelINS0_14default_configENS1_20scan_config_selectorIN3c108BFloat16EEEZZNS1_9scan_implILNS1_25lookback_scan_determinismE0ELb0ELb0ES3_PKS6_PS6_S6_ZZZN2at6native31launch_logcumsumexp_cuda_kernelERKNSD_10TensorBaseESH_lENKUlvE_clEvENKUlvE4_clEvEUlS6_S6_E_S6_EEDaPvRmT3_T4_T5_mT6_P12ihipStream_tbENKUlT_T0_E_clISt17integral_constantIbLb0EESX_IbLb1EEEEDaST_SU_EUlST_E_NS1_11comp_targetILNS1_3genE10ELNS1_11target_archE1201ELNS1_3gpuE5ELNS1_3repE0EEENS1_30default_config_static_selectorELNS0_4arch9wavefront6targetE0EEEvT1_
		.amdhsa_group_segment_fixed_size 6144
		.amdhsa_private_segment_fixed_size 0
		.amdhsa_kernarg_size 96
		.amdhsa_user_sgpr_count 2
		.amdhsa_user_sgpr_dispatch_ptr 0
		.amdhsa_user_sgpr_queue_ptr 0
		.amdhsa_user_sgpr_kernarg_segment_ptr 1
		.amdhsa_user_sgpr_dispatch_id 0
		.amdhsa_user_sgpr_private_segment_size 0
		.amdhsa_wavefront_size32 1
		.amdhsa_uses_dynamic_stack 0
		.amdhsa_enable_private_segment 0
		.amdhsa_system_sgpr_workgroup_id_x 1
		.amdhsa_system_sgpr_workgroup_id_y 0
		.amdhsa_system_sgpr_workgroup_id_z 0
		.amdhsa_system_sgpr_workgroup_info 0
		.amdhsa_system_vgpr_workitem_id 0
		.amdhsa_next_free_vgpr 70
		.amdhsa_next_free_sgpr 44
		.amdhsa_reserve_vcc 1
		.amdhsa_float_round_mode_32 0
		.amdhsa_float_round_mode_16_64 0
		.amdhsa_float_denorm_mode_32 3
		.amdhsa_float_denorm_mode_16_64 3
		.amdhsa_fp16_overflow 0
		.amdhsa_workgroup_processor_mode 1
		.amdhsa_memory_ordered 1
		.amdhsa_forward_progress 1
		.amdhsa_inst_pref_size 255
		.amdhsa_round_robin_scheduling 0
		.amdhsa_exception_fp_ieee_invalid_op 0
		.amdhsa_exception_fp_denorm_src 0
		.amdhsa_exception_fp_ieee_div_zero 0
		.amdhsa_exception_fp_ieee_overflow 0
		.amdhsa_exception_fp_ieee_underflow 0
		.amdhsa_exception_fp_ieee_inexact 0
		.amdhsa_exception_int_div_zero 0
	.end_amdhsa_kernel
	.section	.text._ZN7rocprim17ROCPRIM_400000_NS6detail17trampoline_kernelINS0_14default_configENS1_20scan_config_selectorIN3c108BFloat16EEEZZNS1_9scan_implILNS1_25lookback_scan_determinismE0ELb0ELb0ES3_PKS6_PS6_S6_ZZZN2at6native31launch_logcumsumexp_cuda_kernelERKNSD_10TensorBaseESH_lENKUlvE_clEvENKUlvE4_clEvEUlS6_S6_E_S6_EEDaPvRmT3_T4_T5_mT6_P12ihipStream_tbENKUlT_T0_E_clISt17integral_constantIbLb0EESX_IbLb1EEEEDaST_SU_EUlST_E_NS1_11comp_targetILNS1_3genE10ELNS1_11target_archE1201ELNS1_3gpuE5ELNS1_3repE0EEENS1_30default_config_static_selectorELNS0_4arch9wavefront6targetE0EEEvT1_,"axG",@progbits,_ZN7rocprim17ROCPRIM_400000_NS6detail17trampoline_kernelINS0_14default_configENS1_20scan_config_selectorIN3c108BFloat16EEEZZNS1_9scan_implILNS1_25lookback_scan_determinismE0ELb0ELb0ES3_PKS6_PS6_S6_ZZZN2at6native31launch_logcumsumexp_cuda_kernelERKNSD_10TensorBaseESH_lENKUlvE_clEvENKUlvE4_clEvEUlS6_S6_E_S6_EEDaPvRmT3_T4_T5_mT6_P12ihipStream_tbENKUlT_T0_E_clISt17integral_constantIbLb0EESX_IbLb1EEEEDaST_SU_EUlST_E_NS1_11comp_targetILNS1_3genE10ELNS1_11target_archE1201ELNS1_3gpuE5ELNS1_3repE0EEENS1_30default_config_static_selectorELNS0_4arch9wavefront6targetE0EEEvT1_,comdat
.Lfunc_end508:
	.size	_ZN7rocprim17ROCPRIM_400000_NS6detail17trampoline_kernelINS0_14default_configENS1_20scan_config_selectorIN3c108BFloat16EEEZZNS1_9scan_implILNS1_25lookback_scan_determinismE0ELb0ELb0ES3_PKS6_PS6_S6_ZZZN2at6native31launch_logcumsumexp_cuda_kernelERKNSD_10TensorBaseESH_lENKUlvE_clEvENKUlvE4_clEvEUlS6_S6_E_S6_EEDaPvRmT3_T4_T5_mT6_P12ihipStream_tbENKUlT_T0_E_clISt17integral_constantIbLb0EESX_IbLb1EEEEDaST_SU_EUlST_E_NS1_11comp_targetILNS1_3genE10ELNS1_11target_archE1201ELNS1_3gpuE5ELNS1_3repE0EEENS1_30default_config_static_selectorELNS0_4arch9wavefront6targetE0EEEvT1_, .Lfunc_end508-_ZN7rocprim17ROCPRIM_400000_NS6detail17trampoline_kernelINS0_14default_configENS1_20scan_config_selectorIN3c108BFloat16EEEZZNS1_9scan_implILNS1_25lookback_scan_determinismE0ELb0ELb0ES3_PKS6_PS6_S6_ZZZN2at6native31launch_logcumsumexp_cuda_kernelERKNSD_10TensorBaseESH_lENKUlvE_clEvENKUlvE4_clEvEUlS6_S6_E_S6_EEDaPvRmT3_T4_T5_mT6_P12ihipStream_tbENKUlT_T0_E_clISt17integral_constantIbLb0EESX_IbLb1EEEEDaST_SU_EUlST_E_NS1_11comp_targetILNS1_3genE10ELNS1_11target_archE1201ELNS1_3gpuE5ELNS1_3repE0EEENS1_30default_config_static_selectorELNS0_4arch9wavefront6targetE0EEEvT1_
                                        ; -- End function
	.set _ZN7rocprim17ROCPRIM_400000_NS6detail17trampoline_kernelINS0_14default_configENS1_20scan_config_selectorIN3c108BFloat16EEEZZNS1_9scan_implILNS1_25lookback_scan_determinismE0ELb0ELb0ES3_PKS6_PS6_S6_ZZZN2at6native31launch_logcumsumexp_cuda_kernelERKNSD_10TensorBaseESH_lENKUlvE_clEvENKUlvE4_clEvEUlS6_S6_E_S6_EEDaPvRmT3_T4_T5_mT6_P12ihipStream_tbENKUlT_T0_E_clISt17integral_constantIbLb0EESX_IbLb1EEEEDaST_SU_EUlST_E_NS1_11comp_targetILNS1_3genE10ELNS1_11target_archE1201ELNS1_3gpuE5ELNS1_3repE0EEENS1_30default_config_static_selectorELNS0_4arch9wavefront6targetE0EEEvT1_.num_vgpr, 70
	.set _ZN7rocprim17ROCPRIM_400000_NS6detail17trampoline_kernelINS0_14default_configENS1_20scan_config_selectorIN3c108BFloat16EEEZZNS1_9scan_implILNS1_25lookback_scan_determinismE0ELb0ELb0ES3_PKS6_PS6_S6_ZZZN2at6native31launch_logcumsumexp_cuda_kernelERKNSD_10TensorBaseESH_lENKUlvE_clEvENKUlvE4_clEvEUlS6_S6_E_S6_EEDaPvRmT3_T4_T5_mT6_P12ihipStream_tbENKUlT_T0_E_clISt17integral_constantIbLb0EESX_IbLb1EEEEDaST_SU_EUlST_E_NS1_11comp_targetILNS1_3genE10ELNS1_11target_archE1201ELNS1_3gpuE5ELNS1_3repE0EEENS1_30default_config_static_selectorELNS0_4arch9wavefront6targetE0EEEvT1_.num_agpr, 0
	.set _ZN7rocprim17ROCPRIM_400000_NS6detail17trampoline_kernelINS0_14default_configENS1_20scan_config_selectorIN3c108BFloat16EEEZZNS1_9scan_implILNS1_25lookback_scan_determinismE0ELb0ELb0ES3_PKS6_PS6_S6_ZZZN2at6native31launch_logcumsumexp_cuda_kernelERKNSD_10TensorBaseESH_lENKUlvE_clEvENKUlvE4_clEvEUlS6_S6_E_S6_EEDaPvRmT3_T4_T5_mT6_P12ihipStream_tbENKUlT_T0_E_clISt17integral_constantIbLb0EESX_IbLb1EEEEDaST_SU_EUlST_E_NS1_11comp_targetILNS1_3genE10ELNS1_11target_archE1201ELNS1_3gpuE5ELNS1_3repE0EEENS1_30default_config_static_selectorELNS0_4arch9wavefront6targetE0EEEvT1_.numbered_sgpr, 44
	.set _ZN7rocprim17ROCPRIM_400000_NS6detail17trampoline_kernelINS0_14default_configENS1_20scan_config_selectorIN3c108BFloat16EEEZZNS1_9scan_implILNS1_25lookback_scan_determinismE0ELb0ELb0ES3_PKS6_PS6_S6_ZZZN2at6native31launch_logcumsumexp_cuda_kernelERKNSD_10TensorBaseESH_lENKUlvE_clEvENKUlvE4_clEvEUlS6_S6_E_S6_EEDaPvRmT3_T4_T5_mT6_P12ihipStream_tbENKUlT_T0_E_clISt17integral_constantIbLb0EESX_IbLb1EEEEDaST_SU_EUlST_E_NS1_11comp_targetILNS1_3genE10ELNS1_11target_archE1201ELNS1_3gpuE5ELNS1_3repE0EEENS1_30default_config_static_selectorELNS0_4arch9wavefront6targetE0EEEvT1_.num_named_barrier, 0
	.set _ZN7rocprim17ROCPRIM_400000_NS6detail17trampoline_kernelINS0_14default_configENS1_20scan_config_selectorIN3c108BFloat16EEEZZNS1_9scan_implILNS1_25lookback_scan_determinismE0ELb0ELb0ES3_PKS6_PS6_S6_ZZZN2at6native31launch_logcumsumexp_cuda_kernelERKNSD_10TensorBaseESH_lENKUlvE_clEvENKUlvE4_clEvEUlS6_S6_E_S6_EEDaPvRmT3_T4_T5_mT6_P12ihipStream_tbENKUlT_T0_E_clISt17integral_constantIbLb0EESX_IbLb1EEEEDaST_SU_EUlST_E_NS1_11comp_targetILNS1_3genE10ELNS1_11target_archE1201ELNS1_3gpuE5ELNS1_3repE0EEENS1_30default_config_static_selectorELNS0_4arch9wavefront6targetE0EEEvT1_.private_seg_size, 0
	.set _ZN7rocprim17ROCPRIM_400000_NS6detail17trampoline_kernelINS0_14default_configENS1_20scan_config_selectorIN3c108BFloat16EEEZZNS1_9scan_implILNS1_25lookback_scan_determinismE0ELb0ELb0ES3_PKS6_PS6_S6_ZZZN2at6native31launch_logcumsumexp_cuda_kernelERKNSD_10TensorBaseESH_lENKUlvE_clEvENKUlvE4_clEvEUlS6_S6_E_S6_EEDaPvRmT3_T4_T5_mT6_P12ihipStream_tbENKUlT_T0_E_clISt17integral_constantIbLb0EESX_IbLb1EEEEDaST_SU_EUlST_E_NS1_11comp_targetILNS1_3genE10ELNS1_11target_archE1201ELNS1_3gpuE5ELNS1_3repE0EEENS1_30default_config_static_selectorELNS0_4arch9wavefront6targetE0EEEvT1_.uses_vcc, 1
	.set _ZN7rocprim17ROCPRIM_400000_NS6detail17trampoline_kernelINS0_14default_configENS1_20scan_config_selectorIN3c108BFloat16EEEZZNS1_9scan_implILNS1_25lookback_scan_determinismE0ELb0ELb0ES3_PKS6_PS6_S6_ZZZN2at6native31launch_logcumsumexp_cuda_kernelERKNSD_10TensorBaseESH_lENKUlvE_clEvENKUlvE4_clEvEUlS6_S6_E_S6_EEDaPvRmT3_T4_T5_mT6_P12ihipStream_tbENKUlT_T0_E_clISt17integral_constantIbLb0EESX_IbLb1EEEEDaST_SU_EUlST_E_NS1_11comp_targetILNS1_3genE10ELNS1_11target_archE1201ELNS1_3gpuE5ELNS1_3repE0EEENS1_30default_config_static_selectorELNS0_4arch9wavefront6targetE0EEEvT1_.uses_flat_scratch, 0
	.set _ZN7rocprim17ROCPRIM_400000_NS6detail17trampoline_kernelINS0_14default_configENS1_20scan_config_selectorIN3c108BFloat16EEEZZNS1_9scan_implILNS1_25lookback_scan_determinismE0ELb0ELb0ES3_PKS6_PS6_S6_ZZZN2at6native31launch_logcumsumexp_cuda_kernelERKNSD_10TensorBaseESH_lENKUlvE_clEvENKUlvE4_clEvEUlS6_S6_E_S6_EEDaPvRmT3_T4_T5_mT6_P12ihipStream_tbENKUlT_T0_E_clISt17integral_constantIbLb0EESX_IbLb1EEEEDaST_SU_EUlST_E_NS1_11comp_targetILNS1_3genE10ELNS1_11target_archE1201ELNS1_3gpuE5ELNS1_3repE0EEENS1_30default_config_static_selectorELNS0_4arch9wavefront6targetE0EEEvT1_.has_dyn_sized_stack, 0
	.set _ZN7rocprim17ROCPRIM_400000_NS6detail17trampoline_kernelINS0_14default_configENS1_20scan_config_selectorIN3c108BFloat16EEEZZNS1_9scan_implILNS1_25lookback_scan_determinismE0ELb0ELb0ES3_PKS6_PS6_S6_ZZZN2at6native31launch_logcumsumexp_cuda_kernelERKNSD_10TensorBaseESH_lENKUlvE_clEvENKUlvE4_clEvEUlS6_S6_E_S6_EEDaPvRmT3_T4_T5_mT6_P12ihipStream_tbENKUlT_T0_E_clISt17integral_constantIbLb0EESX_IbLb1EEEEDaST_SU_EUlST_E_NS1_11comp_targetILNS1_3genE10ELNS1_11target_archE1201ELNS1_3gpuE5ELNS1_3repE0EEENS1_30default_config_static_selectorELNS0_4arch9wavefront6targetE0EEEvT1_.has_recursion, 0
	.set _ZN7rocprim17ROCPRIM_400000_NS6detail17trampoline_kernelINS0_14default_configENS1_20scan_config_selectorIN3c108BFloat16EEEZZNS1_9scan_implILNS1_25lookback_scan_determinismE0ELb0ELb0ES3_PKS6_PS6_S6_ZZZN2at6native31launch_logcumsumexp_cuda_kernelERKNSD_10TensorBaseESH_lENKUlvE_clEvENKUlvE4_clEvEUlS6_S6_E_S6_EEDaPvRmT3_T4_T5_mT6_P12ihipStream_tbENKUlT_T0_E_clISt17integral_constantIbLb0EESX_IbLb1EEEEDaST_SU_EUlST_E_NS1_11comp_targetILNS1_3genE10ELNS1_11target_archE1201ELNS1_3gpuE5ELNS1_3repE0EEENS1_30default_config_static_selectorELNS0_4arch9wavefront6targetE0EEEvT1_.has_indirect_call, 0
	.section	.AMDGPU.csdata,"",@progbits
; Kernel info:
; codeLenInByte = 106568
; TotalNumSgprs: 46
; NumVgprs: 70
; ScratchSize: 0
; MemoryBound: 0
; FloatMode: 240
; IeeeMode: 1
; LDSByteSize: 6144 bytes/workgroup (compile time only)
; SGPRBlocks: 0
; VGPRBlocks: 8
; NumSGPRsForWavesPerEU: 46
; NumVGPRsForWavesPerEU: 70
; Occupancy: 16
; WaveLimiterHint : 1
; COMPUTE_PGM_RSRC2:SCRATCH_EN: 0
; COMPUTE_PGM_RSRC2:USER_SGPR: 2
; COMPUTE_PGM_RSRC2:TRAP_HANDLER: 0
; COMPUTE_PGM_RSRC2:TGID_X_EN: 1
; COMPUTE_PGM_RSRC2:TGID_Y_EN: 0
; COMPUTE_PGM_RSRC2:TGID_Z_EN: 0
; COMPUTE_PGM_RSRC2:TIDIG_COMP_CNT: 0
	.section	.text._ZN7rocprim17ROCPRIM_400000_NS6detail17trampoline_kernelINS0_14default_configENS1_20scan_config_selectorIN3c108BFloat16EEEZZNS1_9scan_implILNS1_25lookback_scan_determinismE0ELb0ELb0ES3_PKS6_PS6_S6_ZZZN2at6native31launch_logcumsumexp_cuda_kernelERKNSD_10TensorBaseESH_lENKUlvE_clEvENKUlvE4_clEvEUlS6_S6_E_S6_EEDaPvRmT3_T4_T5_mT6_P12ihipStream_tbENKUlT_T0_E_clISt17integral_constantIbLb0EESX_IbLb1EEEEDaST_SU_EUlST_E_NS1_11comp_targetILNS1_3genE10ELNS1_11target_archE1200ELNS1_3gpuE4ELNS1_3repE0EEENS1_30default_config_static_selectorELNS0_4arch9wavefront6targetE0EEEvT1_,"axG",@progbits,_ZN7rocprim17ROCPRIM_400000_NS6detail17trampoline_kernelINS0_14default_configENS1_20scan_config_selectorIN3c108BFloat16EEEZZNS1_9scan_implILNS1_25lookback_scan_determinismE0ELb0ELb0ES3_PKS6_PS6_S6_ZZZN2at6native31launch_logcumsumexp_cuda_kernelERKNSD_10TensorBaseESH_lENKUlvE_clEvENKUlvE4_clEvEUlS6_S6_E_S6_EEDaPvRmT3_T4_T5_mT6_P12ihipStream_tbENKUlT_T0_E_clISt17integral_constantIbLb0EESX_IbLb1EEEEDaST_SU_EUlST_E_NS1_11comp_targetILNS1_3genE10ELNS1_11target_archE1200ELNS1_3gpuE4ELNS1_3repE0EEENS1_30default_config_static_selectorELNS0_4arch9wavefront6targetE0EEEvT1_,comdat
	.globl	_ZN7rocprim17ROCPRIM_400000_NS6detail17trampoline_kernelINS0_14default_configENS1_20scan_config_selectorIN3c108BFloat16EEEZZNS1_9scan_implILNS1_25lookback_scan_determinismE0ELb0ELb0ES3_PKS6_PS6_S6_ZZZN2at6native31launch_logcumsumexp_cuda_kernelERKNSD_10TensorBaseESH_lENKUlvE_clEvENKUlvE4_clEvEUlS6_S6_E_S6_EEDaPvRmT3_T4_T5_mT6_P12ihipStream_tbENKUlT_T0_E_clISt17integral_constantIbLb0EESX_IbLb1EEEEDaST_SU_EUlST_E_NS1_11comp_targetILNS1_3genE10ELNS1_11target_archE1200ELNS1_3gpuE4ELNS1_3repE0EEENS1_30default_config_static_selectorELNS0_4arch9wavefront6targetE0EEEvT1_ ; -- Begin function _ZN7rocprim17ROCPRIM_400000_NS6detail17trampoline_kernelINS0_14default_configENS1_20scan_config_selectorIN3c108BFloat16EEEZZNS1_9scan_implILNS1_25lookback_scan_determinismE0ELb0ELb0ES3_PKS6_PS6_S6_ZZZN2at6native31launch_logcumsumexp_cuda_kernelERKNSD_10TensorBaseESH_lENKUlvE_clEvENKUlvE4_clEvEUlS6_S6_E_S6_EEDaPvRmT3_T4_T5_mT6_P12ihipStream_tbENKUlT_T0_E_clISt17integral_constantIbLb0EESX_IbLb1EEEEDaST_SU_EUlST_E_NS1_11comp_targetILNS1_3genE10ELNS1_11target_archE1200ELNS1_3gpuE4ELNS1_3repE0EEENS1_30default_config_static_selectorELNS0_4arch9wavefront6targetE0EEEvT1_
	.p2align	8
	.type	_ZN7rocprim17ROCPRIM_400000_NS6detail17trampoline_kernelINS0_14default_configENS1_20scan_config_selectorIN3c108BFloat16EEEZZNS1_9scan_implILNS1_25lookback_scan_determinismE0ELb0ELb0ES3_PKS6_PS6_S6_ZZZN2at6native31launch_logcumsumexp_cuda_kernelERKNSD_10TensorBaseESH_lENKUlvE_clEvENKUlvE4_clEvEUlS6_S6_E_S6_EEDaPvRmT3_T4_T5_mT6_P12ihipStream_tbENKUlT_T0_E_clISt17integral_constantIbLb0EESX_IbLb1EEEEDaST_SU_EUlST_E_NS1_11comp_targetILNS1_3genE10ELNS1_11target_archE1200ELNS1_3gpuE4ELNS1_3repE0EEENS1_30default_config_static_selectorELNS0_4arch9wavefront6targetE0EEEvT1_,@function
_ZN7rocprim17ROCPRIM_400000_NS6detail17trampoline_kernelINS0_14default_configENS1_20scan_config_selectorIN3c108BFloat16EEEZZNS1_9scan_implILNS1_25lookback_scan_determinismE0ELb0ELb0ES3_PKS6_PS6_S6_ZZZN2at6native31launch_logcumsumexp_cuda_kernelERKNSD_10TensorBaseESH_lENKUlvE_clEvENKUlvE4_clEvEUlS6_S6_E_S6_EEDaPvRmT3_T4_T5_mT6_P12ihipStream_tbENKUlT_T0_E_clISt17integral_constantIbLb0EESX_IbLb1EEEEDaST_SU_EUlST_E_NS1_11comp_targetILNS1_3genE10ELNS1_11target_archE1200ELNS1_3gpuE4ELNS1_3repE0EEENS1_30default_config_static_selectorELNS0_4arch9wavefront6targetE0EEEvT1_: ; @_ZN7rocprim17ROCPRIM_400000_NS6detail17trampoline_kernelINS0_14default_configENS1_20scan_config_selectorIN3c108BFloat16EEEZZNS1_9scan_implILNS1_25lookback_scan_determinismE0ELb0ELb0ES3_PKS6_PS6_S6_ZZZN2at6native31launch_logcumsumexp_cuda_kernelERKNSD_10TensorBaseESH_lENKUlvE_clEvENKUlvE4_clEvEUlS6_S6_E_S6_EEDaPvRmT3_T4_T5_mT6_P12ihipStream_tbENKUlT_T0_E_clISt17integral_constantIbLb0EESX_IbLb1EEEEDaST_SU_EUlST_E_NS1_11comp_targetILNS1_3genE10ELNS1_11target_archE1200ELNS1_3gpuE4ELNS1_3repE0EEENS1_30default_config_static_selectorELNS0_4arch9wavefront6targetE0EEEvT1_
; %bb.0:
	.section	.rodata,"a",@progbits
	.p2align	6, 0x0
	.amdhsa_kernel _ZN7rocprim17ROCPRIM_400000_NS6detail17trampoline_kernelINS0_14default_configENS1_20scan_config_selectorIN3c108BFloat16EEEZZNS1_9scan_implILNS1_25lookback_scan_determinismE0ELb0ELb0ES3_PKS6_PS6_S6_ZZZN2at6native31launch_logcumsumexp_cuda_kernelERKNSD_10TensorBaseESH_lENKUlvE_clEvENKUlvE4_clEvEUlS6_S6_E_S6_EEDaPvRmT3_T4_T5_mT6_P12ihipStream_tbENKUlT_T0_E_clISt17integral_constantIbLb0EESX_IbLb1EEEEDaST_SU_EUlST_E_NS1_11comp_targetILNS1_3genE10ELNS1_11target_archE1200ELNS1_3gpuE4ELNS1_3repE0EEENS1_30default_config_static_selectorELNS0_4arch9wavefront6targetE0EEEvT1_
		.amdhsa_group_segment_fixed_size 0
		.amdhsa_private_segment_fixed_size 0
		.amdhsa_kernarg_size 96
		.amdhsa_user_sgpr_count 2
		.amdhsa_user_sgpr_dispatch_ptr 0
		.amdhsa_user_sgpr_queue_ptr 0
		.amdhsa_user_sgpr_kernarg_segment_ptr 1
		.amdhsa_user_sgpr_dispatch_id 0
		.amdhsa_user_sgpr_private_segment_size 0
		.amdhsa_wavefront_size32 1
		.amdhsa_uses_dynamic_stack 0
		.amdhsa_enable_private_segment 0
		.amdhsa_system_sgpr_workgroup_id_x 1
		.amdhsa_system_sgpr_workgroup_id_y 0
		.amdhsa_system_sgpr_workgroup_id_z 0
		.amdhsa_system_sgpr_workgroup_info 0
		.amdhsa_system_vgpr_workitem_id 0
		.amdhsa_next_free_vgpr 1
		.amdhsa_next_free_sgpr 1
		.amdhsa_reserve_vcc 0
		.amdhsa_float_round_mode_32 0
		.amdhsa_float_round_mode_16_64 0
		.amdhsa_float_denorm_mode_32 3
		.amdhsa_float_denorm_mode_16_64 3
		.amdhsa_fp16_overflow 0
		.amdhsa_workgroup_processor_mode 1
		.amdhsa_memory_ordered 1
		.amdhsa_forward_progress 1
		.amdhsa_inst_pref_size 0
		.amdhsa_round_robin_scheduling 0
		.amdhsa_exception_fp_ieee_invalid_op 0
		.amdhsa_exception_fp_denorm_src 0
		.amdhsa_exception_fp_ieee_div_zero 0
		.amdhsa_exception_fp_ieee_overflow 0
		.amdhsa_exception_fp_ieee_underflow 0
		.amdhsa_exception_fp_ieee_inexact 0
		.amdhsa_exception_int_div_zero 0
	.end_amdhsa_kernel
	.section	.text._ZN7rocprim17ROCPRIM_400000_NS6detail17trampoline_kernelINS0_14default_configENS1_20scan_config_selectorIN3c108BFloat16EEEZZNS1_9scan_implILNS1_25lookback_scan_determinismE0ELb0ELb0ES3_PKS6_PS6_S6_ZZZN2at6native31launch_logcumsumexp_cuda_kernelERKNSD_10TensorBaseESH_lENKUlvE_clEvENKUlvE4_clEvEUlS6_S6_E_S6_EEDaPvRmT3_T4_T5_mT6_P12ihipStream_tbENKUlT_T0_E_clISt17integral_constantIbLb0EESX_IbLb1EEEEDaST_SU_EUlST_E_NS1_11comp_targetILNS1_3genE10ELNS1_11target_archE1200ELNS1_3gpuE4ELNS1_3repE0EEENS1_30default_config_static_selectorELNS0_4arch9wavefront6targetE0EEEvT1_,"axG",@progbits,_ZN7rocprim17ROCPRIM_400000_NS6detail17trampoline_kernelINS0_14default_configENS1_20scan_config_selectorIN3c108BFloat16EEEZZNS1_9scan_implILNS1_25lookback_scan_determinismE0ELb0ELb0ES3_PKS6_PS6_S6_ZZZN2at6native31launch_logcumsumexp_cuda_kernelERKNSD_10TensorBaseESH_lENKUlvE_clEvENKUlvE4_clEvEUlS6_S6_E_S6_EEDaPvRmT3_T4_T5_mT6_P12ihipStream_tbENKUlT_T0_E_clISt17integral_constantIbLb0EESX_IbLb1EEEEDaST_SU_EUlST_E_NS1_11comp_targetILNS1_3genE10ELNS1_11target_archE1200ELNS1_3gpuE4ELNS1_3repE0EEENS1_30default_config_static_selectorELNS0_4arch9wavefront6targetE0EEEvT1_,comdat
.Lfunc_end509:
	.size	_ZN7rocprim17ROCPRIM_400000_NS6detail17trampoline_kernelINS0_14default_configENS1_20scan_config_selectorIN3c108BFloat16EEEZZNS1_9scan_implILNS1_25lookback_scan_determinismE0ELb0ELb0ES3_PKS6_PS6_S6_ZZZN2at6native31launch_logcumsumexp_cuda_kernelERKNSD_10TensorBaseESH_lENKUlvE_clEvENKUlvE4_clEvEUlS6_S6_E_S6_EEDaPvRmT3_T4_T5_mT6_P12ihipStream_tbENKUlT_T0_E_clISt17integral_constantIbLb0EESX_IbLb1EEEEDaST_SU_EUlST_E_NS1_11comp_targetILNS1_3genE10ELNS1_11target_archE1200ELNS1_3gpuE4ELNS1_3repE0EEENS1_30default_config_static_selectorELNS0_4arch9wavefront6targetE0EEEvT1_, .Lfunc_end509-_ZN7rocprim17ROCPRIM_400000_NS6detail17trampoline_kernelINS0_14default_configENS1_20scan_config_selectorIN3c108BFloat16EEEZZNS1_9scan_implILNS1_25lookback_scan_determinismE0ELb0ELb0ES3_PKS6_PS6_S6_ZZZN2at6native31launch_logcumsumexp_cuda_kernelERKNSD_10TensorBaseESH_lENKUlvE_clEvENKUlvE4_clEvEUlS6_S6_E_S6_EEDaPvRmT3_T4_T5_mT6_P12ihipStream_tbENKUlT_T0_E_clISt17integral_constantIbLb0EESX_IbLb1EEEEDaST_SU_EUlST_E_NS1_11comp_targetILNS1_3genE10ELNS1_11target_archE1200ELNS1_3gpuE4ELNS1_3repE0EEENS1_30default_config_static_selectorELNS0_4arch9wavefront6targetE0EEEvT1_
                                        ; -- End function
	.set _ZN7rocprim17ROCPRIM_400000_NS6detail17trampoline_kernelINS0_14default_configENS1_20scan_config_selectorIN3c108BFloat16EEEZZNS1_9scan_implILNS1_25lookback_scan_determinismE0ELb0ELb0ES3_PKS6_PS6_S6_ZZZN2at6native31launch_logcumsumexp_cuda_kernelERKNSD_10TensorBaseESH_lENKUlvE_clEvENKUlvE4_clEvEUlS6_S6_E_S6_EEDaPvRmT3_T4_T5_mT6_P12ihipStream_tbENKUlT_T0_E_clISt17integral_constantIbLb0EESX_IbLb1EEEEDaST_SU_EUlST_E_NS1_11comp_targetILNS1_3genE10ELNS1_11target_archE1200ELNS1_3gpuE4ELNS1_3repE0EEENS1_30default_config_static_selectorELNS0_4arch9wavefront6targetE0EEEvT1_.num_vgpr, 0
	.set _ZN7rocprim17ROCPRIM_400000_NS6detail17trampoline_kernelINS0_14default_configENS1_20scan_config_selectorIN3c108BFloat16EEEZZNS1_9scan_implILNS1_25lookback_scan_determinismE0ELb0ELb0ES3_PKS6_PS6_S6_ZZZN2at6native31launch_logcumsumexp_cuda_kernelERKNSD_10TensorBaseESH_lENKUlvE_clEvENKUlvE4_clEvEUlS6_S6_E_S6_EEDaPvRmT3_T4_T5_mT6_P12ihipStream_tbENKUlT_T0_E_clISt17integral_constantIbLb0EESX_IbLb1EEEEDaST_SU_EUlST_E_NS1_11comp_targetILNS1_3genE10ELNS1_11target_archE1200ELNS1_3gpuE4ELNS1_3repE0EEENS1_30default_config_static_selectorELNS0_4arch9wavefront6targetE0EEEvT1_.num_agpr, 0
	.set _ZN7rocprim17ROCPRIM_400000_NS6detail17trampoline_kernelINS0_14default_configENS1_20scan_config_selectorIN3c108BFloat16EEEZZNS1_9scan_implILNS1_25lookback_scan_determinismE0ELb0ELb0ES3_PKS6_PS6_S6_ZZZN2at6native31launch_logcumsumexp_cuda_kernelERKNSD_10TensorBaseESH_lENKUlvE_clEvENKUlvE4_clEvEUlS6_S6_E_S6_EEDaPvRmT3_T4_T5_mT6_P12ihipStream_tbENKUlT_T0_E_clISt17integral_constantIbLb0EESX_IbLb1EEEEDaST_SU_EUlST_E_NS1_11comp_targetILNS1_3genE10ELNS1_11target_archE1200ELNS1_3gpuE4ELNS1_3repE0EEENS1_30default_config_static_selectorELNS0_4arch9wavefront6targetE0EEEvT1_.numbered_sgpr, 0
	.set _ZN7rocprim17ROCPRIM_400000_NS6detail17trampoline_kernelINS0_14default_configENS1_20scan_config_selectorIN3c108BFloat16EEEZZNS1_9scan_implILNS1_25lookback_scan_determinismE0ELb0ELb0ES3_PKS6_PS6_S6_ZZZN2at6native31launch_logcumsumexp_cuda_kernelERKNSD_10TensorBaseESH_lENKUlvE_clEvENKUlvE4_clEvEUlS6_S6_E_S6_EEDaPvRmT3_T4_T5_mT6_P12ihipStream_tbENKUlT_T0_E_clISt17integral_constantIbLb0EESX_IbLb1EEEEDaST_SU_EUlST_E_NS1_11comp_targetILNS1_3genE10ELNS1_11target_archE1200ELNS1_3gpuE4ELNS1_3repE0EEENS1_30default_config_static_selectorELNS0_4arch9wavefront6targetE0EEEvT1_.num_named_barrier, 0
	.set _ZN7rocprim17ROCPRIM_400000_NS6detail17trampoline_kernelINS0_14default_configENS1_20scan_config_selectorIN3c108BFloat16EEEZZNS1_9scan_implILNS1_25lookback_scan_determinismE0ELb0ELb0ES3_PKS6_PS6_S6_ZZZN2at6native31launch_logcumsumexp_cuda_kernelERKNSD_10TensorBaseESH_lENKUlvE_clEvENKUlvE4_clEvEUlS6_S6_E_S6_EEDaPvRmT3_T4_T5_mT6_P12ihipStream_tbENKUlT_T0_E_clISt17integral_constantIbLb0EESX_IbLb1EEEEDaST_SU_EUlST_E_NS1_11comp_targetILNS1_3genE10ELNS1_11target_archE1200ELNS1_3gpuE4ELNS1_3repE0EEENS1_30default_config_static_selectorELNS0_4arch9wavefront6targetE0EEEvT1_.private_seg_size, 0
	.set _ZN7rocprim17ROCPRIM_400000_NS6detail17trampoline_kernelINS0_14default_configENS1_20scan_config_selectorIN3c108BFloat16EEEZZNS1_9scan_implILNS1_25lookback_scan_determinismE0ELb0ELb0ES3_PKS6_PS6_S6_ZZZN2at6native31launch_logcumsumexp_cuda_kernelERKNSD_10TensorBaseESH_lENKUlvE_clEvENKUlvE4_clEvEUlS6_S6_E_S6_EEDaPvRmT3_T4_T5_mT6_P12ihipStream_tbENKUlT_T0_E_clISt17integral_constantIbLb0EESX_IbLb1EEEEDaST_SU_EUlST_E_NS1_11comp_targetILNS1_3genE10ELNS1_11target_archE1200ELNS1_3gpuE4ELNS1_3repE0EEENS1_30default_config_static_selectorELNS0_4arch9wavefront6targetE0EEEvT1_.uses_vcc, 0
	.set _ZN7rocprim17ROCPRIM_400000_NS6detail17trampoline_kernelINS0_14default_configENS1_20scan_config_selectorIN3c108BFloat16EEEZZNS1_9scan_implILNS1_25lookback_scan_determinismE0ELb0ELb0ES3_PKS6_PS6_S6_ZZZN2at6native31launch_logcumsumexp_cuda_kernelERKNSD_10TensorBaseESH_lENKUlvE_clEvENKUlvE4_clEvEUlS6_S6_E_S6_EEDaPvRmT3_T4_T5_mT6_P12ihipStream_tbENKUlT_T0_E_clISt17integral_constantIbLb0EESX_IbLb1EEEEDaST_SU_EUlST_E_NS1_11comp_targetILNS1_3genE10ELNS1_11target_archE1200ELNS1_3gpuE4ELNS1_3repE0EEENS1_30default_config_static_selectorELNS0_4arch9wavefront6targetE0EEEvT1_.uses_flat_scratch, 0
	.set _ZN7rocprim17ROCPRIM_400000_NS6detail17trampoline_kernelINS0_14default_configENS1_20scan_config_selectorIN3c108BFloat16EEEZZNS1_9scan_implILNS1_25lookback_scan_determinismE0ELb0ELb0ES3_PKS6_PS6_S6_ZZZN2at6native31launch_logcumsumexp_cuda_kernelERKNSD_10TensorBaseESH_lENKUlvE_clEvENKUlvE4_clEvEUlS6_S6_E_S6_EEDaPvRmT3_T4_T5_mT6_P12ihipStream_tbENKUlT_T0_E_clISt17integral_constantIbLb0EESX_IbLb1EEEEDaST_SU_EUlST_E_NS1_11comp_targetILNS1_3genE10ELNS1_11target_archE1200ELNS1_3gpuE4ELNS1_3repE0EEENS1_30default_config_static_selectorELNS0_4arch9wavefront6targetE0EEEvT1_.has_dyn_sized_stack, 0
	.set _ZN7rocprim17ROCPRIM_400000_NS6detail17trampoline_kernelINS0_14default_configENS1_20scan_config_selectorIN3c108BFloat16EEEZZNS1_9scan_implILNS1_25lookback_scan_determinismE0ELb0ELb0ES3_PKS6_PS6_S6_ZZZN2at6native31launch_logcumsumexp_cuda_kernelERKNSD_10TensorBaseESH_lENKUlvE_clEvENKUlvE4_clEvEUlS6_S6_E_S6_EEDaPvRmT3_T4_T5_mT6_P12ihipStream_tbENKUlT_T0_E_clISt17integral_constantIbLb0EESX_IbLb1EEEEDaST_SU_EUlST_E_NS1_11comp_targetILNS1_3genE10ELNS1_11target_archE1200ELNS1_3gpuE4ELNS1_3repE0EEENS1_30default_config_static_selectorELNS0_4arch9wavefront6targetE0EEEvT1_.has_recursion, 0
	.set _ZN7rocprim17ROCPRIM_400000_NS6detail17trampoline_kernelINS0_14default_configENS1_20scan_config_selectorIN3c108BFloat16EEEZZNS1_9scan_implILNS1_25lookback_scan_determinismE0ELb0ELb0ES3_PKS6_PS6_S6_ZZZN2at6native31launch_logcumsumexp_cuda_kernelERKNSD_10TensorBaseESH_lENKUlvE_clEvENKUlvE4_clEvEUlS6_S6_E_S6_EEDaPvRmT3_T4_T5_mT6_P12ihipStream_tbENKUlT_T0_E_clISt17integral_constantIbLb0EESX_IbLb1EEEEDaST_SU_EUlST_E_NS1_11comp_targetILNS1_3genE10ELNS1_11target_archE1200ELNS1_3gpuE4ELNS1_3repE0EEENS1_30default_config_static_selectorELNS0_4arch9wavefront6targetE0EEEvT1_.has_indirect_call, 0
	.section	.AMDGPU.csdata,"",@progbits
; Kernel info:
; codeLenInByte = 0
; TotalNumSgprs: 0
; NumVgprs: 0
; ScratchSize: 0
; MemoryBound: 0
; FloatMode: 240
; IeeeMode: 1
; LDSByteSize: 0 bytes/workgroup (compile time only)
; SGPRBlocks: 0
; VGPRBlocks: 0
; NumSGPRsForWavesPerEU: 1
; NumVGPRsForWavesPerEU: 1
; Occupancy: 16
; WaveLimiterHint : 0
; COMPUTE_PGM_RSRC2:SCRATCH_EN: 0
; COMPUTE_PGM_RSRC2:USER_SGPR: 2
; COMPUTE_PGM_RSRC2:TRAP_HANDLER: 0
; COMPUTE_PGM_RSRC2:TGID_X_EN: 1
; COMPUTE_PGM_RSRC2:TGID_Y_EN: 0
; COMPUTE_PGM_RSRC2:TGID_Z_EN: 0
; COMPUTE_PGM_RSRC2:TIDIG_COMP_CNT: 0
	.section	.text._ZN7rocprim17ROCPRIM_400000_NS6detail17trampoline_kernelINS0_14default_configENS1_20scan_config_selectorIN3c108BFloat16EEEZZNS1_9scan_implILNS1_25lookback_scan_determinismE0ELb0ELb0ES3_PKS6_PS6_S6_ZZZN2at6native31launch_logcumsumexp_cuda_kernelERKNSD_10TensorBaseESH_lENKUlvE_clEvENKUlvE4_clEvEUlS6_S6_E_S6_EEDaPvRmT3_T4_T5_mT6_P12ihipStream_tbENKUlT_T0_E_clISt17integral_constantIbLb0EESX_IbLb1EEEEDaST_SU_EUlST_E_NS1_11comp_targetILNS1_3genE9ELNS1_11target_archE1100ELNS1_3gpuE3ELNS1_3repE0EEENS1_30default_config_static_selectorELNS0_4arch9wavefront6targetE0EEEvT1_,"axG",@progbits,_ZN7rocprim17ROCPRIM_400000_NS6detail17trampoline_kernelINS0_14default_configENS1_20scan_config_selectorIN3c108BFloat16EEEZZNS1_9scan_implILNS1_25lookback_scan_determinismE0ELb0ELb0ES3_PKS6_PS6_S6_ZZZN2at6native31launch_logcumsumexp_cuda_kernelERKNSD_10TensorBaseESH_lENKUlvE_clEvENKUlvE4_clEvEUlS6_S6_E_S6_EEDaPvRmT3_T4_T5_mT6_P12ihipStream_tbENKUlT_T0_E_clISt17integral_constantIbLb0EESX_IbLb1EEEEDaST_SU_EUlST_E_NS1_11comp_targetILNS1_3genE9ELNS1_11target_archE1100ELNS1_3gpuE3ELNS1_3repE0EEENS1_30default_config_static_selectorELNS0_4arch9wavefront6targetE0EEEvT1_,comdat
	.globl	_ZN7rocprim17ROCPRIM_400000_NS6detail17trampoline_kernelINS0_14default_configENS1_20scan_config_selectorIN3c108BFloat16EEEZZNS1_9scan_implILNS1_25lookback_scan_determinismE0ELb0ELb0ES3_PKS6_PS6_S6_ZZZN2at6native31launch_logcumsumexp_cuda_kernelERKNSD_10TensorBaseESH_lENKUlvE_clEvENKUlvE4_clEvEUlS6_S6_E_S6_EEDaPvRmT3_T4_T5_mT6_P12ihipStream_tbENKUlT_T0_E_clISt17integral_constantIbLb0EESX_IbLb1EEEEDaST_SU_EUlST_E_NS1_11comp_targetILNS1_3genE9ELNS1_11target_archE1100ELNS1_3gpuE3ELNS1_3repE0EEENS1_30default_config_static_selectorELNS0_4arch9wavefront6targetE0EEEvT1_ ; -- Begin function _ZN7rocprim17ROCPRIM_400000_NS6detail17trampoline_kernelINS0_14default_configENS1_20scan_config_selectorIN3c108BFloat16EEEZZNS1_9scan_implILNS1_25lookback_scan_determinismE0ELb0ELb0ES3_PKS6_PS6_S6_ZZZN2at6native31launch_logcumsumexp_cuda_kernelERKNSD_10TensorBaseESH_lENKUlvE_clEvENKUlvE4_clEvEUlS6_S6_E_S6_EEDaPvRmT3_T4_T5_mT6_P12ihipStream_tbENKUlT_T0_E_clISt17integral_constantIbLb0EESX_IbLb1EEEEDaST_SU_EUlST_E_NS1_11comp_targetILNS1_3genE9ELNS1_11target_archE1100ELNS1_3gpuE3ELNS1_3repE0EEENS1_30default_config_static_selectorELNS0_4arch9wavefront6targetE0EEEvT1_
	.p2align	8
	.type	_ZN7rocprim17ROCPRIM_400000_NS6detail17trampoline_kernelINS0_14default_configENS1_20scan_config_selectorIN3c108BFloat16EEEZZNS1_9scan_implILNS1_25lookback_scan_determinismE0ELb0ELb0ES3_PKS6_PS6_S6_ZZZN2at6native31launch_logcumsumexp_cuda_kernelERKNSD_10TensorBaseESH_lENKUlvE_clEvENKUlvE4_clEvEUlS6_S6_E_S6_EEDaPvRmT3_T4_T5_mT6_P12ihipStream_tbENKUlT_T0_E_clISt17integral_constantIbLb0EESX_IbLb1EEEEDaST_SU_EUlST_E_NS1_11comp_targetILNS1_3genE9ELNS1_11target_archE1100ELNS1_3gpuE3ELNS1_3repE0EEENS1_30default_config_static_selectorELNS0_4arch9wavefront6targetE0EEEvT1_,@function
_ZN7rocprim17ROCPRIM_400000_NS6detail17trampoline_kernelINS0_14default_configENS1_20scan_config_selectorIN3c108BFloat16EEEZZNS1_9scan_implILNS1_25lookback_scan_determinismE0ELb0ELb0ES3_PKS6_PS6_S6_ZZZN2at6native31launch_logcumsumexp_cuda_kernelERKNSD_10TensorBaseESH_lENKUlvE_clEvENKUlvE4_clEvEUlS6_S6_E_S6_EEDaPvRmT3_T4_T5_mT6_P12ihipStream_tbENKUlT_T0_E_clISt17integral_constantIbLb0EESX_IbLb1EEEEDaST_SU_EUlST_E_NS1_11comp_targetILNS1_3genE9ELNS1_11target_archE1100ELNS1_3gpuE3ELNS1_3repE0EEENS1_30default_config_static_selectorELNS0_4arch9wavefront6targetE0EEEvT1_: ; @_ZN7rocprim17ROCPRIM_400000_NS6detail17trampoline_kernelINS0_14default_configENS1_20scan_config_selectorIN3c108BFloat16EEEZZNS1_9scan_implILNS1_25lookback_scan_determinismE0ELb0ELb0ES3_PKS6_PS6_S6_ZZZN2at6native31launch_logcumsumexp_cuda_kernelERKNSD_10TensorBaseESH_lENKUlvE_clEvENKUlvE4_clEvEUlS6_S6_E_S6_EEDaPvRmT3_T4_T5_mT6_P12ihipStream_tbENKUlT_T0_E_clISt17integral_constantIbLb0EESX_IbLb1EEEEDaST_SU_EUlST_E_NS1_11comp_targetILNS1_3genE9ELNS1_11target_archE1100ELNS1_3gpuE3ELNS1_3repE0EEENS1_30default_config_static_selectorELNS0_4arch9wavefront6targetE0EEEvT1_
; %bb.0:
	.section	.rodata,"a",@progbits
	.p2align	6, 0x0
	.amdhsa_kernel _ZN7rocprim17ROCPRIM_400000_NS6detail17trampoline_kernelINS0_14default_configENS1_20scan_config_selectorIN3c108BFloat16EEEZZNS1_9scan_implILNS1_25lookback_scan_determinismE0ELb0ELb0ES3_PKS6_PS6_S6_ZZZN2at6native31launch_logcumsumexp_cuda_kernelERKNSD_10TensorBaseESH_lENKUlvE_clEvENKUlvE4_clEvEUlS6_S6_E_S6_EEDaPvRmT3_T4_T5_mT6_P12ihipStream_tbENKUlT_T0_E_clISt17integral_constantIbLb0EESX_IbLb1EEEEDaST_SU_EUlST_E_NS1_11comp_targetILNS1_3genE9ELNS1_11target_archE1100ELNS1_3gpuE3ELNS1_3repE0EEENS1_30default_config_static_selectorELNS0_4arch9wavefront6targetE0EEEvT1_
		.amdhsa_group_segment_fixed_size 0
		.amdhsa_private_segment_fixed_size 0
		.amdhsa_kernarg_size 96
		.amdhsa_user_sgpr_count 2
		.amdhsa_user_sgpr_dispatch_ptr 0
		.amdhsa_user_sgpr_queue_ptr 0
		.amdhsa_user_sgpr_kernarg_segment_ptr 1
		.amdhsa_user_sgpr_dispatch_id 0
		.amdhsa_user_sgpr_private_segment_size 0
		.amdhsa_wavefront_size32 1
		.amdhsa_uses_dynamic_stack 0
		.amdhsa_enable_private_segment 0
		.amdhsa_system_sgpr_workgroup_id_x 1
		.amdhsa_system_sgpr_workgroup_id_y 0
		.amdhsa_system_sgpr_workgroup_id_z 0
		.amdhsa_system_sgpr_workgroup_info 0
		.amdhsa_system_vgpr_workitem_id 0
		.amdhsa_next_free_vgpr 1
		.amdhsa_next_free_sgpr 1
		.amdhsa_reserve_vcc 0
		.amdhsa_float_round_mode_32 0
		.amdhsa_float_round_mode_16_64 0
		.amdhsa_float_denorm_mode_32 3
		.amdhsa_float_denorm_mode_16_64 3
		.amdhsa_fp16_overflow 0
		.amdhsa_workgroup_processor_mode 1
		.amdhsa_memory_ordered 1
		.amdhsa_forward_progress 1
		.amdhsa_inst_pref_size 0
		.amdhsa_round_robin_scheduling 0
		.amdhsa_exception_fp_ieee_invalid_op 0
		.amdhsa_exception_fp_denorm_src 0
		.amdhsa_exception_fp_ieee_div_zero 0
		.amdhsa_exception_fp_ieee_overflow 0
		.amdhsa_exception_fp_ieee_underflow 0
		.amdhsa_exception_fp_ieee_inexact 0
		.amdhsa_exception_int_div_zero 0
	.end_amdhsa_kernel
	.section	.text._ZN7rocprim17ROCPRIM_400000_NS6detail17trampoline_kernelINS0_14default_configENS1_20scan_config_selectorIN3c108BFloat16EEEZZNS1_9scan_implILNS1_25lookback_scan_determinismE0ELb0ELb0ES3_PKS6_PS6_S6_ZZZN2at6native31launch_logcumsumexp_cuda_kernelERKNSD_10TensorBaseESH_lENKUlvE_clEvENKUlvE4_clEvEUlS6_S6_E_S6_EEDaPvRmT3_T4_T5_mT6_P12ihipStream_tbENKUlT_T0_E_clISt17integral_constantIbLb0EESX_IbLb1EEEEDaST_SU_EUlST_E_NS1_11comp_targetILNS1_3genE9ELNS1_11target_archE1100ELNS1_3gpuE3ELNS1_3repE0EEENS1_30default_config_static_selectorELNS0_4arch9wavefront6targetE0EEEvT1_,"axG",@progbits,_ZN7rocprim17ROCPRIM_400000_NS6detail17trampoline_kernelINS0_14default_configENS1_20scan_config_selectorIN3c108BFloat16EEEZZNS1_9scan_implILNS1_25lookback_scan_determinismE0ELb0ELb0ES3_PKS6_PS6_S6_ZZZN2at6native31launch_logcumsumexp_cuda_kernelERKNSD_10TensorBaseESH_lENKUlvE_clEvENKUlvE4_clEvEUlS6_S6_E_S6_EEDaPvRmT3_T4_T5_mT6_P12ihipStream_tbENKUlT_T0_E_clISt17integral_constantIbLb0EESX_IbLb1EEEEDaST_SU_EUlST_E_NS1_11comp_targetILNS1_3genE9ELNS1_11target_archE1100ELNS1_3gpuE3ELNS1_3repE0EEENS1_30default_config_static_selectorELNS0_4arch9wavefront6targetE0EEEvT1_,comdat
.Lfunc_end510:
	.size	_ZN7rocprim17ROCPRIM_400000_NS6detail17trampoline_kernelINS0_14default_configENS1_20scan_config_selectorIN3c108BFloat16EEEZZNS1_9scan_implILNS1_25lookback_scan_determinismE0ELb0ELb0ES3_PKS6_PS6_S6_ZZZN2at6native31launch_logcumsumexp_cuda_kernelERKNSD_10TensorBaseESH_lENKUlvE_clEvENKUlvE4_clEvEUlS6_S6_E_S6_EEDaPvRmT3_T4_T5_mT6_P12ihipStream_tbENKUlT_T0_E_clISt17integral_constantIbLb0EESX_IbLb1EEEEDaST_SU_EUlST_E_NS1_11comp_targetILNS1_3genE9ELNS1_11target_archE1100ELNS1_3gpuE3ELNS1_3repE0EEENS1_30default_config_static_selectorELNS0_4arch9wavefront6targetE0EEEvT1_, .Lfunc_end510-_ZN7rocprim17ROCPRIM_400000_NS6detail17trampoline_kernelINS0_14default_configENS1_20scan_config_selectorIN3c108BFloat16EEEZZNS1_9scan_implILNS1_25lookback_scan_determinismE0ELb0ELb0ES3_PKS6_PS6_S6_ZZZN2at6native31launch_logcumsumexp_cuda_kernelERKNSD_10TensorBaseESH_lENKUlvE_clEvENKUlvE4_clEvEUlS6_S6_E_S6_EEDaPvRmT3_T4_T5_mT6_P12ihipStream_tbENKUlT_T0_E_clISt17integral_constantIbLb0EESX_IbLb1EEEEDaST_SU_EUlST_E_NS1_11comp_targetILNS1_3genE9ELNS1_11target_archE1100ELNS1_3gpuE3ELNS1_3repE0EEENS1_30default_config_static_selectorELNS0_4arch9wavefront6targetE0EEEvT1_
                                        ; -- End function
	.set _ZN7rocprim17ROCPRIM_400000_NS6detail17trampoline_kernelINS0_14default_configENS1_20scan_config_selectorIN3c108BFloat16EEEZZNS1_9scan_implILNS1_25lookback_scan_determinismE0ELb0ELb0ES3_PKS6_PS6_S6_ZZZN2at6native31launch_logcumsumexp_cuda_kernelERKNSD_10TensorBaseESH_lENKUlvE_clEvENKUlvE4_clEvEUlS6_S6_E_S6_EEDaPvRmT3_T4_T5_mT6_P12ihipStream_tbENKUlT_T0_E_clISt17integral_constantIbLb0EESX_IbLb1EEEEDaST_SU_EUlST_E_NS1_11comp_targetILNS1_3genE9ELNS1_11target_archE1100ELNS1_3gpuE3ELNS1_3repE0EEENS1_30default_config_static_selectorELNS0_4arch9wavefront6targetE0EEEvT1_.num_vgpr, 0
	.set _ZN7rocprim17ROCPRIM_400000_NS6detail17trampoline_kernelINS0_14default_configENS1_20scan_config_selectorIN3c108BFloat16EEEZZNS1_9scan_implILNS1_25lookback_scan_determinismE0ELb0ELb0ES3_PKS6_PS6_S6_ZZZN2at6native31launch_logcumsumexp_cuda_kernelERKNSD_10TensorBaseESH_lENKUlvE_clEvENKUlvE4_clEvEUlS6_S6_E_S6_EEDaPvRmT3_T4_T5_mT6_P12ihipStream_tbENKUlT_T0_E_clISt17integral_constantIbLb0EESX_IbLb1EEEEDaST_SU_EUlST_E_NS1_11comp_targetILNS1_3genE9ELNS1_11target_archE1100ELNS1_3gpuE3ELNS1_3repE0EEENS1_30default_config_static_selectorELNS0_4arch9wavefront6targetE0EEEvT1_.num_agpr, 0
	.set _ZN7rocprim17ROCPRIM_400000_NS6detail17trampoline_kernelINS0_14default_configENS1_20scan_config_selectorIN3c108BFloat16EEEZZNS1_9scan_implILNS1_25lookback_scan_determinismE0ELb0ELb0ES3_PKS6_PS6_S6_ZZZN2at6native31launch_logcumsumexp_cuda_kernelERKNSD_10TensorBaseESH_lENKUlvE_clEvENKUlvE4_clEvEUlS6_S6_E_S6_EEDaPvRmT3_T4_T5_mT6_P12ihipStream_tbENKUlT_T0_E_clISt17integral_constantIbLb0EESX_IbLb1EEEEDaST_SU_EUlST_E_NS1_11comp_targetILNS1_3genE9ELNS1_11target_archE1100ELNS1_3gpuE3ELNS1_3repE0EEENS1_30default_config_static_selectorELNS0_4arch9wavefront6targetE0EEEvT1_.numbered_sgpr, 0
	.set _ZN7rocprim17ROCPRIM_400000_NS6detail17trampoline_kernelINS0_14default_configENS1_20scan_config_selectorIN3c108BFloat16EEEZZNS1_9scan_implILNS1_25lookback_scan_determinismE0ELb0ELb0ES3_PKS6_PS6_S6_ZZZN2at6native31launch_logcumsumexp_cuda_kernelERKNSD_10TensorBaseESH_lENKUlvE_clEvENKUlvE4_clEvEUlS6_S6_E_S6_EEDaPvRmT3_T4_T5_mT6_P12ihipStream_tbENKUlT_T0_E_clISt17integral_constantIbLb0EESX_IbLb1EEEEDaST_SU_EUlST_E_NS1_11comp_targetILNS1_3genE9ELNS1_11target_archE1100ELNS1_3gpuE3ELNS1_3repE0EEENS1_30default_config_static_selectorELNS0_4arch9wavefront6targetE0EEEvT1_.num_named_barrier, 0
	.set _ZN7rocprim17ROCPRIM_400000_NS6detail17trampoline_kernelINS0_14default_configENS1_20scan_config_selectorIN3c108BFloat16EEEZZNS1_9scan_implILNS1_25lookback_scan_determinismE0ELb0ELb0ES3_PKS6_PS6_S6_ZZZN2at6native31launch_logcumsumexp_cuda_kernelERKNSD_10TensorBaseESH_lENKUlvE_clEvENKUlvE4_clEvEUlS6_S6_E_S6_EEDaPvRmT3_T4_T5_mT6_P12ihipStream_tbENKUlT_T0_E_clISt17integral_constantIbLb0EESX_IbLb1EEEEDaST_SU_EUlST_E_NS1_11comp_targetILNS1_3genE9ELNS1_11target_archE1100ELNS1_3gpuE3ELNS1_3repE0EEENS1_30default_config_static_selectorELNS0_4arch9wavefront6targetE0EEEvT1_.private_seg_size, 0
	.set _ZN7rocprim17ROCPRIM_400000_NS6detail17trampoline_kernelINS0_14default_configENS1_20scan_config_selectorIN3c108BFloat16EEEZZNS1_9scan_implILNS1_25lookback_scan_determinismE0ELb0ELb0ES3_PKS6_PS6_S6_ZZZN2at6native31launch_logcumsumexp_cuda_kernelERKNSD_10TensorBaseESH_lENKUlvE_clEvENKUlvE4_clEvEUlS6_S6_E_S6_EEDaPvRmT3_T4_T5_mT6_P12ihipStream_tbENKUlT_T0_E_clISt17integral_constantIbLb0EESX_IbLb1EEEEDaST_SU_EUlST_E_NS1_11comp_targetILNS1_3genE9ELNS1_11target_archE1100ELNS1_3gpuE3ELNS1_3repE0EEENS1_30default_config_static_selectorELNS0_4arch9wavefront6targetE0EEEvT1_.uses_vcc, 0
	.set _ZN7rocprim17ROCPRIM_400000_NS6detail17trampoline_kernelINS0_14default_configENS1_20scan_config_selectorIN3c108BFloat16EEEZZNS1_9scan_implILNS1_25lookback_scan_determinismE0ELb0ELb0ES3_PKS6_PS6_S6_ZZZN2at6native31launch_logcumsumexp_cuda_kernelERKNSD_10TensorBaseESH_lENKUlvE_clEvENKUlvE4_clEvEUlS6_S6_E_S6_EEDaPvRmT3_T4_T5_mT6_P12ihipStream_tbENKUlT_T0_E_clISt17integral_constantIbLb0EESX_IbLb1EEEEDaST_SU_EUlST_E_NS1_11comp_targetILNS1_3genE9ELNS1_11target_archE1100ELNS1_3gpuE3ELNS1_3repE0EEENS1_30default_config_static_selectorELNS0_4arch9wavefront6targetE0EEEvT1_.uses_flat_scratch, 0
	.set _ZN7rocprim17ROCPRIM_400000_NS6detail17trampoline_kernelINS0_14default_configENS1_20scan_config_selectorIN3c108BFloat16EEEZZNS1_9scan_implILNS1_25lookback_scan_determinismE0ELb0ELb0ES3_PKS6_PS6_S6_ZZZN2at6native31launch_logcumsumexp_cuda_kernelERKNSD_10TensorBaseESH_lENKUlvE_clEvENKUlvE4_clEvEUlS6_S6_E_S6_EEDaPvRmT3_T4_T5_mT6_P12ihipStream_tbENKUlT_T0_E_clISt17integral_constantIbLb0EESX_IbLb1EEEEDaST_SU_EUlST_E_NS1_11comp_targetILNS1_3genE9ELNS1_11target_archE1100ELNS1_3gpuE3ELNS1_3repE0EEENS1_30default_config_static_selectorELNS0_4arch9wavefront6targetE0EEEvT1_.has_dyn_sized_stack, 0
	.set _ZN7rocprim17ROCPRIM_400000_NS6detail17trampoline_kernelINS0_14default_configENS1_20scan_config_selectorIN3c108BFloat16EEEZZNS1_9scan_implILNS1_25lookback_scan_determinismE0ELb0ELb0ES3_PKS6_PS6_S6_ZZZN2at6native31launch_logcumsumexp_cuda_kernelERKNSD_10TensorBaseESH_lENKUlvE_clEvENKUlvE4_clEvEUlS6_S6_E_S6_EEDaPvRmT3_T4_T5_mT6_P12ihipStream_tbENKUlT_T0_E_clISt17integral_constantIbLb0EESX_IbLb1EEEEDaST_SU_EUlST_E_NS1_11comp_targetILNS1_3genE9ELNS1_11target_archE1100ELNS1_3gpuE3ELNS1_3repE0EEENS1_30default_config_static_selectorELNS0_4arch9wavefront6targetE0EEEvT1_.has_recursion, 0
	.set _ZN7rocprim17ROCPRIM_400000_NS6detail17trampoline_kernelINS0_14default_configENS1_20scan_config_selectorIN3c108BFloat16EEEZZNS1_9scan_implILNS1_25lookback_scan_determinismE0ELb0ELb0ES3_PKS6_PS6_S6_ZZZN2at6native31launch_logcumsumexp_cuda_kernelERKNSD_10TensorBaseESH_lENKUlvE_clEvENKUlvE4_clEvEUlS6_S6_E_S6_EEDaPvRmT3_T4_T5_mT6_P12ihipStream_tbENKUlT_T0_E_clISt17integral_constantIbLb0EESX_IbLb1EEEEDaST_SU_EUlST_E_NS1_11comp_targetILNS1_3genE9ELNS1_11target_archE1100ELNS1_3gpuE3ELNS1_3repE0EEENS1_30default_config_static_selectorELNS0_4arch9wavefront6targetE0EEEvT1_.has_indirect_call, 0
	.section	.AMDGPU.csdata,"",@progbits
; Kernel info:
; codeLenInByte = 0
; TotalNumSgprs: 0
; NumVgprs: 0
; ScratchSize: 0
; MemoryBound: 0
; FloatMode: 240
; IeeeMode: 1
; LDSByteSize: 0 bytes/workgroup (compile time only)
; SGPRBlocks: 0
; VGPRBlocks: 0
; NumSGPRsForWavesPerEU: 1
; NumVGPRsForWavesPerEU: 1
; Occupancy: 16
; WaveLimiterHint : 0
; COMPUTE_PGM_RSRC2:SCRATCH_EN: 0
; COMPUTE_PGM_RSRC2:USER_SGPR: 2
; COMPUTE_PGM_RSRC2:TRAP_HANDLER: 0
; COMPUTE_PGM_RSRC2:TGID_X_EN: 1
; COMPUTE_PGM_RSRC2:TGID_Y_EN: 0
; COMPUTE_PGM_RSRC2:TGID_Z_EN: 0
; COMPUTE_PGM_RSRC2:TIDIG_COMP_CNT: 0
	.section	.text._ZN7rocprim17ROCPRIM_400000_NS6detail17trampoline_kernelINS0_14default_configENS1_20scan_config_selectorIN3c108BFloat16EEEZZNS1_9scan_implILNS1_25lookback_scan_determinismE0ELb0ELb0ES3_PKS6_PS6_S6_ZZZN2at6native31launch_logcumsumexp_cuda_kernelERKNSD_10TensorBaseESH_lENKUlvE_clEvENKUlvE4_clEvEUlS6_S6_E_S6_EEDaPvRmT3_T4_T5_mT6_P12ihipStream_tbENKUlT_T0_E_clISt17integral_constantIbLb0EESX_IbLb1EEEEDaST_SU_EUlST_E_NS1_11comp_targetILNS1_3genE8ELNS1_11target_archE1030ELNS1_3gpuE2ELNS1_3repE0EEENS1_30default_config_static_selectorELNS0_4arch9wavefront6targetE0EEEvT1_,"axG",@progbits,_ZN7rocprim17ROCPRIM_400000_NS6detail17trampoline_kernelINS0_14default_configENS1_20scan_config_selectorIN3c108BFloat16EEEZZNS1_9scan_implILNS1_25lookback_scan_determinismE0ELb0ELb0ES3_PKS6_PS6_S6_ZZZN2at6native31launch_logcumsumexp_cuda_kernelERKNSD_10TensorBaseESH_lENKUlvE_clEvENKUlvE4_clEvEUlS6_S6_E_S6_EEDaPvRmT3_T4_T5_mT6_P12ihipStream_tbENKUlT_T0_E_clISt17integral_constantIbLb0EESX_IbLb1EEEEDaST_SU_EUlST_E_NS1_11comp_targetILNS1_3genE8ELNS1_11target_archE1030ELNS1_3gpuE2ELNS1_3repE0EEENS1_30default_config_static_selectorELNS0_4arch9wavefront6targetE0EEEvT1_,comdat
	.globl	_ZN7rocprim17ROCPRIM_400000_NS6detail17trampoline_kernelINS0_14default_configENS1_20scan_config_selectorIN3c108BFloat16EEEZZNS1_9scan_implILNS1_25lookback_scan_determinismE0ELb0ELb0ES3_PKS6_PS6_S6_ZZZN2at6native31launch_logcumsumexp_cuda_kernelERKNSD_10TensorBaseESH_lENKUlvE_clEvENKUlvE4_clEvEUlS6_S6_E_S6_EEDaPvRmT3_T4_T5_mT6_P12ihipStream_tbENKUlT_T0_E_clISt17integral_constantIbLb0EESX_IbLb1EEEEDaST_SU_EUlST_E_NS1_11comp_targetILNS1_3genE8ELNS1_11target_archE1030ELNS1_3gpuE2ELNS1_3repE0EEENS1_30default_config_static_selectorELNS0_4arch9wavefront6targetE0EEEvT1_ ; -- Begin function _ZN7rocprim17ROCPRIM_400000_NS6detail17trampoline_kernelINS0_14default_configENS1_20scan_config_selectorIN3c108BFloat16EEEZZNS1_9scan_implILNS1_25lookback_scan_determinismE0ELb0ELb0ES3_PKS6_PS6_S6_ZZZN2at6native31launch_logcumsumexp_cuda_kernelERKNSD_10TensorBaseESH_lENKUlvE_clEvENKUlvE4_clEvEUlS6_S6_E_S6_EEDaPvRmT3_T4_T5_mT6_P12ihipStream_tbENKUlT_T0_E_clISt17integral_constantIbLb0EESX_IbLb1EEEEDaST_SU_EUlST_E_NS1_11comp_targetILNS1_3genE8ELNS1_11target_archE1030ELNS1_3gpuE2ELNS1_3repE0EEENS1_30default_config_static_selectorELNS0_4arch9wavefront6targetE0EEEvT1_
	.p2align	8
	.type	_ZN7rocprim17ROCPRIM_400000_NS6detail17trampoline_kernelINS0_14default_configENS1_20scan_config_selectorIN3c108BFloat16EEEZZNS1_9scan_implILNS1_25lookback_scan_determinismE0ELb0ELb0ES3_PKS6_PS6_S6_ZZZN2at6native31launch_logcumsumexp_cuda_kernelERKNSD_10TensorBaseESH_lENKUlvE_clEvENKUlvE4_clEvEUlS6_S6_E_S6_EEDaPvRmT3_T4_T5_mT6_P12ihipStream_tbENKUlT_T0_E_clISt17integral_constantIbLb0EESX_IbLb1EEEEDaST_SU_EUlST_E_NS1_11comp_targetILNS1_3genE8ELNS1_11target_archE1030ELNS1_3gpuE2ELNS1_3repE0EEENS1_30default_config_static_selectorELNS0_4arch9wavefront6targetE0EEEvT1_,@function
_ZN7rocprim17ROCPRIM_400000_NS6detail17trampoline_kernelINS0_14default_configENS1_20scan_config_selectorIN3c108BFloat16EEEZZNS1_9scan_implILNS1_25lookback_scan_determinismE0ELb0ELb0ES3_PKS6_PS6_S6_ZZZN2at6native31launch_logcumsumexp_cuda_kernelERKNSD_10TensorBaseESH_lENKUlvE_clEvENKUlvE4_clEvEUlS6_S6_E_S6_EEDaPvRmT3_T4_T5_mT6_P12ihipStream_tbENKUlT_T0_E_clISt17integral_constantIbLb0EESX_IbLb1EEEEDaST_SU_EUlST_E_NS1_11comp_targetILNS1_3genE8ELNS1_11target_archE1030ELNS1_3gpuE2ELNS1_3repE0EEENS1_30default_config_static_selectorELNS0_4arch9wavefront6targetE0EEEvT1_: ; @_ZN7rocprim17ROCPRIM_400000_NS6detail17trampoline_kernelINS0_14default_configENS1_20scan_config_selectorIN3c108BFloat16EEEZZNS1_9scan_implILNS1_25lookback_scan_determinismE0ELb0ELb0ES3_PKS6_PS6_S6_ZZZN2at6native31launch_logcumsumexp_cuda_kernelERKNSD_10TensorBaseESH_lENKUlvE_clEvENKUlvE4_clEvEUlS6_S6_E_S6_EEDaPvRmT3_T4_T5_mT6_P12ihipStream_tbENKUlT_T0_E_clISt17integral_constantIbLb0EESX_IbLb1EEEEDaST_SU_EUlST_E_NS1_11comp_targetILNS1_3genE8ELNS1_11target_archE1030ELNS1_3gpuE2ELNS1_3repE0EEENS1_30default_config_static_selectorELNS0_4arch9wavefront6targetE0EEEvT1_
; %bb.0:
	.section	.rodata,"a",@progbits
	.p2align	6, 0x0
	.amdhsa_kernel _ZN7rocprim17ROCPRIM_400000_NS6detail17trampoline_kernelINS0_14default_configENS1_20scan_config_selectorIN3c108BFloat16EEEZZNS1_9scan_implILNS1_25lookback_scan_determinismE0ELb0ELb0ES3_PKS6_PS6_S6_ZZZN2at6native31launch_logcumsumexp_cuda_kernelERKNSD_10TensorBaseESH_lENKUlvE_clEvENKUlvE4_clEvEUlS6_S6_E_S6_EEDaPvRmT3_T4_T5_mT6_P12ihipStream_tbENKUlT_T0_E_clISt17integral_constantIbLb0EESX_IbLb1EEEEDaST_SU_EUlST_E_NS1_11comp_targetILNS1_3genE8ELNS1_11target_archE1030ELNS1_3gpuE2ELNS1_3repE0EEENS1_30default_config_static_selectorELNS0_4arch9wavefront6targetE0EEEvT1_
		.amdhsa_group_segment_fixed_size 0
		.amdhsa_private_segment_fixed_size 0
		.amdhsa_kernarg_size 96
		.amdhsa_user_sgpr_count 2
		.amdhsa_user_sgpr_dispatch_ptr 0
		.amdhsa_user_sgpr_queue_ptr 0
		.amdhsa_user_sgpr_kernarg_segment_ptr 1
		.amdhsa_user_sgpr_dispatch_id 0
		.amdhsa_user_sgpr_private_segment_size 0
		.amdhsa_wavefront_size32 1
		.amdhsa_uses_dynamic_stack 0
		.amdhsa_enable_private_segment 0
		.amdhsa_system_sgpr_workgroup_id_x 1
		.amdhsa_system_sgpr_workgroup_id_y 0
		.amdhsa_system_sgpr_workgroup_id_z 0
		.amdhsa_system_sgpr_workgroup_info 0
		.amdhsa_system_vgpr_workitem_id 0
		.amdhsa_next_free_vgpr 1
		.amdhsa_next_free_sgpr 1
		.amdhsa_reserve_vcc 0
		.amdhsa_float_round_mode_32 0
		.amdhsa_float_round_mode_16_64 0
		.amdhsa_float_denorm_mode_32 3
		.amdhsa_float_denorm_mode_16_64 3
		.amdhsa_fp16_overflow 0
		.amdhsa_workgroup_processor_mode 1
		.amdhsa_memory_ordered 1
		.amdhsa_forward_progress 1
		.amdhsa_inst_pref_size 0
		.amdhsa_round_robin_scheduling 0
		.amdhsa_exception_fp_ieee_invalid_op 0
		.amdhsa_exception_fp_denorm_src 0
		.amdhsa_exception_fp_ieee_div_zero 0
		.amdhsa_exception_fp_ieee_overflow 0
		.amdhsa_exception_fp_ieee_underflow 0
		.amdhsa_exception_fp_ieee_inexact 0
		.amdhsa_exception_int_div_zero 0
	.end_amdhsa_kernel
	.section	.text._ZN7rocprim17ROCPRIM_400000_NS6detail17trampoline_kernelINS0_14default_configENS1_20scan_config_selectorIN3c108BFloat16EEEZZNS1_9scan_implILNS1_25lookback_scan_determinismE0ELb0ELb0ES3_PKS6_PS6_S6_ZZZN2at6native31launch_logcumsumexp_cuda_kernelERKNSD_10TensorBaseESH_lENKUlvE_clEvENKUlvE4_clEvEUlS6_S6_E_S6_EEDaPvRmT3_T4_T5_mT6_P12ihipStream_tbENKUlT_T0_E_clISt17integral_constantIbLb0EESX_IbLb1EEEEDaST_SU_EUlST_E_NS1_11comp_targetILNS1_3genE8ELNS1_11target_archE1030ELNS1_3gpuE2ELNS1_3repE0EEENS1_30default_config_static_selectorELNS0_4arch9wavefront6targetE0EEEvT1_,"axG",@progbits,_ZN7rocprim17ROCPRIM_400000_NS6detail17trampoline_kernelINS0_14default_configENS1_20scan_config_selectorIN3c108BFloat16EEEZZNS1_9scan_implILNS1_25lookback_scan_determinismE0ELb0ELb0ES3_PKS6_PS6_S6_ZZZN2at6native31launch_logcumsumexp_cuda_kernelERKNSD_10TensorBaseESH_lENKUlvE_clEvENKUlvE4_clEvEUlS6_S6_E_S6_EEDaPvRmT3_T4_T5_mT6_P12ihipStream_tbENKUlT_T0_E_clISt17integral_constantIbLb0EESX_IbLb1EEEEDaST_SU_EUlST_E_NS1_11comp_targetILNS1_3genE8ELNS1_11target_archE1030ELNS1_3gpuE2ELNS1_3repE0EEENS1_30default_config_static_selectorELNS0_4arch9wavefront6targetE0EEEvT1_,comdat
.Lfunc_end511:
	.size	_ZN7rocprim17ROCPRIM_400000_NS6detail17trampoline_kernelINS0_14default_configENS1_20scan_config_selectorIN3c108BFloat16EEEZZNS1_9scan_implILNS1_25lookback_scan_determinismE0ELb0ELb0ES3_PKS6_PS6_S6_ZZZN2at6native31launch_logcumsumexp_cuda_kernelERKNSD_10TensorBaseESH_lENKUlvE_clEvENKUlvE4_clEvEUlS6_S6_E_S6_EEDaPvRmT3_T4_T5_mT6_P12ihipStream_tbENKUlT_T0_E_clISt17integral_constantIbLb0EESX_IbLb1EEEEDaST_SU_EUlST_E_NS1_11comp_targetILNS1_3genE8ELNS1_11target_archE1030ELNS1_3gpuE2ELNS1_3repE0EEENS1_30default_config_static_selectorELNS0_4arch9wavefront6targetE0EEEvT1_, .Lfunc_end511-_ZN7rocprim17ROCPRIM_400000_NS6detail17trampoline_kernelINS0_14default_configENS1_20scan_config_selectorIN3c108BFloat16EEEZZNS1_9scan_implILNS1_25lookback_scan_determinismE0ELb0ELb0ES3_PKS6_PS6_S6_ZZZN2at6native31launch_logcumsumexp_cuda_kernelERKNSD_10TensorBaseESH_lENKUlvE_clEvENKUlvE4_clEvEUlS6_S6_E_S6_EEDaPvRmT3_T4_T5_mT6_P12ihipStream_tbENKUlT_T0_E_clISt17integral_constantIbLb0EESX_IbLb1EEEEDaST_SU_EUlST_E_NS1_11comp_targetILNS1_3genE8ELNS1_11target_archE1030ELNS1_3gpuE2ELNS1_3repE0EEENS1_30default_config_static_selectorELNS0_4arch9wavefront6targetE0EEEvT1_
                                        ; -- End function
	.set _ZN7rocprim17ROCPRIM_400000_NS6detail17trampoline_kernelINS0_14default_configENS1_20scan_config_selectorIN3c108BFloat16EEEZZNS1_9scan_implILNS1_25lookback_scan_determinismE0ELb0ELb0ES3_PKS6_PS6_S6_ZZZN2at6native31launch_logcumsumexp_cuda_kernelERKNSD_10TensorBaseESH_lENKUlvE_clEvENKUlvE4_clEvEUlS6_S6_E_S6_EEDaPvRmT3_T4_T5_mT6_P12ihipStream_tbENKUlT_T0_E_clISt17integral_constantIbLb0EESX_IbLb1EEEEDaST_SU_EUlST_E_NS1_11comp_targetILNS1_3genE8ELNS1_11target_archE1030ELNS1_3gpuE2ELNS1_3repE0EEENS1_30default_config_static_selectorELNS0_4arch9wavefront6targetE0EEEvT1_.num_vgpr, 0
	.set _ZN7rocprim17ROCPRIM_400000_NS6detail17trampoline_kernelINS0_14default_configENS1_20scan_config_selectorIN3c108BFloat16EEEZZNS1_9scan_implILNS1_25lookback_scan_determinismE0ELb0ELb0ES3_PKS6_PS6_S6_ZZZN2at6native31launch_logcumsumexp_cuda_kernelERKNSD_10TensorBaseESH_lENKUlvE_clEvENKUlvE4_clEvEUlS6_S6_E_S6_EEDaPvRmT3_T4_T5_mT6_P12ihipStream_tbENKUlT_T0_E_clISt17integral_constantIbLb0EESX_IbLb1EEEEDaST_SU_EUlST_E_NS1_11comp_targetILNS1_3genE8ELNS1_11target_archE1030ELNS1_3gpuE2ELNS1_3repE0EEENS1_30default_config_static_selectorELNS0_4arch9wavefront6targetE0EEEvT1_.num_agpr, 0
	.set _ZN7rocprim17ROCPRIM_400000_NS6detail17trampoline_kernelINS0_14default_configENS1_20scan_config_selectorIN3c108BFloat16EEEZZNS1_9scan_implILNS1_25lookback_scan_determinismE0ELb0ELb0ES3_PKS6_PS6_S6_ZZZN2at6native31launch_logcumsumexp_cuda_kernelERKNSD_10TensorBaseESH_lENKUlvE_clEvENKUlvE4_clEvEUlS6_S6_E_S6_EEDaPvRmT3_T4_T5_mT6_P12ihipStream_tbENKUlT_T0_E_clISt17integral_constantIbLb0EESX_IbLb1EEEEDaST_SU_EUlST_E_NS1_11comp_targetILNS1_3genE8ELNS1_11target_archE1030ELNS1_3gpuE2ELNS1_3repE0EEENS1_30default_config_static_selectorELNS0_4arch9wavefront6targetE0EEEvT1_.numbered_sgpr, 0
	.set _ZN7rocprim17ROCPRIM_400000_NS6detail17trampoline_kernelINS0_14default_configENS1_20scan_config_selectorIN3c108BFloat16EEEZZNS1_9scan_implILNS1_25lookback_scan_determinismE0ELb0ELb0ES3_PKS6_PS6_S6_ZZZN2at6native31launch_logcumsumexp_cuda_kernelERKNSD_10TensorBaseESH_lENKUlvE_clEvENKUlvE4_clEvEUlS6_S6_E_S6_EEDaPvRmT3_T4_T5_mT6_P12ihipStream_tbENKUlT_T0_E_clISt17integral_constantIbLb0EESX_IbLb1EEEEDaST_SU_EUlST_E_NS1_11comp_targetILNS1_3genE8ELNS1_11target_archE1030ELNS1_3gpuE2ELNS1_3repE0EEENS1_30default_config_static_selectorELNS0_4arch9wavefront6targetE0EEEvT1_.num_named_barrier, 0
	.set _ZN7rocprim17ROCPRIM_400000_NS6detail17trampoline_kernelINS0_14default_configENS1_20scan_config_selectorIN3c108BFloat16EEEZZNS1_9scan_implILNS1_25lookback_scan_determinismE0ELb0ELb0ES3_PKS6_PS6_S6_ZZZN2at6native31launch_logcumsumexp_cuda_kernelERKNSD_10TensorBaseESH_lENKUlvE_clEvENKUlvE4_clEvEUlS6_S6_E_S6_EEDaPvRmT3_T4_T5_mT6_P12ihipStream_tbENKUlT_T0_E_clISt17integral_constantIbLb0EESX_IbLb1EEEEDaST_SU_EUlST_E_NS1_11comp_targetILNS1_3genE8ELNS1_11target_archE1030ELNS1_3gpuE2ELNS1_3repE0EEENS1_30default_config_static_selectorELNS0_4arch9wavefront6targetE0EEEvT1_.private_seg_size, 0
	.set _ZN7rocprim17ROCPRIM_400000_NS6detail17trampoline_kernelINS0_14default_configENS1_20scan_config_selectorIN3c108BFloat16EEEZZNS1_9scan_implILNS1_25lookback_scan_determinismE0ELb0ELb0ES3_PKS6_PS6_S6_ZZZN2at6native31launch_logcumsumexp_cuda_kernelERKNSD_10TensorBaseESH_lENKUlvE_clEvENKUlvE4_clEvEUlS6_S6_E_S6_EEDaPvRmT3_T4_T5_mT6_P12ihipStream_tbENKUlT_T0_E_clISt17integral_constantIbLb0EESX_IbLb1EEEEDaST_SU_EUlST_E_NS1_11comp_targetILNS1_3genE8ELNS1_11target_archE1030ELNS1_3gpuE2ELNS1_3repE0EEENS1_30default_config_static_selectorELNS0_4arch9wavefront6targetE0EEEvT1_.uses_vcc, 0
	.set _ZN7rocprim17ROCPRIM_400000_NS6detail17trampoline_kernelINS0_14default_configENS1_20scan_config_selectorIN3c108BFloat16EEEZZNS1_9scan_implILNS1_25lookback_scan_determinismE0ELb0ELb0ES3_PKS6_PS6_S6_ZZZN2at6native31launch_logcumsumexp_cuda_kernelERKNSD_10TensorBaseESH_lENKUlvE_clEvENKUlvE4_clEvEUlS6_S6_E_S6_EEDaPvRmT3_T4_T5_mT6_P12ihipStream_tbENKUlT_T0_E_clISt17integral_constantIbLb0EESX_IbLb1EEEEDaST_SU_EUlST_E_NS1_11comp_targetILNS1_3genE8ELNS1_11target_archE1030ELNS1_3gpuE2ELNS1_3repE0EEENS1_30default_config_static_selectorELNS0_4arch9wavefront6targetE0EEEvT1_.uses_flat_scratch, 0
	.set _ZN7rocprim17ROCPRIM_400000_NS6detail17trampoline_kernelINS0_14default_configENS1_20scan_config_selectorIN3c108BFloat16EEEZZNS1_9scan_implILNS1_25lookback_scan_determinismE0ELb0ELb0ES3_PKS6_PS6_S6_ZZZN2at6native31launch_logcumsumexp_cuda_kernelERKNSD_10TensorBaseESH_lENKUlvE_clEvENKUlvE4_clEvEUlS6_S6_E_S6_EEDaPvRmT3_T4_T5_mT6_P12ihipStream_tbENKUlT_T0_E_clISt17integral_constantIbLb0EESX_IbLb1EEEEDaST_SU_EUlST_E_NS1_11comp_targetILNS1_3genE8ELNS1_11target_archE1030ELNS1_3gpuE2ELNS1_3repE0EEENS1_30default_config_static_selectorELNS0_4arch9wavefront6targetE0EEEvT1_.has_dyn_sized_stack, 0
	.set _ZN7rocprim17ROCPRIM_400000_NS6detail17trampoline_kernelINS0_14default_configENS1_20scan_config_selectorIN3c108BFloat16EEEZZNS1_9scan_implILNS1_25lookback_scan_determinismE0ELb0ELb0ES3_PKS6_PS6_S6_ZZZN2at6native31launch_logcumsumexp_cuda_kernelERKNSD_10TensorBaseESH_lENKUlvE_clEvENKUlvE4_clEvEUlS6_S6_E_S6_EEDaPvRmT3_T4_T5_mT6_P12ihipStream_tbENKUlT_T0_E_clISt17integral_constantIbLb0EESX_IbLb1EEEEDaST_SU_EUlST_E_NS1_11comp_targetILNS1_3genE8ELNS1_11target_archE1030ELNS1_3gpuE2ELNS1_3repE0EEENS1_30default_config_static_selectorELNS0_4arch9wavefront6targetE0EEEvT1_.has_recursion, 0
	.set _ZN7rocprim17ROCPRIM_400000_NS6detail17trampoline_kernelINS0_14default_configENS1_20scan_config_selectorIN3c108BFloat16EEEZZNS1_9scan_implILNS1_25lookback_scan_determinismE0ELb0ELb0ES3_PKS6_PS6_S6_ZZZN2at6native31launch_logcumsumexp_cuda_kernelERKNSD_10TensorBaseESH_lENKUlvE_clEvENKUlvE4_clEvEUlS6_S6_E_S6_EEDaPvRmT3_T4_T5_mT6_P12ihipStream_tbENKUlT_T0_E_clISt17integral_constantIbLb0EESX_IbLb1EEEEDaST_SU_EUlST_E_NS1_11comp_targetILNS1_3genE8ELNS1_11target_archE1030ELNS1_3gpuE2ELNS1_3repE0EEENS1_30default_config_static_selectorELNS0_4arch9wavefront6targetE0EEEvT1_.has_indirect_call, 0
	.section	.AMDGPU.csdata,"",@progbits
; Kernel info:
; codeLenInByte = 0
; TotalNumSgprs: 0
; NumVgprs: 0
; ScratchSize: 0
; MemoryBound: 0
; FloatMode: 240
; IeeeMode: 1
; LDSByteSize: 0 bytes/workgroup (compile time only)
; SGPRBlocks: 0
; VGPRBlocks: 0
; NumSGPRsForWavesPerEU: 1
; NumVGPRsForWavesPerEU: 1
; Occupancy: 16
; WaveLimiterHint : 0
; COMPUTE_PGM_RSRC2:SCRATCH_EN: 0
; COMPUTE_PGM_RSRC2:USER_SGPR: 2
; COMPUTE_PGM_RSRC2:TRAP_HANDLER: 0
; COMPUTE_PGM_RSRC2:TGID_X_EN: 1
; COMPUTE_PGM_RSRC2:TGID_Y_EN: 0
; COMPUTE_PGM_RSRC2:TGID_Z_EN: 0
; COMPUTE_PGM_RSRC2:TIDIG_COMP_CNT: 0
	.section	.text._ZN7rocprim17ROCPRIM_400000_NS6detail17trampoline_kernelINS0_14default_configENS1_20scan_config_selectorIN3c108BFloat16EEEZZNS1_9scan_implILNS1_25lookback_scan_determinismE0ELb0ELb0ES3_PKS6_PS6_S6_ZZZN2at6native31launch_logcumsumexp_cuda_kernelERKNSD_10TensorBaseESH_lENKUlvE_clEvENKUlvE4_clEvEUlS6_S6_E_S6_EEDaPvRmT3_T4_T5_mT6_P12ihipStream_tbENKUlT_T0_E_clISt17integral_constantIbLb0EESX_IbLb1EEEEDaST_SU_EUlST_E0_NS1_11comp_targetILNS1_3genE0ELNS1_11target_archE4294967295ELNS1_3gpuE0ELNS1_3repE0EEENS1_30default_config_static_selectorELNS0_4arch9wavefront6targetE0EEEvT1_,"axG",@progbits,_ZN7rocprim17ROCPRIM_400000_NS6detail17trampoline_kernelINS0_14default_configENS1_20scan_config_selectorIN3c108BFloat16EEEZZNS1_9scan_implILNS1_25lookback_scan_determinismE0ELb0ELb0ES3_PKS6_PS6_S6_ZZZN2at6native31launch_logcumsumexp_cuda_kernelERKNSD_10TensorBaseESH_lENKUlvE_clEvENKUlvE4_clEvEUlS6_S6_E_S6_EEDaPvRmT3_T4_T5_mT6_P12ihipStream_tbENKUlT_T0_E_clISt17integral_constantIbLb0EESX_IbLb1EEEEDaST_SU_EUlST_E0_NS1_11comp_targetILNS1_3genE0ELNS1_11target_archE4294967295ELNS1_3gpuE0ELNS1_3repE0EEENS1_30default_config_static_selectorELNS0_4arch9wavefront6targetE0EEEvT1_,comdat
	.globl	_ZN7rocprim17ROCPRIM_400000_NS6detail17trampoline_kernelINS0_14default_configENS1_20scan_config_selectorIN3c108BFloat16EEEZZNS1_9scan_implILNS1_25lookback_scan_determinismE0ELb0ELb0ES3_PKS6_PS6_S6_ZZZN2at6native31launch_logcumsumexp_cuda_kernelERKNSD_10TensorBaseESH_lENKUlvE_clEvENKUlvE4_clEvEUlS6_S6_E_S6_EEDaPvRmT3_T4_T5_mT6_P12ihipStream_tbENKUlT_T0_E_clISt17integral_constantIbLb0EESX_IbLb1EEEEDaST_SU_EUlST_E0_NS1_11comp_targetILNS1_3genE0ELNS1_11target_archE4294967295ELNS1_3gpuE0ELNS1_3repE0EEENS1_30default_config_static_selectorELNS0_4arch9wavefront6targetE0EEEvT1_ ; -- Begin function _ZN7rocprim17ROCPRIM_400000_NS6detail17trampoline_kernelINS0_14default_configENS1_20scan_config_selectorIN3c108BFloat16EEEZZNS1_9scan_implILNS1_25lookback_scan_determinismE0ELb0ELb0ES3_PKS6_PS6_S6_ZZZN2at6native31launch_logcumsumexp_cuda_kernelERKNSD_10TensorBaseESH_lENKUlvE_clEvENKUlvE4_clEvEUlS6_S6_E_S6_EEDaPvRmT3_T4_T5_mT6_P12ihipStream_tbENKUlT_T0_E_clISt17integral_constantIbLb0EESX_IbLb1EEEEDaST_SU_EUlST_E0_NS1_11comp_targetILNS1_3genE0ELNS1_11target_archE4294967295ELNS1_3gpuE0ELNS1_3repE0EEENS1_30default_config_static_selectorELNS0_4arch9wavefront6targetE0EEEvT1_
	.p2align	8
	.type	_ZN7rocprim17ROCPRIM_400000_NS6detail17trampoline_kernelINS0_14default_configENS1_20scan_config_selectorIN3c108BFloat16EEEZZNS1_9scan_implILNS1_25lookback_scan_determinismE0ELb0ELb0ES3_PKS6_PS6_S6_ZZZN2at6native31launch_logcumsumexp_cuda_kernelERKNSD_10TensorBaseESH_lENKUlvE_clEvENKUlvE4_clEvEUlS6_S6_E_S6_EEDaPvRmT3_T4_T5_mT6_P12ihipStream_tbENKUlT_T0_E_clISt17integral_constantIbLb0EESX_IbLb1EEEEDaST_SU_EUlST_E0_NS1_11comp_targetILNS1_3genE0ELNS1_11target_archE4294967295ELNS1_3gpuE0ELNS1_3repE0EEENS1_30default_config_static_selectorELNS0_4arch9wavefront6targetE0EEEvT1_,@function
_ZN7rocprim17ROCPRIM_400000_NS6detail17trampoline_kernelINS0_14default_configENS1_20scan_config_selectorIN3c108BFloat16EEEZZNS1_9scan_implILNS1_25lookback_scan_determinismE0ELb0ELb0ES3_PKS6_PS6_S6_ZZZN2at6native31launch_logcumsumexp_cuda_kernelERKNSD_10TensorBaseESH_lENKUlvE_clEvENKUlvE4_clEvEUlS6_S6_E_S6_EEDaPvRmT3_T4_T5_mT6_P12ihipStream_tbENKUlT_T0_E_clISt17integral_constantIbLb0EESX_IbLb1EEEEDaST_SU_EUlST_E0_NS1_11comp_targetILNS1_3genE0ELNS1_11target_archE4294967295ELNS1_3gpuE0ELNS1_3repE0EEENS1_30default_config_static_selectorELNS0_4arch9wavefront6targetE0EEEvT1_: ; @_ZN7rocprim17ROCPRIM_400000_NS6detail17trampoline_kernelINS0_14default_configENS1_20scan_config_selectorIN3c108BFloat16EEEZZNS1_9scan_implILNS1_25lookback_scan_determinismE0ELb0ELb0ES3_PKS6_PS6_S6_ZZZN2at6native31launch_logcumsumexp_cuda_kernelERKNSD_10TensorBaseESH_lENKUlvE_clEvENKUlvE4_clEvEUlS6_S6_E_S6_EEDaPvRmT3_T4_T5_mT6_P12ihipStream_tbENKUlT_T0_E_clISt17integral_constantIbLb0EESX_IbLb1EEEEDaST_SU_EUlST_E0_NS1_11comp_targetILNS1_3genE0ELNS1_11target_archE4294967295ELNS1_3gpuE0ELNS1_3repE0EEENS1_30default_config_static_selectorELNS0_4arch9wavefront6targetE0EEEvT1_
; %bb.0:
	.section	.rodata,"a",@progbits
	.p2align	6, 0x0
	.amdhsa_kernel _ZN7rocprim17ROCPRIM_400000_NS6detail17trampoline_kernelINS0_14default_configENS1_20scan_config_selectorIN3c108BFloat16EEEZZNS1_9scan_implILNS1_25lookback_scan_determinismE0ELb0ELb0ES3_PKS6_PS6_S6_ZZZN2at6native31launch_logcumsumexp_cuda_kernelERKNSD_10TensorBaseESH_lENKUlvE_clEvENKUlvE4_clEvEUlS6_S6_E_S6_EEDaPvRmT3_T4_T5_mT6_P12ihipStream_tbENKUlT_T0_E_clISt17integral_constantIbLb0EESX_IbLb1EEEEDaST_SU_EUlST_E0_NS1_11comp_targetILNS1_3genE0ELNS1_11target_archE4294967295ELNS1_3gpuE0ELNS1_3repE0EEENS1_30default_config_static_selectorELNS0_4arch9wavefront6targetE0EEEvT1_
		.amdhsa_group_segment_fixed_size 0
		.amdhsa_private_segment_fixed_size 0
		.amdhsa_kernarg_size 32
		.amdhsa_user_sgpr_count 2
		.amdhsa_user_sgpr_dispatch_ptr 0
		.amdhsa_user_sgpr_queue_ptr 0
		.amdhsa_user_sgpr_kernarg_segment_ptr 1
		.amdhsa_user_sgpr_dispatch_id 0
		.amdhsa_user_sgpr_private_segment_size 0
		.amdhsa_wavefront_size32 1
		.amdhsa_uses_dynamic_stack 0
		.amdhsa_enable_private_segment 0
		.amdhsa_system_sgpr_workgroup_id_x 1
		.amdhsa_system_sgpr_workgroup_id_y 0
		.amdhsa_system_sgpr_workgroup_id_z 0
		.amdhsa_system_sgpr_workgroup_info 0
		.amdhsa_system_vgpr_workitem_id 0
		.amdhsa_next_free_vgpr 1
		.amdhsa_next_free_sgpr 1
		.amdhsa_reserve_vcc 0
		.amdhsa_float_round_mode_32 0
		.amdhsa_float_round_mode_16_64 0
		.amdhsa_float_denorm_mode_32 3
		.amdhsa_float_denorm_mode_16_64 3
		.amdhsa_fp16_overflow 0
		.amdhsa_workgroup_processor_mode 1
		.amdhsa_memory_ordered 1
		.amdhsa_forward_progress 1
		.amdhsa_inst_pref_size 0
		.amdhsa_round_robin_scheduling 0
		.amdhsa_exception_fp_ieee_invalid_op 0
		.amdhsa_exception_fp_denorm_src 0
		.amdhsa_exception_fp_ieee_div_zero 0
		.amdhsa_exception_fp_ieee_overflow 0
		.amdhsa_exception_fp_ieee_underflow 0
		.amdhsa_exception_fp_ieee_inexact 0
		.amdhsa_exception_int_div_zero 0
	.end_amdhsa_kernel
	.section	.text._ZN7rocprim17ROCPRIM_400000_NS6detail17trampoline_kernelINS0_14default_configENS1_20scan_config_selectorIN3c108BFloat16EEEZZNS1_9scan_implILNS1_25lookback_scan_determinismE0ELb0ELb0ES3_PKS6_PS6_S6_ZZZN2at6native31launch_logcumsumexp_cuda_kernelERKNSD_10TensorBaseESH_lENKUlvE_clEvENKUlvE4_clEvEUlS6_S6_E_S6_EEDaPvRmT3_T4_T5_mT6_P12ihipStream_tbENKUlT_T0_E_clISt17integral_constantIbLb0EESX_IbLb1EEEEDaST_SU_EUlST_E0_NS1_11comp_targetILNS1_3genE0ELNS1_11target_archE4294967295ELNS1_3gpuE0ELNS1_3repE0EEENS1_30default_config_static_selectorELNS0_4arch9wavefront6targetE0EEEvT1_,"axG",@progbits,_ZN7rocprim17ROCPRIM_400000_NS6detail17trampoline_kernelINS0_14default_configENS1_20scan_config_selectorIN3c108BFloat16EEEZZNS1_9scan_implILNS1_25lookback_scan_determinismE0ELb0ELb0ES3_PKS6_PS6_S6_ZZZN2at6native31launch_logcumsumexp_cuda_kernelERKNSD_10TensorBaseESH_lENKUlvE_clEvENKUlvE4_clEvEUlS6_S6_E_S6_EEDaPvRmT3_T4_T5_mT6_P12ihipStream_tbENKUlT_T0_E_clISt17integral_constantIbLb0EESX_IbLb1EEEEDaST_SU_EUlST_E0_NS1_11comp_targetILNS1_3genE0ELNS1_11target_archE4294967295ELNS1_3gpuE0ELNS1_3repE0EEENS1_30default_config_static_selectorELNS0_4arch9wavefront6targetE0EEEvT1_,comdat
.Lfunc_end512:
	.size	_ZN7rocprim17ROCPRIM_400000_NS6detail17trampoline_kernelINS0_14default_configENS1_20scan_config_selectorIN3c108BFloat16EEEZZNS1_9scan_implILNS1_25lookback_scan_determinismE0ELb0ELb0ES3_PKS6_PS6_S6_ZZZN2at6native31launch_logcumsumexp_cuda_kernelERKNSD_10TensorBaseESH_lENKUlvE_clEvENKUlvE4_clEvEUlS6_S6_E_S6_EEDaPvRmT3_T4_T5_mT6_P12ihipStream_tbENKUlT_T0_E_clISt17integral_constantIbLb0EESX_IbLb1EEEEDaST_SU_EUlST_E0_NS1_11comp_targetILNS1_3genE0ELNS1_11target_archE4294967295ELNS1_3gpuE0ELNS1_3repE0EEENS1_30default_config_static_selectorELNS0_4arch9wavefront6targetE0EEEvT1_, .Lfunc_end512-_ZN7rocprim17ROCPRIM_400000_NS6detail17trampoline_kernelINS0_14default_configENS1_20scan_config_selectorIN3c108BFloat16EEEZZNS1_9scan_implILNS1_25lookback_scan_determinismE0ELb0ELb0ES3_PKS6_PS6_S6_ZZZN2at6native31launch_logcumsumexp_cuda_kernelERKNSD_10TensorBaseESH_lENKUlvE_clEvENKUlvE4_clEvEUlS6_S6_E_S6_EEDaPvRmT3_T4_T5_mT6_P12ihipStream_tbENKUlT_T0_E_clISt17integral_constantIbLb0EESX_IbLb1EEEEDaST_SU_EUlST_E0_NS1_11comp_targetILNS1_3genE0ELNS1_11target_archE4294967295ELNS1_3gpuE0ELNS1_3repE0EEENS1_30default_config_static_selectorELNS0_4arch9wavefront6targetE0EEEvT1_
                                        ; -- End function
	.set _ZN7rocprim17ROCPRIM_400000_NS6detail17trampoline_kernelINS0_14default_configENS1_20scan_config_selectorIN3c108BFloat16EEEZZNS1_9scan_implILNS1_25lookback_scan_determinismE0ELb0ELb0ES3_PKS6_PS6_S6_ZZZN2at6native31launch_logcumsumexp_cuda_kernelERKNSD_10TensorBaseESH_lENKUlvE_clEvENKUlvE4_clEvEUlS6_S6_E_S6_EEDaPvRmT3_T4_T5_mT6_P12ihipStream_tbENKUlT_T0_E_clISt17integral_constantIbLb0EESX_IbLb1EEEEDaST_SU_EUlST_E0_NS1_11comp_targetILNS1_3genE0ELNS1_11target_archE4294967295ELNS1_3gpuE0ELNS1_3repE0EEENS1_30default_config_static_selectorELNS0_4arch9wavefront6targetE0EEEvT1_.num_vgpr, 0
	.set _ZN7rocprim17ROCPRIM_400000_NS6detail17trampoline_kernelINS0_14default_configENS1_20scan_config_selectorIN3c108BFloat16EEEZZNS1_9scan_implILNS1_25lookback_scan_determinismE0ELb0ELb0ES3_PKS6_PS6_S6_ZZZN2at6native31launch_logcumsumexp_cuda_kernelERKNSD_10TensorBaseESH_lENKUlvE_clEvENKUlvE4_clEvEUlS6_S6_E_S6_EEDaPvRmT3_T4_T5_mT6_P12ihipStream_tbENKUlT_T0_E_clISt17integral_constantIbLb0EESX_IbLb1EEEEDaST_SU_EUlST_E0_NS1_11comp_targetILNS1_3genE0ELNS1_11target_archE4294967295ELNS1_3gpuE0ELNS1_3repE0EEENS1_30default_config_static_selectorELNS0_4arch9wavefront6targetE0EEEvT1_.num_agpr, 0
	.set _ZN7rocprim17ROCPRIM_400000_NS6detail17trampoline_kernelINS0_14default_configENS1_20scan_config_selectorIN3c108BFloat16EEEZZNS1_9scan_implILNS1_25lookback_scan_determinismE0ELb0ELb0ES3_PKS6_PS6_S6_ZZZN2at6native31launch_logcumsumexp_cuda_kernelERKNSD_10TensorBaseESH_lENKUlvE_clEvENKUlvE4_clEvEUlS6_S6_E_S6_EEDaPvRmT3_T4_T5_mT6_P12ihipStream_tbENKUlT_T0_E_clISt17integral_constantIbLb0EESX_IbLb1EEEEDaST_SU_EUlST_E0_NS1_11comp_targetILNS1_3genE0ELNS1_11target_archE4294967295ELNS1_3gpuE0ELNS1_3repE0EEENS1_30default_config_static_selectorELNS0_4arch9wavefront6targetE0EEEvT1_.numbered_sgpr, 0
	.set _ZN7rocprim17ROCPRIM_400000_NS6detail17trampoline_kernelINS0_14default_configENS1_20scan_config_selectorIN3c108BFloat16EEEZZNS1_9scan_implILNS1_25lookback_scan_determinismE0ELb0ELb0ES3_PKS6_PS6_S6_ZZZN2at6native31launch_logcumsumexp_cuda_kernelERKNSD_10TensorBaseESH_lENKUlvE_clEvENKUlvE4_clEvEUlS6_S6_E_S6_EEDaPvRmT3_T4_T5_mT6_P12ihipStream_tbENKUlT_T0_E_clISt17integral_constantIbLb0EESX_IbLb1EEEEDaST_SU_EUlST_E0_NS1_11comp_targetILNS1_3genE0ELNS1_11target_archE4294967295ELNS1_3gpuE0ELNS1_3repE0EEENS1_30default_config_static_selectorELNS0_4arch9wavefront6targetE0EEEvT1_.num_named_barrier, 0
	.set _ZN7rocprim17ROCPRIM_400000_NS6detail17trampoline_kernelINS0_14default_configENS1_20scan_config_selectorIN3c108BFloat16EEEZZNS1_9scan_implILNS1_25lookback_scan_determinismE0ELb0ELb0ES3_PKS6_PS6_S6_ZZZN2at6native31launch_logcumsumexp_cuda_kernelERKNSD_10TensorBaseESH_lENKUlvE_clEvENKUlvE4_clEvEUlS6_S6_E_S6_EEDaPvRmT3_T4_T5_mT6_P12ihipStream_tbENKUlT_T0_E_clISt17integral_constantIbLb0EESX_IbLb1EEEEDaST_SU_EUlST_E0_NS1_11comp_targetILNS1_3genE0ELNS1_11target_archE4294967295ELNS1_3gpuE0ELNS1_3repE0EEENS1_30default_config_static_selectorELNS0_4arch9wavefront6targetE0EEEvT1_.private_seg_size, 0
	.set _ZN7rocprim17ROCPRIM_400000_NS6detail17trampoline_kernelINS0_14default_configENS1_20scan_config_selectorIN3c108BFloat16EEEZZNS1_9scan_implILNS1_25lookback_scan_determinismE0ELb0ELb0ES3_PKS6_PS6_S6_ZZZN2at6native31launch_logcumsumexp_cuda_kernelERKNSD_10TensorBaseESH_lENKUlvE_clEvENKUlvE4_clEvEUlS6_S6_E_S6_EEDaPvRmT3_T4_T5_mT6_P12ihipStream_tbENKUlT_T0_E_clISt17integral_constantIbLb0EESX_IbLb1EEEEDaST_SU_EUlST_E0_NS1_11comp_targetILNS1_3genE0ELNS1_11target_archE4294967295ELNS1_3gpuE0ELNS1_3repE0EEENS1_30default_config_static_selectorELNS0_4arch9wavefront6targetE0EEEvT1_.uses_vcc, 0
	.set _ZN7rocprim17ROCPRIM_400000_NS6detail17trampoline_kernelINS0_14default_configENS1_20scan_config_selectorIN3c108BFloat16EEEZZNS1_9scan_implILNS1_25lookback_scan_determinismE0ELb0ELb0ES3_PKS6_PS6_S6_ZZZN2at6native31launch_logcumsumexp_cuda_kernelERKNSD_10TensorBaseESH_lENKUlvE_clEvENKUlvE4_clEvEUlS6_S6_E_S6_EEDaPvRmT3_T4_T5_mT6_P12ihipStream_tbENKUlT_T0_E_clISt17integral_constantIbLb0EESX_IbLb1EEEEDaST_SU_EUlST_E0_NS1_11comp_targetILNS1_3genE0ELNS1_11target_archE4294967295ELNS1_3gpuE0ELNS1_3repE0EEENS1_30default_config_static_selectorELNS0_4arch9wavefront6targetE0EEEvT1_.uses_flat_scratch, 0
	.set _ZN7rocprim17ROCPRIM_400000_NS6detail17trampoline_kernelINS0_14default_configENS1_20scan_config_selectorIN3c108BFloat16EEEZZNS1_9scan_implILNS1_25lookback_scan_determinismE0ELb0ELb0ES3_PKS6_PS6_S6_ZZZN2at6native31launch_logcumsumexp_cuda_kernelERKNSD_10TensorBaseESH_lENKUlvE_clEvENKUlvE4_clEvEUlS6_S6_E_S6_EEDaPvRmT3_T4_T5_mT6_P12ihipStream_tbENKUlT_T0_E_clISt17integral_constantIbLb0EESX_IbLb1EEEEDaST_SU_EUlST_E0_NS1_11comp_targetILNS1_3genE0ELNS1_11target_archE4294967295ELNS1_3gpuE0ELNS1_3repE0EEENS1_30default_config_static_selectorELNS0_4arch9wavefront6targetE0EEEvT1_.has_dyn_sized_stack, 0
	.set _ZN7rocprim17ROCPRIM_400000_NS6detail17trampoline_kernelINS0_14default_configENS1_20scan_config_selectorIN3c108BFloat16EEEZZNS1_9scan_implILNS1_25lookback_scan_determinismE0ELb0ELb0ES3_PKS6_PS6_S6_ZZZN2at6native31launch_logcumsumexp_cuda_kernelERKNSD_10TensorBaseESH_lENKUlvE_clEvENKUlvE4_clEvEUlS6_S6_E_S6_EEDaPvRmT3_T4_T5_mT6_P12ihipStream_tbENKUlT_T0_E_clISt17integral_constantIbLb0EESX_IbLb1EEEEDaST_SU_EUlST_E0_NS1_11comp_targetILNS1_3genE0ELNS1_11target_archE4294967295ELNS1_3gpuE0ELNS1_3repE0EEENS1_30default_config_static_selectorELNS0_4arch9wavefront6targetE0EEEvT1_.has_recursion, 0
	.set _ZN7rocprim17ROCPRIM_400000_NS6detail17trampoline_kernelINS0_14default_configENS1_20scan_config_selectorIN3c108BFloat16EEEZZNS1_9scan_implILNS1_25lookback_scan_determinismE0ELb0ELb0ES3_PKS6_PS6_S6_ZZZN2at6native31launch_logcumsumexp_cuda_kernelERKNSD_10TensorBaseESH_lENKUlvE_clEvENKUlvE4_clEvEUlS6_S6_E_S6_EEDaPvRmT3_T4_T5_mT6_P12ihipStream_tbENKUlT_T0_E_clISt17integral_constantIbLb0EESX_IbLb1EEEEDaST_SU_EUlST_E0_NS1_11comp_targetILNS1_3genE0ELNS1_11target_archE4294967295ELNS1_3gpuE0ELNS1_3repE0EEENS1_30default_config_static_selectorELNS0_4arch9wavefront6targetE0EEEvT1_.has_indirect_call, 0
	.section	.AMDGPU.csdata,"",@progbits
; Kernel info:
; codeLenInByte = 0
; TotalNumSgprs: 0
; NumVgprs: 0
; ScratchSize: 0
; MemoryBound: 0
; FloatMode: 240
; IeeeMode: 1
; LDSByteSize: 0 bytes/workgroup (compile time only)
; SGPRBlocks: 0
; VGPRBlocks: 0
; NumSGPRsForWavesPerEU: 1
; NumVGPRsForWavesPerEU: 1
; Occupancy: 16
; WaveLimiterHint : 0
; COMPUTE_PGM_RSRC2:SCRATCH_EN: 0
; COMPUTE_PGM_RSRC2:USER_SGPR: 2
; COMPUTE_PGM_RSRC2:TRAP_HANDLER: 0
; COMPUTE_PGM_RSRC2:TGID_X_EN: 1
; COMPUTE_PGM_RSRC2:TGID_Y_EN: 0
; COMPUTE_PGM_RSRC2:TGID_Z_EN: 0
; COMPUTE_PGM_RSRC2:TIDIG_COMP_CNT: 0
	.section	.text._ZN7rocprim17ROCPRIM_400000_NS6detail17trampoline_kernelINS0_14default_configENS1_20scan_config_selectorIN3c108BFloat16EEEZZNS1_9scan_implILNS1_25lookback_scan_determinismE0ELb0ELb0ES3_PKS6_PS6_S6_ZZZN2at6native31launch_logcumsumexp_cuda_kernelERKNSD_10TensorBaseESH_lENKUlvE_clEvENKUlvE4_clEvEUlS6_S6_E_S6_EEDaPvRmT3_T4_T5_mT6_P12ihipStream_tbENKUlT_T0_E_clISt17integral_constantIbLb0EESX_IbLb1EEEEDaST_SU_EUlST_E0_NS1_11comp_targetILNS1_3genE5ELNS1_11target_archE942ELNS1_3gpuE9ELNS1_3repE0EEENS1_30default_config_static_selectorELNS0_4arch9wavefront6targetE0EEEvT1_,"axG",@progbits,_ZN7rocprim17ROCPRIM_400000_NS6detail17trampoline_kernelINS0_14default_configENS1_20scan_config_selectorIN3c108BFloat16EEEZZNS1_9scan_implILNS1_25lookback_scan_determinismE0ELb0ELb0ES3_PKS6_PS6_S6_ZZZN2at6native31launch_logcumsumexp_cuda_kernelERKNSD_10TensorBaseESH_lENKUlvE_clEvENKUlvE4_clEvEUlS6_S6_E_S6_EEDaPvRmT3_T4_T5_mT6_P12ihipStream_tbENKUlT_T0_E_clISt17integral_constantIbLb0EESX_IbLb1EEEEDaST_SU_EUlST_E0_NS1_11comp_targetILNS1_3genE5ELNS1_11target_archE942ELNS1_3gpuE9ELNS1_3repE0EEENS1_30default_config_static_selectorELNS0_4arch9wavefront6targetE0EEEvT1_,comdat
	.globl	_ZN7rocprim17ROCPRIM_400000_NS6detail17trampoline_kernelINS0_14default_configENS1_20scan_config_selectorIN3c108BFloat16EEEZZNS1_9scan_implILNS1_25lookback_scan_determinismE0ELb0ELb0ES3_PKS6_PS6_S6_ZZZN2at6native31launch_logcumsumexp_cuda_kernelERKNSD_10TensorBaseESH_lENKUlvE_clEvENKUlvE4_clEvEUlS6_S6_E_S6_EEDaPvRmT3_T4_T5_mT6_P12ihipStream_tbENKUlT_T0_E_clISt17integral_constantIbLb0EESX_IbLb1EEEEDaST_SU_EUlST_E0_NS1_11comp_targetILNS1_3genE5ELNS1_11target_archE942ELNS1_3gpuE9ELNS1_3repE0EEENS1_30default_config_static_selectorELNS0_4arch9wavefront6targetE0EEEvT1_ ; -- Begin function _ZN7rocprim17ROCPRIM_400000_NS6detail17trampoline_kernelINS0_14default_configENS1_20scan_config_selectorIN3c108BFloat16EEEZZNS1_9scan_implILNS1_25lookback_scan_determinismE0ELb0ELb0ES3_PKS6_PS6_S6_ZZZN2at6native31launch_logcumsumexp_cuda_kernelERKNSD_10TensorBaseESH_lENKUlvE_clEvENKUlvE4_clEvEUlS6_S6_E_S6_EEDaPvRmT3_T4_T5_mT6_P12ihipStream_tbENKUlT_T0_E_clISt17integral_constantIbLb0EESX_IbLb1EEEEDaST_SU_EUlST_E0_NS1_11comp_targetILNS1_3genE5ELNS1_11target_archE942ELNS1_3gpuE9ELNS1_3repE0EEENS1_30default_config_static_selectorELNS0_4arch9wavefront6targetE0EEEvT1_
	.p2align	8
	.type	_ZN7rocprim17ROCPRIM_400000_NS6detail17trampoline_kernelINS0_14default_configENS1_20scan_config_selectorIN3c108BFloat16EEEZZNS1_9scan_implILNS1_25lookback_scan_determinismE0ELb0ELb0ES3_PKS6_PS6_S6_ZZZN2at6native31launch_logcumsumexp_cuda_kernelERKNSD_10TensorBaseESH_lENKUlvE_clEvENKUlvE4_clEvEUlS6_S6_E_S6_EEDaPvRmT3_T4_T5_mT6_P12ihipStream_tbENKUlT_T0_E_clISt17integral_constantIbLb0EESX_IbLb1EEEEDaST_SU_EUlST_E0_NS1_11comp_targetILNS1_3genE5ELNS1_11target_archE942ELNS1_3gpuE9ELNS1_3repE0EEENS1_30default_config_static_selectorELNS0_4arch9wavefront6targetE0EEEvT1_,@function
_ZN7rocprim17ROCPRIM_400000_NS6detail17trampoline_kernelINS0_14default_configENS1_20scan_config_selectorIN3c108BFloat16EEEZZNS1_9scan_implILNS1_25lookback_scan_determinismE0ELb0ELb0ES3_PKS6_PS6_S6_ZZZN2at6native31launch_logcumsumexp_cuda_kernelERKNSD_10TensorBaseESH_lENKUlvE_clEvENKUlvE4_clEvEUlS6_S6_E_S6_EEDaPvRmT3_T4_T5_mT6_P12ihipStream_tbENKUlT_T0_E_clISt17integral_constantIbLb0EESX_IbLb1EEEEDaST_SU_EUlST_E0_NS1_11comp_targetILNS1_3genE5ELNS1_11target_archE942ELNS1_3gpuE9ELNS1_3repE0EEENS1_30default_config_static_selectorELNS0_4arch9wavefront6targetE0EEEvT1_: ; @_ZN7rocprim17ROCPRIM_400000_NS6detail17trampoline_kernelINS0_14default_configENS1_20scan_config_selectorIN3c108BFloat16EEEZZNS1_9scan_implILNS1_25lookback_scan_determinismE0ELb0ELb0ES3_PKS6_PS6_S6_ZZZN2at6native31launch_logcumsumexp_cuda_kernelERKNSD_10TensorBaseESH_lENKUlvE_clEvENKUlvE4_clEvEUlS6_S6_E_S6_EEDaPvRmT3_T4_T5_mT6_P12ihipStream_tbENKUlT_T0_E_clISt17integral_constantIbLb0EESX_IbLb1EEEEDaST_SU_EUlST_E0_NS1_11comp_targetILNS1_3genE5ELNS1_11target_archE942ELNS1_3gpuE9ELNS1_3repE0EEENS1_30default_config_static_selectorELNS0_4arch9wavefront6targetE0EEEvT1_
; %bb.0:
	.section	.rodata,"a",@progbits
	.p2align	6, 0x0
	.amdhsa_kernel _ZN7rocprim17ROCPRIM_400000_NS6detail17trampoline_kernelINS0_14default_configENS1_20scan_config_selectorIN3c108BFloat16EEEZZNS1_9scan_implILNS1_25lookback_scan_determinismE0ELb0ELb0ES3_PKS6_PS6_S6_ZZZN2at6native31launch_logcumsumexp_cuda_kernelERKNSD_10TensorBaseESH_lENKUlvE_clEvENKUlvE4_clEvEUlS6_S6_E_S6_EEDaPvRmT3_T4_T5_mT6_P12ihipStream_tbENKUlT_T0_E_clISt17integral_constantIbLb0EESX_IbLb1EEEEDaST_SU_EUlST_E0_NS1_11comp_targetILNS1_3genE5ELNS1_11target_archE942ELNS1_3gpuE9ELNS1_3repE0EEENS1_30default_config_static_selectorELNS0_4arch9wavefront6targetE0EEEvT1_
		.amdhsa_group_segment_fixed_size 0
		.amdhsa_private_segment_fixed_size 0
		.amdhsa_kernarg_size 32
		.amdhsa_user_sgpr_count 2
		.amdhsa_user_sgpr_dispatch_ptr 0
		.amdhsa_user_sgpr_queue_ptr 0
		.amdhsa_user_sgpr_kernarg_segment_ptr 1
		.amdhsa_user_sgpr_dispatch_id 0
		.amdhsa_user_sgpr_private_segment_size 0
		.amdhsa_wavefront_size32 1
		.amdhsa_uses_dynamic_stack 0
		.amdhsa_enable_private_segment 0
		.amdhsa_system_sgpr_workgroup_id_x 1
		.amdhsa_system_sgpr_workgroup_id_y 0
		.amdhsa_system_sgpr_workgroup_id_z 0
		.amdhsa_system_sgpr_workgroup_info 0
		.amdhsa_system_vgpr_workitem_id 0
		.amdhsa_next_free_vgpr 1
		.amdhsa_next_free_sgpr 1
		.amdhsa_reserve_vcc 0
		.amdhsa_float_round_mode_32 0
		.amdhsa_float_round_mode_16_64 0
		.amdhsa_float_denorm_mode_32 3
		.amdhsa_float_denorm_mode_16_64 3
		.amdhsa_fp16_overflow 0
		.amdhsa_workgroup_processor_mode 1
		.amdhsa_memory_ordered 1
		.amdhsa_forward_progress 1
		.amdhsa_inst_pref_size 0
		.amdhsa_round_robin_scheduling 0
		.amdhsa_exception_fp_ieee_invalid_op 0
		.amdhsa_exception_fp_denorm_src 0
		.amdhsa_exception_fp_ieee_div_zero 0
		.amdhsa_exception_fp_ieee_overflow 0
		.amdhsa_exception_fp_ieee_underflow 0
		.amdhsa_exception_fp_ieee_inexact 0
		.amdhsa_exception_int_div_zero 0
	.end_amdhsa_kernel
	.section	.text._ZN7rocprim17ROCPRIM_400000_NS6detail17trampoline_kernelINS0_14default_configENS1_20scan_config_selectorIN3c108BFloat16EEEZZNS1_9scan_implILNS1_25lookback_scan_determinismE0ELb0ELb0ES3_PKS6_PS6_S6_ZZZN2at6native31launch_logcumsumexp_cuda_kernelERKNSD_10TensorBaseESH_lENKUlvE_clEvENKUlvE4_clEvEUlS6_S6_E_S6_EEDaPvRmT3_T4_T5_mT6_P12ihipStream_tbENKUlT_T0_E_clISt17integral_constantIbLb0EESX_IbLb1EEEEDaST_SU_EUlST_E0_NS1_11comp_targetILNS1_3genE5ELNS1_11target_archE942ELNS1_3gpuE9ELNS1_3repE0EEENS1_30default_config_static_selectorELNS0_4arch9wavefront6targetE0EEEvT1_,"axG",@progbits,_ZN7rocprim17ROCPRIM_400000_NS6detail17trampoline_kernelINS0_14default_configENS1_20scan_config_selectorIN3c108BFloat16EEEZZNS1_9scan_implILNS1_25lookback_scan_determinismE0ELb0ELb0ES3_PKS6_PS6_S6_ZZZN2at6native31launch_logcumsumexp_cuda_kernelERKNSD_10TensorBaseESH_lENKUlvE_clEvENKUlvE4_clEvEUlS6_S6_E_S6_EEDaPvRmT3_T4_T5_mT6_P12ihipStream_tbENKUlT_T0_E_clISt17integral_constantIbLb0EESX_IbLb1EEEEDaST_SU_EUlST_E0_NS1_11comp_targetILNS1_3genE5ELNS1_11target_archE942ELNS1_3gpuE9ELNS1_3repE0EEENS1_30default_config_static_selectorELNS0_4arch9wavefront6targetE0EEEvT1_,comdat
.Lfunc_end513:
	.size	_ZN7rocprim17ROCPRIM_400000_NS6detail17trampoline_kernelINS0_14default_configENS1_20scan_config_selectorIN3c108BFloat16EEEZZNS1_9scan_implILNS1_25lookback_scan_determinismE0ELb0ELb0ES3_PKS6_PS6_S6_ZZZN2at6native31launch_logcumsumexp_cuda_kernelERKNSD_10TensorBaseESH_lENKUlvE_clEvENKUlvE4_clEvEUlS6_S6_E_S6_EEDaPvRmT3_T4_T5_mT6_P12ihipStream_tbENKUlT_T0_E_clISt17integral_constantIbLb0EESX_IbLb1EEEEDaST_SU_EUlST_E0_NS1_11comp_targetILNS1_3genE5ELNS1_11target_archE942ELNS1_3gpuE9ELNS1_3repE0EEENS1_30default_config_static_selectorELNS0_4arch9wavefront6targetE0EEEvT1_, .Lfunc_end513-_ZN7rocprim17ROCPRIM_400000_NS6detail17trampoline_kernelINS0_14default_configENS1_20scan_config_selectorIN3c108BFloat16EEEZZNS1_9scan_implILNS1_25lookback_scan_determinismE0ELb0ELb0ES3_PKS6_PS6_S6_ZZZN2at6native31launch_logcumsumexp_cuda_kernelERKNSD_10TensorBaseESH_lENKUlvE_clEvENKUlvE4_clEvEUlS6_S6_E_S6_EEDaPvRmT3_T4_T5_mT6_P12ihipStream_tbENKUlT_T0_E_clISt17integral_constantIbLb0EESX_IbLb1EEEEDaST_SU_EUlST_E0_NS1_11comp_targetILNS1_3genE5ELNS1_11target_archE942ELNS1_3gpuE9ELNS1_3repE0EEENS1_30default_config_static_selectorELNS0_4arch9wavefront6targetE0EEEvT1_
                                        ; -- End function
	.set _ZN7rocprim17ROCPRIM_400000_NS6detail17trampoline_kernelINS0_14default_configENS1_20scan_config_selectorIN3c108BFloat16EEEZZNS1_9scan_implILNS1_25lookback_scan_determinismE0ELb0ELb0ES3_PKS6_PS6_S6_ZZZN2at6native31launch_logcumsumexp_cuda_kernelERKNSD_10TensorBaseESH_lENKUlvE_clEvENKUlvE4_clEvEUlS6_S6_E_S6_EEDaPvRmT3_T4_T5_mT6_P12ihipStream_tbENKUlT_T0_E_clISt17integral_constantIbLb0EESX_IbLb1EEEEDaST_SU_EUlST_E0_NS1_11comp_targetILNS1_3genE5ELNS1_11target_archE942ELNS1_3gpuE9ELNS1_3repE0EEENS1_30default_config_static_selectorELNS0_4arch9wavefront6targetE0EEEvT1_.num_vgpr, 0
	.set _ZN7rocprim17ROCPRIM_400000_NS6detail17trampoline_kernelINS0_14default_configENS1_20scan_config_selectorIN3c108BFloat16EEEZZNS1_9scan_implILNS1_25lookback_scan_determinismE0ELb0ELb0ES3_PKS6_PS6_S6_ZZZN2at6native31launch_logcumsumexp_cuda_kernelERKNSD_10TensorBaseESH_lENKUlvE_clEvENKUlvE4_clEvEUlS6_S6_E_S6_EEDaPvRmT3_T4_T5_mT6_P12ihipStream_tbENKUlT_T0_E_clISt17integral_constantIbLb0EESX_IbLb1EEEEDaST_SU_EUlST_E0_NS1_11comp_targetILNS1_3genE5ELNS1_11target_archE942ELNS1_3gpuE9ELNS1_3repE0EEENS1_30default_config_static_selectorELNS0_4arch9wavefront6targetE0EEEvT1_.num_agpr, 0
	.set _ZN7rocprim17ROCPRIM_400000_NS6detail17trampoline_kernelINS0_14default_configENS1_20scan_config_selectorIN3c108BFloat16EEEZZNS1_9scan_implILNS1_25lookback_scan_determinismE0ELb0ELb0ES3_PKS6_PS6_S6_ZZZN2at6native31launch_logcumsumexp_cuda_kernelERKNSD_10TensorBaseESH_lENKUlvE_clEvENKUlvE4_clEvEUlS6_S6_E_S6_EEDaPvRmT3_T4_T5_mT6_P12ihipStream_tbENKUlT_T0_E_clISt17integral_constantIbLb0EESX_IbLb1EEEEDaST_SU_EUlST_E0_NS1_11comp_targetILNS1_3genE5ELNS1_11target_archE942ELNS1_3gpuE9ELNS1_3repE0EEENS1_30default_config_static_selectorELNS0_4arch9wavefront6targetE0EEEvT1_.numbered_sgpr, 0
	.set _ZN7rocprim17ROCPRIM_400000_NS6detail17trampoline_kernelINS0_14default_configENS1_20scan_config_selectorIN3c108BFloat16EEEZZNS1_9scan_implILNS1_25lookback_scan_determinismE0ELb0ELb0ES3_PKS6_PS6_S6_ZZZN2at6native31launch_logcumsumexp_cuda_kernelERKNSD_10TensorBaseESH_lENKUlvE_clEvENKUlvE4_clEvEUlS6_S6_E_S6_EEDaPvRmT3_T4_T5_mT6_P12ihipStream_tbENKUlT_T0_E_clISt17integral_constantIbLb0EESX_IbLb1EEEEDaST_SU_EUlST_E0_NS1_11comp_targetILNS1_3genE5ELNS1_11target_archE942ELNS1_3gpuE9ELNS1_3repE0EEENS1_30default_config_static_selectorELNS0_4arch9wavefront6targetE0EEEvT1_.num_named_barrier, 0
	.set _ZN7rocprim17ROCPRIM_400000_NS6detail17trampoline_kernelINS0_14default_configENS1_20scan_config_selectorIN3c108BFloat16EEEZZNS1_9scan_implILNS1_25lookback_scan_determinismE0ELb0ELb0ES3_PKS6_PS6_S6_ZZZN2at6native31launch_logcumsumexp_cuda_kernelERKNSD_10TensorBaseESH_lENKUlvE_clEvENKUlvE4_clEvEUlS6_S6_E_S6_EEDaPvRmT3_T4_T5_mT6_P12ihipStream_tbENKUlT_T0_E_clISt17integral_constantIbLb0EESX_IbLb1EEEEDaST_SU_EUlST_E0_NS1_11comp_targetILNS1_3genE5ELNS1_11target_archE942ELNS1_3gpuE9ELNS1_3repE0EEENS1_30default_config_static_selectorELNS0_4arch9wavefront6targetE0EEEvT1_.private_seg_size, 0
	.set _ZN7rocprim17ROCPRIM_400000_NS6detail17trampoline_kernelINS0_14default_configENS1_20scan_config_selectorIN3c108BFloat16EEEZZNS1_9scan_implILNS1_25lookback_scan_determinismE0ELb0ELb0ES3_PKS6_PS6_S6_ZZZN2at6native31launch_logcumsumexp_cuda_kernelERKNSD_10TensorBaseESH_lENKUlvE_clEvENKUlvE4_clEvEUlS6_S6_E_S6_EEDaPvRmT3_T4_T5_mT6_P12ihipStream_tbENKUlT_T0_E_clISt17integral_constantIbLb0EESX_IbLb1EEEEDaST_SU_EUlST_E0_NS1_11comp_targetILNS1_3genE5ELNS1_11target_archE942ELNS1_3gpuE9ELNS1_3repE0EEENS1_30default_config_static_selectorELNS0_4arch9wavefront6targetE0EEEvT1_.uses_vcc, 0
	.set _ZN7rocprim17ROCPRIM_400000_NS6detail17trampoline_kernelINS0_14default_configENS1_20scan_config_selectorIN3c108BFloat16EEEZZNS1_9scan_implILNS1_25lookback_scan_determinismE0ELb0ELb0ES3_PKS6_PS6_S6_ZZZN2at6native31launch_logcumsumexp_cuda_kernelERKNSD_10TensorBaseESH_lENKUlvE_clEvENKUlvE4_clEvEUlS6_S6_E_S6_EEDaPvRmT3_T4_T5_mT6_P12ihipStream_tbENKUlT_T0_E_clISt17integral_constantIbLb0EESX_IbLb1EEEEDaST_SU_EUlST_E0_NS1_11comp_targetILNS1_3genE5ELNS1_11target_archE942ELNS1_3gpuE9ELNS1_3repE0EEENS1_30default_config_static_selectorELNS0_4arch9wavefront6targetE0EEEvT1_.uses_flat_scratch, 0
	.set _ZN7rocprim17ROCPRIM_400000_NS6detail17trampoline_kernelINS0_14default_configENS1_20scan_config_selectorIN3c108BFloat16EEEZZNS1_9scan_implILNS1_25lookback_scan_determinismE0ELb0ELb0ES3_PKS6_PS6_S6_ZZZN2at6native31launch_logcumsumexp_cuda_kernelERKNSD_10TensorBaseESH_lENKUlvE_clEvENKUlvE4_clEvEUlS6_S6_E_S6_EEDaPvRmT3_T4_T5_mT6_P12ihipStream_tbENKUlT_T0_E_clISt17integral_constantIbLb0EESX_IbLb1EEEEDaST_SU_EUlST_E0_NS1_11comp_targetILNS1_3genE5ELNS1_11target_archE942ELNS1_3gpuE9ELNS1_3repE0EEENS1_30default_config_static_selectorELNS0_4arch9wavefront6targetE0EEEvT1_.has_dyn_sized_stack, 0
	.set _ZN7rocprim17ROCPRIM_400000_NS6detail17trampoline_kernelINS0_14default_configENS1_20scan_config_selectorIN3c108BFloat16EEEZZNS1_9scan_implILNS1_25lookback_scan_determinismE0ELb0ELb0ES3_PKS6_PS6_S6_ZZZN2at6native31launch_logcumsumexp_cuda_kernelERKNSD_10TensorBaseESH_lENKUlvE_clEvENKUlvE4_clEvEUlS6_S6_E_S6_EEDaPvRmT3_T4_T5_mT6_P12ihipStream_tbENKUlT_T0_E_clISt17integral_constantIbLb0EESX_IbLb1EEEEDaST_SU_EUlST_E0_NS1_11comp_targetILNS1_3genE5ELNS1_11target_archE942ELNS1_3gpuE9ELNS1_3repE0EEENS1_30default_config_static_selectorELNS0_4arch9wavefront6targetE0EEEvT1_.has_recursion, 0
	.set _ZN7rocprim17ROCPRIM_400000_NS6detail17trampoline_kernelINS0_14default_configENS1_20scan_config_selectorIN3c108BFloat16EEEZZNS1_9scan_implILNS1_25lookback_scan_determinismE0ELb0ELb0ES3_PKS6_PS6_S6_ZZZN2at6native31launch_logcumsumexp_cuda_kernelERKNSD_10TensorBaseESH_lENKUlvE_clEvENKUlvE4_clEvEUlS6_S6_E_S6_EEDaPvRmT3_T4_T5_mT6_P12ihipStream_tbENKUlT_T0_E_clISt17integral_constantIbLb0EESX_IbLb1EEEEDaST_SU_EUlST_E0_NS1_11comp_targetILNS1_3genE5ELNS1_11target_archE942ELNS1_3gpuE9ELNS1_3repE0EEENS1_30default_config_static_selectorELNS0_4arch9wavefront6targetE0EEEvT1_.has_indirect_call, 0
	.section	.AMDGPU.csdata,"",@progbits
; Kernel info:
; codeLenInByte = 0
; TotalNumSgprs: 0
; NumVgprs: 0
; ScratchSize: 0
; MemoryBound: 0
; FloatMode: 240
; IeeeMode: 1
; LDSByteSize: 0 bytes/workgroup (compile time only)
; SGPRBlocks: 0
; VGPRBlocks: 0
; NumSGPRsForWavesPerEU: 1
; NumVGPRsForWavesPerEU: 1
; Occupancy: 16
; WaveLimiterHint : 0
; COMPUTE_PGM_RSRC2:SCRATCH_EN: 0
; COMPUTE_PGM_RSRC2:USER_SGPR: 2
; COMPUTE_PGM_RSRC2:TRAP_HANDLER: 0
; COMPUTE_PGM_RSRC2:TGID_X_EN: 1
; COMPUTE_PGM_RSRC2:TGID_Y_EN: 0
; COMPUTE_PGM_RSRC2:TGID_Z_EN: 0
; COMPUTE_PGM_RSRC2:TIDIG_COMP_CNT: 0
	.section	.text._ZN7rocprim17ROCPRIM_400000_NS6detail17trampoline_kernelINS0_14default_configENS1_20scan_config_selectorIN3c108BFloat16EEEZZNS1_9scan_implILNS1_25lookback_scan_determinismE0ELb0ELb0ES3_PKS6_PS6_S6_ZZZN2at6native31launch_logcumsumexp_cuda_kernelERKNSD_10TensorBaseESH_lENKUlvE_clEvENKUlvE4_clEvEUlS6_S6_E_S6_EEDaPvRmT3_T4_T5_mT6_P12ihipStream_tbENKUlT_T0_E_clISt17integral_constantIbLb0EESX_IbLb1EEEEDaST_SU_EUlST_E0_NS1_11comp_targetILNS1_3genE4ELNS1_11target_archE910ELNS1_3gpuE8ELNS1_3repE0EEENS1_30default_config_static_selectorELNS0_4arch9wavefront6targetE0EEEvT1_,"axG",@progbits,_ZN7rocprim17ROCPRIM_400000_NS6detail17trampoline_kernelINS0_14default_configENS1_20scan_config_selectorIN3c108BFloat16EEEZZNS1_9scan_implILNS1_25lookback_scan_determinismE0ELb0ELb0ES3_PKS6_PS6_S6_ZZZN2at6native31launch_logcumsumexp_cuda_kernelERKNSD_10TensorBaseESH_lENKUlvE_clEvENKUlvE4_clEvEUlS6_S6_E_S6_EEDaPvRmT3_T4_T5_mT6_P12ihipStream_tbENKUlT_T0_E_clISt17integral_constantIbLb0EESX_IbLb1EEEEDaST_SU_EUlST_E0_NS1_11comp_targetILNS1_3genE4ELNS1_11target_archE910ELNS1_3gpuE8ELNS1_3repE0EEENS1_30default_config_static_selectorELNS0_4arch9wavefront6targetE0EEEvT1_,comdat
	.globl	_ZN7rocprim17ROCPRIM_400000_NS6detail17trampoline_kernelINS0_14default_configENS1_20scan_config_selectorIN3c108BFloat16EEEZZNS1_9scan_implILNS1_25lookback_scan_determinismE0ELb0ELb0ES3_PKS6_PS6_S6_ZZZN2at6native31launch_logcumsumexp_cuda_kernelERKNSD_10TensorBaseESH_lENKUlvE_clEvENKUlvE4_clEvEUlS6_S6_E_S6_EEDaPvRmT3_T4_T5_mT6_P12ihipStream_tbENKUlT_T0_E_clISt17integral_constantIbLb0EESX_IbLb1EEEEDaST_SU_EUlST_E0_NS1_11comp_targetILNS1_3genE4ELNS1_11target_archE910ELNS1_3gpuE8ELNS1_3repE0EEENS1_30default_config_static_selectorELNS0_4arch9wavefront6targetE0EEEvT1_ ; -- Begin function _ZN7rocprim17ROCPRIM_400000_NS6detail17trampoline_kernelINS0_14default_configENS1_20scan_config_selectorIN3c108BFloat16EEEZZNS1_9scan_implILNS1_25lookback_scan_determinismE0ELb0ELb0ES3_PKS6_PS6_S6_ZZZN2at6native31launch_logcumsumexp_cuda_kernelERKNSD_10TensorBaseESH_lENKUlvE_clEvENKUlvE4_clEvEUlS6_S6_E_S6_EEDaPvRmT3_T4_T5_mT6_P12ihipStream_tbENKUlT_T0_E_clISt17integral_constantIbLb0EESX_IbLb1EEEEDaST_SU_EUlST_E0_NS1_11comp_targetILNS1_3genE4ELNS1_11target_archE910ELNS1_3gpuE8ELNS1_3repE0EEENS1_30default_config_static_selectorELNS0_4arch9wavefront6targetE0EEEvT1_
	.p2align	8
	.type	_ZN7rocprim17ROCPRIM_400000_NS6detail17trampoline_kernelINS0_14default_configENS1_20scan_config_selectorIN3c108BFloat16EEEZZNS1_9scan_implILNS1_25lookback_scan_determinismE0ELb0ELb0ES3_PKS6_PS6_S6_ZZZN2at6native31launch_logcumsumexp_cuda_kernelERKNSD_10TensorBaseESH_lENKUlvE_clEvENKUlvE4_clEvEUlS6_S6_E_S6_EEDaPvRmT3_T4_T5_mT6_P12ihipStream_tbENKUlT_T0_E_clISt17integral_constantIbLb0EESX_IbLb1EEEEDaST_SU_EUlST_E0_NS1_11comp_targetILNS1_3genE4ELNS1_11target_archE910ELNS1_3gpuE8ELNS1_3repE0EEENS1_30default_config_static_selectorELNS0_4arch9wavefront6targetE0EEEvT1_,@function
_ZN7rocprim17ROCPRIM_400000_NS6detail17trampoline_kernelINS0_14default_configENS1_20scan_config_selectorIN3c108BFloat16EEEZZNS1_9scan_implILNS1_25lookback_scan_determinismE0ELb0ELb0ES3_PKS6_PS6_S6_ZZZN2at6native31launch_logcumsumexp_cuda_kernelERKNSD_10TensorBaseESH_lENKUlvE_clEvENKUlvE4_clEvEUlS6_S6_E_S6_EEDaPvRmT3_T4_T5_mT6_P12ihipStream_tbENKUlT_T0_E_clISt17integral_constantIbLb0EESX_IbLb1EEEEDaST_SU_EUlST_E0_NS1_11comp_targetILNS1_3genE4ELNS1_11target_archE910ELNS1_3gpuE8ELNS1_3repE0EEENS1_30default_config_static_selectorELNS0_4arch9wavefront6targetE0EEEvT1_: ; @_ZN7rocprim17ROCPRIM_400000_NS6detail17trampoline_kernelINS0_14default_configENS1_20scan_config_selectorIN3c108BFloat16EEEZZNS1_9scan_implILNS1_25lookback_scan_determinismE0ELb0ELb0ES3_PKS6_PS6_S6_ZZZN2at6native31launch_logcumsumexp_cuda_kernelERKNSD_10TensorBaseESH_lENKUlvE_clEvENKUlvE4_clEvEUlS6_S6_E_S6_EEDaPvRmT3_T4_T5_mT6_P12ihipStream_tbENKUlT_T0_E_clISt17integral_constantIbLb0EESX_IbLb1EEEEDaST_SU_EUlST_E0_NS1_11comp_targetILNS1_3genE4ELNS1_11target_archE910ELNS1_3gpuE8ELNS1_3repE0EEENS1_30default_config_static_selectorELNS0_4arch9wavefront6targetE0EEEvT1_
; %bb.0:
	.section	.rodata,"a",@progbits
	.p2align	6, 0x0
	.amdhsa_kernel _ZN7rocprim17ROCPRIM_400000_NS6detail17trampoline_kernelINS0_14default_configENS1_20scan_config_selectorIN3c108BFloat16EEEZZNS1_9scan_implILNS1_25lookback_scan_determinismE0ELb0ELb0ES3_PKS6_PS6_S6_ZZZN2at6native31launch_logcumsumexp_cuda_kernelERKNSD_10TensorBaseESH_lENKUlvE_clEvENKUlvE4_clEvEUlS6_S6_E_S6_EEDaPvRmT3_T4_T5_mT6_P12ihipStream_tbENKUlT_T0_E_clISt17integral_constantIbLb0EESX_IbLb1EEEEDaST_SU_EUlST_E0_NS1_11comp_targetILNS1_3genE4ELNS1_11target_archE910ELNS1_3gpuE8ELNS1_3repE0EEENS1_30default_config_static_selectorELNS0_4arch9wavefront6targetE0EEEvT1_
		.amdhsa_group_segment_fixed_size 0
		.amdhsa_private_segment_fixed_size 0
		.amdhsa_kernarg_size 32
		.amdhsa_user_sgpr_count 2
		.amdhsa_user_sgpr_dispatch_ptr 0
		.amdhsa_user_sgpr_queue_ptr 0
		.amdhsa_user_sgpr_kernarg_segment_ptr 1
		.amdhsa_user_sgpr_dispatch_id 0
		.amdhsa_user_sgpr_private_segment_size 0
		.amdhsa_wavefront_size32 1
		.amdhsa_uses_dynamic_stack 0
		.amdhsa_enable_private_segment 0
		.amdhsa_system_sgpr_workgroup_id_x 1
		.amdhsa_system_sgpr_workgroup_id_y 0
		.amdhsa_system_sgpr_workgroup_id_z 0
		.amdhsa_system_sgpr_workgroup_info 0
		.amdhsa_system_vgpr_workitem_id 0
		.amdhsa_next_free_vgpr 1
		.amdhsa_next_free_sgpr 1
		.amdhsa_reserve_vcc 0
		.amdhsa_float_round_mode_32 0
		.amdhsa_float_round_mode_16_64 0
		.amdhsa_float_denorm_mode_32 3
		.amdhsa_float_denorm_mode_16_64 3
		.amdhsa_fp16_overflow 0
		.amdhsa_workgroup_processor_mode 1
		.amdhsa_memory_ordered 1
		.amdhsa_forward_progress 1
		.amdhsa_inst_pref_size 0
		.amdhsa_round_robin_scheduling 0
		.amdhsa_exception_fp_ieee_invalid_op 0
		.amdhsa_exception_fp_denorm_src 0
		.amdhsa_exception_fp_ieee_div_zero 0
		.amdhsa_exception_fp_ieee_overflow 0
		.amdhsa_exception_fp_ieee_underflow 0
		.amdhsa_exception_fp_ieee_inexact 0
		.amdhsa_exception_int_div_zero 0
	.end_amdhsa_kernel
	.section	.text._ZN7rocprim17ROCPRIM_400000_NS6detail17trampoline_kernelINS0_14default_configENS1_20scan_config_selectorIN3c108BFloat16EEEZZNS1_9scan_implILNS1_25lookback_scan_determinismE0ELb0ELb0ES3_PKS6_PS6_S6_ZZZN2at6native31launch_logcumsumexp_cuda_kernelERKNSD_10TensorBaseESH_lENKUlvE_clEvENKUlvE4_clEvEUlS6_S6_E_S6_EEDaPvRmT3_T4_T5_mT6_P12ihipStream_tbENKUlT_T0_E_clISt17integral_constantIbLb0EESX_IbLb1EEEEDaST_SU_EUlST_E0_NS1_11comp_targetILNS1_3genE4ELNS1_11target_archE910ELNS1_3gpuE8ELNS1_3repE0EEENS1_30default_config_static_selectorELNS0_4arch9wavefront6targetE0EEEvT1_,"axG",@progbits,_ZN7rocprim17ROCPRIM_400000_NS6detail17trampoline_kernelINS0_14default_configENS1_20scan_config_selectorIN3c108BFloat16EEEZZNS1_9scan_implILNS1_25lookback_scan_determinismE0ELb0ELb0ES3_PKS6_PS6_S6_ZZZN2at6native31launch_logcumsumexp_cuda_kernelERKNSD_10TensorBaseESH_lENKUlvE_clEvENKUlvE4_clEvEUlS6_S6_E_S6_EEDaPvRmT3_T4_T5_mT6_P12ihipStream_tbENKUlT_T0_E_clISt17integral_constantIbLb0EESX_IbLb1EEEEDaST_SU_EUlST_E0_NS1_11comp_targetILNS1_3genE4ELNS1_11target_archE910ELNS1_3gpuE8ELNS1_3repE0EEENS1_30default_config_static_selectorELNS0_4arch9wavefront6targetE0EEEvT1_,comdat
.Lfunc_end514:
	.size	_ZN7rocprim17ROCPRIM_400000_NS6detail17trampoline_kernelINS0_14default_configENS1_20scan_config_selectorIN3c108BFloat16EEEZZNS1_9scan_implILNS1_25lookback_scan_determinismE0ELb0ELb0ES3_PKS6_PS6_S6_ZZZN2at6native31launch_logcumsumexp_cuda_kernelERKNSD_10TensorBaseESH_lENKUlvE_clEvENKUlvE4_clEvEUlS6_S6_E_S6_EEDaPvRmT3_T4_T5_mT6_P12ihipStream_tbENKUlT_T0_E_clISt17integral_constantIbLb0EESX_IbLb1EEEEDaST_SU_EUlST_E0_NS1_11comp_targetILNS1_3genE4ELNS1_11target_archE910ELNS1_3gpuE8ELNS1_3repE0EEENS1_30default_config_static_selectorELNS0_4arch9wavefront6targetE0EEEvT1_, .Lfunc_end514-_ZN7rocprim17ROCPRIM_400000_NS6detail17trampoline_kernelINS0_14default_configENS1_20scan_config_selectorIN3c108BFloat16EEEZZNS1_9scan_implILNS1_25lookback_scan_determinismE0ELb0ELb0ES3_PKS6_PS6_S6_ZZZN2at6native31launch_logcumsumexp_cuda_kernelERKNSD_10TensorBaseESH_lENKUlvE_clEvENKUlvE4_clEvEUlS6_S6_E_S6_EEDaPvRmT3_T4_T5_mT6_P12ihipStream_tbENKUlT_T0_E_clISt17integral_constantIbLb0EESX_IbLb1EEEEDaST_SU_EUlST_E0_NS1_11comp_targetILNS1_3genE4ELNS1_11target_archE910ELNS1_3gpuE8ELNS1_3repE0EEENS1_30default_config_static_selectorELNS0_4arch9wavefront6targetE0EEEvT1_
                                        ; -- End function
	.set _ZN7rocprim17ROCPRIM_400000_NS6detail17trampoline_kernelINS0_14default_configENS1_20scan_config_selectorIN3c108BFloat16EEEZZNS1_9scan_implILNS1_25lookback_scan_determinismE0ELb0ELb0ES3_PKS6_PS6_S6_ZZZN2at6native31launch_logcumsumexp_cuda_kernelERKNSD_10TensorBaseESH_lENKUlvE_clEvENKUlvE4_clEvEUlS6_S6_E_S6_EEDaPvRmT3_T4_T5_mT6_P12ihipStream_tbENKUlT_T0_E_clISt17integral_constantIbLb0EESX_IbLb1EEEEDaST_SU_EUlST_E0_NS1_11comp_targetILNS1_3genE4ELNS1_11target_archE910ELNS1_3gpuE8ELNS1_3repE0EEENS1_30default_config_static_selectorELNS0_4arch9wavefront6targetE0EEEvT1_.num_vgpr, 0
	.set _ZN7rocprim17ROCPRIM_400000_NS6detail17trampoline_kernelINS0_14default_configENS1_20scan_config_selectorIN3c108BFloat16EEEZZNS1_9scan_implILNS1_25lookback_scan_determinismE0ELb0ELb0ES3_PKS6_PS6_S6_ZZZN2at6native31launch_logcumsumexp_cuda_kernelERKNSD_10TensorBaseESH_lENKUlvE_clEvENKUlvE4_clEvEUlS6_S6_E_S6_EEDaPvRmT3_T4_T5_mT6_P12ihipStream_tbENKUlT_T0_E_clISt17integral_constantIbLb0EESX_IbLb1EEEEDaST_SU_EUlST_E0_NS1_11comp_targetILNS1_3genE4ELNS1_11target_archE910ELNS1_3gpuE8ELNS1_3repE0EEENS1_30default_config_static_selectorELNS0_4arch9wavefront6targetE0EEEvT1_.num_agpr, 0
	.set _ZN7rocprim17ROCPRIM_400000_NS6detail17trampoline_kernelINS0_14default_configENS1_20scan_config_selectorIN3c108BFloat16EEEZZNS1_9scan_implILNS1_25lookback_scan_determinismE0ELb0ELb0ES3_PKS6_PS6_S6_ZZZN2at6native31launch_logcumsumexp_cuda_kernelERKNSD_10TensorBaseESH_lENKUlvE_clEvENKUlvE4_clEvEUlS6_S6_E_S6_EEDaPvRmT3_T4_T5_mT6_P12ihipStream_tbENKUlT_T0_E_clISt17integral_constantIbLb0EESX_IbLb1EEEEDaST_SU_EUlST_E0_NS1_11comp_targetILNS1_3genE4ELNS1_11target_archE910ELNS1_3gpuE8ELNS1_3repE0EEENS1_30default_config_static_selectorELNS0_4arch9wavefront6targetE0EEEvT1_.numbered_sgpr, 0
	.set _ZN7rocprim17ROCPRIM_400000_NS6detail17trampoline_kernelINS0_14default_configENS1_20scan_config_selectorIN3c108BFloat16EEEZZNS1_9scan_implILNS1_25lookback_scan_determinismE0ELb0ELb0ES3_PKS6_PS6_S6_ZZZN2at6native31launch_logcumsumexp_cuda_kernelERKNSD_10TensorBaseESH_lENKUlvE_clEvENKUlvE4_clEvEUlS6_S6_E_S6_EEDaPvRmT3_T4_T5_mT6_P12ihipStream_tbENKUlT_T0_E_clISt17integral_constantIbLb0EESX_IbLb1EEEEDaST_SU_EUlST_E0_NS1_11comp_targetILNS1_3genE4ELNS1_11target_archE910ELNS1_3gpuE8ELNS1_3repE0EEENS1_30default_config_static_selectorELNS0_4arch9wavefront6targetE0EEEvT1_.num_named_barrier, 0
	.set _ZN7rocprim17ROCPRIM_400000_NS6detail17trampoline_kernelINS0_14default_configENS1_20scan_config_selectorIN3c108BFloat16EEEZZNS1_9scan_implILNS1_25lookback_scan_determinismE0ELb0ELb0ES3_PKS6_PS6_S6_ZZZN2at6native31launch_logcumsumexp_cuda_kernelERKNSD_10TensorBaseESH_lENKUlvE_clEvENKUlvE4_clEvEUlS6_S6_E_S6_EEDaPvRmT3_T4_T5_mT6_P12ihipStream_tbENKUlT_T0_E_clISt17integral_constantIbLb0EESX_IbLb1EEEEDaST_SU_EUlST_E0_NS1_11comp_targetILNS1_3genE4ELNS1_11target_archE910ELNS1_3gpuE8ELNS1_3repE0EEENS1_30default_config_static_selectorELNS0_4arch9wavefront6targetE0EEEvT1_.private_seg_size, 0
	.set _ZN7rocprim17ROCPRIM_400000_NS6detail17trampoline_kernelINS0_14default_configENS1_20scan_config_selectorIN3c108BFloat16EEEZZNS1_9scan_implILNS1_25lookback_scan_determinismE0ELb0ELb0ES3_PKS6_PS6_S6_ZZZN2at6native31launch_logcumsumexp_cuda_kernelERKNSD_10TensorBaseESH_lENKUlvE_clEvENKUlvE4_clEvEUlS6_S6_E_S6_EEDaPvRmT3_T4_T5_mT6_P12ihipStream_tbENKUlT_T0_E_clISt17integral_constantIbLb0EESX_IbLb1EEEEDaST_SU_EUlST_E0_NS1_11comp_targetILNS1_3genE4ELNS1_11target_archE910ELNS1_3gpuE8ELNS1_3repE0EEENS1_30default_config_static_selectorELNS0_4arch9wavefront6targetE0EEEvT1_.uses_vcc, 0
	.set _ZN7rocprim17ROCPRIM_400000_NS6detail17trampoline_kernelINS0_14default_configENS1_20scan_config_selectorIN3c108BFloat16EEEZZNS1_9scan_implILNS1_25lookback_scan_determinismE0ELb0ELb0ES3_PKS6_PS6_S6_ZZZN2at6native31launch_logcumsumexp_cuda_kernelERKNSD_10TensorBaseESH_lENKUlvE_clEvENKUlvE4_clEvEUlS6_S6_E_S6_EEDaPvRmT3_T4_T5_mT6_P12ihipStream_tbENKUlT_T0_E_clISt17integral_constantIbLb0EESX_IbLb1EEEEDaST_SU_EUlST_E0_NS1_11comp_targetILNS1_3genE4ELNS1_11target_archE910ELNS1_3gpuE8ELNS1_3repE0EEENS1_30default_config_static_selectorELNS0_4arch9wavefront6targetE0EEEvT1_.uses_flat_scratch, 0
	.set _ZN7rocprim17ROCPRIM_400000_NS6detail17trampoline_kernelINS0_14default_configENS1_20scan_config_selectorIN3c108BFloat16EEEZZNS1_9scan_implILNS1_25lookback_scan_determinismE0ELb0ELb0ES3_PKS6_PS6_S6_ZZZN2at6native31launch_logcumsumexp_cuda_kernelERKNSD_10TensorBaseESH_lENKUlvE_clEvENKUlvE4_clEvEUlS6_S6_E_S6_EEDaPvRmT3_T4_T5_mT6_P12ihipStream_tbENKUlT_T0_E_clISt17integral_constantIbLb0EESX_IbLb1EEEEDaST_SU_EUlST_E0_NS1_11comp_targetILNS1_3genE4ELNS1_11target_archE910ELNS1_3gpuE8ELNS1_3repE0EEENS1_30default_config_static_selectorELNS0_4arch9wavefront6targetE0EEEvT1_.has_dyn_sized_stack, 0
	.set _ZN7rocprim17ROCPRIM_400000_NS6detail17trampoline_kernelINS0_14default_configENS1_20scan_config_selectorIN3c108BFloat16EEEZZNS1_9scan_implILNS1_25lookback_scan_determinismE0ELb0ELb0ES3_PKS6_PS6_S6_ZZZN2at6native31launch_logcumsumexp_cuda_kernelERKNSD_10TensorBaseESH_lENKUlvE_clEvENKUlvE4_clEvEUlS6_S6_E_S6_EEDaPvRmT3_T4_T5_mT6_P12ihipStream_tbENKUlT_T0_E_clISt17integral_constantIbLb0EESX_IbLb1EEEEDaST_SU_EUlST_E0_NS1_11comp_targetILNS1_3genE4ELNS1_11target_archE910ELNS1_3gpuE8ELNS1_3repE0EEENS1_30default_config_static_selectorELNS0_4arch9wavefront6targetE0EEEvT1_.has_recursion, 0
	.set _ZN7rocprim17ROCPRIM_400000_NS6detail17trampoline_kernelINS0_14default_configENS1_20scan_config_selectorIN3c108BFloat16EEEZZNS1_9scan_implILNS1_25lookback_scan_determinismE0ELb0ELb0ES3_PKS6_PS6_S6_ZZZN2at6native31launch_logcumsumexp_cuda_kernelERKNSD_10TensorBaseESH_lENKUlvE_clEvENKUlvE4_clEvEUlS6_S6_E_S6_EEDaPvRmT3_T4_T5_mT6_P12ihipStream_tbENKUlT_T0_E_clISt17integral_constantIbLb0EESX_IbLb1EEEEDaST_SU_EUlST_E0_NS1_11comp_targetILNS1_3genE4ELNS1_11target_archE910ELNS1_3gpuE8ELNS1_3repE0EEENS1_30default_config_static_selectorELNS0_4arch9wavefront6targetE0EEEvT1_.has_indirect_call, 0
	.section	.AMDGPU.csdata,"",@progbits
; Kernel info:
; codeLenInByte = 0
; TotalNumSgprs: 0
; NumVgprs: 0
; ScratchSize: 0
; MemoryBound: 0
; FloatMode: 240
; IeeeMode: 1
; LDSByteSize: 0 bytes/workgroup (compile time only)
; SGPRBlocks: 0
; VGPRBlocks: 0
; NumSGPRsForWavesPerEU: 1
; NumVGPRsForWavesPerEU: 1
; Occupancy: 16
; WaveLimiterHint : 0
; COMPUTE_PGM_RSRC2:SCRATCH_EN: 0
; COMPUTE_PGM_RSRC2:USER_SGPR: 2
; COMPUTE_PGM_RSRC2:TRAP_HANDLER: 0
; COMPUTE_PGM_RSRC2:TGID_X_EN: 1
; COMPUTE_PGM_RSRC2:TGID_Y_EN: 0
; COMPUTE_PGM_RSRC2:TGID_Z_EN: 0
; COMPUTE_PGM_RSRC2:TIDIG_COMP_CNT: 0
	.section	.text._ZN7rocprim17ROCPRIM_400000_NS6detail17trampoline_kernelINS0_14default_configENS1_20scan_config_selectorIN3c108BFloat16EEEZZNS1_9scan_implILNS1_25lookback_scan_determinismE0ELb0ELb0ES3_PKS6_PS6_S6_ZZZN2at6native31launch_logcumsumexp_cuda_kernelERKNSD_10TensorBaseESH_lENKUlvE_clEvENKUlvE4_clEvEUlS6_S6_E_S6_EEDaPvRmT3_T4_T5_mT6_P12ihipStream_tbENKUlT_T0_E_clISt17integral_constantIbLb0EESX_IbLb1EEEEDaST_SU_EUlST_E0_NS1_11comp_targetILNS1_3genE3ELNS1_11target_archE908ELNS1_3gpuE7ELNS1_3repE0EEENS1_30default_config_static_selectorELNS0_4arch9wavefront6targetE0EEEvT1_,"axG",@progbits,_ZN7rocprim17ROCPRIM_400000_NS6detail17trampoline_kernelINS0_14default_configENS1_20scan_config_selectorIN3c108BFloat16EEEZZNS1_9scan_implILNS1_25lookback_scan_determinismE0ELb0ELb0ES3_PKS6_PS6_S6_ZZZN2at6native31launch_logcumsumexp_cuda_kernelERKNSD_10TensorBaseESH_lENKUlvE_clEvENKUlvE4_clEvEUlS6_S6_E_S6_EEDaPvRmT3_T4_T5_mT6_P12ihipStream_tbENKUlT_T0_E_clISt17integral_constantIbLb0EESX_IbLb1EEEEDaST_SU_EUlST_E0_NS1_11comp_targetILNS1_3genE3ELNS1_11target_archE908ELNS1_3gpuE7ELNS1_3repE0EEENS1_30default_config_static_selectorELNS0_4arch9wavefront6targetE0EEEvT1_,comdat
	.globl	_ZN7rocprim17ROCPRIM_400000_NS6detail17trampoline_kernelINS0_14default_configENS1_20scan_config_selectorIN3c108BFloat16EEEZZNS1_9scan_implILNS1_25lookback_scan_determinismE0ELb0ELb0ES3_PKS6_PS6_S6_ZZZN2at6native31launch_logcumsumexp_cuda_kernelERKNSD_10TensorBaseESH_lENKUlvE_clEvENKUlvE4_clEvEUlS6_S6_E_S6_EEDaPvRmT3_T4_T5_mT6_P12ihipStream_tbENKUlT_T0_E_clISt17integral_constantIbLb0EESX_IbLb1EEEEDaST_SU_EUlST_E0_NS1_11comp_targetILNS1_3genE3ELNS1_11target_archE908ELNS1_3gpuE7ELNS1_3repE0EEENS1_30default_config_static_selectorELNS0_4arch9wavefront6targetE0EEEvT1_ ; -- Begin function _ZN7rocprim17ROCPRIM_400000_NS6detail17trampoline_kernelINS0_14default_configENS1_20scan_config_selectorIN3c108BFloat16EEEZZNS1_9scan_implILNS1_25lookback_scan_determinismE0ELb0ELb0ES3_PKS6_PS6_S6_ZZZN2at6native31launch_logcumsumexp_cuda_kernelERKNSD_10TensorBaseESH_lENKUlvE_clEvENKUlvE4_clEvEUlS6_S6_E_S6_EEDaPvRmT3_T4_T5_mT6_P12ihipStream_tbENKUlT_T0_E_clISt17integral_constantIbLb0EESX_IbLb1EEEEDaST_SU_EUlST_E0_NS1_11comp_targetILNS1_3genE3ELNS1_11target_archE908ELNS1_3gpuE7ELNS1_3repE0EEENS1_30default_config_static_selectorELNS0_4arch9wavefront6targetE0EEEvT1_
	.p2align	8
	.type	_ZN7rocprim17ROCPRIM_400000_NS6detail17trampoline_kernelINS0_14default_configENS1_20scan_config_selectorIN3c108BFloat16EEEZZNS1_9scan_implILNS1_25lookback_scan_determinismE0ELb0ELb0ES3_PKS6_PS6_S6_ZZZN2at6native31launch_logcumsumexp_cuda_kernelERKNSD_10TensorBaseESH_lENKUlvE_clEvENKUlvE4_clEvEUlS6_S6_E_S6_EEDaPvRmT3_T4_T5_mT6_P12ihipStream_tbENKUlT_T0_E_clISt17integral_constantIbLb0EESX_IbLb1EEEEDaST_SU_EUlST_E0_NS1_11comp_targetILNS1_3genE3ELNS1_11target_archE908ELNS1_3gpuE7ELNS1_3repE0EEENS1_30default_config_static_selectorELNS0_4arch9wavefront6targetE0EEEvT1_,@function
_ZN7rocprim17ROCPRIM_400000_NS6detail17trampoline_kernelINS0_14default_configENS1_20scan_config_selectorIN3c108BFloat16EEEZZNS1_9scan_implILNS1_25lookback_scan_determinismE0ELb0ELb0ES3_PKS6_PS6_S6_ZZZN2at6native31launch_logcumsumexp_cuda_kernelERKNSD_10TensorBaseESH_lENKUlvE_clEvENKUlvE4_clEvEUlS6_S6_E_S6_EEDaPvRmT3_T4_T5_mT6_P12ihipStream_tbENKUlT_T0_E_clISt17integral_constantIbLb0EESX_IbLb1EEEEDaST_SU_EUlST_E0_NS1_11comp_targetILNS1_3genE3ELNS1_11target_archE908ELNS1_3gpuE7ELNS1_3repE0EEENS1_30default_config_static_selectorELNS0_4arch9wavefront6targetE0EEEvT1_: ; @_ZN7rocprim17ROCPRIM_400000_NS6detail17trampoline_kernelINS0_14default_configENS1_20scan_config_selectorIN3c108BFloat16EEEZZNS1_9scan_implILNS1_25lookback_scan_determinismE0ELb0ELb0ES3_PKS6_PS6_S6_ZZZN2at6native31launch_logcumsumexp_cuda_kernelERKNSD_10TensorBaseESH_lENKUlvE_clEvENKUlvE4_clEvEUlS6_S6_E_S6_EEDaPvRmT3_T4_T5_mT6_P12ihipStream_tbENKUlT_T0_E_clISt17integral_constantIbLb0EESX_IbLb1EEEEDaST_SU_EUlST_E0_NS1_11comp_targetILNS1_3genE3ELNS1_11target_archE908ELNS1_3gpuE7ELNS1_3repE0EEENS1_30default_config_static_selectorELNS0_4arch9wavefront6targetE0EEEvT1_
; %bb.0:
	.section	.rodata,"a",@progbits
	.p2align	6, 0x0
	.amdhsa_kernel _ZN7rocprim17ROCPRIM_400000_NS6detail17trampoline_kernelINS0_14default_configENS1_20scan_config_selectorIN3c108BFloat16EEEZZNS1_9scan_implILNS1_25lookback_scan_determinismE0ELb0ELb0ES3_PKS6_PS6_S6_ZZZN2at6native31launch_logcumsumexp_cuda_kernelERKNSD_10TensorBaseESH_lENKUlvE_clEvENKUlvE4_clEvEUlS6_S6_E_S6_EEDaPvRmT3_T4_T5_mT6_P12ihipStream_tbENKUlT_T0_E_clISt17integral_constantIbLb0EESX_IbLb1EEEEDaST_SU_EUlST_E0_NS1_11comp_targetILNS1_3genE3ELNS1_11target_archE908ELNS1_3gpuE7ELNS1_3repE0EEENS1_30default_config_static_selectorELNS0_4arch9wavefront6targetE0EEEvT1_
		.amdhsa_group_segment_fixed_size 0
		.amdhsa_private_segment_fixed_size 0
		.amdhsa_kernarg_size 32
		.amdhsa_user_sgpr_count 2
		.amdhsa_user_sgpr_dispatch_ptr 0
		.amdhsa_user_sgpr_queue_ptr 0
		.amdhsa_user_sgpr_kernarg_segment_ptr 1
		.amdhsa_user_sgpr_dispatch_id 0
		.amdhsa_user_sgpr_private_segment_size 0
		.amdhsa_wavefront_size32 1
		.amdhsa_uses_dynamic_stack 0
		.amdhsa_enable_private_segment 0
		.amdhsa_system_sgpr_workgroup_id_x 1
		.amdhsa_system_sgpr_workgroup_id_y 0
		.amdhsa_system_sgpr_workgroup_id_z 0
		.amdhsa_system_sgpr_workgroup_info 0
		.amdhsa_system_vgpr_workitem_id 0
		.amdhsa_next_free_vgpr 1
		.amdhsa_next_free_sgpr 1
		.amdhsa_reserve_vcc 0
		.amdhsa_float_round_mode_32 0
		.amdhsa_float_round_mode_16_64 0
		.amdhsa_float_denorm_mode_32 3
		.amdhsa_float_denorm_mode_16_64 3
		.amdhsa_fp16_overflow 0
		.amdhsa_workgroup_processor_mode 1
		.amdhsa_memory_ordered 1
		.amdhsa_forward_progress 1
		.amdhsa_inst_pref_size 0
		.amdhsa_round_robin_scheduling 0
		.amdhsa_exception_fp_ieee_invalid_op 0
		.amdhsa_exception_fp_denorm_src 0
		.amdhsa_exception_fp_ieee_div_zero 0
		.amdhsa_exception_fp_ieee_overflow 0
		.amdhsa_exception_fp_ieee_underflow 0
		.amdhsa_exception_fp_ieee_inexact 0
		.amdhsa_exception_int_div_zero 0
	.end_amdhsa_kernel
	.section	.text._ZN7rocprim17ROCPRIM_400000_NS6detail17trampoline_kernelINS0_14default_configENS1_20scan_config_selectorIN3c108BFloat16EEEZZNS1_9scan_implILNS1_25lookback_scan_determinismE0ELb0ELb0ES3_PKS6_PS6_S6_ZZZN2at6native31launch_logcumsumexp_cuda_kernelERKNSD_10TensorBaseESH_lENKUlvE_clEvENKUlvE4_clEvEUlS6_S6_E_S6_EEDaPvRmT3_T4_T5_mT6_P12ihipStream_tbENKUlT_T0_E_clISt17integral_constantIbLb0EESX_IbLb1EEEEDaST_SU_EUlST_E0_NS1_11comp_targetILNS1_3genE3ELNS1_11target_archE908ELNS1_3gpuE7ELNS1_3repE0EEENS1_30default_config_static_selectorELNS0_4arch9wavefront6targetE0EEEvT1_,"axG",@progbits,_ZN7rocprim17ROCPRIM_400000_NS6detail17trampoline_kernelINS0_14default_configENS1_20scan_config_selectorIN3c108BFloat16EEEZZNS1_9scan_implILNS1_25lookback_scan_determinismE0ELb0ELb0ES3_PKS6_PS6_S6_ZZZN2at6native31launch_logcumsumexp_cuda_kernelERKNSD_10TensorBaseESH_lENKUlvE_clEvENKUlvE4_clEvEUlS6_S6_E_S6_EEDaPvRmT3_T4_T5_mT6_P12ihipStream_tbENKUlT_T0_E_clISt17integral_constantIbLb0EESX_IbLb1EEEEDaST_SU_EUlST_E0_NS1_11comp_targetILNS1_3genE3ELNS1_11target_archE908ELNS1_3gpuE7ELNS1_3repE0EEENS1_30default_config_static_selectorELNS0_4arch9wavefront6targetE0EEEvT1_,comdat
.Lfunc_end515:
	.size	_ZN7rocprim17ROCPRIM_400000_NS6detail17trampoline_kernelINS0_14default_configENS1_20scan_config_selectorIN3c108BFloat16EEEZZNS1_9scan_implILNS1_25lookback_scan_determinismE0ELb0ELb0ES3_PKS6_PS6_S6_ZZZN2at6native31launch_logcumsumexp_cuda_kernelERKNSD_10TensorBaseESH_lENKUlvE_clEvENKUlvE4_clEvEUlS6_S6_E_S6_EEDaPvRmT3_T4_T5_mT6_P12ihipStream_tbENKUlT_T0_E_clISt17integral_constantIbLb0EESX_IbLb1EEEEDaST_SU_EUlST_E0_NS1_11comp_targetILNS1_3genE3ELNS1_11target_archE908ELNS1_3gpuE7ELNS1_3repE0EEENS1_30default_config_static_selectorELNS0_4arch9wavefront6targetE0EEEvT1_, .Lfunc_end515-_ZN7rocprim17ROCPRIM_400000_NS6detail17trampoline_kernelINS0_14default_configENS1_20scan_config_selectorIN3c108BFloat16EEEZZNS1_9scan_implILNS1_25lookback_scan_determinismE0ELb0ELb0ES3_PKS6_PS6_S6_ZZZN2at6native31launch_logcumsumexp_cuda_kernelERKNSD_10TensorBaseESH_lENKUlvE_clEvENKUlvE4_clEvEUlS6_S6_E_S6_EEDaPvRmT3_T4_T5_mT6_P12ihipStream_tbENKUlT_T0_E_clISt17integral_constantIbLb0EESX_IbLb1EEEEDaST_SU_EUlST_E0_NS1_11comp_targetILNS1_3genE3ELNS1_11target_archE908ELNS1_3gpuE7ELNS1_3repE0EEENS1_30default_config_static_selectorELNS0_4arch9wavefront6targetE0EEEvT1_
                                        ; -- End function
	.set _ZN7rocprim17ROCPRIM_400000_NS6detail17trampoline_kernelINS0_14default_configENS1_20scan_config_selectorIN3c108BFloat16EEEZZNS1_9scan_implILNS1_25lookback_scan_determinismE0ELb0ELb0ES3_PKS6_PS6_S6_ZZZN2at6native31launch_logcumsumexp_cuda_kernelERKNSD_10TensorBaseESH_lENKUlvE_clEvENKUlvE4_clEvEUlS6_S6_E_S6_EEDaPvRmT3_T4_T5_mT6_P12ihipStream_tbENKUlT_T0_E_clISt17integral_constantIbLb0EESX_IbLb1EEEEDaST_SU_EUlST_E0_NS1_11comp_targetILNS1_3genE3ELNS1_11target_archE908ELNS1_3gpuE7ELNS1_3repE0EEENS1_30default_config_static_selectorELNS0_4arch9wavefront6targetE0EEEvT1_.num_vgpr, 0
	.set _ZN7rocprim17ROCPRIM_400000_NS6detail17trampoline_kernelINS0_14default_configENS1_20scan_config_selectorIN3c108BFloat16EEEZZNS1_9scan_implILNS1_25lookback_scan_determinismE0ELb0ELb0ES3_PKS6_PS6_S6_ZZZN2at6native31launch_logcumsumexp_cuda_kernelERKNSD_10TensorBaseESH_lENKUlvE_clEvENKUlvE4_clEvEUlS6_S6_E_S6_EEDaPvRmT3_T4_T5_mT6_P12ihipStream_tbENKUlT_T0_E_clISt17integral_constantIbLb0EESX_IbLb1EEEEDaST_SU_EUlST_E0_NS1_11comp_targetILNS1_3genE3ELNS1_11target_archE908ELNS1_3gpuE7ELNS1_3repE0EEENS1_30default_config_static_selectorELNS0_4arch9wavefront6targetE0EEEvT1_.num_agpr, 0
	.set _ZN7rocprim17ROCPRIM_400000_NS6detail17trampoline_kernelINS0_14default_configENS1_20scan_config_selectorIN3c108BFloat16EEEZZNS1_9scan_implILNS1_25lookback_scan_determinismE0ELb0ELb0ES3_PKS6_PS6_S6_ZZZN2at6native31launch_logcumsumexp_cuda_kernelERKNSD_10TensorBaseESH_lENKUlvE_clEvENKUlvE4_clEvEUlS6_S6_E_S6_EEDaPvRmT3_T4_T5_mT6_P12ihipStream_tbENKUlT_T0_E_clISt17integral_constantIbLb0EESX_IbLb1EEEEDaST_SU_EUlST_E0_NS1_11comp_targetILNS1_3genE3ELNS1_11target_archE908ELNS1_3gpuE7ELNS1_3repE0EEENS1_30default_config_static_selectorELNS0_4arch9wavefront6targetE0EEEvT1_.numbered_sgpr, 0
	.set _ZN7rocprim17ROCPRIM_400000_NS6detail17trampoline_kernelINS0_14default_configENS1_20scan_config_selectorIN3c108BFloat16EEEZZNS1_9scan_implILNS1_25lookback_scan_determinismE0ELb0ELb0ES3_PKS6_PS6_S6_ZZZN2at6native31launch_logcumsumexp_cuda_kernelERKNSD_10TensorBaseESH_lENKUlvE_clEvENKUlvE4_clEvEUlS6_S6_E_S6_EEDaPvRmT3_T4_T5_mT6_P12ihipStream_tbENKUlT_T0_E_clISt17integral_constantIbLb0EESX_IbLb1EEEEDaST_SU_EUlST_E0_NS1_11comp_targetILNS1_3genE3ELNS1_11target_archE908ELNS1_3gpuE7ELNS1_3repE0EEENS1_30default_config_static_selectorELNS0_4arch9wavefront6targetE0EEEvT1_.num_named_barrier, 0
	.set _ZN7rocprim17ROCPRIM_400000_NS6detail17trampoline_kernelINS0_14default_configENS1_20scan_config_selectorIN3c108BFloat16EEEZZNS1_9scan_implILNS1_25lookback_scan_determinismE0ELb0ELb0ES3_PKS6_PS6_S6_ZZZN2at6native31launch_logcumsumexp_cuda_kernelERKNSD_10TensorBaseESH_lENKUlvE_clEvENKUlvE4_clEvEUlS6_S6_E_S6_EEDaPvRmT3_T4_T5_mT6_P12ihipStream_tbENKUlT_T0_E_clISt17integral_constantIbLb0EESX_IbLb1EEEEDaST_SU_EUlST_E0_NS1_11comp_targetILNS1_3genE3ELNS1_11target_archE908ELNS1_3gpuE7ELNS1_3repE0EEENS1_30default_config_static_selectorELNS0_4arch9wavefront6targetE0EEEvT1_.private_seg_size, 0
	.set _ZN7rocprim17ROCPRIM_400000_NS6detail17trampoline_kernelINS0_14default_configENS1_20scan_config_selectorIN3c108BFloat16EEEZZNS1_9scan_implILNS1_25lookback_scan_determinismE0ELb0ELb0ES3_PKS6_PS6_S6_ZZZN2at6native31launch_logcumsumexp_cuda_kernelERKNSD_10TensorBaseESH_lENKUlvE_clEvENKUlvE4_clEvEUlS6_S6_E_S6_EEDaPvRmT3_T4_T5_mT6_P12ihipStream_tbENKUlT_T0_E_clISt17integral_constantIbLb0EESX_IbLb1EEEEDaST_SU_EUlST_E0_NS1_11comp_targetILNS1_3genE3ELNS1_11target_archE908ELNS1_3gpuE7ELNS1_3repE0EEENS1_30default_config_static_selectorELNS0_4arch9wavefront6targetE0EEEvT1_.uses_vcc, 0
	.set _ZN7rocprim17ROCPRIM_400000_NS6detail17trampoline_kernelINS0_14default_configENS1_20scan_config_selectorIN3c108BFloat16EEEZZNS1_9scan_implILNS1_25lookback_scan_determinismE0ELb0ELb0ES3_PKS6_PS6_S6_ZZZN2at6native31launch_logcumsumexp_cuda_kernelERKNSD_10TensorBaseESH_lENKUlvE_clEvENKUlvE4_clEvEUlS6_S6_E_S6_EEDaPvRmT3_T4_T5_mT6_P12ihipStream_tbENKUlT_T0_E_clISt17integral_constantIbLb0EESX_IbLb1EEEEDaST_SU_EUlST_E0_NS1_11comp_targetILNS1_3genE3ELNS1_11target_archE908ELNS1_3gpuE7ELNS1_3repE0EEENS1_30default_config_static_selectorELNS0_4arch9wavefront6targetE0EEEvT1_.uses_flat_scratch, 0
	.set _ZN7rocprim17ROCPRIM_400000_NS6detail17trampoline_kernelINS0_14default_configENS1_20scan_config_selectorIN3c108BFloat16EEEZZNS1_9scan_implILNS1_25lookback_scan_determinismE0ELb0ELb0ES3_PKS6_PS6_S6_ZZZN2at6native31launch_logcumsumexp_cuda_kernelERKNSD_10TensorBaseESH_lENKUlvE_clEvENKUlvE4_clEvEUlS6_S6_E_S6_EEDaPvRmT3_T4_T5_mT6_P12ihipStream_tbENKUlT_T0_E_clISt17integral_constantIbLb0EESX_IbLb1EEEEDaST_SU_EUlST_E0_NS1_11comp_targetILNS1_3genE3ELNS1_11target_archE908ELNS1_3gpuE7ELNS1_3repE0EEENS1_30default_config_static_selectorELNS0_4arch9wavefront6targetE0EEEvT1_.has_dyn_sized_stack, 0
	.set _ZN7rocprim17ROCPRIM_400000_NS6detail17trampoline_kernelINS0_14default_configENS1_20scan_config_selectorIN3c108BFloat16EEEZZNS1_9scan_implILNS1_25lookback_scan_determinismE0ELb0ELb0ES3_PKS6_PS6_S6_ZZZN2at6native31launch_logcumsumexp_cuda_kernelERKNSD_10TensorBaseESH_lENKUlvE_clEvENKUlvE4_clEvEUlS6_S6_E_S6_EEDaPvRmT3_T4_T5_mT6_P12ihipStream_tbENKUlT_T0_E_clISt17integral_constantIbLb0EESX_IbLb1EEEEDaST_SU_EUlST_E0_NS1_11comp_targetILNS1_3genE3ELNS1_11target_archE908ELNS1_3gpuE7ELNS1_3repE0EEENS1_30default_config_static_selectorELNS0_4arch9wavefront6targetE0EEEvT1_.has_recursion, 0
	.set _ZN7rocprim17ROCPRIM_400000_NS6detail17trampoline_kernelINS0_14default_configENS1_20scan_config_selectorIN3c108BFloat16EEEZZNS1_9scan_implILNS1_25lookback_scan_determinismE0ELb0ELb0ES3_PKS6_PS6_S6_ZZZN2at6native31launch_logcumsumexp_cuda_kernelERKNSD_10TensorBaseESH_lENKUlvE_clEvENKUlvE4_clEvEUlS6_S6_E_S6_EEDaPvRmT3_T4_T5_mT6_P12ihipStream_tbENKUlT_T0_E_clISt17integral_constantIbLb0EESX_IbLb1EEEEDaST_SU_EUlST_E0_NS1_11comp_targetILNS1_3genE3ELNS1_11target_archE908ELNS1_3gpuE7ELNS1_3repE0EEENS1_30default_config_static_selectorELNS0_4arch9wavefront6targetE0EEEvT1_.has_indirect_call, 0
	.section	.AMDGPU.csdata,"",@progbits
; Kernel info:
; codeLenInByte = 0
; TotalNumSgprs: 0
; NumVgprs: 0
; ScratchSize: 0
; MemoryBound: 0
; FloatMode: 240
; IeeeMode: 1
; LDSByteSize: 0 bytes/workgroup (compile time only)
; SGPRBlocks: 0
; VGPRBlocks: 0
; NumSGPRsForWavesPerEU: 1
; NumVGPRsForWavesPerEU: 1
; Occupancy: 16
; WaveLimiterHint : 0
; COMPUTE_PGM_RSRC2:SCRATCH_EN: 0
; COMPUTE_PGM_RSRC2:USER_SGPR: 2
; COMPUTE_PGM_RSRC2:TRAP_HANDLER: 0
; COMPUTE_PGM_RSRC2:TGID_X_EN: 1
; COMPUTE_PGM_RSRC2:TGID_Y_EN: 0
; COMPUTE_PGM_RSRC2:TGID_Z_EN: 0
; COMPUTE_PGM_RSRC2:TIDIG_COMP_CNT: 0
	.section	.text._ZN7rocprim17ROCPRIM_400000_NS6detail17trampoline_kernelINS0_14default_configENS1_20scan_config_selectorIN3c108BFloat16EEEZZNS1_9scan_implILNS1_25lookback_scan_determinismE0ELb0ELb0ES3_PKS6_PS6_S6_ZZZN2at6native31launch_logcumsumexp_cuda_kernelERKNSD_10TensorBaseESH_lENKUlvE_clEvENKUlvE4_clEvEUlS6_S6_E_S6_EEDaPvRmT3_T4_T5_mT6_P12ihipStream_tbENKUlT_T0_E_clISt17integral_constantIbLb0EESX_IbLb1EEEEDaST_SU_EUlST_E0_NS1_11comp_targetILNS1_3genE2ELNS1_11target_archE906ELNS1_3gpuE6ELNS1_3repE0EEENS1_30default_config_static_selectorELNS0_4arch9wavefront6targetE0EEEvT1_,"axG",@progbits,_ZN7rocprim17ROCPRIM_400000_NS6detail17trampoline_kernelINS0_14default_configENS1_20scan_config_selectorIN3c108BFloat16EEEZZNS1_9scan_implILNS1_25lookback_scan_determinismE0ELb0ELb0ES3_PKS6_PS6_S6_ZZZN2at6native31launch_logcumsumexp_cuda_kernelERKNSD_10TensorBaseESH_lENKUlvE_clEvENKUlvE4_clEvEUlS6_S6_E_S6_EEDaPvRmT3_T4_T5_mT6_P12ihipStream_tbENKUlT_T0_E_clISt17integral_constantIbLb0EESX_IbLb1EEEEDaST_SU_EUlST_E0_NS1_11comp_targetILNS1_3genE2ELNS1_11target_archE906ELNS1_3gpuE6ELNS1_3repE0EEENS1_30default_config_static_selectorELNS0_4arch9wavefront6targetE0EEEvT1_,comdat
	.globl	_ZN7rocprim17ROCPRIM_400000_NS6detail17trampoline_kernelINS0_14default_configENS1_20scan_config_selectorIN3c108BFloat16EEEZZNS1_9scan_implILNS1_25lookback_scan_determinismE0ELb0ELb0ES3_PKS6_PS6_S6_ZZZN2at6native31launch_logcumsumexp_cuda_kernelERKNSD_10TensorBaseESH_lENKUlvE_clEvENKUlvE4_clEvEUlS6_S6_E_S6_EEDaPvRmT3_T4_T5_mT6_P12ihipStream_tbENKUlT_T0_E_clISt17integral_constantIbLb0EESX_IbLb1EEEEDaST_SU_EUlST_E0_NS1_11comp_targetILNS1_3genE2ELNS1_11target_archE906ELNS1_3gpuE6ELNS1_3repE0EEENS1_30default_config_static_selectorELNS0_4arch9wavefront6targetE0EEEvT1_ ; -- Begin function _ZN7rocprim17ROCPRIM_400000_NS6detail17trampoline_kernelINS0_14default_configENS1_20scan_config_selectorIN3c108BFloat16EEEZZNS1_9scan_implILNS1_25lookback_scan_determinismE0ELb0ELb0ES3_PKS6_PS6_S6_ZZZN2at6native31launch_logcumsumexp_cuda_kernelERKNSD_10TensorBaseESH_lENKUlvE_clEvENKUlvE4_clEvEUlS6_S6_E_S6_EEDaPvRmT3_T4_T5_mT6_P12ihipStream_tbENKUlT_T0_E_clISt17integral_constantIbLb0EESX_IbLb1EEEEDaST_SU_EUlST_E0_NS1_11comp_targetILNS1_3genE2ELNS1_11target_archE906ELNS1_3gpuE6ELNS1_3repE0EEENS1_30default_config_static_selectorELNS0_4arch9wavefront6targetE0EEEvT1_
	.p2align	8
	.type	_ZN7rocprim17ROCPRIM_400000_NS6detail17trampoline_kernelINS0_14default_configENS1_20scan_config_selectorIN3c108BFloat16EEEZZNS1_9scan_implILNS1_25lookback_scan_determinismE0ELb0ELb0ES3_PKS6_PS6_S6_ZZZN2at6native31launch_logcumsumexp_cuda_kernelERKNSD_10TensorBaseESH_lENKUlvE_clEvENKUlvE4_clEvEUlS6_S6_E_S6_EEDaPvRmT3_T4_T5_mT6_P12ihipStream_tbENKUlT_T0_E_clISt17integral_constantIbLb0EESX_IbLb1EEEEDaST_SU_EUlST_E0_NS1_11comp_targetILNS1_3genE2ELNS1_11target_archE906ELNS1_3gpuE6ELNS1_3repE0EEENS1_30default_config_static_selectorELNS0_4arch9wavefront6targetE0EEEvT1_,@function
_ZN7rocprim17ROCPRIM_400000_NS6detail17trampoline_kernelINS0_14default_configENS1_20scan_config_selectorIN3c108BFloat16EEEZZNS1_9scan_implILNS1_25lookback_scan_determinismE0ELb0ELb0ES3_PKS6_PS6_S6_ZZZN2at6native31launch_logcumsumexp_cuda_kernelERKNSD_10TensorBaseESH_lENKUlvE_clEvENKUlvE4_clEvEUlS6_S6_E_S6_EEDaPvRmT3_T4_T5_mT6_P12ihipStream_tbENKUlT_T0_E_clISt17integral_constantIbLb0EESX_IbLb1EEEEDaST_SU_EUlST_E0_NS1_11comp_targetILNS1_3genE2ELNS1_11target_archE906ELNS1_3gpuE6ELNS1_3repE0EEENS1_30default_config_static_selectorELNS0_4arch9wavefront6targetE0EEEvT1_: ; @_ZN7rocprim17ROCPRIM_400000_NS6detail17trampoline_kernelINS0_14default_configENS1_20scan_config_selectorIN3c108BFloat16EEEZZNS1_9scan_implILNS1_25lookback_scan_determinismE0ELb0ELb0ES3_PKS6_PS6_S6_ZZZN2at6native31launch_logcumsumexp_cuda_kernelERKNSD_10TensorBaseESH_lENKUlvE_clEvENKUlvE4_clEvEUlS6_S6_E_S6_EEDaPvRmT3_T4_T5_mT6_P12ihipStream_tbENKUlT_T0_E_clISt17integral_constantIbLb0EESX_IbLb1EEEEDaST_SU_EUlST_E0_NS1_11comp_targetILNS1_3genE2ELNS1_11target_archE906ELNS1_3gpuE6ELNS1_3repE0EEENS1_30default_config_static_selectorELNS0_4arch9wavefront6targetE0EEEvT1_
; %bb.0:
	.section	.rodata,"a",@progbits
	.p2align	6, 0x0
	.amdhsa_kernel _ZN7rocprim17ROCPRIM_400000_NS6detail17trampoline_kernelINS0_14default_configENS1_20scan_config_selectorIN3c108BFloat16EEEZZNS1_9scan_implILNS1_25lookback_scan_determinismE0ELb0ELb0ES3_PKS6_PS6_S6_ZZZN2at6native31launch_logcumsumexp_cuda_kernelERKNSD_10TensorBaseESH_lENKUlvE_clEvENKUlvE4_clEvEUlS6_S6_E_S6_EEDaPvRmT3_T4_T5_mT6_P12ihipStream_tbENKUlT_T0_E_clISt17integral_constantIbLb0EESX_IbLb1EEEEDaST_SU_EUlST_E0_NS1_11comp_targetILNS1_3genE2ELNS1_11target_archE906ELNS1_3gpuE6ELNS1_3repE0EEENS1_30default_config_static_selectorELNS0_4arch9wavefront6targetE0EEEvT1_
		.amdhsa_group_segment_fixed_size 0
		.amdhsa_private_segment_fixed_size 0
		.amdhsa_kernarg_size 32
		.amdhsa_user_sgpr_count 2
		.amdhsa_user_sgpr_dispatch_ptr 0
		.amdhsa_user_sgpr_queue_ptr 0
		.amdhsa_user_sgpr_kernarg_segment_ptr 1
		.amdhsa_user_sgpr_dispatch_id 0
		.amdhsa_user_sgpr_private_segment_size 0
		.amdhsa_wavefront_size32 1
		.amdhsa_uses_dynamic_stack 0
		.amdhsa_enable_private_segment 0
		.amdhsa_system_sgpr_workgroup_id_x 1
		.amdhsa_system_sgpr_workgroup_id_y 0
		.amdhsa_system_sgpr_workgroup_id_z 0
		.amdhsa_system_sgpr_workgroup_info 0
		.amdhsa_system_vgpr_workitem_id 0
		.amdhsa_next_free_vgpr 1
		.amdhsa_next_free_sgpr 1
		.amdhsa_reserve_vcc 0
		.amdhsa_float_round_mode_32 0
		.amdhsa_float_round_mode_16_64 0
		.amdhsa_float_denorm_mode_32 3
		.amdhsa_float_denorm_mode_16_64 3
		.amdhsa_fp16_overflow 0
		.amdhsa_workgroup_processor_mode 1
		.amdhsa_memory_ordered 1
		.amdhsa_forward_progress 1
		.amdhsa_inst_pref_size 0
		.amdhsa_round_robin_scheduling 0
		.amdhsa_exception_fp_ieee_invalid_op 0
		.amdhsa_exception_fp_denorm_src 0
		.amdhsa_exception_fp_ieee_div_zero 0
		.amdhsa_exception_fp_ieee_overflow 0
		.amdhsa_exception_fp_ieee_underflow 0
		.amdhsa_exception_fp_ieee_inexact 0
		.amdhsa_exception_int_div_zero 0
	.end_amdhsa_kernel
	.section	.text._ZN7rocprim17ROCPRIM_400000_NS6detail17trampoline_kernelINS0_14default_configENS1_20scan_config_selectorIN3c108BFloat16EEEZZNS1_9scan_implILNS1_25lookback_scan_determinismE0ELb0ELb0ES3_PKS6_PS6_S6_ZZZN2at6native31launch_logcumsumexp_cuda_kernelERKNSD_10TensorBaseESH_lENKUlvE_clEvENKUlvE4_clEvEUlS6_S6_E_S6_EEDaPvRmT3_T4_T5_mT6_P12ihipStream_tbENKUlT_T0_E_clISt17integral_constantIbLb0EESX_IbLb1EEEEDaST_SU_EUlST_E0_NS1_11comp_targetILNS1_3genE2ELNS1_11target_archE906ELNS1_3gpuE6ELNS1_3repE0EEENS1_30default_config_static_selectorELNS0_4arch9wavefront6targetE0EEEvT1_,"axG",@progbits,_ZN7rocprim17ROCPRIM_400000_NS6detail17trampoline_kernelINS0_14default_configENS1_20scan_config_selectorIN3c108BFloat16EEEZZNS1_9scan_implILNS1_25lookback_scan_determinismE0ELb0ELb0ES3_PKS6_PS6_S6_ZZZN2at6native31launch_logcumsumexp_cuda_kernelERKNSD_10TensorBaseESH_lENKUlvE_clEvENKUlvE4_clEvEUlS6_S6_E_S6_EEDaPvRmT3_T4_T5_mT6_P12ihipStream_tbENKUlT_T0_E_clISt17integral_constantIbLb0EESX_IbLb1EEEEDaST_SU_EUlST_E0_NS1_11comp_targetILNS1_3genE2ELNS1_11target_archE906ELNS1_3gpuE6ELNS1_3repE0EEENS1_30default_config_static_selectorELNS0_4arch9wavefront6targetE0EEEvT1_,comdat
.Lfunc_end516:
	.size	_ZN7rocprim17ROCPRIM_400000_NS6detail17trampoline_kernelINS0_14default_configENS1_20scan_config_selectorIN3c108BFloat16EEEZZNS1_9scan_implILNS1_25lookback_scan_determinismE0ELb0ELb0ES3_PKS6_PS6_S6_ZZZN2at6native31launch_logcumsumexp_cuda_kernelERKNSD_10TensorBaseESH_lENKUlvE_clEvENKUlvE4_clEvEUlS6_S6_E_S6_EEDaPvRmT3_T4_T5_mT6_P12ihipStream_tbENKUlT_T0_E_clISt17integral_constantIbLb0EESX_IbLb1EEEEDaST_SU_EUlST_E0_NS1_11comp_targetILNS1_3genE2ELNS1_11target_archE906ELNS1_3gpuE6ELNS1_3repE0EEENS1_30default_config_static_selectorELNS0_4arch9wavefront6targetE0EEEvT1_, .Lfunc_end516-_ZN7rocprim17ROCPRIM_400000_NS6detail17trampoline_kernelINS0_14default_configENS1_20scan_config_selectorIN3c108BFloat16EEEZZNS1_9scan_implILNS1_25lookback_scan_determinismE0ELb0ELb0ES3_PKS6_PS6_S6_ZZZN2at6native31launch_logcumsumexp_cuda_kernelERKNSD_10TensorBaseESH_lENKUlvE_clEvENKUlvE4_clEvEUlS6_S6_E_S6_EEDaPvRmT3_T4_T5_mT6_P12ihipStream_tbENKUlT_T0_E_clISt17integral_constantIbLb0EESX_IbLb1EEEEDaST_SU_EUlST_E0_NS1_11comp_targetILNS1_3genE2ELNS1_11target_archE906ELNS1_3gpuE6ELNS1_3repE0EEENS1_30default_config_static_selectorELNS0_4arch9wavefront6targetE0EEEvT1_
                                        ; -- End function
	.set _ZN7rocprim17ROCPRIM_400000_NS6detail17trampoline_kernelINS0_14default_configENS1_20scan_config_selectorIN3c108BFloat16EEEZZNS1_9scan_implILNS1_25lookback_scan_determinismE0ELb0ELb0ES3_PKS6_PS6_S6_ZZZN2at6native31launch_logcumsumexp_cuda_kernelERKNSD_10TensorBaseESH_lENKUlvE_clEvENKUlvE4_clEvEUlS6_S6_E_S6_EEDaPvRmT3_T4_T5_mT6_P12ihipStream_tbENKUlT_T0_E_clISt17integral_constantIbLb0EESX_IbLb1EEEEDaST_SU_EUlST_E0_NS1_11comp_targetILNS1_3genE2ELNS1_11target_archE906ELNS1_3gpuE6ELNS1_3repE0EEENS1_30default_config_static_selectorELNS0_4arch9wavefront6targetE0EEEvT1_.num_vgpr, 0
	.set _ZN7rocprim17ROCPRIM_400000_NS6detail17trampoline_kernelINS0_14default_configENS1_20scan_config_selectorIN3c108BFloat16EEEZZNS1_9scan_implILNS1_25lookback_scan_determinismE0ELb0ELb0ES3_PKS6_PS6_S6_ZZZN2at6native31launch_logcumsumexp_cuda_kernelERKNSD_10TensorBaseESH_lENKUlvE_clEvENKUlvE4_clEvEUlS6_S6_E_S6_EEDaPvRmT3_T4_T5_mT6_P12ihipStream_tbENKUlT_T0_E_clISt17integral_constantIbLb0EESX_IbLb1EEEEDaST_SU_EUlST_E0_NS1_11comp_targetILNS1_3genE2ELNS1_11target_archE906ELNS1_3gpuE6ELNS1_3repE0EEENS1_30default_config_static_selectorELNS0_4arch9wavefront6targetE0EEEvT1_.num_agpr, 0
	.set _ZN7rocprim17ROCPRIM_400000_NS6detail17trampoline_kernelINS0_14default_configENS1_20scan_config_selectorIN3c108BFloat16EEEZZNS1_9scan_implILNS1_25lookback_scan_determinismE0ELb0ELb0ES3_PKS6_PS6_S6_ZZZN2at6native31launch_logcumsumexp_cuda_kernelERKNSD_10TensorBaseESH_lENKUlvE_clEvENKUlvE4_clEvEUlS6_S6_E_S6_EEDaPvRmT3_T4_T5_mT6_P12ihipStream_tbENKUlT_T0_E_clISt17integral_constantIbLb0EESX_IbLb1EEEEDaST_SU_EUlST_E0_NS1_11comp_targetILNS1_3genE2ELNS1_11target_archE906ELNS1_3gpuE6ELNS1_3repE0EEENS1_30default_config_static_selectorELNS0_4arch9wavefront6targetE0EEEvT1_.numbered_sgpr, 0
	.set _ZN7rocprim17ROCPRIM_400000_NS6detail17trampoline_kernelINS0_14default_configENS1_20scan_config_selectorIN3c108BFloat16EEEZZNS1_9scan_implILNS1_25lookback_scan_determinismE0ELb0ELb0ES3_PKS6_PS6_S6_ZZZN2at6native31launch_logcumsumexp_cuda_kernelERKNSD_10TensorBaseESH_lENKUlvE_clEvENKUlvE4_clEvEUlS6_S6_E_S6_EEDaPvRmT3_T4_T5_mT6_P12ihipStream_tbENKUlT_T0_E_clISt17integral_constantIbLb0EESX_IbLb1EEEEDaST_SU_EUlST_E0_NS1_11comp_targetILNS1_3genE2ELNS1_11target_archE906ELNS1_3gpuE6ELNS1_3repE0EEENS1_30default_config_static_selectorELNS0_4arch9wavefront6targetE0EEEvT1_.num_named_barrier, 0
	.set _ZN7rocprim17ROCPRIM_400000_NS6detail17trampoline_kernelINS0_14default_configENS1_20scan_config_selectorIN3c108BFloat16EEEZZNS1_9scan_implILNS1_25lookback_scan_determinismE0ELb0ELb0ES3_PKS6_PS6_S6_ZZZN2at6native31launch_logcumsumexp_cuda_kernelERKNSD_10TensorBaseESH_lENKUlvE_clEvENKUlvE4_clEvEUlS6_S6_E_S6_EEDaPvRmT3_T4_T5_mT6_P12ihipStream_tbENKUlT_T0_E_clISt17integral_constantIbLb0EESX_IbLb1EEEEDaST_SU_EUlST_E0_NS1_11comp_targetILNS1_3genE2ELNS1_11target_archE906ELNS1_3gpuE6ELNS1_3repE0EEENS1_30default_config_static_selectorELNS0_4arch9wavefront6targetE0EEEvT1_.private_seg_size, 0
	.set _ZN7rocprim17ROCPRIM_400000_NS6detail17trampoline_kernelINS0_14default_configENS1_20scan_config_selectorIN3c108BFloat16EEEZZNS1_9scan_implILNS1_25lookback_scan_determinismE0ELb0ELb0ES3_PKS6_PS6_S6_ZZZN2at6native31launch_logcumsumexp_cuda_kernelERKNSD_10TensorBaseESH_lENKUlvE_clEvENKUlvE4_clEvEUlS6_S6_E_S6_EEDaPvRmT3_T4_T5_mT6_P12ihipStream_tbENKUlT_T0_E_clISt17integral_constantIbLb0EESX_IbLb1EEEEDaST_SU_EUlST_E0_NS1_11comp_targetILNS1_3genE2ELNS1_11target_archE906ELNS1_3gpuE6ELNS1_3repE0EEENS1_30default_config_static_selectorELNS0_4arch9wavefront6targetE0EEEvT1_.uses_vcc, 0
	.set _ZN7rocprim17ROCPRIM_400000_NS6detail17trampoline_kernelINS0_14default_configENS1_20scan_config_selectorIN3c108BFloat16EEEZZNS1_9scan_implILNS1_25lookback_scan_determinismE0ELb0ELb0ES3_PKS6_PS6_S6_ZZZN2at6native31launch_logcumsumexp_cuda_kernelERKNSD_10TensorBaseESH_lENKUlvE_clEvENKUlvE4_clEvEUlS6_S6_E_S6_EEDaPvRmT3_T4_T5_mT6_P12ihipStream_tbENKUlT_T0_E_clISt17integral_constantIbLb0EESX_IbLb1EEEEDaST_SU_EUlST_E0_NS1_11comp_targetILNS1_3genE2ELNS1_11target_archE906ELNS1_3gpuE6ELNS1_3repE0EEENS1_30default_config_static_selectorELNS0_4arch9wavefront6targetE0EEEvT1_.uses_flat_scratch, 0
	.set _ZN7rocprim17ROCPRIM_400000_NS6detail17trampoline_kernelINS0_14default_configENS1_20scan_config_selectorIN3c108BFloat16EEEZZNS1_9scan_implILNS1_25lookback_scan_determinismE0ELb0ELb0ES3_PKS6_PS6_S6_ZZZN2at6native31launch_logcumsumexp_cuda_kernelERKNSD_10TensorBaseESH_lENKUlvE_clEvENKUlvE4_clEvEUlS6_S6_E_S6_EEDaPvRmT3_T4_T5_mT6_P12ihipStream_tbENKUlT_T0_E_clISt17integral_constantIbLb0EESX_IbLb1EEEEDaST_SU_EUlST_E0_NS1_11comp_targetILNS1_3genE2ELNS1_11target_archE906ELNS1_3gpuE6ELNS1_3repE0EEENS1_30default_config_static_selectorELNS0_4arch9wavefront6targetE0EEEvT1_.has_dyn_sized_stack, 0
	.set _ZN7rocprim17ROCPRIM_400000_NS6detail17trampoline_kernelINS0_14default_configENS1_20scan_config_selectorIN3c108BFloat16EEEZZNS1_9scan_implILNS1_25lookback_scan_determinismE0ELb0ELb0ES3_PKS6_PS6_S6_ZZZN2at6native31launch_logcumsumexp_cuda_kernelERKNSD_10TensorBaseESH_lENKUlvE_clEvENKUlvE4_clEvEUlS6_S6_E_S6_EEDaPvRmT3_T4_T5_mT6_P12ihipStream_tbENKUlT_T0_E_clISt17integral_constantIbLb0EESX_IbLb1EEEEDaST_SU_EUlST_E0_NS1_11comp_targetILNS1_3genE2ELNS1_11target_archE906ELNS1_3gpuE6ELNS1_3repE0EEENS1_30default_config_static_selectorELNS0_4arch9wavefront6targetE0EEEvT1_.has_recursion, 0
	.set _ZN7rocprim17ROCPRIM_400000_NS6detail17trampoline_kernelINS0_14default_configENS1_20scan_config_selectorIN3c108BFloat16EEEZZNS1_9scan_implILNS1_25lookback_scan_determinismE0ELb0ELb0ES3_PKS6_PS6_S6_ZZZN2at6native31launch_logcumsumexp_cuda_kernelERKNSD_10TensorBaseESH_lENKUlvE_clEvENKUlvE4_clEvEUlS6_S6_E_S6_EEDaPvRmT3_T4_T5_mT6_P12ihipStream_tbENKUlT_T0_E_clISt17integral_constantIbLb0EESX_IbLb1EEEEDaST_SU_EUlST_E0_NS1_11comp_targetILNS1_3genE2ELNS1_11target_archE906ELNS1_3gpuE6ELNS1_3repE0EEENS1_30default_config_static_selectorELNS0_4arch9wavefront6targetE0EEEvT1_.has_indirect_call, 0
	.section	.AMDGPU.csdata,"",@progbits
; Kernel info:
; codeLenInByte = 0
; TotalNumSgprs: 0
; NumVgprs: 0
; ScratchSize: 0
; MemoryBound: 0
; FloatMode: 240
; IeeeMode: 1
; LDSByteSize: 0 bytes/workgroup (compile time only)
; SGPRBlocks: 0
; VGPRBlocks: 0
; NumSGPRsForWavesPerEU: 1
; NumVGPRsForWavesPerEU: 1
; Occupancy: 16
; WaveLimiterHint : 0
; COMPUTE_PGM_RSRC2:SCRATCH_EN: 0
; COMPUTE_PGM_RSRC2:USER_SGPR: 2
; COMPUTE_PGM_RSRC2:TRAP_HANDLER: 0
; COMPUTE_PGM_RSRC2:TGID_X_EN: 1
; COMPUTE_PGM_RSRC2:TGID_Y_EN: 0
; COMPUTE_PGM_RSRC2:TGID_Z_EN: 0
; COMPUTE_PGM_RSRC2:TIDIG_COMP_CNT: 0
	.section	.text._ZN7rocprim17ROCPRIM_400000_NS6detail17trampoline_kernelINS0_14default_configENS1_20scan_config_selectorIN3c108BFloat16EEEZZNS1_9scan_implILNS1_25lookback_scan_determinismE0ELb0ELb0ES3_PKS6_PS6_S6_ZZZN2at6native31launch_logcumsumexp_cuda_kernelERKNSD_10TensorBaseESH_lENKUlvE_clEvENKUlvE4_clEvEUlS6_S6_E_S6_EEDaPvRmT3_T4_T5_mT6_P12ihipStream_tbENKUlT_T0_E_clISt17integral_constantIbLb0EESX_IbLb1EEEEDaST_SU_EUlST_E0_NS1_11comp_targetILNS1_3genE10ELNS1_11target_archE1201ELNS1_3gpuE5ELNS1_3repE0EEENS1_30default_config_static_selectorELNS0_4arch9wavefront6targetE0EEEvT1_,"axG",@progbits,_ZN7rocprim17ROCPRIM_400000_NS6detail17trampoline_kernelINS0_14default_configENS1_20scan_config_selectorIN3c108BFloat16EEEZZNS1_9scan_implILNS1_25lookback_scan_determinismE0ELb0ELb0ES3_PKS6_PS6_S6_ZZZN2at6native31launch_logcumsumexp_cuda_kernelERKNSD_10TensorBaseESH_lENKUlvE_clEvENKUlvE4_clEvEUlS6_S6_E_S6_EEDaPvRmT3_T4_T5_mT6_P12ihipStream_tbENKUlT_T0_E_clISt17integral_constantIbLb0EESX_IbLb1EEEEDaST_SU_EUlST_E0_NS1_11comp_targetILNS1_3genE10ELNS1_11target_archE1201ELNS1_3gpuE5ELNS1_3repE0EEENS1_30default_config_static_selectorELNS0_4arch9wavefront6targetE0EEEvT1_,comdat
	.globl	_ZN7rocprim17ROCPRIM_400000_NS6detail17trampoline_kernelINS0_14default_configENS1_20scan_config_selectorIN3c108BFloat16EEEZZNS1_9scan_implILNS1_25lookback_scan_determinismE0ELb0ELb0ES3_PKS6_PS6_S6_ZZZN2at6native31launch_logcumsumexp_cuda_kernelERKNSD_10TensorBaseESH_lENKUlvE_clEvENKUlvE4_clEvEUlS6_S6_E_S6_EEDaPvRmT3_T4_T5_mT6_P12ihipStream_tbENKUlT_T0_E_clISt17integral_constantIbLb0EESX_IbLb1EEEEDaST_SU_EUlST_E0_NS1_11comp_targetILNS1_3genE10ELNS1_11target_archE1201ELNS1_3gpuE5ELNS1_3repE0EEENS1_30default_config_static_selectorELNS0_4arch9wavefront6targetE0EEEvT1_ ; -- Begin function _ZN7rocprim17ROCPRIM_400000_NS6detail17trampoline_kernelINS0_14default_configENS1_20scan_config_selectorIN3c108BFloat16EEEZZNS1_9scan_implILNS1_25lookback_scan_determinismE0ELb0ELb0ES3_PKS6_PS6_S6_ZZZN2at6native31launch_logcumsumexp_cuda_kernelERKNSD_10TensorBaseESH_lENKUlvE_clEvENKUlvE4_clEvEUlS6_S6_E_S6_EEDaPvRmT3_T4_T5_mT6_P12ihipStream_tbENKUlT_T0_E_clISt17integral_constantIbLb0EESX_IbLb1EEEEDaST_SU_EUlST_E0_NS1_11comp_targetILNS1_3genE10ELNS1_11target_archE1201ELNS1_3gpuE5ELNS1_3repE0EEENS1_30default_config_static_selectorELNS0_4arch9wavefront6targetE0EEEvT1_
	.p2align	8
	.type	_ZN7rocprim17ROCPRIM_400000_NS6detail17trampoline_kernelINS0_14default_configENS1_20scan_config_selectorIN3c108BFloat16EEEZZNS1_9scan_implILNS1_25lookback_scan_determinismE0ELb0ELb0ES3_PKS6_PS6_S6_ZZZN2at6native31launch_logcumsumexp_cuda_kernelERKNSD_10TensorBaseESH_lENKUlvE_clEvENKUlvE4_clEvEUlS6_S6_E_S6_EEDaPvRmT3_T4_T5_mT6_P12ihipStream_tbENKUlT_T0_E_clISt17integral_constantIbLb0EESX_IbLb1EEEEDaST_SU_EUlST_E0_NS1_11comp_targetILNS1_3genE10ELNS1_11target_archE1201ELNS1_3gpuE5ELNS1_3repE0EEENS1_30default_config_static_selectorELNS0_4arch9wavefront6targetE0EEEvT1_,@function
_ZN7rocprim17ROCPRIM_400000_NS6detail17trampoline_kernelINS0_14default_configENS1_20scan_config_selectorIN3c108BFloat16EEEZZNS1_9scan_implILNS1_25lookback_scan_determinismE0ELb0ELb0ES3_PKS6_PS6_S6_ZZZN2at6native31launch_logcumsumexp_cuda_kernelERKNSD_10TensorBaseESH_lENKUlvE_clEvENKUlvE4_clEvEUlS6_S6_E_S6_EEDaPvRmT3_T4_T5_mT6_P12ihipStream_tbENKUlT_T0_E_clISt17integral_constantIbLb0EESX_IbLb1EEEEDaST_SU_EUlST_E0_NS1_11comp_targetILNS1_3genE10ELNS1_11target_archE1201ELNS1_3gpuE5ELNS1_3repE0EEENS1_30default_config_static_selectorELNS0_4arch9wavefront6targetE0EEEvT1_: ; @_ZN7rocprim17ROCPRIM_400000_NS6detail17trampoline_kernelINS0_14default_configENS1_20scan_config_selectorIN3c108BFloat16EEEZZNS1_9scan_implILNS1_25lookback_scan_determinismE0ELb0ELb0ES3_PKS6_PS6_S6_ZZZN2at6native31launch_logcumsumexp_cuda_kernelERKNSD_10TensorBaseESH_lENKUlvE_clEvENKUlvE4_clEvEUlS6_S6_E_S6_EEDaPvRmT3_T4_T5_mT6_P12ihipStream_tbENKUlT_T0_E_clISt17integral_constantIbLb0EESX_IbLb1EEEEDaST_SU_EUlST_E0_NS1_11comp_targetILNS1_3genE10ELNS1_11target_archE1201ELNS1_3gpuE5ELNS1_3repE0EEENS1_30default_config_static_selectorELNS0_4arch9wavefront6targetE0EEEvT1_
; %bb.0:
	s_load_b128 s[16:19], s[0:1], 0x0
	v_mov_b32_e32 v1, 0
	s_wait_kmcnt 0x0
	global_load_u16 v1, v1, s[16:17]
	v_cmp_gt_u32_e32 vcc_lo, s18, v0
	s_wait_loadcnt 0x0
	v_dual_mov_b32 v2, v1 :: v_dual_lshlrev_b32 v7, 1, v0
	s_and_saveexec_b32 s2, vcc_lo
	s_cbranch_execz .LBB517_2
; %bb.1:
	global_load_u16 v2, v7, s[16:17]
.LBB517_2:
	s_or_b32 exec_lo, exec_lo, s2
	v_or_b32_e32 v3, 0x100, v0
	s_delay_alu instid0(VALU_DEP_1)
	v_cmp_gt_u32_e64 s2, s18, v3
	v_mov_b32_e32 v3, v1
	s_and_saveexec_b32 s3, s2
	s_cbranch_execz .LBB517_4
; %bb.3:
	global_load_u16 v3, v7, s[16:17] offset:512
.LBB517_4:
	s_or_b32 exec_lo, exec_lo, s3
	v_or_b32_e32 v4, 0x200, v0
	s_delay_alu instid0(VALU_DEP_1)
	v_cmp_gt_u32_e64 s3, s18, v4
	v_mov_b32_e32 v4, v1
	s_and_saveexec_b32 s4, s3
	s_cbranch_execz .LBB517_6
; %bb.5:
	global_load_u16 v4, v7, s[16:17] offset:1024
.LBB517_6:
	;; [unrolled: 10-line block ×10, first 2 shown]
	s_or_b32 exec_lo, exec_lo, s12
	v_or_b32_e32 v14, 0xb00, v0
	s_delay_alu instid0(VALU_DEP_1) | instskip(SKIP_2) | instid1(SALU_CYCLE_1)
	v_cmp_gt_u32_e64 s12, s18, v14
	v_cmp_le_u32_e64 s13, s18, v14
	s_and_saveexec_b32 s14, s13
	s_xor_b32 s13, exec_lo, s14
	s_delay_alu instid0(SALU_CYCLE_1)
	s_and_not1_saveexec_b32 s13, s13
	s_cbranch_execz .LBB517_24
; %bb.23:
	v_lshlrev_b32_e32 v1, 1, v0
	global_load_u16 v1, v1, s[16:17] offset:5632
.LBB517_24:
	s_or_b32 exec_lo, exec_lo, s13
	s_wait_loadcnt 0x0
	ds_store_b16 v7, v2
	ds_store_b16 v7, v3 offset:512
	ds_store_b16 v7, v4 offset:1024
	;; [unrolled: 1-line block ×11, first 2 shown]
	v_mad_u32_u24 v5, v0, 22, v7
	s_wait_dscnt 0x0
	s_barrier_signal -1
	s_barrier_wait -1
	global_inv scope:SCOPE_SE
	ds_load_2addr_b64 v[1:4], v5 offset1:1
	ds_load_b64 v[5:6], v5 offset:16
	s_wait_loadcnt_dscnt 0x0
	s_barrier_signal -1
	s_barrier_wait -1
	global_inv scope:SCOPE_SE
	v_lshlrev_b32_e32 v25, 16, v1
	s_delay_alu instid0(VALU_DEP_1) | instskip(SKIP_1) | instid1(VALU_DEP_1)
	v_max_num_f32_e32 v28, v25, v25
	v_and_b32_e32 v8, 0xffff0000, v1
	v_max_num_f32_e32 v12, v8, v8
	v_cmp_u_f32_e64 s24, v25, v25
	s_delay_alu instid0(VALU_DEP_2) | instskip(SKIP_2) | instid1(VALU_DEP_3)
	v_min_num_f32_e32 v26, v28, v12
	v_max_num_f32_e32 v27, v28, v12
	v_cmp_u_f32_e64 s13, v8, v8
	v_cndmask_b32_e64 v9, v26, v25, s24
	s_delay_alu instid0(VALU_DEP_3) | instskip(NEXT) | instid1(VALU_DEP_2)
	v_cndmask_b32_e64 v10, v27, v25, s24
	v_cndmask_b32_e64 v11, v9, v8, s13
	s_delay_alu instid0(VALU_DEP_2) | instskip(SKIP_1) | instid1(VALU_DEP_3)
	v_cndmask_b32_e64 v9, v10, v8, s13
	v_mov_b32_e32 v10, v25
	v_cmp_class_f32_e64 s15, v11, 0x1f8
	s_delay_alu instid0(VALU_DEP_3) | instskip(SKIP_1) | instid1(SALU_CYCLE_1)
	v_cmp_neq_f32_e64 s14, v11, v9
	s_or_b32 s14, s14, s15
	s_and_saveexec_b32 s15, s14
	s_cbranch_execz .LBB517_26
; %bb.25:
	v_sub_f32_e32 v10, v11, v9
	s_delay_alu instid0(VALU_DEP_1) | instskip(SKIP_1) | instid1(VALU_DEP_2)
	v_mul_f32_e32 v11, 0x3fb8aa3b, v10
	v_cmp_ngt_f32_e64 s14, 0xc2ce8ed0, v10
	v_fma_f32 v13, 0x3fb8aa3b, v10, -v11
	v_rndne_f32_e32 v14, v11
	s_delay_alu instid0(VALU_DEP_2) | instskip(NEXT) | instid1(VALU_DEP_2)
	v_fmamk_f32 v13, v10, 0x32a5705f, v13
	v_sub_f32_e32 v11, v11, v14
	s_delay_alu instid0(VALU_DEP_1) | instskip(SKIP_1) | instid1(VALU_DEP_2)
	v_add_f32_e32 v11, v11, v13
	v_cvt_i32_f32_e32 v13, v14
	v_exp_f32_e32 v11, v11
	s_delay_alu instid0(TRANS32_DEP_1) | instskip(NEXT) | instid1(VALU_DEP_1)
	v_ldexp_f32 v11, v11, v13
	v_cndmask_b32_e64 v11, 0, v11, s14
	v_cmp_nlt_f32_e64 s14, 0x42b17218, v10
	s_wait_alu 0xf1ff
	s_delay_alu instid0(VALU_DEP_1) | instskip(NEXT) | instid1(VALU_DEP_1)
	v_cndmask_b32_e64 v13, 0x7f800000, v11, s14
	v_add_f32_e32 v14, 1.0, v13
	s_delay_alu instid0(VALU_DEP_1) | instskip(NEXT) | instid1(VALU_DEP_1)
	v_cvt_f64_f32_e32 v[10:11], v14
	v_frexp_exp_i32_f64_e32 v10, v[10:11]
	v_frexp_mant_f32_e32 v11, v14
	s_delay_alu instid0(VALU_DEP_1) | instskip(SKIP_1) | instid1(VALU_DEP_1)
	v_cmp_gt_f32_e64 s14, 0x3f2aaaab, v11
	v_add_f32_e32 v11, -1.0, v14
	v_sub_f32_e32 v16, v11, v14
	s_delay_alu instid0(VALU_DEP_1)
	v_add_f32_e32 v16, 1.0, v16
	s_wait_alu 0xf1ff
	v_subrev_co_ci_u32_e64 v10, null, 0, v10, s14
	s_mov_b32 s14, 0x3e9b6dac
	v_sub_nc_u32_e32 v15, 0, v10
	v_cvt_f32_i32_e32 v10, v10
	s_delay_alu instid0(VALU_DEP_2) | instskip(NEXT) | instid1(VALU_DEP_1)
	v_ldexp_f32 v14, v14, v15
	v_add_f32_e32 v17, 1.0, v14
	v_sub_f32_e32 v11, v13, v11
	s_delay_alu instid0(VALU_DEP_1) | instskip(NEXT) | instid1(VALU_DEP_1)
	v_add_f32_e32 v11, v11, v16
	v_ldexp_f32 v11, v11, v15
	v_add_f32_e32 v15, -1.0, v14
	s_delay_alu instid0(VALU_DEP_1) | instskip(SKIP_1) | instid1(VALU_DEP_1)
	v_add_f32_e32 v18, 1.0, v15
	v_add_f32_e32 v16, -1.0, v17
	v_sub_f32_e32 v16, v14, v16
	s_delay_alu instid0(VALU_DEP_3) | instskip(NEXT) | instid1(VALU_DEP_2)
	v_sub_f32_e32 v14, v14, v18
	v_add_f32_e32 v16, v11, v16
	s_delay_alu instid0(VALU_DEP_1) | instskip(NEXT) | instid1(VALU_DEP_1)
	v_dual_add_f32 v11, v11, v14 :: v_dual_add_f32 v18, v17, v16
	v_rcp_f32_e32 v14, v18
	v_sub_f32_e32 v17, v17, v18
	s_delay_alu instid0(VALU_DEP_1) | instskip(NEXT) | instid1(VALU_DEP_1)
	v_dual_add_f32 v19, v15, v11 :: v_dual_add_f32 v16, v16, v17
	v_sub_f32_e32 v15, v15, v19
	s_delay_alu instid0(TRANS32_DEP_1) | instskip(NEXT) | instid1(VALU_DEP_2)
	v_mul_f32_e32 v20, v19, v14
	v_add_f32_e32 v11, v11, v15
	s_delay_alu instid0(VALU_DEP_2) | instskip(NEXT) | instid1(VALU_DEP_1)
	v_mul_f32_e32 v21, v18, v20
	v_fma_f32 v17, v20, v18, -v21
	s_delay_alu instid0(VALU_DEP_1) | instskip(NEXT) | instid1(VALU_DEP_1)
	v_fmac_f32_e32 v17, v20, v16
	v_add_f32_e32 v22, v21, v17
	s_delay_alu instid0(VALU_DEP_1) | instskip(SKIP_1) | instid1(VALU_DEP_2)
	v_sub_f32_e32 v23, v19, v22
	v_sub_f32_e32 v15, v22, v21
	;; [unrolled: 1-line block ×3, first 2 shown]
	s_delay_alu instid0(VALU_DEP_2) | instskip(NEXT) | instid1(VALU_DEP_2)
	v_sub_f32_e32 v15, v15, v17
	v_sub_f32_e32 v19, v19, v22
	s_delay_alu instid0(VALU_DEP_1) | instskip(NEXT) | instid1(VALU_DEP_1)
	v_add_f32_e32 v11, v11, v19
	v_add_f32_e32 v11, v15, v11
	s_delay_alu instid0(VALU_DEP_1) | instskip(NEXT) | instid1(VALU_DEP_1)
	v_add_f32_e32 v15, v23, v11
	v_mul_f32_e32 v17, v14, v15
	s_delay_alu instid0(VALU_DEP_1) | instskip(NEXT) | instid1(VALU_DEP_1)
	v_mul_f32_e32 v19, v18, v17
	v_fma_f32 v18, v17, v18, -v19
	s_delay_alu instid0(VALU_DEP_1) | instskip(SKIP_1) | instid1(VALU_DEP_2)
	v_fmac_f32_e32 v18, v17, v16
	v_sub_f32_e32 v22, v23, v15
	v_add_f32_e32 v16, v19, v18
	s_delay_alu instid0(VALU_DEP_2) | instskip(NEXT) | instid1(VALU_DEP_2)
	v_add_f32_e32 v11, v11, v22
	v_sub_f32_e32 v21, v15, v16
	v_sub_f32_e32 v19, v16, v19
	s_delay_alu instid0(VALU_DEP_2) | instskip(NEXT) | instid1(VALU_DEP_1)
	v_sub_f32_e32 v15, v15, v21
	v_sub_f32_e32 v15, v15, v16
	s_delay_alu instid0(VALU_DEP_3) | instskip(NEXT) | instid1(VALU_DEP_2)
	v_sub_f32_e32 v16, v19, v18
	v_add_f32_e32 v11, v11, v15
	v_add_f32_e32 v15, v20, v17
	s_delay_alu instid0(VALU_DEP_1) | instskip(NEXT) | instid1(VALU_DEP_1)
	v_dual_add_f32 v11, v16, v11 :: v_dual_sub_f32 v16, v15, v20
	v_add_f32_e32 v11, v21, v11
	s_delay_alu instid0(VALU_DEP_1) | instskip(NEXT) | instid1(VALU_DEP_1)
	v_dual_sub_f32 v16, v17, v16 :: v_dual_mul_f32 v11, v14, v11
	v_add_f32_e32 v11, v16, v11
	s_delay_alu instid0(VALU_DEP_1) | instskip(NEXT) | instid1(VALU_DEP_1)
	v_add_f32_e32 v14, v15, v11
	v_mul_f32_e32 v16, v14, v14
	s_wait_alu 0xfffe
	s_delay_alu instid0(VALU_DEP_1) | instskip(SKIP_2) | instid1(VALU_DEP_3)
	v_fmaak_f32 v17, s14, v16, 0x3ecc95a3
	v_mul_f32_e32 v18, v14, v16
	v_cmp_neq_f32_e64 s14, 0x7f800000, v13
	v_fmaak_f32 v16, v16, v17, 0x3f2aaada
	v_ldexp_f32 v17, v14, 1
	v_sub_f32_e32 v14, v14, v15
	s_delay_alu instid0(VALU_DEP_3) | instskip(SKIP_1) | instid1(VALU_DEP_3)
	v_mul_f32_e32 v16, v18, v16
	v_mul_f32_e32 v18, 0x3f317218, v10
	v_sub_f32_e32 v11, v11, v14
	s_delay_alu instid0(VALU_DEP_3) | instskip(NEXT) | instid1(VALU_DEP_2)
	v_add_f32_e32 v15, v17, v16
	v_ldexp_f32 v11, v11, 1
	s_delay_alu instid0(VALU_DEP_2) | instskip(SKIP_1) | instid1(VALU_DEP_2)
	v_sub_f32_e32 v14, v15, v17
	v_fma_f32 v17, 0x3f317218, v10, -v18
	v_sub_f32_e32 v14, v16, v14
	s_delay_alu instid0(VALU_DEP_1) | instskip(NEXT) | instid1(VALU_DEP_1)
	v_dual_fmamk_f32 v10, v10, 0xb102e308, v17 :: v_dual_add_f32 v11, v11, v14
	v_add_f32_e32 v14, v18, v10
	s_delay_alu instid0(VALU_DEP_2) | instskip(NEXT) | instid1(VALU_DEP_2)
	v_add_f32_e32 v16, v15, v11
	v_sub_f32_e32 v18, v14, v18
	s_delay_alu instid0(VALU_DEP_2) | instskip(NEXT) | instid1(VALU_DEP_2)
	v_add_f32_e32 v17, v14, v16
	v_dual_sub_f32 v15, v16, v15 :: v_dual_sub_f32 v10, v10, v18
	s_delay_alu instid0(VALU_DEP_2) | instskip(NEXT) | instid1(VALU_DEP_2)
	v_sub_f32_e32 v19, v17, v14
	v_sub_f32_e32 v11, v11, v15
	s_delay_alu instid0(VALU_DEP_2) | instskip(SKIP_1) | instid1(VALU_DEP_3)
	v_sub_f32_e32 v20, v17, v19
	v_sub_f32_e32 v15, v16, v19
	v_add_f32_e32 v16, v10, v11
	s_delay_alu instid0(VALU_DEP_3) | instskip(NEXT) | instid1(VALU_DEP_1)
	v_sub_f32_e32 v14, v14, v20
	v_add_f32_e32 v14, v15, v14
	s_delay_alu instid0(VALU_DEP_3) | instskip(NEXT) | instid1(VALU_DEP_2)
	v_sub_f32_e32 v15, v16, v10
	v_add_f32_e32 v14, v16, v14
	s_delay_alu instid0(VALU_DEP_2) | instskip(NEXT) | instid1(VALU_DEP_1)
	v_sub_f32_e32 v16, v16, v15
	v_dual_sub_f32 v11, v11, v15 :: v_dual_sub_f32 v10, v10, v16
	s_delay_alu instid0(VALU_DEP_1) | instskip(NEXT) | instid1(VALU_DEP_4)
	v_add_f32_e32 v10, v11, v10
	v_add_f32_e32 v18, v17, v14
	s_delay_alu instid0(VALU_DEP_1) | instskip(NEXT) | instid1(VALU_DEP_1)
	v_sub_f32_e32 v15, v18, v17
	v_sub_f32_e32 v11, v14, v15
	s_delay_alu instid0(VALU_DEP_1) | instskip(NEXT) | instid1(VALU_DEP_1)
	v_add_f32_e32 v10, v10, v11
	v_add_f32_e32 v10, v18, v10
	s_wait_alu 0xf1ff
	s_delay_alu instid0(VALU_DEP_1) | instskip(SKIP_2) | instid1(VALU_DEP_1)
	v_cndmask_b32_e64 v10, 0x7f800000, v10, s14
	v_cmp_gt_f32_e64 s14, 0x33800000, |v13|
	s_wait_alu 0xf1ff
	v_cndmask_b32_e64 v10, v10, v13, s14
	s_delay_alu instid0(VALU_DEP_1)
	v_add_f32_e32 v10, v9, v10
.LBB517_26:
	s_or_b32 exec_lo, exec_lo, s15
	s_delay_alu instid0(VALU_DEP_1) | instskip(SKIP_1) | instid1(VALU_DEP_2)
	v_bfe_u32 v9, v10, 16, 1
	v_cmp_o_f32_e64 s14, v10, v10
	v_add3_u32 v9, v10, v9, 0x7fff
	s_delay_alu instid0(VALU_DEP_1) | instskip(SKIP_1) | instid1(VALU_DEP_1)
	v_and_b32_e32 v11, 0xffff0000, v9
	s_wait_alu 0xf1ff
	v_cndmask_b32_e64 v13, 0x7fc00000, v11, s14
	s_delay_alu instid0(VALU_DEP_1) | instskip(NEXT) | instid1(VALU_DEP_1)
	v_dual_max_num_f32 v10, v13, v13 :: v_dual_lshlrev_b32 v9, 16, v2
	v_max_num_f32_e32 v11, v9, v9
	v_cmp_u_f32_e64 s14, v13, v13
	s_delay_alu instid0(VALU_DEP_2) | instskip(SKIP_2) | instid1(VALU_DEP_2)
	v_min_num_f32_e32 v14, v10, v11
	v_max_num_f32_e32 v10, v10, v11
	s_wait_alu 0xf1ff
	v_cndmask_b32_e64 v14, v14, v13, s14
	s_delay_alu instid0(VALU_DEP_2) | instskip(SKIP_2) | instid1(VALU_DEP_1)
	v_cndmask_b32_e64 v10, v10, v13, s14
	v_cmp_u_f32_e64 s14, v9, v9
	s_wait_alu 0xf1ff
	v_cndmask_b32_e64 v14, v14, v9, s14
	s_delay_alu instid0(VALU_DEP_3) | instskip(NEXT) | instid1(VALU_DEP_2)
	v_cndmask_b32_e64 v10, v10, v9, s14
	v_cmp_class_f32_e64 s16, v14, 0x1f8
	s_delay_alu instid0(VALU_DEP_2)
	v_cmp_neq_f32_e64 s15, v14, v10
	s_or_b32 s15, s15, s16
	s_wait_alu 0xfffe
	s_and_saveexec_b32 s16, s15
	s_cbranch_execz .LBB517_28
; %bb.27:
	v_sub_f32_e32 v13, v14, v10
	s_delay_alu instid0(VALU_DEP_1) | instskip(SKIP_1) | instid1(VALU_DEP_2)
	v_mul_f32_e32 v14, 0x3fb8aa3b, v13
	v_cmp_ngt_f32_e64 s15, 0xc2ce8ed0, v13
	v_fma_f32 v15, 0x3fb8aa3b, v13, -v14
	v_rndne_f32_e32 v16, v14
	s_delay_alu instid0(VALU_DEP_1) | instskip(NEXT) | instid1(VALU_DEP_1)
	v_dual_fmamk_f32 v15, v13, 0x32a5705f, v15 :: v_dual_sub_f32 v14, v14, v16
	v_add_f32_e32 v14, v14, v15
	v_cvt_i32_f32_e32 v15, v16
	s_delay_alu instid0(VALU_DEP_2) | instskip(NEXT) | instid1(TRANS32_DEP_1)
	v_exp_f32_e32 v14, v14
	v_ldexp_f32 v14, v14, v15
	s_wait_alu 0xf1ff
	s_delay_alu instid0(VALU_DEP_1) | instskip(SKIP_2) | instid1(VALU_DEP_1)
	v_cndmask_b32_e64 v14, 0, v14, s15
	v_cmp_nlt_f32_e64 s15, 0x42b17218, v13
	s_wait_alu 0xf1ff
	v_cndmask_b32_e64 v15, 0x7f800000, v14, s15
	s_delay_alu instid0(VALU_DEP_1) | instskip(NEXT) | instid1(VALU_DEP_1)
	v_add_f32_e32 v16, 1.0, v15
	v_cvt_f64_f32_e32 v[13:14], v16
	s_delay_alu instid0(VALU_DEP_1) | instskip(SKIP_1) | instid1(VALU_DEP_1)
	v_frexp_exp_i32_f64_e32 v13, v[13:14]
	v_frexp_mant_f32_e32 v14, v16
	v_cmp_gt_f32_e64 s15, 0x3f2aaaab, v14
	v_add_f32_e32 v14, -1.0, v16
	s_delay_alu instid0(VALU_DEP_1)
	v_sub_f32_e32 v18, v14, v16
	v_sub_f32_e32 v14, v15, v14
	s_wait_alu 0xf1ff
	v_subrev_co_ci_u32_e64 v13, null, 0, v13, s15
	s_mov_b32 s15, 0x3e9b6dac
	v_sub_nc_u32_e32 v17, 0, v13
	v_cvt_f32_i32_e32 v13, v13
	s_delay_alu instid0(VALU_DEP_2) | instskip(NEXT) | instid1(VALU_DEP_1)
	v_ldexp_f32 v16, v16, v17
	v_dual_add_f32 v19, 1.0, v16 :: v_dual_add_f32 v18, 1.0, v18
	s_delay_alu instid0(VALU_DEP_1) | instskip(NEXT) | instid1(VALU_DEP_2)
	v_add_f32_e32 v14, v14, v18
	v_add_f32_e32 v18, -1.0, v19
	s_delay_alu instid0(VALU_DEP_2) | instskip(NEXT) | instid1(VALU_DEP_2)
	v_ldexp_f32 v14, v14, v17
	v_dual_add_f32 v17, -1.0, v16 :: v_dual_sub_f32 v18, v16, v18
	s_delay_alu instid0(VALU_DEP_1) | instskip(NEXT) | instid1(VALU_DEP_2)
	v_add_f32_e32 v20, 1.0, v17
	v_add_f32_e32 v18, v14, v18
	s_delay_alu instid0(VALU_DEP_2) | instskip(NEXT) | instid1(VALU_DEP_2)
	v_sub_f32_e32 v16, v16, v20
	v_add_f32_e32 v20, v19, v18
	s_delay_alu instid0(VALU_DEP_2) | instskip(NEXT) | instid1(VALU_DEP_2)
	v_add_f32_e32 v14, v14, v16
	v_rcp_f32_e32 v16, v20
	v_sub_f32_e32 v19, v19, v20
	s_delay_alu instid0(VALU_DEP_1) | instskip(NEXT) | instid1(VALU_DEP_1)
	v_dual_add_f32 v21, v17, v14 :: v_dual_add_f32 v18, v18, v19
	v_sub_f32_e32 v17, v17, v21
	s_delay_alu instid0(TRANS32_DEP_1) | instskip(NEXT) | instid1(VALU_DEP_1)
	v_mul_f32_e32 v22, v21, v16
	v_dual_add_f32 v14, v14, v17 :: v_dual_mul_f32 v23, v20, v22
	s_delay_alu instid0(VALU_DEP_1) | instskip(NEXT) | instid1(VALU_DEP_1)
	v_fma_f32 v19, v22, v20, -v23
	v_fmac_f32_e32 v19, v22, v18
	s_delay_alu instid0(VALU_DEP_1) | instskip(NEXT) | instid1(VALU_DEP_1)
	v_add_f32_e32 v24, v23, v19
	v_sub_f32_e32 v29, v21, v24
	v_sub_f32_e32 v17, v24, v23
	s_delay_alu instid0(VALU_DEP_2) | instskip(NEXT) | instid1(VALU_DEP_2)
	v_sub_f32_e32 v21, v21, v29
	v_sub_f32_e32 v17, v17, v19
	s_delay_alu instid0(VALU_DEP_2) | instskip(NEXT) | instid1(VALU_DEP_1)
	v_sub_f32_e32 v21, v21, v24
	v_add_f32_e32 v14, v14, v21
	s_delay_alu instid0(VALU_DEP_1) | instskip(NEXT) | instid1(VALU_DEP_1)
	v_add_f32_e32 v14, v17, v14
	v_add_f32_e32 v17, v29, v14
	s_delay_alu instid0(VALU_DEP_1) | instskip(NEXT) | instid1(VALU_DEP_1)
	v_mul_f32_e32 v19, v16, v17
	v_dual_sub_f32 v24, v29, v17 :: v_dual_mul_f32 v21, v20, v19
	s_delay_alu instid0(VALU_DEP_1) | instskip(NEXT) | instid1(VALU_DEP_2)
	v_add_f32_e32 v14, v14, v24
	v_fma_f32 v20, v19, v20, -v21
	s_delay_alu instid0(VALU_DEP_1) | instskip(NEXT) | instid1(VALU_DEP_1)
	v_fmac_f32_e32 v20, v19, v18
	v_add_f32_e32 v18, v21, v20
	s_delay_alu instid0(VALU_DEP_1) | instskip(SKIP_1) | instid1(VALU_DEP_2)
	v_sub_f32_e32 v23, v17, v18
	v_sub_f32_e32 v21, v18, v21
	;; [unrolled: 1-line block ×3, first 2 shown]
	s_delay_alu instid0(VALU_DEP_1) | instskip(NEXT) | instid1(VALU_DEP_3)
	v_sub_f32_e32 v17, v17, v18
	v_sub_f32_e32 v18, v21, v20
	s_delay_alu instid0(VALU_DEP_2) | instskip(SKIP_1) | instid1(VALU_DEP_2)
	v_add_f32_e32 v14, v14, v17
	v_add_f32_e32 v17, v22, v19
	;; [unrolled: 1-line block ×3, first 2 shown]
	s_delay_alu instid0(VALU_DEP_2) | instskip(NEXT) | instid1(VALU_DEP_2)
	v_sub_f32_e32 v18, v17, v22
	v_add_f32_e32 v14, v23, v14
	s_delay_alu instid0(VALU_DEP_2) | instskip(NEXT) | instid1(VALU_DEP_2)
	v_sub_f32_e32 v18, v19, v18
	v_mul_f32_e32 v14, v16, v14
	s_delay_alu instid0(VALU_DEP_1) | instskip(NEXT) | instid1(VALU_DEP_1)
	v_add_f32_e32 v14, v18, v14
	v_add_f32_e32 v16, v17, v14
	s_delay_alu instid0(VALU_DEP_1) | instskip(SKIP_1) | instid1(VALU_DEP_1)
	v_mul_f32_e32 v18, v16, v16
	s_wait_alu 0xfffe
	v_fmaak_f32 v19, s15, v18, 0x3ecc95a3
	v_mul_f32_e32 v20, v16, v18
	v_cmp_neq_f32_e64 s15, 0x7f800000, v15
	s_delay_alu instid0(VALU_DEP_3) | instskip(SKIP_2) | instid1(VALU_DEP_3)
	v_fmaak_f32 v18, v18, v19, 0x3f2aaada
	v_ldexp_f32 v19, v16, 1
	v_sub_f32_e32 v16, v16, v17
	v_mul_f32_e32 v18, v20, v18
	v_mul_f32_e32 v20, 0x3f317218, v13
	s_delay_alu instid0(VALU_DEP_2) | instskip(NEXT) | instid1(VALU_DEP_1)
	v_dual_sub_f32 v14, v14, v16 :: v_dual_add_f32 v17, v19, v18
	v_ldexp_f32 v14, v14, 1
	s_delay_alu instid0(VALU_DEP_2) | instskip(NEXT) | instid1(VALU_DEP_4)
	v_sub_f32_e32 v16, v17, v19
	v_fma_f32 v19, 0x3f317218, v13, -v20
	s_delay_alu instid0(VALU_DEP_1) | instskip(NEXT) | instid1(VALU_DEP_1)
	v_dual_sub_f32 v16, v18, v16 :: v_dual_fmamk_f32 v13, v13, 0xb102e308, v19
	v_add_f32_e32 v14, v14, v16
	s_delay_alu instid0(VALU_DEP_2) | instskip(NEXT) | instid1(VALU_DEP_2)
	v_add_f32_e32 v16, v20, v13
	v_add_f32_e32 v18, v17, v14
	s_delay_alu instid0(VALU_DEP_2) | instskip(NEXT) | instid1(VALU_DEP_2)
	v_sub_f32_e32 v20, v16, v20
	v_add_f32_e32 v19, v16, v18
	v_sub_f32_e32 v17, v18, v17
	s_delay_alu instid0(VALU_DEP_3) | instskip(NEXT) | instid1(VALU_DEP_2)
	v_sub_f32_e32 v13, v13, v20
	v_dual_sub_f32 v21, v19, v16 :: v_dual_sub_f32 v14, v14, v17
	s_delay_alu instid0(VALU_DEP_1) | instskip(NEXT) | instid1(VALU_DEP_2)
	v_sub_f32_e32 v22, v19, v21
	v_dual_sub_f32 v17, v18, v21 :: v_dual_add_f32 v18, v13, v14
	s_delay_alu instid0(VALU_DEP_2) | instskip(NEXT) | instid1(VALU_DEP_1)
	v_sub_f32_e32 v16, v16, v22
	v_dual_add_f32 v16, v17, v16 :: v_dual_sub_f32 v17, v18, v13
	s_delay_alu instid0(VALU_DEP_1) | instskip(NEXT) | instid1(VALU_DEP_2)
	v_add_f32_e32 v16, v18, v16
	v_sub_f32_e32 v18, v18, v17
	v_sub_f32_e32 v14, v14, v17
	s_delay_alu instid0(VALU_DEP_2) | instskip(NEXT) | instid1(VALU_DEP_1)
	v_dual_add_f32 v20, v19, v16 :: v_dual_sub_f32 v13, v13, v18
	v_sub_f32_e32 v17, v20, v19
	s_delay_alu instid0(VALU_DEP_2) | instskip(NEXT) | instid1(VALU_DEP_2)
	v_add_f32_e32 v13, v14, v13
	v_sub_f32_e32 v14, v16, v17
	s_delay_alu instid0(VALU_DEP_1) | instskip(NEXT) | instid1(VALU_DEP_1)
	v_add_f32_e32 v13, v13, v14
	v_add_f32_e32 v13, v20, v13
	s_wait_alu 0xf1ff
	s_delay_alu instid0(VALU_DEP_1) | instskip(SKIP_2) | instid1(VALU_DEP_1)
	v_cndmask_b32_e64 v13, 0x7f800000, v13, s15
	v_cmp_gt_f32_e64 s15, 0x33800000, |v15|
	s_wait_alu 0xf1ff
	v_cndmask_b32_e64 v13, v13, v15, s15
	s_delay_alu instid0(VALU_DEP_1)
	v_add_f32_e32 v13, v10, v13
.LBB517_28:
	s_or_b32 exec_lo, exec_lo, s16
	s_delay_alu instid0(VALU_DEP_1) | instskip(SKIP_1) | instid1(VALU_DEP_2)
	v_bfe_u32 v10, v13, 16, 1
	v_cmp_o_f32_e64 s15, v13, v13
	v_add3_u32 v10, v13, v10, 0x7fff
	s_delay_alu instid0(VALU_DEP_1) | instskip(SKIP_1) | instid1(VALU_DEP_1)
	v_and_b32_e32 v10, 0xffff0000, v10
	s_wait_alu 0xf1ff
	v_cndmask_b32_e64 v14, 0x7fc00000, v10, s15
	s_delay_alu instid0(VALU_DEP_1) | instskip(SKIP_2) | instid1(VALU_DEP_2)
	v_max_num_f32_e32 v10, v14, v14
	v_and_b32_e32 v2, 0xffff0000, v2
	v_cmp_u_f32_e64 s15, v14, v14
	v_max_num_f32_e32 v13, v2, v2
	s_delay_alu instid0(VALU_DEP_1) | instskip(SKIP_2) | instid1(VALU_DEP_2)
	v_min_num_f32_e32 v15, v10, v13
	v_max_num_f32_e32 v10, v10, v13
	s_wait_alu 0xf1ff
	v_cndmask_b32_e64 v15, v15, v14, s15
	s_delay_alu instid0(VALU_DEP_2) | instskip(SKIP_2) | instid1(VALU_DEP_1)
	v_cndmask_b32_e64 v10, v10, v14, s15
	v_cmp_u_f32_e64 s15, v2, v2
	s_wait_alu 0xf1ff
	v_cndmask_b32_e64 v15, v15, v2, s15
	s_delay_alu instid0(VALU_DEP_3) | instskip(NEXT) | instid1(VALU_DEP_2)
	v_cndmask_b32_e64 v10, v10, v2, s15
	v_cmp_class_f32_e64 s17, v15, 0x1f8
	s_delay_alu instid0(VALU_DEP_2) | instskip(SKIP_1) | instid1(SALU_CYCLE_1)
	v_cmp_neq_f32_e64 s16, v15, v10
	s_or_b32 s16, s16, s17
	s_and_saveexec_b32 s17, s16
	s_cbranch_execz .LBB517_30
; %bb.29:
	v_sub_f32_e32 v14, v15, v10
	s_delay_alu instid0(VALU_DEP_1) | instskip(SKIP_1) | instid1(VALU_DEP_2)
	v_mul_f32_e32 v15, 0x3fb8aa3b, v14
	v_cmp_ngt_f32_e64 s16, 0xc2ce8ed0, v14
	v_fma_f32 v16, 0x3fb8aa3b, v14, -v15
	v_rndne_f32_e32 v17, v15
	s_delay_alu instid0(VALU_DEP_1) | instskip(NEXT) | instid1(VALU_DEP_1)
	v_dual_fmamk_f32 v16, v14, 0x32a5705f, v16 :: v_dual_sub_f32 v15, v15, v17
	v_add_f32_e32 v15, v15, v16
	v_cvt_i32_f32_e32 v16, v17
	s_delay_alu instid0(VALU_DEP_2) | instskip(NEXT) | instid1(TRANS32_DEP_1)
	v_exp_f32_e32 v15, v15
	v_ldexp_f32 v15, v15, v16
	s_delay_alu instid0(VALU_DEP_1) | instskip(SKIP_2) | instid1(VALU_DEP_1)
	v_cndmask_b32_e64 v15, 0, v15, s16
	v_cmp_nlt_f32_e64 s16, 0x42b17218, v14
	s_wait_alu 0xf1ff
	v_cndmask_b32_e64 v16, 0x7f800000, v15, s16
	s_delay_alu instid0(VALU_DEP_1) | instskip(NEXT) | instid1(VALU_DEP_1)
	v_add_f32_e32 v17, 1.0, v16
	v_cvt_f64_f32_e32 v[14:15], v17
	s_delay_alu instid0(VALU_DEP_1) | instskip(SKIP_1) | instid1(VALU_DEP_1)
	v_frexp_exp_i32_f64_e32 v14, v[14:15]
	v_frexp_mant_f32_e32 v15, v17
	v_cmp_gt_f32_e64 s16, 0x3f2aaaab, v15
	v_add_f32_e32 v15, -1.0, v17
	s_delay_alu instid0(VALU_DEP_1)
	v_sub_f32_e32 v19, v15, v17
	v_sub_f32_e32 v15, v16, v15
	s_wait_alu 0xf1ff
	v_subrev_co_ci_u32_e64 v14, null, 0, v14, s16
	s_mov_b32 s16, 0x3e9b6dac
	v_sub_nc_u32_e32 v18, 0, v14
	v_cvt_f32_i32_e32 v14, v14
	s_delay_alu instid0(VALU_DEP_2) | instskip(NEXT) | instid1(VALU_DEP_1)
	v_ldexp_f32 v17, v17, v18
	v_dual_add_f32 v20, 1.0, v17 :: v_dual_add_f32 v19, 1.0, v19
	s_delay_alu instid0(VALU_DEP_1) | instskip(NEXT) | instid1(VALU_DEP_2)
	v_add_f32_e32 v15, v15, v19
	v_add_f32_e32 v19, -1.0, v20
	s_delay_alu instid0(VALU_DEP_2) | instskip(NEXT) | instid1(VALU_DEP_2)
	v_ldexp_f32 v15, v15, v18
	v_dual_add_f32 v18, -1.0, v17 :: v_dual_sub_f32 v19, v17, v19
	s_delay_alu instid0(VALU_DEP_1) | instskip(NEXT) | instid1(VALU_DEP_2)
	v_add_f32_e32 v21, 1.0, v18
	v_add_f32_e32 v19, v15, v19
	s_delay_alu instid0(VALU_DEP_2) | instskip(NEXT) | instid1(VALU_DEP_2)
	v_sub_f32_e32 v17, v17, v21
	v_add_f32_e32 v21, v20, v19
	s_delay_alu instid0(VALU_DEP_2) | instskip(NEXT) | instid1(VALU_DEP_2)
	v_add_f32_e32 v15, v15, v17
	v_rcp_f32_e32 v17, v21
	v_sub_f32_e32 v20, v20, v21
	s_delay_alu instid0(VALU_DEP_1) | instskip(NEXT) | instid1(VALU_DEP_1)
	v_dual_add_f32 v22, v18, v15 :: v_dual_add_f32 v19, v19, v20
	v_sub_f32_e32 v18, v18, v22
	s_delay_alu instid0(TRANS32_DEP_1) | instskip(NEXT) | instid1(VALU_DEP_1)
	v_mul_f32_e32 v23, v22, v17
	v_dual_add_f32 v15, v15, v18 :: v_dual_mul_f32 v24, v21, v23
	s_delay_alu instid0(VALU_DEP_1) | instskip(NEXT) | instid1(VALU_DEP_1)
	v_fma_f32 v20, v23, v21, -v24
	v_fmac_f32_e32 v20, v23, v19
	s_delay_alu instid0(VALU_DEP_1) | instskip(NEXT) | instid1(VALU_DEP_1)
	v_add_f32_e32 v29, v24, v20
	v_sub_f32_e32 v30, v22, v29
	v_sub_f32_e32 v18, v29, v24
	s_delay_alu instid0(VALU_DEP_2) | instskip(NEXT) | instid1(VALU_DEP_2)
	v_sub_f32_e32 v22, v22, v30
	v_sub_f32_e32 v18, v18, v20
	s_delay_alu instid0(VALU_DEP_2) | instskip(NEXT) | instid1(VALU_DEP_1)
	v_sub_f32_e32 v22, v22, v29
	v_add_f32_e32 v15, v15, v22
	s_delay_alu instid0(VALU_DEP_1) | instskip(NEXT) | instid1(VALU_DEP_1)
	v_add_f32_e32 v15, v18, v15
	v_add_f32_e32 v18, v30, v15
	s_delay_alu instid0(VALU_DEP_1) | instskip(NEXT) | instid1(VALU_DEP_1)
	v_mul_f32_e32 v20, v17, v18
	v_dual_sub_f32 v29, v30, v18 :: v_dual_mul_f32 v22, v21, v20
	s_delay_alu instid0(VALU_DEP_1) | instskip(NEXT) | instid1(VALU_DEP_2)
	v_add_f32_e32 v15, v15, v29
	v_fma_f32 v21, v20, v21, -v22
	s_delay_alu instid0(VALU_DEP_1) | instskip(NEXT) | instid1(VALU_DEP_1)
	v_fmac_f32_e32 v21, v20, v19
	v_add_f32_e32 v19, v22, v21
	s_delay_alu instid0(VALU_DEP_1) | instskip(SKIP_1) | instid1(VALU_DEP_2)
	v_sub_f32_e32 v24, v18, v19
	v_sub_f32_e32 v22, v19, v22
	;; [unrolled: 1-line block ×3, first 2 shown]
	s_delay_alu instid0(VALU_DEP_1) | instskip(NEXT) | instid1(VALU_DEP_3)
	v_sub_f32_e32 v18, v18, v19
	v_sub_f32_e32 v19, v22, v21
	s_delay_alu instid0(VALU_DEP_2) | instskip(SKIP_1) | instid1(VALU_DEP_2)
	v_add_f32_e32 v15, v15, v18
	v_add_f32_e32 v18, v23, v20
	;; [unrolled: 1-line block ×3, first 2 shown]
	s_delay_alu instid0(VALU_DEP_2) | instskip(NEXT) | instid1(VALU_DEP_2)
	v_sub_f32_e32 v19, v18, v23
	v_add_f32_e32 v15, v24, v15
	s_delay_alu instid0(VALU_DEP_2) | instskip(NEXT) | instid1(VALU_DEP_2)
	v_sub_f32_e32 v19, v20, v19
	v_mul_f32_e32 v15, v17, v15
	s_delay_alu instid0(VALU_DEP_1) | instskip(NEXT) | instid1(VALU_DEP_1)
	v_add_f32_e32 v15, v19, v15
	v_add_f32_e32 v17, v18, v15
	s_delay_alu instid0(VALU_DEP_1) | instskip(SKIP_1) | instid1(VALU_DEP_1)
	v_mul_f32_e32 v19, v17, v17
	s_wait_alu 0xfffe
	v_fmaak_f32 v20, s16, v19, 0x3ecc95a3
	v_mul_f32_e32 v21, v17, v19
	v_cmp_neq_f32_e64 s16, 0x7f800000, v16
	s_delay_alu instid0(VALU_DEP_3) | instskip(SKIP_2) | instid1(VALU_DEP_3)
	v_fmaak_f32 v19, v19, v20, 0x3f2aaada
	v_ldexp_f32 v20, v17, 1
	v_sub_f32_e32 v17, v17, v18
	v_mul_f32_e32 v19, v21, v19
	v_mul_f32_e32 v21, 0x3f317218, v14
	s_delay_alu instid0(VALU_DEP_2) | instskip(NEXT) | instid1(VALU_DEP_1)
	v_dual_sub_f32 v15, v15, v17 :: v_dual_add_f32 v18, v20, v19
	v_ldexp_f32 v15, v15, 1
	s_delay_alu instid0(VALU_DEP_2) | instskip(NEXT) | instid1(VALU_DEP_4)
	v_sub_f32_e32 v17, v18, v20
	v_fma_f32 v20, 0x3f317218, v14, -v21
	s_delay_alu instid0(VALU_DEP_1) | instskip(NEXT) | instid1(VALU_DEP_1)
	v_dual_sub_f32 v17, v19, v17 :: v_dual_fmamk_f32 v14, v14, 0xb102e308, v20
	v_add_f32_e32 v15, v15, v17
	s_delay_alu instid0(VALU_DEP_2) | instskip(NEXT) | instid1(VALU_DEP_2)
	v_add_f32_e32 v17, v21, v14
	v_add_f32_e32 v19, v18, v15
	s_delay_alu instid0(VALU_DEP_2) | instskip(NEXT) | instid1(VALU_DEP_2)
	v_sub_f32_e32 v21, v17, v21
	v_add_f32_e32 v20, v17, v19
	v_sub_f32_e32 v18, v19, v18
	s_delay_alu instid0(VALU_DEP_3) | instskip(NEXT) | instid1(VALU_DEP_2)
	v_sub_f32_e32 v14, v14, v21
	v_dual_sub_f32 v22, v20, v17 :: v_dual_sub_f32 v15, v15, v18
	s_delay_alu instid0(VALU_DEP_1) | instskip(NEXT) | instid1(VALU_DEP_2)
	v_sub_f32_e32 v23, v20, v22
	v_dual_sub_f32 v18, v19, v22 :: v_dual_add_f32 v19, v14, v15
	s_delay_alu instid0(VALU_DEP_2) | instskip(NEXT) | instid1(VALU_DEP_1)
	v_sub_f32_e32 v17, v17, v23
	v_dual_add_f32 v17, v18, v17 :: v_dual_sub_f32 v18, v19, v14
	s_delay_alu instid0(VALU_DEP_1) | instskip(NEXT) | instid1(VALU_DEP_2)
	v_add_f32_e32 v17, v19, v17
	v_sub_f32_e32 v19, v19, v18
	v_sub_f32_e32 v15, v15, v18
	s_delay_alu instid0(VALU_DEP_2) | instskip(NEXT) | instid1(VALU_DEP_1)
	v_dual_add_f32 v21, v20, v17 :: v_dual_sub_f32 v14, v14, v19
	v_sub_f32_e32 v18, v21, v20
	s_delay_alu instid0(VALU_DEP_2) | instskip(NEXT) | instid1(VALU_DEP_2)
	v_add_f32_e32 v14, v15, v14
	v_sub_f32_e32 v15, v17, v18
	s_delay_alu instid0(VALU_DEP_1) | instskip(NEXT) | instid1(VALU_DEP_1)
	v_add_f32_e32 v14, v14, v15
	v_add_f32_e32 v14, v21, v14
	s_wait_alu 0xf1ff
	s_delay_alu instid0(VALU_DEP_1) | instskip(SKIP_2) | instid1(VALU_DEP_1)
	v_cndmask_b32_e64 v14, 0x7f800000, v14, s16
	v_cmp_gt_f32_e64 s16, 0x33800000, |v16|
	s_wait_alu 0xf1ff
	v_cndmask_b32_e64 v14, v14, v16, s16
	s_delay_alu instid0(VALU_DEP_1)
	v_add_f32_e32 v14, v10, v14
.LBB517_30:
	s_or_b32 exec_lo, exec_lo, s17
	s_delay_alu instid0(VALU_DEP_1) | instskip(SKIP_1) | instid1(VALU_DEP_2)
	v_bfe_u32 v10, v14, 16, 1
	v_cmp_o_f32_e64 s16, v14, v14
	v_add3_u32 v10, v14, v10, 0x7fff
	s_delay_alu instid0(VALU_DEP_1) | instskip(SKIP_2) | instid1(VALU_DEP_2)
	v_and_b32_e32 v15, 0xffff0000, v10
	v_lshlrev_b32_e32 v10, 16, v3
	s_wait_alu 0xf1ff
	v_cndmask_b32_e64 v16, 0x7fc00000, v15, s16
	s_delay_alu instid0(VALU_DEP_1) | instskip(SKIP_1) | instid1(VALU_DEP_2)
	v_dual_max_num_f32 v15, v10, v10 :: v_dual_max_num_f32 v14, v16, v16
	v_cmp_u_f32_e64 s16, v16, v16
	v_min_num_f32_e32 v17, v14, v15
	v_max_num_f32_e32 v14, v14, v15
	s_wait_alu 0xf1ff
	s_delay_alu instid0(VALU_DEP_2) | instskip(NEXT) | instid1(VALU_DEP_2)
	v_cndmask_b32_e64 v17, v17, v16, s16
	v_cndmask_b32_e64 v14, v14, v16, s16
	v_cmp_u_f32_e64 s16, v10, v10
	s_wait_alu 0xf1ff
	s_delay_alu instid0(VALU_DEP_1) | instskip(NEXT) | instid1(VALU_DEP_3)
	v_cndmask_b32_e64 v17, v17, v10, s16
	v_cndmask_b32_e64 v14, v14, v10, s16
	s_delay_alu instid0(VALU_DEP_2) | instskip(NEXT) | instid1(VALU_DEP_2)
	v_cmp_class_f32_e64 s18, v17, 0x1f8
	v_cmp_neq_f32_e64 s17, v17, v14
	s_or_b32 s17, s17, s18
	s_wait_alu 0xfffe
	s_and_saveexec_b32 s18, s17
	s_cbranch_execz .LBB517_32
; %bb.31:
	v_sub_f32_e32 v16, v17, v14
	s_delay_alu instid0(VALU_DEP_1) | instskip(SKIP_1) | instid1(VALU_DEP_2)
	v_mul_f32_e32 v17, 0x3fb8aa3b, v16
	v_cmp_ngt_f32_e64 s17, 0xc2ce8ed0, v16
	v_fma_f32 v18, 0x3fb8aa3b, v16, -v17
	v_rndne_f32_e32 v19, v17
	s_delay_alu instid0(VALU_DEP_1) | instskip(NEXT) | instid1(VALU_DEP_1)
	v_dual_fmamk_f32 v18, v16, 0x32a5705f, v18 :: v_dual_sub_f32 v17, v17, v19
	v_add_f32_e32 v17, v17, v18
	v_cvt_i32_f32_e32 v18, v19
	s_delay_alu instid0(VALU_DEP_2) | instskip(NEXT) | instid1(TRANS32_DEP_1)
	v_exp_f32_e32 v17, v17
	v_ldexp_f32 v17, v17, v18
	s_wait_alu 0xf1ff
	s_delay_alu instid0(VALU_DEP_1) | instskip(SKIP_2) | instid1(VALU_DEP_1)
	v_cndmask_b32_e64 v17, 0, v17, s17
	v_cmp_nlt_f32_e64 s17, 0x42b17218, v16
	s_wait_alu 0xf1ff
	v_cndmask_b32_e64 v18, 0x7f800000, v17, s17
	s_delay_alu instid0(VALU_DEP_1) | instskip(NEXT) | instid1(VALU_DEP_1)
	v_add_f32_e32 v19, 1.0, v18
	v_cvt_f64_f32_e32 v[16:17], v19
	s_delay_alu instid0(VALU_DEP_1) | instskip(SKIP_1) | instid1(VALU_DEP_1)
	v_frexp_exp_i32_f64_e32 v16, v[16:17]
	v_frexp_mant_f32_e32 v17, v19
	v_cmp_gt_f32_e64 s17, 0x3f2aaaab, v17
	v_add_f32_e32 v17, -1.0, v19
	s_delay_alu instid0(VALU_DEP_1)
	v_sub_f32_e32 v21, v17, v19
	v_sub_f32_e32 v17, v18, v17
	s_wait_alu 0xf1ff
	v_subrev_co_ci_u32_e64 v16, null, 0, v16, s17
	s_mov_b32 s17, 0x3e9b6dac
	v_sub_nc_u32_e32 v20, 0, v16
	v_cvt_f32_i32_e32 v16, v16
	s_delay_alu instid0(VALU_DEP_2) | instskip(NEXT) | instid1(VALU_DEP_1)
	v_ldexp_f32 v19, v19, v20
	v_dual_add_f32 v22, 1.0, v19 :: v_dual_add_f32 v21, 1.0, v21
	s_delay_alu instid0(VALU_DEP_1) | instskip(NEXT) | instid1(VALU_DEP_2)
	v_add_f32_e32 v17, v17, v21
	v_add_f32_e32 v21, -1.0, v22
	s_delay_alu instid0(VALU_DEP_2) | instskip(NEXT) | instid1(VALU_DEP_2)
	v_ldexp_f32 v17, v17, v20
	v_dual_add_f32 v20, -1.0, v19 :: v_dual_sub_f32 v21, v19, v21
	s_delay_alu instid0(VALU_DEP_1) | instskip(NEXT) | instid1(VALU_DEP_2)
	v_add_f32_e32 v23, 1.0, v20
	v_add_f32_e32 v21, v17, v21
	s_delay_alu instid0(VALU_DEP_2) | instskip(NEXT) | instid1(VALU_DEP_2)
	v_sub_f32_e32 v19, v19, v23
	v_add_f32_e32 v23, v22, v21
	s_delay_alu instid0(VALU_DEP_2) | instskip(NEXT) | instid1(VALU_DEP_2)
	v_add_f32_e32 v17, v17, v19
	v_rcp_f32_e32 v19, v23
	v_sub_f32_e32 v22, v22, v23
	s_delay_alu instid0(VALU_DEP_1) | instskip(NEXT) | instid1(VALU_DEP_1)
	v_dual_add_f32 v24, v20, v17 :: v_dual_add_f32 v21, v21, v22
	v_sub_f32_e32 v20, v20, v24
	s_delay_alu instid0(TRANS32_DEP_1) | instskip(NEXT) | instid1(VALU_DEP_1)
	v_mul_f32_e32 v29, v24, v19
	v_dual_add_f32 v17, v17, v20 :: v_dual_mul_f32 v30, v23, v29
	s_delay_alu instid0(VALU_DEP_1) | instskip(NEXT) | instid1(VALU_DEP_1)
	v_fma_f32 v22, v29, v23, -v30
	v_fmac_f32_e32 v22, v29, v21
	s_delay_alu instid0(VALU_DEP_1) | instskip(NEXT) | instid1(VALU_DEP_1)
	v_add_f32_e32 v31, v30, v22
	v_sub_f32_e32 v32, v24, v31
	v_sub_f32_e32 v20, v31, v30
	s_delay_alu instid0(VALU_DEP_2) | instskip(NEXT) | instid1(VALU_DEP_2)
	v_sub_f32_e32 v24, v24, v32
	v_sub_f32_e32 v20, v20, v22
	s_delay_alu instid0(VALU_DEP_2) | instskip(NEXT) | instid1(VALU_DEP_1)
	v_sub_f32_e32 v24, v24, v31
	v_add_f32_e32 v17, v17, v24
	s_delay_alu instid0(VALU_DEP_1) | instskip(NEXT) | instid1(VALU_DEP_1)
	v_add_f32_e32 v17, v20, v17
	v_add_f32_e32 v20, v32, v17
	s_delay_alu instid0(VALU_DEP_1) | instskip(NEXT) | instid1(VALU_DEP_1)
	v_mul_f32_e32 v22, v19, v20
	v_dual_sub_f32 v31, v32, v20 :: v_dual_mul_f32 v24, v23, v22
	s_delay_alu instid0(VALU_DEP_1) | instskip(NEXT) | instid1(VALU_DEP_2)
	v_add_f32_e32 v17, v17, v31
	v_fma_f32 v23, v22, v23, -v24
	s_delay_alu instid0(VALU_DEP_1) | instskip(NEXT) | instid1(VALU_DEP_1)
	v_fmac_f32_e32 v23, v22, v21
	v_add_f32_e32 v21, v24, v23
	s_delay_alu instid0(VALU_DEP_1) | instskip(SKIP_1) | instid1(VALU_DEP_2)
	v_sub_f32_e32 v30, v20, v21
	v_sub_f32_e32 v24, v21, v24
	;; [unrolled: 1-line block ×3, first 2 shown]
	s_delay_alu instid0(VALU_DEP_1) | instskip(NEXT) | instid1(VALU_DEP_3)
	v_sub_f32_e32 v20, v20, v21
	v_sub_f32_e32 v21, v24, v23
	s_delay_alu instid0(VALU_DEP_2) | instskip(SKIP_1) | instid1(VALU_DEP_2)
	v_add_f32_e32 v17, v17, v20
	v_add_f32_e32 v20, v29, v22
	;; [unrolled: 1-line block ×3, first 2 shown]
	s_delay_alu instid0(VALU_DEP_2) | instskip(NEXT) | instid1(VALU_DEP_2)
	v_sub_f32_e32 v21, v20, v29
	v_add_f32_e32 v17, v30, v17
	s_delay_alu instid0(VALU_DEP_2) | instskip(NEXT) | instid1(VALU_DEP_2)
	v_sub_f32_e32 v21, v22, v21
	v_mul_f32_e32 v17, v19, v17
	s_delay_alu instid0(VALU_DEP_1) | instskip(NEXT) | instid1(VALU_DEP_1)
	v_add_f32_e32 v17, v21, v17
	v_add_f32_e32 v19, v20, v17
	s_delay_alu instid0(VALU_DEP_1) | instskip(SKIP_1) | instid1(VALU_DEP_1)
	v_mul_f32_e32 v21, v19, v19
	s_wait_alu 0xfffe
	v_fmaak_f32 v22, s17, v21, 0x3ecc95a3
	v_mul_f32_e32 v23, v19, v21
	v_cmp_neq_f32_e64 s17, 0x7f800000, v18
	s_delay_alu instid0(VALU_DEP_3) | instskip(SKIP_2) | instid1(VALU_DEP_3)
	v_fmaak_f32 v21, v21, v22, 0x3f2aaada
	v_ldexp_f32 v22, v19, 1
	v_sub_f32_e32 v19, v19, v20
	v_mul_f32_e32 v21, v23, v21
	v_mul_f32_e32 v23, 0x3f317218, v16
	s_delay_alu instid0(VALU_DEP_2) | instskip(NEXT) | instid1(VALU_DEP_1)
	v_dual_sub_f32 v17, v17, v19 :: v_dual_add_f32 v20, v22, v21
	v_ldexp_f32 v17, v17, 1
	s_delay_alu instid0(VALU_DEP_2) | instskip(NEXT) | instid1(VALU_DEP_4)
	v_sub_f32_e32 v19, v20, v22
	v_fma_f32 v22, 0x3f317218, v16, -v23
	s_delay_alu instid0(VALU_DEP_1) | instskip(NEXT) | instid1(VALU_DEP_1)
	v_dual_sub_f32 v19, v21, v19 :: v_dual_fmamk_f32 v16, v16, 0xb102e308, v22
	v_add_f32_e32 v17, v17, v19
	s_delay_alu instid0(VALU_DEP_2) | instskip(NEXT) | instid1(VALU_DEP_2)
	v_add_f32_e32 v19, v23, v16
	v_add_f32_e32 v21, v20, v17
	s_delay_alu instid0(VALU_DEP_2) | instskip(NEXT) | instid1(VALU_DEP_2)
	v_sub_f32_e32 v23, v19, v23
	v_add_f32_e32 v22, v19, v21
	v_sub_f32_e32 v20, v21, v20
	s_delay_alu instid0(VALU_DEP_3) | instskip(NEXT) | instid1(VALU_DEP_2)
	v_sub_f32_e32 v16, v16, v23
	v_dual_sub_f32 v24, v22, v19 :: v_dual_sub_f32 v17, v17, v20
	s_delay_alu instid0(VALU_DEP_1) | instskip(NEXT) | instid1(VALU_DEP_2)
	v_sub_f32_e32 v29, v22, v24
	v_dual_sub_f32 v20, v21, v24 :: v_dual_add_f32 v21, v16, v17
	s_delay_alu instid0(VALU_DEP_2) | instskip(NEXT) | instid1(VALU_DEP_1)
	v_sub_f32_e32 v19, v19, v29
	v_dual_add_f32 v19, v20, v19 :: v_dual_sub_f32 v20, v21, v16
	s_delay_alu instid0(VALU_DEP_1) | instskip(NEXT) | instid1(VALU_DEP_2)
	v_add_f32_e32 v19, v21, v19
	v_sub_f32_e32 v21, v21, v20
	v_sub_f32_e32 v17, v17, v20
	s_delay_alu instid0(VALU_DEP_2) | instskip(NEXT) | instid1(VALU_DEP_1)
	v_dual_add_f32 v23, v22, v19 :: v_dual_sub_f32 v16, v16, v21
	v_sub_f32_e32 v20, v23, v22
	s_delay_alu instid0(VALU_DEP_2) | instskip(NEXT) | instid1(VALU_DEP_2)
	v_add_f32_e32 v16, v17, v16
	v_sub_f32_e32 v17, v19, v20
	s_delay_alu instid0(VALU_DEP_1) | instskip(NEXT) | instid1(VALU_DEP_1)
	v_add_f32_e32 v16, v16, v17
	v_add_f32_e32 v16, v23, v16
	s_wait_alu 0xf1ff
	s_delay_alu instid0(VALU_DEP_1) | instskip(SKIP_2) | instid1(VALU_DEP_1)
	v_cndmask_b32_e64 v16, 0x7f800000, v16, s17
	v_cmp_gt_f32_e64 s17, 0x33800000, |v18|
	s_wait_alu 0xf1ff
	v_cndmask_b32_e64 v16, v16, v18, s17
	s_delay_alu instid0(VALU_DEP_1)
	v_add_f32_e32 v16, v14, v16
.LBB517_32:
	s_wait_alu 0xfffe
	s_or_b32 exec_lo, exec_lo, s18
	s_delay_alu instid0(VALU_DEP_1) | instskip(SKIP_1) | instid1(VALU_DEP_2)
	v_bfe_u32 v14, v16, 16, 1
	v_cmp_o_f32_e64 s17, v16, v16
	v_add3_u32 v14, v16, v14, 0x7fff
	s_delay_alu instid0(VALU_DEP_1) | instskip(SKIP_1) | instid1(VALU_DEP_1)
	v_and_b32_e32 v14, 0xffff0000, v14
	s_wait_alu 0xf1ff
	v_cndmask_b32_e64 v17, 0x7fc00000, v14, s17
	s_delay_alu instid0(VALU_DEP_1) | instskip(NEXT) | instid1(VALU_DEP_1)
	v_dual_max_num_f32 v14, v17, v17 :: v_dual_and_b32 v3, 0xffff0000, v3
	v_max_num_f32_e32 v16, v3, v3
	v_cmp_u_f32_e64 s17, v17, v17
	s_delay_alu instid0(VALU_DEP_2) | instskip(SKIP_2) | instid1(VALU_DEP_2)
	v_min_num_f32_e32 v18, v14, v16
	v_max_num_f32_e32 v14, v14, v16
	s_wait_alu 0xf1ff
	v_cndmask_b32_e64 v18, v18, v17, s17
	s_delay_alu instid0(VALU_DEP_2) | instskip(SKIP_2) | instid1(VALU_DEP_1)
	v_cndmask_b32_e64 v14, v14, v17, s17
	v_cmp_u_f32_e64 s17, v3, v3
	s_wait_alu 0xf1ff
	v_cndmask_b32_e64 v18, v18, v3, s17
	s_delay_alu instid0(VALU_DEP_3) | instskip(NEXT) | instid1(VALU_DEP_2)
	v_cndmask_b32_e64 v14, v14, v3, s17
	v_cmp_class_f32_e64 s19, v18, 0x1f8
	s_delay_alu instid0(VALU_DEP_2)
	v_cmp_neq_f32_e64 s18, v18, v14
	s_or_b32 s18, s18, s19
	s_wait_alu 0xfffe
	s_and_saveexec_b32 s19, s18
	s_cbranch_execz .LBB517_34
; %bb.33:
	v_sub_f32_e32 v17, v18, v14
	s_delay_alu instid0(VALU_DEP_1) | instskip(SKIP_1) | instid1(VALU_DEP_2)
	v_mul_f32_e32 v18, 0x3fb8aa3b, v17
	v_cmp_ngt_f32_e64 s18, 0xc2ce8ed0, v17
	v_fma_f32 v19, 0x3fb8aa3b, v17, -v18
	v_rndne_f32_e32 v20, v18
	s_delay_alu instid0(VALU_DEP_1) | instskip(NEXT) | instid1(VALU_DEP_1)
	v_dual_fmamk_f32 v19, v17, 0x32a5705f, v19 :: v_dual_sub_f32 v18, v18, v20
	v_add_f32_e32 v18, v18, v19
	v_cvt_i32_f32_e32 v19, v20
	s_delay_alu instid0(VALU_DEP_2) | instskip(NEXT) | instid1(TRANS32_DEP_1)
	v_exp_f32_e32 v18, v18
	v_ldexp_f32 v18, v18, v19
	s_wait_alu 0xf1ff
	s_delay_alu instid0(VALU_DEP_1) | instskip(SKIP_2) | instid1(VALU_DEP_1)
	v_cndmask_b32_e64 v18, 0, v18, s18
	v_cmp_nlt_f32_e64 s18, 0x42b17218, v17
	s_wait_alu 0xf1ff
	v_cndmask_b32_e64 v19, 0x7f800000, v18, s18
	s_delay_alu instid0(VALU_DEP_1) | instskip(NEXT) | instid1(VALU_DEP_1)
	v_add_f32_e32 v20, 1.0, v19
	v_cvt_f64_f32_e32 v[17:18], v20
	s_delay_alu instid0(VALU_DEP_1) | instskip(SKIP_1) | instid1(VALU_DEP_1)
	v_frexp_exp_i32_f64_e32 v17, v[17:18]
	v_frexp_mant_f32_e32 v18, v20
	v_cmp_gt_f32_e64 s18, 0x3f2aaaab, v18
	v_add_f32_e32 v18, -1.0, v20
	s_delay_alu instid0(VALU_DEP_1)
	v_sub_f32_e32 v22, v18, v20
	v_sub_f32_e32 v18, v19, v18
	s_wait_alu 0xf1ff
	v_subrev_co_ci_u32_e64 v17, null, 0, v17, s18
	s_mov_b32 s18, 0x3e9b6dac
	v_sub_nc_u32_e32 v21, 0, v17
	v_cvt_f32_i32_e32 v17, v17
	s_delay_alu instid0(VALU_DEP_2) | instskip(NEXT) | instid1(VALU_DEP_1)
	v_ldexp_f32 v20, v20, v21
	v_dual_add_f32 v23, 1.0, v20 :: v_dual_add_f32 v22, 1.0, v22
	s_delay_alu instid0(VALU_DEP_1) | instskip(NEXT) | instid1(VALU_DEP_2)
	v_add_f32_e32 v18, v18, v22
	v_add_f32_e32 v22, -1.0, v23
	s_delay_alu instid0(VALU_DEP_2) | instskip(NEXT) | instid1(VALU_DEP_2)
	v_ldexp_f32 v18, v18, v21
	v_dual_add_f32 v21, -1.0, v20 :: v_dual_sub_f32 v22, v20, v22
	s_delay_alu instid0(VALU_DEP_1) | instskip(NEXT) | instid1(VALU_DEP_2)
	v_add_f32_e32 v24, 1.0, v21
	v_add_f32_e32 v22, v18, v22
	s_delay_alu instid0(VALU_DEP_2) | instskip(NEXT) | instid1(VALU_DEP_2)
	v_sub_f32_e32 v20, v20, v24
	v_add_f32_e32 v24, v23, v22
	s_delay_alu instid0(VALU_DEP_2) | instskip(NEXT) | instid1(VALU_DEP_2)
	v_add_f32_e32 v18, v18, v20
	v_rcp_f32_e32 v20, v24
	v_sub_f32_e32 v23, v23, v24
	s_delay_alu instid0(VALU_DEP_1) | instskip(NEXT) | instid1(VALU_DEP_1)
	v_dual_add_f32 v29, v21, v18 :: v_dual_add_f32 v22, v22, v23
	v_sub_f32_e32 v21, v21, v29
	s_delay_alu instid0(TRANS32_DEP_1) | instskip(NEXT) | instid1(VALU_DEP_1)
	v_mul_f32_e32 v30, v29, v20
	v_dual_add_f32 v18, v18, v21 :: v_dual_mul_f32 v31, v24, v30
	s_delay_alu instid0(VALU_DEP_1) | instskip(NEXT) | instid1(VALU_DEP_1)
	v_fma_f32 v23, v30, v24, -v31
	v_fmac_f32_e32 v23, v30, v22
	s_delay_alu instid0(VALU_DEP_1) | instskip(NEXT) | instid1(VALU_DEP_1)
	v_add_f32_e32 v32, v31, v23
	v_sub_f32_e32 v33, v29, v32
	v_sub_f32_e32 v21, v32, v31
	s_delay_alu instid0(VALU_DEP_2) | instskip(NEXT) | instid1(VALU_DEP_2)
	v_sub_f32_e32 v29, v29, v33
	v_sub_f32_e32 v21, v21, v23
	s_delay_alu instid0(VALU_DEP_2) | instskip(NEXT) | instid1(VALU_DEP_1)
	v_sub_f32_e32 v29, v29, v32
	v_add_f32_e32 v18, v18, v29
	s_delay_alu instid0(VALU_DEP_1) | instskip(NEXT) | instid1(VALU_DEP_1)
	v_add_f32_e32 v18, v21, v18
	v_add_f32_e32 v21, v33, v18
	s_delay_alu instid0(VALU_DEP_1) | instskip(NEXT) | instid1(VALU_DEP_1)
	v_mul_f32_e32 v23, v20, v21
	v_dual_sub_f32 v32, v33, v21 :: v_dual_mul_f32 v29, v24, v23
	s_delay_alu instid0(VALU_DEP_1) | instskip(NEXT) | instid1(VALU_DEP_2)
	v_add_f32_e32 v18, v18, v32
	v_fma_f32 v24, v23, v24, -v29
	s_delay_alu instid0(VALU_DEP_1) | instskip(NEXT) | instid1(VALU_DEP_1)
	v_fmac_f32_e32 v24, v23, v22
	v_add_f32_e32 v22, v29, v24
	s_delay_alu instid0(VALU_DEP_1) | instskip(SKIP_1) | instid1(VALU_DEP_2)
	v_sub_f32_e32 v31, v21, v22
	v_sub_f32_e32 v29, v22, v29
	;; [unrolled: 1-line block ×3, first 2 shown]
	s_delay_alu instid0(VALU_DEP_1) | instskip(NEXT) | instid1(VALU_DEP_3)
	v_sub_f32_e32 v21, v21, v22
	v_sub_f32_e32 v22, v29, v24
	s_delay_alu instid0(VALU_DEP_2) | instskip(SKIP_1) | instid1(VALU_DEP_2)
	v_add_f32_e32 v18, v18, v21
	v_add_f32_e32 v21, v30, v23
	;; [unrolled: 1-line block ×3, first 2 shown]
	s_delay_alu instid0(VALU_DEP_2) | instskip(NEXT) | instid1(VALU_DEP_2)
	v_sub_f32_e32 v22, v21, v30
	v_add_f32_e32 v18, v31, v18
	s_delay_alu instid0(VALU_DEP_2) | instskip(NEXT) | instid1(VALU_DEP_2)
	v_sub_f32_e32 v22, v23, v22
	v_mul_f32_e32 v18, v20, v18
	s_delay_alu instid0(VALU_DEP_1) | instskip(NEXT) | instid1(VALU_DEP_1)
	v_add_f32_e32 v18, v22, v18
	v_add_f32_e32 v20, v21, v18
	s_delay_alu instid0(VALU_DEP_1) | instskip(SKIP_1) | instid1(VALU_DEP_1)
	v_mul_f32_e32 v22, v20, v20
	s_wait_alu 0xfffe
	v_fmaak_f32 v23, s18, v22, 0x3ecc95a3
	v_mul_f32_e32 v24, v20, v22
	v_cmp_neq_f32_e64 s18, 0x7f800000, v19
	s_delay_alu instid0(VALU_DEP_3) | instskip(SKIP_2) | instid1(VALU_DEP_3)
	v_fmaak_f32 v22, v22, v23, 0x3f2aaada
	v_ldexp_f32 v23, v20, 1
	v_sub_f32_e32 v20, v20, v21
	v_mul_f32_e32 v22, v24, v22
	v_mul_f32_e32 v24, 0x3f317218, v17
	s_delay_alu instid0(VALU_DEP_2) | instskip(NEXT) | instid1(VALU_DEP_1)
	v_dual_sub_f32 v18, v18, v20 :: v_dual_add_f32 v21, v23, v22
	v_ldexp_f32 v18, v18, 1
	s_delay_alu instid0(VALU_DEP_2) | instskip(NEXT) | instid1(VALU_DEP_4)
	v_sub_f32_e32 v20, v21, v23
	v_fma_f32 v23, 0x3f317218, v17, -v24
	s_delay_alu instid0(VALU_DEP_1) | instskip(NEXT) | instid1(VALU_DEP_1)
	v_dual_sub_f32 v20, v22, v20 :: v_dual_fmamk_f32 v17, v17, 0xb102e308, v23
	v_add_f32_e32 v18, v18, v20
	s_delay_alu instid0(VALU_DEP_2) | instskip(NEXT) | instid1(VALU_DEP_2)
	v_add_f32_e32 v20, v24, v17
	v_add_f32_e32 v22, v21, v18
	s_delay_alu instid0(VALU_DEP_2) | instskip(NEXT) | instid1(VALU_DEP_2)
	v_sub_f32_e32 v24, v20, v24
	v_add_f32_e32 v23, v20, v22
	v_sub_f32_e32 v21, v22, v21
	s_delay_alu instid0(VALU_DEP_3) | instskip(NEXT) | instid1(VALU_DEP_2)
	v_sub_f32_e32 v17, v17, v24
	v_dual_sub_f32 v29, v23, v20 :: v_dual_sub_f32 v18, v18, v21
	s_delay_alu instid0(VALU_DEP_1) | instskip(NEXT) | instid1(VALU_DEP_2)
	v_sub_f32_e32 v30, v23, v29
	v_dual_sub_f32 v21, v22, v29 :: v_dual_add_f32 v22, v17, v18
	s_delay_alu instid0(VALU_DEP_2) | instskip(NEXT) | instid1(VALU_DEP_1)
	v_sub_f32_e32 v20, v20, v30
	v_dual_add_f32 v20, v21, v20 :: v_dual_sub_f32 v21, v22, v17
	s_delay_alu instid0(VALU_DEP_1) | instskip(NEXT) | instid1(VALU_DEP_2)
	v_add_f32_e32 v20, v22, v20
	v_sub_f32_e32 v22, v22, v21
	v_sub_f32_e32 v18, v18, v21
	s_delay_alu instid0(VALU_DEP_2) | instskip(NEXT) | instid1(VALU_DEP_1)
	v_dual_add_f32 v24, v23, v20 :: v_dual_sub_f32 v17, v17, v22
	v_sub_f32_e32 v21, v24, v23
	s_delay_alu instid0(VALU_DEP_2) | instskip(NEXT) | instid1(VALU_DEP_2)
	v_add_f32_e32 v17, v18, v17
	v_sub_f32_e32 v18, v20, v21
	s_delay_alu instid0(VALU_DEP_1) | instskip(NEXT) | instid1(VALU_DEP_1)
	v_add_f32_e32 v17, v17, v18
	v_add_f32_e32 v17, v24, v17
	s_wait_alu 0xf1ff
	s_delay_alu instid0(VALU_DEP_1) | instskip(SKIP_2) | instid1(VALU_DEP_1)
	v_cndmask_b32_e64 v17, 0x7f800000, v17, s18
	v_cmp_gt_f32_e64 s18, 0x33800000, |v19|
	s_wait_alu 0xf1ff
	v_cndmask_b32_e64 v17, v17, v19, s18
	s_delay_alu instid0(VALU_DEP_1)
	v_add_f32_e32 v17, v14, v17
.LBB517_34:
	s_wait_alu 0xfffe
	s_or_b32 exec_lo, exec_lo, s19
	s_delay_alu instid0(VALU_DEP_1) | instskip(SKIP_1) | instid1(VALU_DEP_2)
	v_bfe_u32 v14, v17, 16, 1
	v_cmp_o_f32_e64 s18, v17, v17
	v_add3_u32 v14, v17, v14, 0x7fff
	s_delay_alu instid0(VALU_DEP_1) | instskip(SKIP_1) | instid1(VALU_DEP_1)
	v_and_b32_e32 v18, 0xffff0000, v14
	s_wait_alu 0xf1ff
	v_cndmask_b32_e64 v19, 0x7fc00000, v18, s18
	s_delay_alu instid0(VALU_DEP_1) | instskip(SKIP_1) | instid1(VALU_DEP_2)
	v_dual_max_num_f32 v17, v19, v19 :: v_dual_lshlrev_b32 v14, 16, v4
	v_cmp_u_f32_e64 s18, v19, v19
	v_max_num_f32_e32 v18, v14, v14
	s_delay_alu instid0(VALU_DEP_1) | instskip(SKIP_2) | instid1(VALU_DEP_2)
	v_min_num_f32_e32 v20, v17, v18
	v_max_num_f32_e32 v17, v17, v18
	s_wait_alu 0xf1ff
	v_cndmask_b32_e64 v20, v20, v19, s18
	s_delay_alu instid0(VALU_DEP_2) | instskip(SKIP_2) | instid1(VALU_DEP_1)
	v_cndmask_b32_e64 v17, v17, v19, s18
	v_cmp_u_f32_e64 s18, v14, v14
	s_wait_alu 0xf1ff
	v_cndmask_b32_e64 v20, v20, v14, s18
	s_delay_alu instid0(VALU_DEP_3) | instskip(NEXT) | instid1(VALU_DEP_2)
	v_cndmask_b32_e64 v17, v17, v14, s18
	v_cmp_class_f32_e64 s20, v20, 0x1f8
	s_delay_alu instid0(VALU_DEP_2)
	v_cmp_neq_f32_e64 s19, v20, v17
	s_or_b32 s19, s19, s20
	s_wait_alu 0xfffe
	s_and_saveexec_b32 s20, s19
	s_cbranch_execz .LBB517_36
; %bb.35:
	v_sub_f32_e32 v19, v20, v17
	s_delay_alu instid0(VALU_DEP_1) | instskip(SKIP_1) | instid1(VALU_DEP_2)
	v_mul_f32_e32 v20, 0x3fb8aa3b, v19
	v_cmp_ngt_f32_e64 s19, 0xc2ce8ed0, v19
	v_fma_f32 v21, 0x3fb8aa3b, v19, -v20
	v_rndne_f32_e32 v22, v20
	s_delay_alu instid0(VALU_DEP_1) | instskip(NEXT) | instid1(VALU_DEP_1)
	v_dual_fmamk_f32 v21, v19, 0x32a5705f, v21 :: v_dual_sub_f32 v20, v20, v22
	v_add_f32_e32 v20, v20, v21
	v_cvt_i32_f32_e32 v21, v22
	s_delay_alu instid0(VALU_DEP_2) | instskip(NEXT) | instid1(TRANS32_DEP_1)
	v_exp_f32_e32 v20, v20
	v_ldexp_f32 v20, v20, v21
	s_wait_alu 0xf1ff
	s_delay_alu instid0(VALU_DEP_1) | instskip(SKIP_2) | instid1(VALU_DEP_1)
	v_cndmask_b32_e64 v20, 0, v20, s19
	v_cmp_nlt_f32_e64 s19, 0x42b17218, v19
	s_wait_alu 0xf1ff
	v_cndmask_b32_e64 v21, 0x7f800000, v20, s19
	s_delay_alu instid0(VALU_DEP_1) | instskip(NEXT) | instid1(VALU_DEP_1)
	v_add_f32_e32 v22, 1.0, v21
	v_cvt_f64_f32_e32 v[19:20], v22
	s_delay_alu instid0(VALU_DEP_1) | instskip(SKIP_1) | instid1(VALU_DEP_1)
	v_frexp_exp_i32_f64_e32 v19, v[19:20]
	v_frexp_mant_f32_e32 v20, v22
	v_cmp_gt_f32_e64 s19, 0x3f2aaaab, v20
	v_add_f32_e32 v20, -1.0, v22
	s_delay_alu instid0(VALU_DEP_1)
	v_sub_f32_e32 v24, v20, v22
	v_sub_f32_e32 v20, v21, v20
	s_wait_alu 0xf1ff
	v_subrev_co_ci_u32_e64 v19, null, 0, v19, s19
	s_mov_b32 s19, 0x3e9b6dac
	v_sub_nc_u32_e32 v23, 0, v19
	v_cvt_f32_i32_e32 v19, v19
	s_delay_alu instid0(VALU_DEP_2) | instskip(NEXT) | instid1(VALU_DEP_1)
	v_ldexp_f32 v22, v22, v23
	v_dual_add_f32 v29, 1.0, v22 :: v_dual_add_f32 v24, 1.0, v24
	s_delay_alu instid0(VALU_DEP_1) | instskip(NEXT) | instid1(VALU_DEP_2)
	v_add_f32_e32 v20, v20, v24
	v_add_f32_e32 v24, -1.0, v29
	s_delay_alu instid0(VALU_DEP_2) | instskip(NEXT) | instid1(VALU_DEP_2)
	v_ldexp_f32 v20, v20, v23
	v_dual_add_f32 v23, -1.0, v22 :: v_dual_sub_f32 v24, v22, v24
	s_delay_alu instid0(VALU_DEP_1) | instskip(NEXT) | instid1(VALU_DEP_2)
	v_add_f32_e32 v30, 1.0, v23
	v_add_f32_e32 v24, v20, v24
	s_delay_alu instid0(VALU_DEP_2) | instskip(NEXT) | instid1(VALU_DEP_2)
	v_sub_f32_e32 v22, v22, v30
	v_add_f32_e32 v30, v29, v24
	s_delay_alu instid0(VALU_DEP_2) | instskip(NEXT) | instid1(VALU_DEP_2)
	v_add_f32_e32 v20, v20, v22
	v_rcp_f32_e32 v22, v30
	v_sub_f32_e32 v29, v29, v30
	s_delay_alu instid0(VALU_DEP_1) | instskip(NEXT) | instid1(VALU_DEP_1)
	v_dual_add_f32 v31, v23, v20 :: v_dual_add_f32 v24, v24, v29
	v_sub_f32_e32 v23, v23, v31
	s_delay_alu instid0(TRANS32_DEP_1) | instskip(NEXT) | instid1(VALU_DEP_1)
	v_mul_f32_e32 v32, v31, v22
	v_dual_add_f32 v20, v20, v23 :: v_dual_mul_f32 v33, v30, v32
	s_delay_alu instid0(VALU_DEP_1) | instskip(NEXT) | instid1(VALU_DEP_1)
	v_fma_f32 v29, v32, v30, -v33
	v_fmac_f32_e32 v29, v32, v24
	s_delay_alu instid0(VALU_DEP_1) | instskip(NEXT) | instid1(VALU_DEP_1)
	v_add_f32_e32 v34, v33, v29
	v_sub_f32_e32 v35, v31, v34
	v_sub_f32_e32 v23, v34, v33
	s_delay_alu instid0(VALU_DEP_2) | instskip(NEXT) | instid1(VALU_DEP_2)
	v_sub_f32_e32 v31, v31, v35
	v_sub_f32_e32 v23, v23, v29
	s_delay_alu instid0(VALU_DEP_2) | instskip(NEXT) | instid1(VALU_DEP_1)
	v_sub_f32_e32 v31, v31, v34
	v_add_f32_e32 v20, v20, v31
	s_delay_alu instid0(VALU_DEP_1) | instskip(NEXT) | instid1(VALU_DEP_1)
	v_add_f32_e32 v20, v23, v20
	v_add_f32_e32 v23, v35, v20
	s_delay_alu instid0(VALU_DEP_1) | instskip(NEXT) | instid1(VALU_DEP_1)
	v_mul_f32_e32 v29, v22, v23
	v_dual_sub_f32 v34, v35, v23 :: v_dual_mul_f32 v31, v30, v29
	s_delay_alu instid0(VALU_DEP_1) | instskip(NEXT) | instid1(VALU_DEP_2)
	v_add_f32_e32 v20, v20, v34
	v_fma_f32 v30, v29, v30, -v31
	s_delay_alu instid0(VALU_DEP_1) | instskip(NEXT) | instid1(VALU_DEP_1)
	v_fmac_f32_e32 v30, v29, v24
	v_add_f32_e32 v24, v31, v30
	s_delay_alu instid0(VALU_DEP_1) | instskip(SKIP_1) | instid1(VALU_DEP_2)
	v_sub_f32_e32 v33, v23, v24
	v_sub_f32_e32 v31, v24, v31
	;; [unrolled: 1-line block ×3, first 2 shown]
	s_delay_alu instid0(VALU_DEP_1) | instskip(NEXT) | instid1(VALU_DEP_3)
	v_sub_f32_e32 v23, v23, v24
	v_sub_f32_e32 v24, v31, v30
	s_delay_alu instid0(VALU_DEP_2) | instskip(SKIP_1) | instid1(VALU_DEP_2)
	v_add_f32_e32 v20, v20, v23
	v_add_f32_e32 v23, v32, v29
	;; [unrolled: 1-line block ×3, first 2 shown]
	s_delay_alu instid0(VALU_DEP_2) | instskip(NEXT) | instid1(VALU_DEP_2)
	v_sub_f32_e32 v24, v23, v32
	v_add_f32_e32 v20, v33, v20
	s_delay_alu instid0(VALU_DEP_2) | instskip(NEXT) | instid1(VALU_DEP_2)
	v_sub_f32_e32 v24, v29, v24
	v_mul_f32_e32 v20, v22, v20
	s_delay_alu instid0(VALU_DEP_1) | instskip(NEXT) | instid1(VALU_DEP_1)
	v_add_f32_e32 v20, v24, v20
	v_add_f32_e32 v22, v23, v20
	s_delay_alu instid0(VALU_DEP_1) | instskip(SKIP_1) | instid1(VALU_DEP_1)
	v_mul_f32_e32 v24, v22, v22
	s_wait_alu 0xfffe
	v_fmaak_f32 v29, s19, v24, 0x3ecc95a3
	v_mul_f32_e32 v30, v22, v24
	v_cmp_neq_f32_e64 s19, 0x7f800000, v21
	s_delay_alu instid0(VALU_DEP_3) | instskip(SKIP_2) | instid1(VALU_DEP_3)
	v_fmaak_f32 v24, v24, v29, 0x3f2aaada
	v_ldexp_f32 v29, v22, 1
	v_sub_f32_e32 v22, v22, v23
	v_mul_f32_e32 v24, v30, v24
	v_mul_f32_e32 v30, 0x3f317218, v19
	s_delay_alu instid0(VALU_DEP_2) | instskip(NEXT) | instid1(VALU_DEP_1)
	v_dual_sub_f32 v20, v20, v22 :: v_dual_add_f32 v23, v29, v24
	v_ldexp_f32 v20, v20, 1
	s_delay_alu instid0(VALU_DEP_2) | instskip(NEXT) | instid1(VALU_DEP_4)
	v_sub_f32_e32 v22, v23, v29
	v_fma_f32 v29, 0x3f317218, v19, -v30
	s_delay_alu instid0(VALU_DEP_1) | instskip(NEXT) | instid1(VALU_DEP_1)
	v_dual_sub_f32 v22, v24, v22 :: v_dual_fmamk_f32 v19, v19, 0xb102e308, v29
	v_add_f32_e32 v20, v20, v22
	s_delay_alu instid0(VALU_DEP_2) | instskip(NEXT) | instid1(VALU_DEP_2)
	v_add_f32_e32 v22, v30, v19
	v_add_f32_e32 v24, v23, v20
	s_delay_alu instid0(VALU_DEP_2) | instskip(NEXT) | instid1(VALU_DEP_2)
	v_sub_f32_e32 v30, v22, v30
	v_add_f32_e32 v29, v22, v24
	v_sub_f32_e32 v23, v24, v23
	s_delay_alu instid0(VALU_DEP_3) | instskip(NEXT) | instid1(VALU_DEP_2)
	v_sub_f32_e32 v19, v19, v30
	v_dual_sub_f32 v31, v29, v22 :: v_dual_sub_f32 v20, v20, v23
	s_delay_alu instid0(VALU_DEP_1) | instskip(NEXT) | instid1(VALU_DEP_2)
	v_sub_f32_e32 v32, v29, v31
	v_dual_sub_f32 v23, v24, v31 :: v_dual_add_f32 v24, v19, v20
	s_delay_alu instid0(VALU_DEP_2) | instskip(NEXT) | instid1(VALU_DEP_1)
	v_sub_f32_e32 v22, v22, v32
	v_dual_add_f32 v22, v23, v22 :: v_dual_sub_f32 v23, v24, v19
	s_delay_alu instid0(VALU_DEP_1) | instskip(NEXT) | instid1(VALU_DEP_2)
	v_add_f32_e32 v22, v24, v22
	v_sub_f32_e32 v24, v24, v23
	v_sub_f32_e32 v20, v20, v23
	s_delay_alu instid0(VALU_DEP_2) | instskip(NEXT) | instid1(VALU_DEP_1)
	v_dual_add_f32 v30, v29, v22 :: v_dual_sub_f32 v19, v19, v24
	v_sub_f32_e32 v23, v30, v29
	s_delay_alu instid0(VALU_DEP_2) | instskip(NEXT) | instid1(VALU_DEP_2)
	v_add_f32_e32 v19, v20, v19
	v_sub_f32_e32 v20, v22, v23
	s_delay_alu instid0(VALU_DEP_1) | instskip(NEXT) | instid1(VALU_DEP_1)
	v_add_f32_e32 v19, v19, v20
	v_add_f32_e32 v19, v30, v19
	s_wait_alu 0xf1ff
	s_delay_alu instid0(VALU_DEP_1) | instskip(SKIP_2) | instid1(VALU_DEP_1)
	v_cndmask_b32_e64 v19, 0x7f800000, v19, s19
	v_cmp_gt_f32_e64 s19, 0x33800000, |v21|
	s_wait_alu 0xf1ff
	v_cndmask_b32_e64 v19, v19, v21, s19
	s_delay_alu instid0(VALU_DEP_1)
	v_add_f32_e32 v19, v17, v19
.LBB517_36:
	s_or_b32 exec_lo, exec_lo, s20
	s_delay_alu instid0(VALU_DEP_1) | instskip(SKIP_1) | instid1(VALU_DEP_2)
	v_bfe_u32 v17, v19, 16, 1
	v_cmp_o_f32_e64 s19, v19, v19
	v_add3_u32 v17, v19, v17, 0x7fff
	s_delay_alu instid0(VALU_DEP_1) | instskip(SKIP_1) | instid1(VALU_DEP_1)
	v_and_b32_e32 v17, 0xffff0000, v17
	s_wait_alu 0xf1ff
	v_cndmask_b32_e64 v20, 0x7fc00000, v17, s19
	s_delay_alu instid0(VALU_DEP_1) | instskip(SKIP_2) | instid1(VALU_DEP_2)
	v_max_num_f32_e32 v17, v20, v20
	v_and_b32_e32 v4, 0xffff0000, v4
	v_cmp_u_f32_e64 s19, v20, v20
	v_max_num_f32_e32 v19, v4, v4
	s_delay_alu instid0(VALU_DEP_1) | instskip(SKIP_2) | instid1(VALU_DEP_2)
	v_min_num_f32_e32 v21, v17, v19
	v_max_num_f32_e32 v17, v17, v19
	s_wait_alu 0xf1ff
	v_cndmask_b32_e64 v21, v21, v20, s19
	s_delay_alu instid0(VALU_DEP_2) | instskip(SKIP_2) | instid1(VALU_DEP_1)
	v_cndmask_b32_e64 v17, v17, v20, s19
	v_cmp_u_f32_e64 s19, v4, v4
	s_wait_alu 0xf1ff
	v_cndmask_b32_e64 v21, v21, v4, s19
	s_delay_alu instid0(VALU_DEP_3) | instskip(NEXT) | instid1(VALU_DEP_2)
	v_cndmask_b32_e64 v17, v17, v4, s19
	v_cmp_class_f32_e64 s21, v21, 0x1f8
	s_delay_alu instid0(VALU_DEP_2) | instskip(SKIP_1) | instid1(SALU_CYCLE_1)
	v_cmp_neq_f32_e64 s20, v21, v17
	s_or_b32 s20, s20, s21
	s_and_saveexec_b32 s21, s20
	s_cbranch_execz .LBB517_38
; %bb.37:
	v_sub_f32_e32 v20, v21, v17
	s_delay_alu instid0(VALU_DEP_1) | instskip(SKIP_1) | instid1(VALU_DEP_2)
	v_mul_f32_e32 v21, 0x3fb8aa3b, v20
	v_cmp_ngt_f32_e64 s20, 0xc2ce8ed0, v20
	v_fma_f32 v22, 0x3fb8aa3b, v20, -v21
	v_rndne_f32_e32 v23, v21
	s_delay_alu instid0(VALU_DEP_1) | instskip(NEXT) | instid1(VALU_DEP_1)
	v_dual_fmamk_f32 v22, v20, 0x32a5705f, v22 :: v_dual_sub_f32 v21, v21, v23
	v_add_f32_e32 v21, v21, v22
	v_cvt_i32_f32_e32 v22, v23
	s_delay_alu instid0(VALU_DEP_2) | instskip(NEXT) | instid1(TRANS32_DEP_1)
	v_exp_f32_e32 v21, v21
	v_ldexp_f32 v21, v21, v22
	s_delay_alu instid0(VALU_DEP_1) | instskip(SKIP_2) | instid1(VALU_DEP_1)
	v_cndmask_b32_e64 v21, 0, v21, s20
	v_cmp_nlt_f32_e64 s20, 0x42b17218, v20
	s_wait_alu 0xf1ff
	v_cndmask_b32_e64 v22, 0x7f800000, v21, s20
	s_delay_alu instid0(VALU_DEP_1) | instskip(NEXT) | instid1(VALU_DEP_1)
	v_add_f32_e32 v23, 1.0, v22
	v_cvt_f64_f32_e32 v[20:21], v23
	s_delay_alu instid0(VALU_DEP_1) | instskip(SKIP_1) | instid1(VALU_DEP_1)
	v_frexp_exp_i32_f64_e32 v20, v[20:21]
	v_frexp_mant_f32_e32 v21, v23
	v_cmp_gt_f32_e64 s20, 0x3f2aaaab, v21
	v_add_f32_e32 v21, -1.0, v23
	s_delay_alu instid0(VALU_DEP_1)
	v_sub_f32_e32 v29, v21, v23
	v_sub_f32_e32 v21, v22, v21
	s_wait_alu 0xf1ff
	v_subrev_co_ci_u32_e64 v20, null, 0, v20, s20
	s_mov_b32 s20, 0x3e9b6dac
	v_sub_nc_u32_e32 v24, 0, v20
	v_cvt_f32_i32_e32 v20, v20
	s_delay_alu instid0(VALU_DEP_2) | instskip(NEXT) | instid1(VALU_DEP_1)
	v_ldexp_f32 v23, v23, v24
	v_dual_add_f32 v30, 1.0, v23 :: v_dual_add_f32 v29, 1.0, v29
	s_delay_alu instid0(VALU_DEP_1) | instskip(NEXT) | instid1(VALU_DEP_2)
	v_add_f32_e32 v21, v21, v29
	v_add_f32_e32 v29, -1.0, v30
	s_delay_alu instid0(VALU_DEP_2) | instskip(NEXT) | instid1(VALU_DEP_2)
	v_ldexp_f32 v21, v21, v24
	v_dual_add_f32 v24, -1.0, v23 :: v_dual_sub_f32 v29, v23, v29
	s_delay_alu instid0(VALU_DEP_1) | instskip(NEXT) | instid1(VALU_DEP_2)
	v_add_f32_e32 v31, 1.0, v24
	v_add_f32_e32 v29, v21, v29
	s_delay_alu instid0(VALU_DEP_2) | instskip(NEXT) | instid1(VALU_DEP_2)
	v_sub_f32_e32 v23, v23, v31
	v_add_f32_e32 v31, v30, v29
	s_delay_alu instid0(VALU_DEP_2) | instskip(NEXT) | instid1(VALU_DEP_2)
	v_add_f32_e32 v21, v21, v23
	v_rcp_f32_e32 v23, v31
	v_sub_f32_e32 v30, v30, v31
	s_delay_alu instid0(VALU_DEP_1) | instskip(NEXT) | instid1(VALU_DEP_1)
	v_dual_add_f32 v32, v24, v21 :: v_dual_add_f32 v29, v29, v30
	v_sub_f32_e32 v24, v24, v32
	s_delay_alu instid0(TRANS32_DEP_1) | instskip(NEXT) | instid1(VALU_DEP_1)
	v_mul_f32_e32 v33, v32, v23
	v_dual_add_f32 v21, v21, v24 :: v_dual_mul_f32 v34, v31, v33
	s_delay_alu instid0(VALU_DEP_1) | instskip(NEXT) | instid1(VALU_DEP_1)
	v_fma_f32 v30, v33, v31, -v34
	v_fmac_f32_e32 v30, v33, v29
	s_delay_alu instid0(VALU_DEP_1) | instskip(NEXT) | instid1(VALU_DEP_1)
	v_add_f32_e32 v35, v34, v30
	v_sub_f32_e32 v36, v32, v35
	v_sub_f32_e32 v24, v35, v34
	s_delay_alu instid0(VALU_DEP_2) | instskip(NEXT) | instid1(VALU_DEP_2)
	v_sub_f32_e32 v32, v32, v36
	v_sub_f32_e32 v24, v24, v30
	s_delay_alu instid0(VALU_DEP_2) | instskip(NEXT) | instid1(VALU_DEP_1)
	v_sub_f32_e32 v32, v32, v35
	v_add_f32_e32 v21, v21, v32
	s_delay_alu instid0(VALU_DEP_1) | instskip(NEXT) | instid1(VALU_DEP_1)
	v_add_f32_e32 v21, v24, v21
	v_add_f32_e32 v24, v36, v21
	s_delay_alu instid0(VALU_DEP_1) | instskip(NEXT) | instid1(VALU_DEP_1)
	v_mul_f32_e32 v30, v23, v24
	v_dual_sub_f32 v35, v36, v24 :: v_dual_mul_f32 v32, v31, v30
	s_delay_alu instid0(VALU_DEP_1) | instskip(NEXT) | instid1(VALU_DEP_2)
	v_add_f32_e32 v21, v21, v35
	v_fma_f32 v31, v30, v31, -v32
	s_delay_alu instid0(VALU_DEP_1) | instskip(NEXT) | instid1(VALU_DEP_1)
	v_fmac_f32_e32 v31, v30, v29
	v_add_f32_e32 v29, v32, v31
	s_delay_alu instid0(VALU_DEP_1) | instskip(SKIP_1) | instid1(VALU_DEP_2)
	v_sub_f32_e32 v34, v24, v29
	v_sub_f32_e32 v32, v29, v32
	;; [unrolled: 1-line block ×3, first 2 shown]
	s_delay_alu instid0(VALU_DEP_1) | instskip(NEXT) | instid1(VALU_DEP_3)
	v_sub_f32_e32 v24, v24, v29
	v_sub_f32_e32 v29, v32, v31
	s_delay_alu instid0(VALU_DEP_2) | instskip(SKIP_1) | instid1(VALU_DEP_2)
	v_add_f32_e32 v21, v21, v24
	v_add_f32_e32 v24, v33, v30
	;; [unrolled: 1-line block ×3, first 2 shown]
	s_delay_alu instid0(VALU_DEP_2) | instskip(NEXT) | instid1(VALU_DEP_2)
	v_sub_f32_e32 v29, v24, v33
	v_add_f32_e32 v21, v34, v21
	s_delay_alu instid0(VALU_DEP_2) | instskip(NEXT) | instid1(VALU_DEP_2)
	v_sub_f32_e32 v29, v30, v29
	v_mul_f32_e32 v21, v23, v21
	s_delay_alu instid0(VALU_DEP_1) | instskip(NEXT) | instid1(VALU_DEP_1)
	v_add_f32_e32 v21, v29, v21
	v_add_f32_e32 v23, v24, v21
	s_delay_alu instid0(VALU_DEP_1) | instskip(SKIP_1) | instid1(VALU_DEP_1)
	v_mul_f32_e32 v29, v23, v23
	s_wait_alu 0xfffe
	v_fmaak_f32 v30, s20, v29, 0x3ecc95a3
	v_mul_f32_e32 v31, v23, v29
	v_cmp_neq_f32_e64 s20, 0x7f800000, v22
	s_delay_alu instid0(VALU_DEP_3) | instskip(SKIP_2) | instid1(VALU_DEP_3)
	v_fmaak_f32 v29, v29, v30, 0x3f2aaada
	v_ldexp_f32 v30, v23, 1
	v_sub_f32_e32 v23, v23, v24
	v_mul_f32_e32 v29, v31, v29
	v_mul_f32_e32 v31, 0x3f317218, v20
	s_delay_alu instid0(VALU_DEP_2) | instskip(NEXT) | instid1(VALU_DEP_1)
	v_dual_sub_f32 v21, v21, v23 :: v_dual_add_f32 v24, v30, v29
	v_ldexp_f32 v21, v21, 1
	s_delay_alu instid0(VALU_DEP_2) | instskip(NEXT) | instid1(VALU_DEP_4)
	v_sub_f32_e32 v23, v24, v30
	v_fma_f32 v30, 0x3f317218, v20, -v31
	s_delay_alu instid0(VALU_DEP_1) | instskip(NEXT) | instid1(VALU_DEP_1)
	v_dual_sub_f32 v23, v29, v23 :: v_dual_fmamk_f32 v20, v20, 0xb102e308, v30
	v_add_f32_e32 v21, v21, v23
	s_delay_alu instid0(VALU_DEP_2) | instskip(NEXT) | instid1(VALU_DEP_2)
	v_add_f32_e32 v23, v31, v20
	v_add_f32_e32 v29, v24, v21
	s_delay_alu instid0(VALU_DEP_2) | instskip(NEXT) | instid1(VALU_DEP_2)
	v_sub_f32_e32 v31, v23, v31
	v_add_f32_e32 v30, v23, v29
	v_sub_f32_e32 v24, v29, v24
	s_delay_alu instid0(VALU_DEP_3) | instskip(NEXT) | instid1(VALU_DEP_2)
	v_sub_f32_e32 v20, v20, v31
	v_dual_sub_f32 v32, v30, v23 :: v_dual_sub_f32 v21, v21, v24
	s_delay_alu instid0(VALU_DEP_1) | instskip(NEXT) | instid1(VALU_DEP_2)
	v_sub_f32_e32 v33, v30, v32
	v_dual_sub_f32 v24, v29, v32 :: v_dual_add_f32 v29, v20, v21
	s_delay_alu instid0(VALU_DEP_2) | instskip(NEXT) | instid1(VALU_DEP_1)
	v_sub_f32_e32 v23, v23, v33
	v_dual_add_f32 v23, v24, v23 :: v_dual_sub_f32 v24, v29, v20
	s_delay_alu instid0(VALU_DEP_1) | instskip(NEXT) | instid1(VALU_DEP_2)
	v_add_f32_e32 v23, v29, v23
	v_sub_f32_e32 v29, v29, v24
	v_sub_f32_e32 v21, v21, v24
	s_delay_alu instid0(VALU_DEP_2) | instskip(NEXT) | instid1(VALU_DEP_1)
	v_dual_add_f32 v31, v30, v23 :: v_dual_sub_f32 v20, v20, v29
	v_sub_f32_e32 v24, v31, v30
	s_delay_alu instid0(VALU_DEP_2) | instskip(NEXT) | instid1(VALU_DEP_2)
	v_add_f32_e32 v20, v21, v20
	v_sub_f32_e32 v21, v23, v24
	s_delay_alu instid0(VALU_DEP_1) | instskip(NEXT) | instid1(VALU_DEP_1)
	v_add_f32_e32 v20, v20, v21
	v_add_f32_e32 v20, v31, v20
	s_wait_alu 0xf1ff
	s_delay_alu instid0(VALU_DEP_1) | instskip(SKIP_2) | instid1(VALU_DEP_1)
	v_cndmask_b32_e64 v20, 0x7f800000, v20, s20
	v_cmp_gt_f32_e64 s20, 0x33800000, |v22|
	s_wait_alu 0xf1ff
	v_cndmask_b32_e64 v20, v20, v22, s20
	s_delay_alu instid0(VALU_DEP_1)
	v_add_f32_e32 v20, v17, v20
.LBB517_38:
	s_or_b32 exec_lo, exec_lo, s21
	s_delay_alu instid0(VALU_DEP_1) | instskip(SKIP_1) | instid1(VALU_DEP_2)
	v_bfe_u32 v17, v20, 16, 1
	v_cmp_o_f32_e64 s20, v20, v20
	v_add3_u32 v17, v20, v17, 0x7fff
	s_delay_alu instid0(VALU_DEP_1) | instskip(SKIP_2) | instid1(VALU_DEP_2)
	v_and_b32_e32 v21, 0xffff0000, v17
	v_lshlrev_b32_e32 v17, 16, v5
	s_wait_alu 0xf1ff
	v_cndmask_b32_e64 v22, 0x7fc00000, v21, s20
	s_delay_alu instid0(VALU_DEP_1) | instskip(SKIP_1) | instid1(VALU_DEP_2)
	v_dual_max_num_f32 v21, v17, v17 :: v_dual_max_num_f32 v20, v22, v22
	v_cmp_u_f32_e64 s20, v22, v22
	v_min_num_f32_e32 v23, v20, v21
	v_max_num_f32_e32 v20, v20, v21
	s_wait_alu 0xf1ff
	s_delay_alu instid0(VALU_DEP_2) | instskip(NEXT) | instid1(VALU_DEP_2)
	v_cndmask_b32_e64 v23, v23, v22, s20
	v_cndmask_b32_e64 v20, v20, v22, s20
	v_cmp_u_f32_e64 s20, v17, v17
	s_wait_alu 0xf1ff
	s_delay_alu instid0(VALU_DEP_1) | instskip(NEXT) | instid1(VALU_DEP_3)
	v_cndmask_b32_e64 v23, v23, v17, s20
	v_cndmask_b32_e64 v20, v20, v17, s20
	s_delay_alu instid0(VALU_DEP_2) | instskip(NEXT) | instid1(VALU_DEP_2)
	v_cmp_class_f32_e64 s22, v23, 0x1f8
	v_cmp_neq_f32_e64 s21, v23, v20
	s_or_b32 s21, s21, s22
	s_wait_alu 0xfffe
	s_and_saveexec_b32 s22, s21
	s_cbranch_execz .LBB517_40
; %bb.39:
	v_sub_f32_e32 v22, v23, v20
	s_delay_alu instid0(VALU_DEP_1) | instskip(SKIP_1) | instid1(VALU_DEP_2)
	v_mul_f32_e32 v23, 0x3fb8aa3b, v22
	v_cmp_ngt_f32_e64 s21, 0xc2ce8ed0, v22
	v_fma_f32 v24, 0x3fb8aa3b, v22, -v23
	v_rndne_f32_e32 v29, v23
	s_delay_alu instid0(VALU_DEP_1) | instskip(NEXT) | instid1(VALU_DEP_1)
	v_dual_fmamk_f32 v24, v22, 0x32a5705f, v24 :: v_dual_sub_f32 v23, v23, v29
	v_add_f32_e32 v23, v23, v24
	v_cvt_i32_f32_e32 v24, v29
	s_delay_alu instid0(VALU_DEP_2) | instskip(NEXT) | instid1(TRANS32_DEP_1)
	v_exp_f32_e32 v23, v23
	v_ldexp_f32 v23, v23, v24
	s_wait_alu 0xf1ff
	s_delay_alu instid0(VALU_DEP_1) | instskip(SKIP_2) | instid1(VALU_DEP_1)
	v_cndmask_b32_e64 v23, 0, v23, s21
	v_cmp_nlt_f32_e64 s21, 0x42b17218, v22
	s_wait_alu 0xf1ff
	v_cndmask_b32_e64 v24, 0x7f800000, v23, s21
	s_delay_alu instid0(VALU_DEP_1) | instskip(NEXT) | instid1(VALU_DEP_1)
	v_add_f32_e32 v29, 1.0, v24
	v_cvt_f64_f32_e32 v[22:23], v29
	s_delay_alu instid0(VALU_DEP_1) | instskip(SKIP_1) | instid1(VALU_DEP_1)
	v_frexp_exp_i32_f64_e32 v22, v[22:23]
	v_frexp_mant_f32_e32 v23, v29
	v_cmp_gt_f32_e64 s21, 0x3f2aaaab, v23
	v_add_f32_e32 v23, -1.0, v29
	s_delay_alu instid0(VALU_DEP_1)
	v_sub_f32_e32 v31, v23, v29
	v_sub_f32_e32 v23, v24, v23
	s_wait_alu 0xf1ff
	v_subrev_co_ci_u32_e64 v22, null, 0, v22, s21
	s_mov_b32 s21, 0x3e9b6dac
	v_sub_nc_u32_e32 v30, 0, v22
	v_cvt_f32_i32_e32 v22, v22
	s_delay_alu instid0(VALU_DEP_2) | instskip(NEXT) | instid1(VALU_DEP_1)
	v_ldexp_f32 v29, v29, v30
	v_dual_add_f32 v32, 1.0, v29 :: v_dual_add_f32 v31, 1.0, v31
	s_delay_alu instid0(VALU_DEP_1) | instskip(NEXT) | instid1(VALU_DEP_2)
	v_add_f32_e32 v23, v23, v31
	v_add_f32_e32 v31, -1.0, v32
	s_delay_alu instid0(VALU_DEP_2) | instskip(NEXT) | instid1(VALU_DEP_2)
	v_ldexp_f32 v23, v23, v30
	v_dual_add_f32 v30, -1.0, v29 :: v_dual_sub_f32 v31, v29, v31
	s_delay_alu instid0(VALU_DEP_1) | instskip(NEXT) | instid1(VALU_DEP_2)
	v_add_f32_e32 v33, 1.0, v30
	v_add_f32_e32 v31, v23, v31
	s_delay_alu instid0(VALU_DEP_2) | instskip(NEXT) | instid1(VALU_DEP_2)
	v_sub_f32_e32 v29, v29, v33
	v_add_f32_e32 v33, v32, v31
	s_delay_alu instid0(VALU_DEP_2) | instskip(NEXT) | instid1(VALU_DEP_2)
	v_add_f32_e32 v23, v23, v29
	v_rcp_f32_e32 v29, v33
	v_sub_f32_e32 v32, v32, v33
	s_delay_alu instid0(VALU_DEP_1) | instskip(NEXT) | instid1(VALU_DEP_1)
	v_dual_add_f32 v34, v30, v23 :: v_dual_add_f32 v31, v31, v32
	v_sub_f32_e32 v30, v30, v34
	s_delay_alu instid0(TRANS32_DEP_1) | instskip(NEXT) | instid1(VALU_DEP_1)
	v_mul_f32_e32 v35, v34, v29
	v_dual_add_f32 v23, v23, v30 :: v_dual_mul_f32 v36, v33, v35
	s_delay_alu instid0(VALU_DEP_1) | instskip(NEXT) | instid1(VALU_DEP_1)
	v_fma_f32 v32, v35, v33, -v36
	v_fmac_f32_e32 v32, v35, v31
	s_delay_alu instid0(VALU_DEP_1) | instskip(NEXT) | instid1(VALU_DEP_1)
	v_add_f32_e32 v37, v36, v32
	v_sub_f32_e32 v38, v34, v37
	v_sub_f32_e32 v30, v37, v36
	s_delay_alu instid0(VALU_DEP_2) | instskip(NEXT) | instid1(VALU_DEP_2)
	v_sub_f32_e32 v34, v34, v38
	v_sub_f32_e32 v30, v30, v32
	s_delay_alu instid0(VALU_DEP_2) | instskip(NEXT) | instid1(VALU_DEP_1)
	v_sub_f32_e32 v34, v34, v37
	v_add_f32_e32 v23, v23, v34
	s_delay_alu instid0(VALU_DEP_1) | instskip(NEXT) | instid1(VALU_DEP_1)
	v_add_f32_e32 v23, v30, v23
	v_add_f32_e32 v30, v38, v23
	s_delay_alu instid0(VALU_DEP_1) | instskip(NEXT) | instid1(VALU_DEP_1)
	v_mul_f32_e32 v32, v29, v30
	v_dual_sub_f32 v37, v38, v30 :: v_dual_mul_f32 v34, v33, v32
	s_delay_alu instid0(VALU_DEP_1) | instskip(NEXT) | instid1(VALU_DEP_2)
	v_add_f32_e32 v23, v23, v37
	v_fma_f32 v33, v32, v33, -v34
	s_delay_alu instid0(VALU_DEP_1) | instskip(NEXT) | instid1(VALU_DEP_1)
	v_fmac_f32_e32 v33, v32, v31
	v_add_f32_e32 v31, v34, v33
	s_delay_alu instid0(VALU_DEP_1) | instskip(SKIP_1) | instid1(VALU_DEP_2)
	v_sub_f32_e32 v36, v30, v31
	v_sub_f32_e32 v34, v31, v34
	v_sub_f32_e32 v30, v30, v36
	s_delay_alu instid0(VALU_DEP_1) | instskip(NEXT) | instid1(VALU_DEP_3)
	v_sub_f32_e32 v30, v30, v31
	v_sub_f32_e32 v31, v34, v33
	s_delay_alu instid0(VALU_DEP_2) | instskip(SKIP_1) | instid1(VALU_DEP_2)
	v_add_f32_e32 v23, v23, v30
	v_add_f32_e32 v30, v35, v32
	;; [unrolled: 1-line block ×3, first 2 shown]
	s_delay_alu instid0(VALU_DEP_2) | instskip(NEXT) | instid1(VALU_DEP_2)
	v_sub_f32_e32 v31, v30, v35
	v_add_f32_e32 v23, v36, v23
	s_delay_alu instid0(VALU_DEP_2) | instskip(NEXT) | instid1(VALU_DEP_2)
	v_sub_f32_e32 v31, v32, v31
	v_mul_f32_e32 v23, v29, v23
	s_delay_alu instid0(VALU_DEP_1) | instskip(NEXT) | instid1(VALU_DEP_1)
	v_add_f32_e32 v23, v31, v23
	v_add_f32_e32 v29, v30, v23
	s_delay_alu instid0(VALU_DEP_1) | instskip(SKIP_1) | instid1(VALU_DEP_1)
	v_mul_f32_e32 v31, v29, v29
	s_wait_alu 0xfffe
	v_fmaak_f32 v32, s21, v31, 0x3ecc95a3
	v_mul_f32_e32 v33, v29, v31
	v_cmp_neq_f32_e64 s21, 0x7f800000, v24
	s_delay_alu instid0(VALU_DEP_3) | instskip(SKIP_2) | instid1(VALU_DEP_3)
	v_fmaak_f32 v31, v31, v32, 0x3f2aaada
	v_ldexp_f32 v32, v29, 1
	v_sub_f32_e32 v29, v29, v30
	v_mul_f32_e32 v31, v33, v31
	v_mul_f32_e32 v33, 0x3f317218, v22
	s_delay_alu instid0(VALU_DEP_2) | instskip(NEXT) | instid1(VALU_DEP_1)
	v_dual_sub_f32 v23, v23, v29 :: v_dual_add_f32 v30, v32, v31
	v_ldexp_f32 v23, v23, 1
	s_delay_alu instid0(VALU_DEP_2) | instskip(NEXT) | instid1(VALU_DEP_4)
	v_sub_f32_e32 v29, v30, v32
	v_fma_f32 v32, 0x3f317218, v22, -v33
	s_delay_alu instid0(VALU_DEP_1) | instskip(NEXT) | instid1(VALU_DEP_1)
	v_dual_sub_f32 v29, v31, v29 :: v_dual_fmamk_f32 v22, v22, 0xb102e308, v32
	v_add_f32_e32 v23, v23, v29
	s_delay_alu instid0(VALU_DEP_2) | instskip(NEXT) | instid1(VALU_DEP_2)
	v_add_f32_e32 v29, v33, v22
	v_add_f32_e32 v31, v30, v23
	s_delay_alu instid0(VALU_DEP_2) | instskip(NEXT) | instid1(VALU_DEP_2)
	v_sub_f32_e32 v33, v29, v33
	v_add_f32_e32 v32, v29, v31
	v_sub_f32_e32 v30, v31, v30
	s_delay_alu instid0(VALU_DEP_3) | instskip(NEXT) | instid1(VALU_DEP_2)
	v_sub_f32_e32 v22, v22, v33
	v_dual_sub_f32 v34, v32, v29 :: v_dual_sub_f32 v23, v23, v30
	s_delay_alu instid0(VALU_DEP_1) | instskip(NEXT) | instid1(VALU_DEP_2)
	v_sub_f32_e32 v35, v32, v34
	v_dual_sub_f32 v30, v31, v34 :: v_dual_add_f32 v31, v22, v23
	s_delay_alu instid0(VALU_DEP_2) | instskip(NEXT) | instid1(VALU_DEP_1)
	v_sub_f32_e32 v29, v29, v35
	v_dual_add_f32 v29, v30, v29 :: v_dual_sub_f32 v30, v31, v22
	s_delay_alu instid0(VALU_DEP_1) | instskip(NEXT) | instid1(VALU_DEP_2)
	v_add_f32_e32 v29, v31, v29
	v_sub_f32_e32 v31, v31, v30
	v_sub_f32_e32 v23, v23, v30
	s_delay_alu instid0(VALU_DEP_2) | instskip(NEXT) | instid1(VALU_DEP_1)
	v_dual_add_f32 v33, v32, v29 :: v_dual_sub_f32 v22, v22, v31
	v_sub_f32_e32 v30, v33, v32
	s_delay_alu instid0(VALU_DEP_2) | instskip(NEXT) | instid1(VALU_DEP_2)
	v_add_f32_e32 v22, v23, v22
	v_sub_f32_e32 v23, v29, v30
	s_delay_alu instid0(VALU_DEP_1) | instskip(NEXT) | instid1(VALU_DEP_1)
	v_add_f32_e32 v22, v22, v23
	v_add_f32_e32 v22, v33, v22
	s_wait_alu 0xf1ff
	s_delay_alu instid0(VALU_DEP_1) | instskip(SKIP_2) | instid1(VALU_DEP_1)
	v_cndmask_b32_e64 v22, 0x7f800000, v22, s21
	v_cmp_gt_f32_e64 s21, 0x33800000, |v24|
	s_wait_alu 0xf1ff
	v_cndmask_b32_e64 v22, v22, v24, s21
	s_delay_alu instid0(VALU_DEP_1)
	v_add_f32_e32 v22, v20, v22
.LBB517_40:
	s_or_b32 exec_lo, exec_lo, s22
	s_delay_alu instid0(VALU_DEP_1) | instskip(SKIP_1) | instid1(VALU_DEP_2)
	v_bfe_u32 v20, v22, 16, 1
	v_cmp_o_f32_e64 s21, v22, v22
	v_add3_u32 v20, v22, v20, 0x7fff
	s_delay_alu instid0(VALU_DEP_1) | instskip(SKIP_1) | instid1(VALU_DEP_1)
	v_and_b32_e32 v20, 0xffff0000, v20
	s_wait_alu 0xf1ff
	v_cndmask_b32_e64 v23, 0x7fc00000, v20, s21
	s_delay_alu instid0(VALU_DEP_1) | instskip(NEXT) | instid1(VALU_DEP_1)
	v_dual_max_num_f32 v20, v23, v23 :: v_dual_and_b32 v5, 0xffff0000, v5
	v_max_num_f32_e32 v22, v5, v5
	v_cmp_u_f32_e64 s21, v23, v23
	s_delay_alu instid0(VALU_DEP_2) | instskip(SKIP_2) | instid1(VALU_DEP_2)
	v_min_num_f32_e32 v24, v20, v22
	v_max_num_f32_e32 v20, v20, v22
	s_wait_alu 0xf1ff
	v_cndmask_b32_e64 v24, v24, v23, s21
	s_delay_alu instid0(VALU_DEP_2) | instskip(SKIP_2) | instid1(VALU_DEP_1)
	v_cndmask_b32_e64 v20, v20, v23, s21
	v_cmp_u_f32_e64 s21, v5, v5
	s_wait_alu 0xf1ff
	v_cndmask_b32_e64 v24, v24, v5, s21
	s_delay_alu instid0(VALU_DEP_3) | instskip(NEXT) | instid1(VALU_DEP_2)
	v_cndmask_b32_e64 v20, v20, v5, s21
	v_cmp_class_f32_e64 s23, v24, 0x1f8
	s_delay_alu instid0(VALU_DEP_2) | instskip(SKIP_1) | instid1(SALU_CYCLE_1)
	v_cmp_neq_f32_e64 s22, v24, v20
	s_or_b32 s22, s22, s23
	s_and_saveexec_b32 s23, s22
	s_cbranch_execz .LBB517_42
; %bb.41:
	v_sub_f32_e32 v23, v24, v20
	s_delay_alu instid0(VALU_DEP_1) | instskip(SKIP_1) | instid1(VALU_DEP_2)
	v_mul_f32_e32 v24, 0x3fb8aa3b, v23
	v_cmp_ngt_f32_e64 s22, 0xc2ce8ed0, v23
	v_fma_f32 v29, 0x3fb8aa3b, v23, -v24
	v_rndne_f32_e32 v30, v24
	s_delay_alu instid0(VALU_DEP_1) | instskip(NEXT) | instid1(VALU_DEP_1)
	v_dual_fmamk_f32 v29, v23, 0x32a5705f, v29 :: v_dual_sub_f32 v24, v24, v30
	v_add_f32_e32 v24, v24, v29
	v_cvt_i32_f32_e32 v29, v30
	s_delay_alu instid0(VALU_DEP_2) | instskip(NEXT) | instid1(TRANS32_DEP_1)
	v_exp_f32_e32 v24, v24
	v_ldexp_f32 v24, v24, v29
	s_delay_alu instid0(VALU_DEP_1) | instskip(SKIP_2) | instid1(VALU_DEP_1)
	v_cndmask_b32_e64 v24, 0, v24, s22
	v_cmp_nlt_f32_e64 s22, 0x42b17218, v23
	s_wait_alu 0xf1ff
	v_cndmask_b32_e64 v29, 0x7f800000, v24, s22
	s_delay_alu instid0(VALU_DEP_1) | instskip(NEXT) | instid1(VALU_DEP_1)
	v_add_f32_e32 v30, 1.0, v29
	v_cvt_f64_f32_e32 v[23:24], v30
	s_delay_alu instid0(VALU_DEP_1) | instskip(SKIP_1) | instid1(VALU_DEP_1)
	v_frexp_exp_i32_f64_e32 v23, v[23:24]
	v_frexp_mant_f32_e32 v24, v30
	v_cmp_gt_f32_e64 s22, 0x3f2aaaab, v24
	v_add_f32_e32 v24, -1.0, v30
	s_delay_alu instid0(VALU_DEP_1)
	v_sub_f32_e32 v32, v24, v30
	v_sub_f32_e32 v24, v29, v24
	s_wait_alu 0xf1ff
	v_subrev_co_ci_u32_e64 v23, null, 0, v23, s22
	s_mov_b32 s22, 0x3e9b6dac
	v_sub_nc_u32_e32 v31, 0, v23
	v_cvt_f32_i32_e32 v23, v23
	s_delay_alu instid0(VALU_DEP_2) | instskip(NEXT) | instid1(VALU_DEP_1)
	v_ldexp_f32 v30, v30, v31
	v_dual_add_f32 v33, 1.0, v30 :: v_dual_add_f32 v32, 1.0, v32
	s_delay_alu instid0(VALU_DEP_1) | instskip(NEXT) | instid1(VALU_DEP_2)
	v_add_f32_e32 v24, v24, v32
	v_add_f32_e32 v32, -1.0, v33
	s_delay_alu instid0(VALU_DEP_2) | instskip(NEXT) | instid1(VALU_DEP_2)
	v_ldexp_f32 v24, v24, v31
	v_dual_add_f32 v31, -1.0, v30 :: v_dual_sub_f32 v32, v30, v32
	s_delay_alu instid0(VALU_DEP_1) | instskip(NEXT) | instid1(VALU_DEP_2)
	v_add_f32_e32 v34, 1.0, v31
	v_add_f32_e32 v32, v24, v32
	s_delay_alu instid0(VALU_DEP_2) | instskip(NEXT) | instid1(VALU_DEP_2)
	v_sub_f32_e32 v30, v30, v34
	v_add_f32_e32 v34, v33, v32
	s_delay_alu instid0(VALU_DEP_2) | instskip(NEXT) | instid1(VALU_DEP_2)
	v_add_f32_e32 v24, v24, v30
	v_rcp_f32_e32 v30, v34
	v_sub_f32_e32 v33, v33, v34
	s_delay_alu instid0(VALU_DEP_1) | instskip(NEXT) | instid1(VALU_DEP_1)
	v_dual_add_f32 v35, v31, v24 :: v_dual_add_f32 v32, v32, v33
	v_sub_f32_e32 v31, v31, v35
	s_delay_alu instid0(TRANS32_DEP_1) | instskip(NEXT) | instid1(VALU_DEP_1)
	v_mul_f32_e32 v36, v35, v30
	v_dual_add_f32 v24, v24, v31 :: v_dual_mul_f32 v37, v34, v36
	s_delay_alu instid0(VALU_DEP_1) | instskip(NEXT) | instid1(VALU_DEP_1)
	v_fma_f32 v33, v36, v34, -v37
	v_fmac_f32_e32 v33, v36, v32
	s_delay_alu instid0(VALU_DEP_1) | instskip(NEXT) | instid1(VALU_DEP_1)
	v_add_f32_e32 v38, v37, v33
	v_sub_f32_e32 v39, v35, v38
	v_sub_f32_e32 v31, v38, v37
	s_delay_alu instid0(VALU_DEP_2) | instskip(NEXT) | instid1(VALU_DEP_2)
	v_sub_f32_e32 v35, v35, v39
	v_sub_f32_e32 v31, v31, v33
	s_delay_alu instid0(VALU_DEP_2) | instskip(NEXT) | instid1(VALU_DEP_1)
	v_sub_f32_e32 v35, v35, v38
	v_add_f32_e32 v24, v24, v35
	s_delay_alu instid0(VALU_DEP_1) | instskip(NEXT) | instid1(VALU_DEP_1)
	v_add_f32_e32 v24, v31, v24
	v_add_f32_e32 v31, v39, v24
	s_delay_alu instid0(VALU_DEP_1) | instskip(NEXT) | instid1(VALU_DEP_1)
	v_mul_f32_e32 v33, v30, v31
	v_dual_sub_f32 v38, v39, v31 :: v_dual_mul_f32 v35, v34, v33
	s_delay_alu instid0(VALU_DEP_1) | instskip(NEXT) | instid1(VALU_DEP_2)
	v_add_f32_e32 v24, v24, v38
	v_fma_f32 v34, v33, v34, -v35
	s_delay_alu instid0(VALU_DEP_1) | instskip(NEXT) | instid1(VALU_DEP_1)
	v_fmac_f32_e32 v34, v33, v32
	v_add_f32_e32 v32, v35, v34
	s_delay_alu instid0(VALU_DEP_1) | instskip(SKIP_1) | instid1(VALU_DEP_2)
	v_sub_f32_e32 v37, v31, v32
	v_sub_f32_e32 v35, v32, v35
	;; [unrolled: 1-line block ×3, first 2 shown]
	s_delay_alu instid0(VALU_DEP_1) | instskip(NEXT) | instid1(VALU_DEP_3)
	v_sub_f32_e32 v31, v31, v32
	v_sub_f32_e32 v32, v35, v34
	s_delay_alu instid0(VALU_DEP_2) | instskip(SKIP_1) | instid1(VALU_DEP_2)
	v_add_f32_e32 v24, v24, v31
	v_add_f32_e32 v31, v36, v33
	;; [unrolled: 1-line block ×3, first 2 shown]
	s_delay_alu instid0(VALU_DEP_2) | instskip(NEXT) | instid1(VALU_DEP_2)
	v_sub_f32_e32 v32, v31, v36
	v_add_f32_e32 v24, v37, v24
	s_delay_alu instid0(VALU_DEP_2) | instskip(NEXT) | instid1(VALU_DEP_2)
	v_sub_f32_e32 v32, v33, v32
	v_mul_f32_e32 v24, v30, v24
	s_delay_alu instid0(VALU_DEP_1) | instskip(NEXT) | instid1(VALU_DEP_1)
	v_add_f32_e32 v24, v32, v24
	v_add_f32_e32 v30, v31, v24
	s_delay_alu instid0(VALU_DEP_1) | instskip(SKIP_1) | instid1(VALU_DEP_1)
	v_mul_f32_e32 v32, v30, v30
	s_wait_alu 0xfffe
	v_fmaak_f32 v33, s22, v32, 0x3ecc95a3
	v_mul_f32_e32 v34, v30, v32
	v_cmp_neq_f32_e64 s22, 0x7f800000, v29
	s_delay_alu instid0(VALU_DEP_3) | instskip(SKIP_2) | instid1(VALU_DEP_3)
	v_fmaak_f32 v32, v32, v33, 0x3f2aaada
	v_ldexp_f32 v33, v30, 1
	v_sub_f32_e32 v30, v30, v31
	v_mul_f32_e32 v32, v34, v32
	v_mul_f32_e32 v34, 0x3f317218, v23
	s_delay_alu instid0(VALU_DEP_2) | instskip(NEXT) | instid1(VALU_DEP_1)
	v_dual_sub_f32 v24, v24, v30 :: v_dual_add_f32 v31, v33, v32
	v_ldexp_f32 v24, v24, 1
	s_delay_alu instid0(VALU_DEP_2) | instskip(NEXT) | instid1(VALU_DEP_4)
	v_sub_f32_e32 v30, v31, v33
	v_fma_f32 v33, 0x3f317218, v23, -v34
	s_delay_alu instid0(VALU_DEP_1) | instskip(NEXT) | instid1(VALU_DEP_1)
	v_dual_sub_f32 v30, v32, v30 :: v_dual_fmamk_f32 v23, v23, 0xb102e308, v33
	v_add_f32_e32 v24, v24, v30
	s_delay_alu instid0(VALU_DEP_2) | instskip(NEXT) | instid1(VALU_DEP_2)
	v_add_f32_e32 v30, v34, v23
	v_add_f32_e32 v32, v31, v24
	s_delay_alu instid0(VALU_DEP_2) | instskip(NEXT) | instid1(VALU_DEP_2)
	v_sub_f32_e32 v34, v30, v34
	v_add_f32_e32 v33, v30, v32
	v_sub_f32_e32 v31, v32, v31
	s_delay_alu instid0(VALU_DEP_3) | instskip(NEXT) | instid1(VALU_DEP_2)
	v_sub_f32_e32 v23, v23, v34
	v_dual_sub_f32 v35, v33, v30 :: v_dual_sub_f32 v24, v24, v31
	s_delay_alu instid0(VALU_DEP_1) | instskip(NEXT) | instid1(VALU_DEP_2)
	v_sub_f32_e32 v36, v33, v35
	v_dual_sub_f32 v31, v32, v35 :: v_dual_add_f32 v32, v23, v24
	s_delay_alu instid0(VALU_DEP_2) | instskip(NEXT) | instid1(VALU_DEP_1)
	v_sub_f32_e32 v30, v30, v36
	v_dual_add_f32 v30, v31, v30 :: v_dual_sub_f32 v31, v32, v23
	s_delay_alu instid0(VALU_DEP_1) | instskip(NEXT) | instid1(VALU_DEP_2)
	v_add_f32_e32 v30, v32, v30
	v_sub_f32_e32 v32, v32, v31
	v_sub_f32_e32 v24, v24, v31
	s_delay_alu instid0(VALU_DEP_2) | instskip(NEXT) | instid1(VALU_DEP_1)
	v_dual_add_f32 v34, v33, v30 :: v_dual_sub_f32 v23, v23, v32
	v_sub_f32_e32 v31, v34, v33
	s_delay_alu instid0(VALU_DEP_2) | instskip(NEXT) | instid1(VALU_DEP_2)
	v_add_f32_e32 v23, v24, v23
	v_sub_f32_e32 v24, v30, v31
	s_delay_alu instid0(VALU_DEP_1) | instskip(NEXT) | instid1(VALU_DEP_1)
	v_add_f32_e32 v23, v23, v24
	v_add_f32_e32 v23, v34, v23
	s_wait_alu 0xf1ff
	s_delay_alu instid0(VALU_DEP_1) | instskip(SKIP_2) | instid1(VALU_DEP_1)
	v_cndmask_b32_e64 v23, 0x7f800000, v23, s22
	v_cmp_gt_f32_e64 s22, 0x33800000, |v29|
	s_wait_alu 0xf1ff
	v_cndmask_b32_e64 v23, v23, v29, s22
	s_delay_alu instid0(VALU_DEP_1)
	v_add_f32_e32 v23, v20, v23
.LBB517_42:
	s_or_b32 exec_lo, exec_lo, s23
	s_delay_alu instid0(VALU_DEP_1) | instskip(SKIP_1) | instid1(VALU_DEP_2)
	v_bfe_u32 v20, v23, 16, 1
	v_cmp_o_f32_e64 s22, v23, v23
	v_add3_u32 v20, v23, v20, 0x7fff
	s_delay_alu instid0(VALU_DEP_1) | instskip(SKIP_2) | instid1(VALU_DEP_2)
	v_and_b32_e32 v24, 0xffff0000, v20
	v_lshlrev_b32_e32 v20, 16, v6
	s_wait_alu 0xf1ff
	v_cndmask_b32_e64 v29, 0x7fc00000, v24, s22
	s_delay_alu instid0(VALU_DEP_1) | instskip(SKIP_1) | instid1(VALU_DEP_2)
	v_dual_max_num_f32 v23, v20, v20 :: v_dual_max_num_f32 v24, v29, v29
	v_cmp_u_f32_e64 s22, v29, v29
	v_min_num_f32_e32 v30, v24, v23
	v_max_num_f32_e32 v24, v24, v23
	s_wait_alu 0xf1ff
	s_delay_alu instid0(VALU_DEP_2) | instskip(NEXT) | instid1(VALU_DEP_2)
	v_cndmask_b32_e64 v30, v30, v29, s22
	v_cndmask_b32_e64 v24, v24, v29, s22
	v_cmp_u_f32_e64 s22, v20, v20
	s_wait_alu 0xf1ff
	s_delay_alu instid0(VALU_DEP_1) | instskip(NEXT) | instid1(VALU_DEP_3)
	v_cndmask_b32_e64 v30, v30, v20, s22
	v_cndmask_b32_e64 v24, v24, v20, s22
	s_delay_alu instid0(VALU_DEP_2) | instskip(NEXT) | instid1(VALU_DEP_2)
	v_cmp_class_f32_e64 s25, v30, 0x1f8
	v_cmp_neq_f32_e64 s23, v30, v24
	s_or_b32 s23, s23, s25
	s_wait_alu 0xfffe
	s_and_saveexec_b32 s25, s23
	s_cbranch_execz .LBB517_44
; %bb.43:
	v_sub_f32_e32 v29, v30, v24
	s_delay_alu instid0(VALU_DEP_1) | instskip(SKIP_1) | instid1(VALU_DEP_2)
	v_mul_f32_e32 v30, 0x3fb8aa3b, v29
	v_cmp_ngt_f32_e64 s23, 0xc2ce8ed0, v29
	v_fma_f32 v31, 0x3fb8aa3b, v29, -v30
	v_rndne_f32_e32 v32, v30
	s_delay_alu instid0(VALU_DEP_1) | instskip(NEXT) | instid1(VALU_DEP_1)
	v_dual_fmamk_f32 v31, v29, 0x32a5705f, v31 :: v_dual_sub_f32 v30, v30, v32
	v_add_f32_e32 v30, v30, v31
	v_cvt_i32_f32_e32 v31, v32
	s_delay_alu instid0(VALU_DEP_2) | instskip(NEXT) | instid1(TRANS32_DEP_1)
	v_exp_f32_e32 v30, v30
	v_ldexp_f32 v30, v30, v31
	s_wait_alu 0xf1ff
	s_delay_alu instid0(VALU_DEP_1) | instskip(SKIP_2) | instid1(VALU_DEP_1)
	v_cndmask_b32_e64 v30, 0, v30, s23
	v_cmp_nlt_f32_e64 s23, 0x42b17218, v29
	s_wait_alu 0xf1ff
	v_cndmask_b32_e64 v31, 0x7f800000, v30, s23
	s_delay_alu instid0(VALU_DEP_1) | instskip(NEXT) | instid1(VALU_DEP_1)
	v_add_f32_e32 v32, 1.0, v31
	v_cvt_f64_f32_e32 v[29:30], v32
	s_delay_alu instid0(VALU_DEP_1) | instskip(SKIP_1) | instid1(VALU_DEP_1)
	v_frexp_exp_i32_f64_e32 v29, v[29:30]
	v_frexp_mant_f32_e32 v30, v32
	v_cmp_gt_f32_e64 s23, 0x3f2aaaab, v30
	v_add_f32_e32 v30, -1.0, v32
	s_delay_alu instid0(VALU_DEP_1)
	v_sub_f32_e32 v34, v30, v32
	v_sub_f32_e32 v30, v31, v30
	s_wait_alu 0xf1ff
	v_subrev_co_ci_u32_e64 v29, null, 0, v29, s23
	s_mov_b32 s23, 0x3e9b6dac
	v_sub_nc_u32_e32 v33, 0, v29
	v_cvt_f32_i32_e32 v29, v29
	s_delay_alu instid0(VALU_DEP_2) | instskip(NEXT) | instid1(VALU_DEP_1)
	v_ldexp_f32 v32, v32, v33
	v_dual_add_f32 v35, 1.0, v32 :: v_dual_add_f32 v34, 1.0, v34
	s_delay_alu instid0(VALU_DEP_1) | instskip(NEXT) | instid1(VALU_DEP_2)
	v_add_f32_e32 v30, v30, v34
	v_add_f32_e32 v34, -1.0, v35
	s_delay_alu instid0(VALU_DEP_2) | instskip(NEXT) | instid1(VALU_DEP_2)
	v_ldexp_f32 v30, v30, v33
	v_dual_add_f32 v33, -1.0, v32 :: v_dual_sub_f32 v34, v32, v34
	s_delay_alu instid0(VALU_DEP_1) | instskip(NEXT) | instid1(VALU_DEP_2)
	v_add_f32_e32 v36, 1.0, v33
	v_add_f32_e32 v34, v30, v34
	s_delay_alu instid0(VALU_DEP_2) | instskip(NEXT) | instid1(VALU_DEP_2)
	v_sub_f32_e32 v32, v32, v36
	v_add_f32_e32 v36, v35, v34
	s_delay_alu instid0(VALU_DEP_2) | instskip(NEXT) | instid1(VALU_DEP_2)
	v_add_f32_e32 v30, v30, v32
	v_rcp_f32_e32 v32, v36
	v_sub_f32_e32 v35, v35, v36
	s_delay_alu instid0(VALU_DEP_1) | instskip(NEXT) | instid1(VALU_DEP_1)
	v_dual_add_f32 v37, v33, v30 :: v_dual_add_f32 v34, v34, v35
	v_sub_f32_e32 v33, v33, v37
	s_delay_alu instid0(TRANS32_DEP_1) | instskip(NEXT) | instid1(VALU_DEP_1)
	v_mul_f32_e32 v38, v37, v32
	v_dual_add_f32 v30, v30, v33 :: v_dual_mul_f32 v39, v36, v38
	s_delay_alu instid0(VALU_DEP_1) | instskip(NEXT) | instid1(VALU_DEP_1)
	v_fma_f32 v35, v38, v36, -v39
	v_fmac_f32_e32 v35, v38, v34
	s_delay_alu instid0(VALU_DEP_1) | instskip(NEXT) | instid1(VALU_DEP_1)
	v_add_f32_e32 v40, v39, v35
	v_sub_f32_e32 v41, v37, v40
	v_sub_f32_e32 v33, v40, v39
	s_delay_alu instid0(VALU_DEP_2) | instskip(NEXT) | instid1(VALU_DEP_2)
	v_sub_f32_e32 v37, v37, v41
	v_sub_f32_e32 v33, v33, v35
	s_delay_alu instid0(VALU_DEP_2) | instskip(NEXT) | instid1(VALU_DEP_1)
	v_sub_f32_e32 v37, v37, v40
	v_add_f32_e32 v30, v30, v37
	s_delay_alu instid0(VALU_DEP_1) | instskip(NEXT) | instid1(VALU_DEP_1)
	v_add_f32_e32 v30, v33, v30
	v_add_f32_e32 v33, v41, v30
	s_delay_alu instid0(VALU_DEP_1) | instskip(NEXT) | instid1(VALU_DEP_1)
	v_mul_f32_e32 v35, v32, v33
	v_dual_sub_f32 v40, v41, v33 :: v_dual_mul_f32 v37, v36, v35
	s_delay_alu instid0(VALU_DEP_1) | instskip(NEXT) | instid1(VALU_DEP_2)
	v_add_f32_e32 v30, v30, v40
	v_fma_f32 v36, v35, v36, -v37
	s_delay_alu instid0(VALU_DEP_1) | instskip(NEXT) | instid1(VALU_DEP_1)
	v_fmac_f32_e32 v36, v35, v34
	v_add_f32_e32 v34, v37, v36
	s_delay_alu instid0(VALU_DEP_1) | instskip(SKIP_1) | instid1(VALU_DEP_2)
	v_sub_f32_e32 v39, v33, v34
	v_sub_f32_e32 v37, v34, v37
	;; [unrolled: 1-line block ×3, first 2 shown]
	s_delay_alu instid0(VALU_DEP_1) | instskip(NEXT) | instid1(VALU_DEP_3)
	v_sub_f32_e32 v33, v33, v34
	v_sub_f32_e32 v34, v37, v36
	s_delay_alu instid0(VALU_DEP_2) | instskip(SKIP_1) | instid1(VALU_DEP_2)
	v_add_f32_e32 v30, v30, v33
	v_add_f32_e32 v33, v38, v35
	;; [unrolled: 1-line block ×3, first 2 shown]
	s_delay_alu instid0(VALU_DEP_2) | instskip(NEXT) | instid1(VALU_DEP_2)
	v_sub_f32_e32 v34, v33, v38
	v_add_f32_e32 v30, v39, v30
	s_delay_alu instid0(VALU_DEP_2) | instskip(NEXT) | instid1(VALU_DEP_2)
	v_sub_f32_e32 v34, v35, v34
	v_mul_f32_e32 v30, v32, v30
	s_delay_alu instid0(VALU_DEP_1) | instskip(NEXT) | instid1(VALU_DEP_1)
	v_add_f32_e32 v30, v34, v30
	v_add_f32_e32 v32, v33, v30
	s_delay_alu instid0(VALU_DEP_1) | instskip(SKIP_1) | instid1(VALU_DEP_1)
	v_mul_f32_e32 v34, v32, v32
	s_wait_alu 0xfffe
	v_fmaak_f32 v35, s23, v34, 0x3ecc95a3
	v_mul_f32_e32 v36, v32, v34
	v_cmp_neq_f32_e64 s23, 0x7f800000, v31
	s_delay_alu instid0(VALU_DEP_3) | instskip(SKIP_2) | instid1(VALU_DEP_3)
	v_fmaak_f32 v34, v34, v35, 0x3f2aaada
	v_ldexp_f32 v35, v32, 1
	v_sub_f32_e32 v32, v32, v33
	v_mul_f32_e32 v34, v36, v34
	v_mul_f32_e32 v36, 0x3f317218, v29
	s_delay_alu instid0(VALU_DEP_2) | instskip(NEXT) | instid1(VALU_DEP_1)
	v_dual_sub_f32 v30, v30, v32 :: v_dual_add_f32 v33, v35, v34
	v_ldexp_f32 v30, v30, 1
	s_delay_alu instid0(VALU_DEP_2) | instskip(NEXT) | instid1(VALU_DEP_4)
	v_sub_f32_e32 v32, v33, v35
	v_fma_f32 v35, 0x3f317218, v29, -v36
	s_delay_alu instid0(VALU_DEP_1) | instskip(NEXT) | instid1(VALU_DEP_1)
	v_dual_sub_f32 v32, v34, v32 :: v_dual_fmamk_f32 v29, v29, 0xb102e308, v35
	v_add_f32_e32 v30, v30, v32
	s_delay_alu instid0(VALU_DEP_2) | instskip(NEXT) | instid1(VALU_DEP_2)
	v_add_f32_e32 v32, v36, v29
	v_add_f32_e32 v34, v33, v30
	s_delay_alu instid0(VALU_DEP_2) | instskip(NEXT) | instid1(VALU_DEP_2)
	v_sub_f32_e32 v36, v32, v36
	v_add_f32_e32 v35, v32, v34
	v_sub_f32_e32 v33, v34, v33
	s_delay_alu instid0(VALU_DEP_3) | instskip(NEXT) | instid1(VALU_DEP_2)
	v_sub_f32_e32 v29, v29, v36
	v_dual_sub_f32 v37, v35, v32 :: v_dual_sub_f32 v30, v30, v33
	s_delay_alu instid0(VALU_DEP_1) | instskip(NEXT) | instid1(VALU_DEP_2)
	v_sub_f32_e32 v38, v35, v37
	v_dual_sub_f32 v33, v34, v37 :: v_dual_add_f32 v34, v29, v30
	s_delay_alu instid0(VALU_DEP_2) | instskip(NEXT) | instid1(VALU_DEP_1)
	v_sub_f32_e32 v32, v32, v38
	v_dual_add_f32 v32, v33, v32 :: v_dual_sub_f32 v33, v34, v29
	s_delay_alu instid0(VALU_DEP_1) | instskip(NEXT) | instid1(VALU_DEP_2)
	v_add_f32_e32 v32, v34, v32
	v_sub_f32_e32 v34, v34, v33
	v_sub_f32_e32 v30, v30, v33
	s_delay_alu instid0(VALU_DEP_2) | instskip(NEXT) | instid1(VALU_DEP_1)
	v_dual_add_f32 v36, v35, v32 :: v_dual_sub_f32 v29, v29, v34
	v_sub_f32_e32 v33, v36, v35
	s_delay_alu instid0(VALU_DEP_2) | instskip(NEXT) | instid1(VALU_DEP_2)
	v_add_f32_e32 v29, v30, v29
	v_sub_f32_e32 v30, v32, v33
	s_delay_alu instid0(VALU_DEP_1) | instskip(NEXT) | instid1(VALU_DEP_1)
	v_add_f32_e32 v29, v29, v30
	v_add_f32_e32 v29, v36, v29
	s_wait_alu 0xf1ff
	s_delay_alu instid0(VALU_DEP_1) | instskip(SKIP_2) | instid1(VALU_DEP_1)
	v_cndmask_b32_e64 v29, 0x7f800000, v29, s23
	v_cmp_gt_f32_e64 s23, 0x33800000, |v31|
	s_wait_alu 0xf1ff
	v_cndmask_b32_e64 v29, v29, v31, s23
	s_delay_alu instid0(VALU_DEP_1)
	v_add_f32_e32 v29, v24, v29
.LBB517_44:
	s_wait_alu 0xfffe
	s_or_b32 exec_lo, exec_lo, s25
	s_delay_alu instid0(VALU_DEP_1) | instskip(SKIP_1) | instid1(VALU_DEP_2)
	v_bfe_u32 v24, v29, 16, 1
	v_cmp_o_f32_e64 s23, v29, v29
	v_add3_u32 v24, v29, v24, 0x7fff
	s_delay_alu instid0(VALU_DEP_1) | instskip(SKIP_1) | instid1(VALU_DEP_1)
	v_and_b32_e32 v24, 0xffff0000, v24
	s_wait_alu 0xf1ff
	v_cndmask_b32_e64 v30, 0x7fc00000, v24, s23
	s_delay_alu instid0(VALU_DEP_1) | instskip(SKIP_2) | instid1(VALU_DEP_2)
	v_max_num_f32_e32 v29, v30, v30
	v_and_b32_e32 v6, 0xffff0000, v6
	v_cmp_u_f32_e64 s23, v30, v30
	v_max_num_f32_e32 v24, v6, v6
	s_delay_alu instid0(VALU_DEP_1) | instskip(SKIP_2) | instid1(VALU_DEP_2)
	v_min_num_f32_e32 v31, v29, v24
	v_max_num_f32_e32 v29, v29, v24
	s_wait_alu 0xf1ff
	v_cndmask_b32_e64 v31, v31, v30, s23
	s_delay_alu instid0(VALU_DEP_2) | instskip(SKIP_2) | instid1(VALU_DEP_1)
	v_cndmask_b32_e64 v29, v29, v30, s23
	v_cmp_u_f32_e64 s23, v6, v6
	s_wait_alu 0xf1ff
	v_cndmask_b32_e64 v31, v31, v6, s23
	s_delay_alu instid0(VALU_DEP_3) | instskip(NEXT) | instid1(VALU_DEP_2)
	v_cndmask_b32_e64 v29, v29, v6, s23
	v_cmp_class_f32_e64 s26, v31, 0x1f8
	s_delay_alu instid0(VALU_DEP_2)
	v_cmp_neq_f32_e64 s25, v31, v29
	s_or_b32 s25, s25, s26
	s_wait_alu 0xfffe
	s_and_saveexec_b32 s26, s25
	s_cbranch_execz .LBB517_46
; %bb.45:
	v_sub_f32_e32 v30, v31, v29
	s_delay_alu instid0(VALU_DEP_1) | instskip(SKIP_1) | instid1(VALU_DEP_2)
	v_mul_f32_e32 v31, 0x3fb8aa3b, v30
	v_cmp_ngt_f32_e64 s25, 0xc2ce8ed0, v30
	v_fma_f32 v32, 0x3fb8aa3b, v30, -v31
	v_rndne_f32_e32 v33, v31
	s_delay_alu instid0(VALU_DEP_1) | instskip(NEXT) | instid1(VALU_DEP_1)
	v_dual_fmamk_f32 v32, v30, 0x32a5705f, v32 :: v_dual_sub_f32 v31, v31, v33
	v_add_f32_e32 v31, v31, v32
	v_cvt_i32_f32_e32 v32, v33
	s_delay_alu instid0(VALU_DEP_2) | instskip(NEXT) | instid1(TRANS32_DEP_1)
	v_exp_f32_e32 v31, v31
	v_ldexp_f32 v31, v31, v32
	s_wait_alu 0xf1ff
	s_delay_alu instid0(VALU_DEP_1) | instskip(SKIP_2) | instid1(VALU_DEP_1)
	v_cndmask_b32_e64 v31, 0, v31, s25
	v_cmp_nlt_f32_e64 s25, 0x42b17218, v30
	s_wait_alu 0xf1ff
	v_cndmask_b32_e64 v32, 0x7f800000, v31, s25
	s_delay_alu instid0(VALU_DEP_1) | instskip(NEXT) | instid1(VALU_DEP_1)
	v_add_f32_e32 v33, 1.0, v32
	v_cvt_f64_f32_e32 v[30:31], v33
	s_delay_alu instid0(VALU_DEP_1) | instskip(SKIP_1) | instid1(VALU_DEP_1)
	v_frexp_exp_i32_f64_e32 v30, v[30:31]
	v_frexp_mant_f32_e32 v31, v33
	v_cmp_gt_f32_e64 s25, 0x3f2aaaab, v31
	v_add_f32_e32 v31, -1.0, v33
	s_delay_alu instid0(VALU_DEP_1)
	v_sub_f32_e32 v35, v31, v33
	v_sub_f32_e32 v31, v32, v31
	s_wait_alu 0xf1ff
	v_subrev_co_ci_u32_e64 v30, null, 0, v30, s25
	s_mov_b32 s25, 0x3e9b6dac
	v_sub_nc_u32_e32 v34, 0, v30
	v_cvt_f32_i32_e32 v30, v30
	s_delay_alu instid0(VALU_DEP_2) | instskip(NEXT) | instid1(VALU_DEP_1)
	v_ldexp_f32 v33, v33, v34
	v_dual_add_f32 v36, 1.0, v33 :: v_dual_add_f32 v35, 1.0, v35
	s_delay_alu instid0(VALU_DEP_1) | instskip(NEXT) | instid1(VALU_DEP_2)
	v_add_f32_e32 v31, v31, v35
	v_add_f32_e32 v35, -1.0, v36
	s_delay_alu instid0(VALU_DEP_2) | instskip(NEXT) | instid1(VALU_DEP_2)
	v_ldexp_f32 v31, v31, v34
	v_dual_add_f32 v34, -1.0, v33 :: v_dual_sub_f32 v35, v33, v35
	s_delay_alu instid0(VALU_DEP_1) | instskip(NEXT) | instid1(VALU_DEP_2)
	v_add_f32_e32 v37, 1.0, v34
	v_add_f32_e32 v35, v31, v35
	s_delay_alu instid0(VALU_DEP_2) | instskip(NEXT) | instid1(VALU_DEP_2)
	v_sub_f32_e32 v33, v33, v37
	v_add_f32_e32 v37, v36, v35
	s_delay_alu instid0(VALU_DEP_2) | instskip(NEXT) | instid1(VALU_DEP_2)
	v_add_f32_e32 v31, v31, v33
	v_rcp_f32_e32 v33, v37
	v_sub_f32_e32 v36, v36, v37
	s_delay_alu instid0(VALU_DEP_1) | instskip(NEXT) | instid1(VALU_DEP_1)
	v_dual_add_f32 v38, v34, v31 :: v_dual_add_f32 v35, v35, v36
	v_sub_f32_e32 v34, v34, v38
	s_delay_alu instid0(TRANS32_DEP_1) | instskip(NEXT) | instid1(VALU_DEP_1)
	v_mul_f32_e32 v39, v38, v33
	v_dual_add_f32 v31, v31, v34 :: v_dual_mul_f32 v40, v37, v39
	s_delay_alu instid0(VALU_DEP_1) | instskip(NEXT) | instid1(VALU_DEP_1)
	v_fma_f32 v36, v39, v37, -v40
	v_fmac_f32_e32 v36, v39, v35
	s_delay_alu instid0(VALU_DEP_1) | instskip(NEXT) | instid1(VALU_DEP_1)
	v_add_f32_e32 v41, v40, v36
	v_sub_f32_e32 v42, v38, v41
	v_sub_f32_e32 v34, v41, v40
	s_delay_alu instid0(VALU_DEP_2) | instskip(NEXT) | instid1(VALU_DEP_2)
	v_sub_f32_e32 v38, v38, v42
	v_sub_f32_e32 v34, v34, v36
	s_delay_alu instid0(VALU_DEP_2) | instskip(NEXT) | instid1(VALU_DEP_1)
	v_sub_f32_e32 v38, v38, v41
	v_add_f32_e32 v31, v31, v38
	s_delay_alu instid0(VALU_DEP_1) | instskip(NEXT) | instid1(VALU_DEP_1)
	v_add_f32_e32 v31, v34, v31
	v_add_f32_e32 v34, v42, v31
	s_delay_alu instid0(VALU_DEP_1) | instskip(NEXT) | instid1(VALU_DEP_1)
	v_mul_f32_e32 v36, v33, v34
	v_dual_sub_f32 v41, v42, v34 :: v_dual_mul_f32 v38, v37, v36
	s_delay_alu instid0(VALU_DEP_1) | instskip(NEXT) | instid1(VALU_DEP_2)
	v_add_f32_e32 v31, v31, v41
	v_fma_f32 v37, v36, v37, -v38
	s_delay_alu instid0(VALU_DEP_1) | instskip(NEXT) | instid1(VALU_DEP_1)
	v_fmac_f32_e32 v37, v36, v35
	v_add_f32_e32 v35, v38, v37
	s_delay_alu instid0(VALU_DEP_1) | instskip(SKIP_1) | instid1(VALU_DEP_2)
	v_sub_f32_e32 v40, v34, v35
	v_sub_f32_e32 v38, v35, v38
	v_sub_f32_e32 v34, v34, v40
	s_delay_alu instid0(VALU_DEP_1) | instskip(NEXT) | instid1(VALU_DEP_3)
	v_sub_f32_e32 v34, v34, v35
	v_sub_f32_e32 v35, v38, v37
	s_delay_alu instid0(VALU_DEP_2) | instskip(SKIP_1) | instid1(VALU_DEP_2)
	v_add_f32_e32 v31, v31, v34
	v_add_f32_e32 v34, v39, v36
	;; [unrolled: 1-line block ×3, first 2 shown]
	s_delay_alu instid0(VALU_DEP_2) | instskip(NEXT) | instid1(VALU_DEP_2)
	v_sub_f32_e32 v35, v34, v39
	v_add_f32_e32 v31, v40, v31
	s_delay_alu instid0(VALU_DEP_2) | instskip(NEXT) | instid1(VALU_DEP_2)
	v_sub_f32_e32 v35, v36, v35
	v_mul_f32_e32 v31, v33, v31
	s_delay_alu instid0(VALU_DEP_1) | instskip(NEXT) | instid1(VALU_DEP_1)
	v_add_f32_e32 v31, v35, v31
	v_add_f32_e32 v33, v34, v31
	s_delay_alu instid0(VALU_DEP_1) | instskip(SKIP_1) | instid1(VALU_DEP_1)
	v_mul_f32_e32 v35, v33, v33
	s_wait_alu 0xfffe
	v_fmaak_f32 v36, s25, v35, 0x3ecc95a3
	v_mul_f32_e32 v37, v33, v35
	v_cmp_neq_f32_e64 s25, 0x7f800000, v32
	s_delay_alu instid0(VALU_DEP_3) | instskip(SKIP_2) | instid1(VALU_DEP_3)
	v_fmaak_f32 v35, v35, v36, 0x3f2aaada
	v_ldexp_f32 v36, v33, 1
	v_sub_f32_e32 v33, v33, v34
	v_mul_f32_e32 v35, v37, v35
	v_mul_f32_e32 v37, 0x3f317218, v30
	s_delay_alu instid0(VALU_DEP_2) | instskip(NEXT) | instid1(VALU_DEP_1)
	v_dual_sub_f32 v31, v31, v33 :: v_dual_add_f32 v34, v36, v35
	v_ldexp_f32 v31, v31, 1
	s_delay_alu instid0(VALU_DEP_2) | instskip(NEXT) | instid1(VALU_DEP_4)
	v_sub_f32_e32 v33, v34, v36
	v_fma_f32 v36, 0x3f317218, v30, -v37
	s_delay_alu instid0(VALU_DEP_1) | instskip(NEXT) | instid1(VALU_DEP_1)
	v_dual_sub_f32 v33, v35, v33 :: v_dual_fmamk_f32 v30, v30, 0xb102e308, v36
	v_add_f32_e32 v31, v31, v33
	s_delay_alu instid0(VALU_DEP_2) | instskip(NEXT) | instid1(VALU_DEP_2)
	v_add_f32_e32 v33, v37, v30
	v_add_f32_e32 v35, v34, v31
	s_delay_alu instid0(VALU_DEP_2) | instskip(NEXT) | instid1(VALU_DEP_2)
	v_sub_f32_e32 v37, v33, v37
	v_add_f32_e32 v36, v33, v35
	v_sub_f32_e32 v34, v35, v34
	s_delay_alu instid0(VALU_DEP_3) | instskip(NEXT) | instid1(VALU_DEP_2)
	v_sub_f32_e32 v30, v30, v37
	v_dual_sub_f32 v38, v36, v33 :: v_dual_sub_f32 v31, v31, v34
	s_delay_alu instid0(VALU_DEP_1) | instskip(NEXT) | instid1(VALU_DEP_2)
	v_sub_f32_e32 v39, v36, v38
	v_dual_sub_f32 v34, v35, v38 :: v_dual_add_f32 v35, v30, v31
	s_delay_alu instid0(VALU_DEP_2) | instskip(NEXT) | instid1(VALU_DEP_1)
	v_sub_f32_e32 v33, v33, v39
	v_dual_add_f32 v33, v34, v33 :: v_dual_sub_f32 v34, v35, v30
	s_delay_alu instid0(VALU_DEP_1) | instskip(NEXT) | instid1(VALU_DEP_2)
	v_add_f32_e32 v33, v35, v33
	v_sub_f32_e32 v35, v35, v34
	v_sub_f32_e32 v31, v31, v34
	s_delay_alu instid0(VALU_DEP_2) | instskip(NEXT) | instid1(VALU_DEP_1)
	v_dual_add_f32 v37, v36, v33 :: v_dual_sub_f32 v30, v30, v35
	v_sub_f32_e32 v34, v37, v36
	s_delay_alu instid0(VALU_DEP_2) | instskip(NEXT) | instid1(VALU_DEP_2)
	v_add_f32_e32 v30, v31, v30
	v_sub_f32_e32 v31, v33, v34
	s_delay_alu instid0(VALU_DEP_1) | instskip(NEXT) | instid1(VALU_DEP_1)
	v_add_f32_e32 v30, v30, v31
	v_add_f32_e32 v30, v37, v30
	s_wait_alu 0xf1ff
	s_delay_alu instid0(VALU_DEP_1) | instskip(SKIP_2) | instid1(VALU_DEP_1)
	v_cndmask_b32_e64 v30, 0x7f800000, v30, s25
	v_cmp_gt_f32_e64 s25, 0x33800000, |v32|
	s_wait_alu 0xf1ff
	v_cndmask_b32_e64 v30, v30, v32, s25
	s_delay_alu instid0(VALU_DEP_1)
	v_add_f32_e32 v30, v29, v30
.LBB517_46:
	s_or_b32 exec_lo, exec_lo, s26
	s_delay_alu instid0(VALU_DEP_1)
	v_bfe_u32 v29, v30, 16, 1
	s_load_b64 s[26:27], s[0:1], 0x18
	v_lshrrev_b32_e32 v31, 4, v0
	v_cmp_o_f32_e64 s0, v30, v30
	s_mov_b32 s25, exec_lo
	v_add3_u32 v29, v30, v29, 0x7fff
	v_and_b32_e32 v31, 14, v31
	s_delay_alu instid0(VALU_DEP_2) | instskip(NEXT) | instid1(VALU_DEP_2)
	v_lshrrev_b32_e32 v29, 16, v29
	v_lshl_add_u32 v31, v0, 1, v31
	s_delay_alu instid0(VALU_DEP_2)
	v_cndmask_b32_e64 v30, 0x7fc0, v29, s0
	ds_store_b16 v31, v30
	s_wait_loadcnt_dscnt 0x0
	s_barrier_signal -1
	s_barrier_wait -1
	global_inv scope:SCOPE_SE
	v_cmpx_gt_u32_e32 32, v0
	s_cbranch_execz .LBB517_98
; %bb.47:
	v_lshrrev_b32_e32 v29, 1, v0
	v_lshlrev_b32_e32 v31, 4, v0
	s_delay_alu instid0(VALU_DEP_2) | instskip(NEXT) | instid1(VALU_DEP_1)
	v_and_b32_e32 v29, 0x7e, v29
	v_add_nc_u32_e32 v29, v29, v31
	ds_load_u16 v31, v29 offset:2
	ds_load_u16 v32, v29
	s_wait_dscnt 0x1
	v_lshlrev_b32_e32 v33, 16, v31
	s_wait_dscnt 0x0
	s_delay_alu instid0(VALU_DEP_1) | instskip(NEXT) | instid1(VALU_DEP_1)
	v_dual_max_num_f32 v34, v33, v33 :: v_dual_lshlrev_b32 v31, 16, v32
	v_max_num_f32_e32 v32, v31, v31
	v_cmp_u_f32_e64 s0, v31, v31
	v_cmp_u_f32_e64 s1, v33, v33
	s_delay_alu instid0(VALU_DEP_3) | instskip(SKIP_2) | instid1(VALU_DEP_2)
	v_min_num_f32_e32 v35, v32, v34
	v_max_num_f32_e32 v34, v32, v34
	s_wait_alu 0xf1ff
	v_cndmask_b32_e64 v35, v35, v31, s0
	s_delay_alu instid0(VALU_DEP_2) | instskip(NEXT) | instid1(VALU_DEP_2)
	v_cndmask_b32_e64 v34, v34, v31, s0
	v_cndmask_b32_e64 v35, v35, v33, s1
	s_delay_alu instid0(VALU_DEP_2) | instskip(SKIP_1) | instid1(VALU_DEP_3)
	v_cndmask_b32_e64 v33, v34, v33, s1
	v_mov_b32_e32 v34, v31
	v_cmp_class_f32_e64 s28, v35, 0x1f8
	s_delay_alu instid0(VALU_DEP_3)
	v_cmp_neq_f32_e64 s1, v35, v33
	s_or_b32 s1, s1, s28
	s_wait_alu 0xfffe
	s_and_saveexec_b32 s28, s1
	s_cbranch_execz .LBB517_49
; %bb.48:
	v_sub_f32_e32 v34, v35, v33
	s_delay_alu instid0(VALU_DEP_1) | instskip(SKIP_1) | instid1(VALU_DEP_2)
	v_mul_f32_e32 v35, 0x3fb8aa3b, v34
	v_cmp_ngt_f32_e64 s1, 0xc2ce8ed0, v34
	v_fma_f32 v36, 0x3fb8aa3b, v34, -v35
	v_rndne_f32_e32 v37, v35
	s_delay_alu instid0(VALU_DEP_1) | instskip(NEXT) | instid1(VALU_DEP_1)
	v_dual_fmamk_f32 v36, v34, 0x32a5705f, v36 :: v_dual_sub_f32 v35, v35, v37
	v_add_f32_e32 v35, v35, v36
	v_cvt_i32_f32_e32 v36, v37
	s_delay_alu instid0(VALU_DEP_2) | instskip(NEXT) | instid1(TRANS32_DEP_1)
	v_exp_f32_e32 v35, v35
	v_ldexp_f32 v35, v35, v36
	s_wait_alu 0xf1ff
	s_delay_alu instid0(VALU_DEP_1) | instskip(SKIP_2) | instid1(VALU_DEP_1)
	v_cndmask_b32_e64 v35, 0, v35, s1
	v_cmp_nlt_f32_e64 s1, 0x42b17218, v34
	s_wait_alu 0xf1ff
	v_cndmask_b32_e64 v36, 0x7f800000, v35, s1
	s_delay_alu instid0(VALU_DEP_1) | instskip(NEXT) | instid1(VALU_DEP_1)
	v_add_f32_e32 v37, 1.0, v36
	v_cvt_f64_f32_e32 v[34:35], v37
	s_delay_alu instid0(VALU_DEP_1) | instskip(SKIP_1) | instid1(VALU_DEP_1)
	v_frexp_exp_i32_f64_e32 v34, v[34:35]
	v_frexp_mant_f32_e32 v35, v37
	v_cmp_gt_f32_e64 s1, 0x3f2aaaab, v35
	v_add_f32_e32 v35, -1.0, v37
	s_delay_alu instid0(VALU_DEP_1)
	v_sub_f32_e32 v39, v35, v37
	v_sub_f32_e32 v35, v36, v35
	s_wait_alu 0xf1ff
	v_subrev_co_ci_u32_e64 v34, null, 0, v34, s1
	s_mov_b32 s1, 0x3e9b6dac
	v_sub_nc_u32_e32 v38, 0, v34
	v_cvt_f32_i32_e32 v34, v34
	s_delay_alu instid0(VALU_DEP_2) | instskip(NEXT) | instid1(VALU_DEP_1)
	v_ldexp_f32 v37, v37, v38
	v_dual_add_f32 v40, 1.0, v37 :: v_dual_add_f32 v39, 1.0, v39
	s_delay_alu instid0(VALU_DEP_1) | instskip(NEXT) | instid1(VALU_DEP_2)
	v_add_f32_e32 v35, v35, v39
	v_add_f32_e32 v39, -1.0, v40
	s_delay_alu instid0(VALU_DEP_2) | instskip(NEXT) | instid1(VALU_DEP_2)
	v_ldexp_f32 v35, v35, v38
	v_dual_add_f32 v38, -1.0, v37 :: v_dual_sub_f32 v39, v37, v39
	s_delay_alu instid0(VALU_DEP_1) | instskip(NEXT) | instid1(VALU_DEP_2)
	v_add_f32_e32 v41, 1.0, v38
	v_add_f32_e32 v39, v35, v39
	s_delay_alu instid0(VALU_DEP_2) | instskip(NEXT) | instid1(VALU_DEP_2)
	v_sub_f32_e32 v37, v37, v41
	v_add_f32_e32 v41, v40, v39
	s_delay_alu instid0(VALU_DEP_2) | instskip(NEXT) | instid1(VALU_DEP_2)
	v_add_f32_e32 v35, v35, v37
	v_rcp_f32_e32 v37, v41
	v_sub_f32_e32 v40, v40, v41
	s_delay_alu instid0(VALU_DEP_1) | instskip(NEXT) | instid1(VALU_DEP_1)
	v_dual_add_f32 v42, v38, v35 :: v_dual_add_f32 v39, v39, v40
	v_sub_f32_e32 v38, v38, v42
	s_delay_alu instid0(TRANS32_DEP_1) | instskip(NEXT) | instid1(VALU_DEP_1)
	v_mul_f32_e32 v43, v42, v37
	v_dual_add_f32 v35, v35, v38 :: v_dual_mul_f32 v44, v41, v43
	s_delay_alu instid0(VALU_DEP_1) | instskip(NEXT) | instid1(VALU_DEP_1)
	v_fma_f32 v40, v43, v41, -v44
	v_fmac_f32_e32 v40, v43, v39
	s_delay_alu instid0(VALU_DEP_1) | instskip(NEXT) | instid1(VALU_DEP_1)
	v_add_f32_e32 v45, v44, v40
	v_sub_f32_e32 v46, v42, v45
	v_sub_f32_e32 v38, v45, v44
	s_delay_alu instid0(VALU_DEP_2) | instskip(NEXT) | instid1(VALU_DEP_2)
	v_sub_f32_e32 v42, v42, v46
	v_sub_f32_e32 v38, v38, v40
	s_delay_alu instid0(VALU_DEP_2) | instskip(NEXT) | instid1(VALU_DEP_1)
	v_sub_f32_e32 v42, v42, v45
	v_add_f32_e32 v35, v35, v42
	s_delay_alu instid0(VALU_DEP_1) | instskip(NEXT) | instid1(VALU_DEP_1)
	v_add_f32_e32 v35, v38, v35
	v_add_f32_e32 v38, v46, v35
	s_delay_alu instid0(VALU_DEP_1) | instskip(NEXT) | instid1(VALU_DEP_1)
	v_mul_f32_e32 v40, v37, v38
	v_dual_sub_f32 v45, v46, v38 :: v_dual_mul_f32 v42, v41, v40
	s_delay_alu instid0(VALU_DEP_1) | instskip(NEXT) | instid1(VALU_DEP_2)
	v_add_f32_e32 v35, v35, v45
	v_fma_f32 v41, v40, v41, -v42
	s_delay_alu instid0(VALU_DEP_1) | instskip(NEXT) | instid1(VALU_DEP_1)
	v_fmac_f32_e32 v41, v40, v39
	v_add_f32_e32 v39, v42, v41
	s_delay_alu instid0(VALU_DEP_1) | instskip(SKIP_1) | instid1(VALU_DEP_2)
	v_sub_f32_e32 v44, v38, v39
	v_sub_f32_e32 v42, v39, v42
	;; [unrolled: 1-line block ×3, first 2 shown]
	s_delay_alu instid0(VALU_DEP_1) | instskip(NEXT) | instid1(VALU_DEP_3)
	v_sub_f32_e32 v38, v38, v39
	v_sub_f32_e32 v39, v42, v41
	s_delay_alu instid0(VALU_DEP_2) | instskip(SKIP_1) | instid1(VALU_DEP_2)
	v_add_f32_e32 v35, v35, v38
	v_add_f32_e32 v38, v43, v40
	;; [unrolled: 1-line block ×3, first 2 shown]
	s_delay_alu instid0(VALU_DEP_2) | instskip(NEXT) | instid1(VALU_DEP_2)
	v_sub_f32_e32 v39, v38, v43
	v_add_f32_e32 v35, v44, v35
	s_delay_alu instid0(VALU_DEP_2) | instskip(NEXT) | instid1(VALU_DEP_2)
	v_sub_f32_e32 v39, v40, v39
	v_mul_f32_e32 v35, v37, v35
	s_delay_alu instid0(VALU_DEP_1) | instskip(NEXT) | instid1(VALU_DEP_1)
	v_add_f32_e32 v35, v39, v35
	v_add_f32_e32 v37, v38, v35
	s_delay_alu instid0(VALU_DEP_1) | instskip(SKIP_1) | instid1(VALU_DEP_1)
	v_mul_f32_e32 v39, v37, v37
	s_wait_alu 0xfffe
	v_fmaak_f32 v40, s1, v39, 0x3ecc95a3
	v_mul_f32_e32 v41, v37, v39
	v_cmp_neq_f32_e64 s1, 0x7f800000, v36
	s_delay_alu instid0(VALU_DEP_3) | instskip(SKIP_2) | instid1(VALU_DEP_3)
	v_fmaak_f32 v39, v39, v40, 0x3f2aaada
	v_ldexp_f32 v40, v37, 1
	v_sub_f32_e32 v37, v37, v38
	v_mul_f32_e32 v39, v41, v39
	v_mul_f32_e32 v41, 0x3f317218, v34
	s_delay_alu instid0(VALU_DEP_2) | instskip(NEXT) | instid1(VALU_DEP_1)
	v_dual_sub_f32 v35, v35, v37 :: v_dual_add_f32 v38, v40, v39
	v_ldexp_f32 v35, v35, 1
	s_delay_alu instid0(VALU_DEP_2) | instskip(NEXT) | instid1(VALU_DEP_4)
	v_sub_f32_e32 v37, v38, v40
	v_fma_f32 v40, 0x3f317218, v34, -v41
	s_delay_alu instid0(VALU_DEP_1) | instskip(NEXT) | instid1(VALU_DEP_1)
	v_dual_sub_f32 v37, v39, v37 :: v_dual_fmamk_f32 v34, v34, 0xb102e308, v40
	v_add_f32_e32 v35, v35, v37
	s_delay_alu instid0(VALU_DEP_2) | instskip(NEXT) | instid1(VALU_DEP_2)
	v_add_f32_e32 v37, v41, v34
	v_add_f32_e32 v39, v38, v35
	s_delay_alu instid0(VALU_DEP_2) | instskip(NEXT) | instid1(VALU_DEP_2)
	v_sub_f32_e32 v41, v37, v41
	v_add_f32_e32 v40, v37, v39
	v_sub_f32_e32 v38, v39, v38
	s_delay_alu instid0(VALU_DEP_3) | instskip(NEXT) | instid1(VALU_DEP_2)
	v_sub_f32_e32 v34, v34, v41
	v_dual_sub_f32 v42, v40, v37 :: v_dual_sub_f32 v35, v35, v38
	s_delay_alu instid0(VALU_DEP_1) | instskip(NEXT) | instid1(VALU_DEP_2)
	v_sub_f32_e32 v43, v40, v42
	v_dual_sub_f32 v38, v39, v42 :: v_dual_add_f32 v39, v34, v35
	s_delay_alu instid0(VALU_DEP_2) | instskip(NEXT) | instid1(VALU_DEP_1)
	v_sub_f32_e32 v37, v37, v43
	v_dual_add_f32 v37, v38, v37 :: v_dual_sub_f32 v38, v39, v34
	s_delay_alu instid0(VALU_DEP_1) | instskip(NEXT) | instid1(VALU_DEP_2)
	v_add_f32_e32 v37, v39, v37
	v_sub_f32_e32 v39, v39, v38
	v_sub_f32_e32 v35, v35, v38
	s_delay_alu instid0(VALU_DEP_2) | instskip(NEXT) | instid1(VALU_DEP_1)
	v_dual_add_f32 v41, v40, v37 :: v_dual_sub_f32 v34, v34, v39
	v_sub_f32_e32 v38, v41, v40
	s_delay_alu instid0(VALU_DEP_2) | instskip(NEXT) | instid1(VALU_DEP_2)
	v_add_f32_e32 v34, v35, v34
	v_sub_f32_e32 v35, v37, v38
	s_delay_alu instid0(VALU_DEP_1) | instskip(NEXT) | instid1(VALU_DEP_1)
	v_add_f32_e32 v34, v34, v35
	v_add_f32_e32 v34, v41, v34
	s_wait_alu 0xf1ff
	s_delay_alu instid0(VALU_DEP_1) | instskip(SKIP_2) | instid1(VALU_DEP_1)
	v_cndmask_b32_e64 v34, 0x7f800000, v34, s1
	v_cmp_gt_f32_e64 s1, 0x33800000, |v36|
	s_wait_alu 0xf1ff
	v_cndmask_b32_e64 v34, v34, v36, s1
	s_delay_alu instid0(VALU_DEP_1)
	v_add_f32_e32 v34, v33, v34
.LBB517_49:
	s_or_b32 exec_lo, exec_lo, s28
	ds_load_u16 v33, v29 offset:4
	v_bfe_u32 v35, v34, 16, 1
	v_cmp_o_f32_e64 s1, v34, v34
	s_delay_alu instid0(VALU_DEP_2) | instskip(SKIP_2) | instid1(VALU_DEP_1)
	v_add3_u32 v35, v34, v35, 0x7fff
	s_wait_dscnt 0x0
	v_lshlrev_b32_e32 v33, 16, v33
	v_dual_max_num_f32 v36, v33, v33 :: v_dual_and_b32 v35, 0xffff0000, v35
	s_wait_alu 0xf1ff
	s_delay_alu instid0(VALU_DEP_1) | instskip(NEXT) | instid1(VALU_DEP_1)
	v_cndmask_b32_e64 v34, 0x7fc00000, v35, s1
	v_max_num_f32_e32 v35, v34, v34
	v_cmp_u_f32_e64 s1, v34, v34
	s_delay_alu instid0(VALU_DEP_2) | instskip(SKIP_2) | instid1(VALU_DEP_2)
	v_min_num_f32_e32 v37, v35, v36
	v_max_num_f32_e32 v35, v35, v36
	s_wait_alu 0xf1ff
	v_cndmask_b32_e64 v36, v37, v34, s1
	s_delay_alu instid0(VALU_DEP_2) | instskip(SKIP_2) | instid1(VALU_DEP_1)
	v_cndmask_b32_e64 v37, v35, v34, s1
	v_cmp_u_f32_e64 s1, v33, v33
	s_wait_alu 0xf1ff
	v_cndmask_b32_e64 v35, v36, v33, s1
	s_delay_alu instid0(VALU_DEP_3) | instskip(NEXT) | instid1(VALU_DEP_2)
	v_cndmask_b32_e64 v33, v37, v33, s1
	v_cmp_class_f32_e64 s28, v35, 0x1f8
	s_delay_alu instid0(VALU_DEP_2)
	v_cmp_neq_f32_e64 s1, v35, v33
	s_or_b32 s1, s1, s28
	s_wait_alu 0xfffe
	s_and_saveexec_b32 s28, s1
	s_cbranch_execz .LBB517_51
; %bb.50:
	v_sub_f32_e32 v34, v35, v33
	s_delay_alu instid0(VALU_DEP_1) | instskip(SKIP_1) | instid1(VALU_DEP_2)
	v_mul_f32_e32 v35, 0x3fb8aa3b, v34
	v_cmp_ngt_f32_e64 s1, 0xc2ce8ed0, v34
	v_fma_f32 v36, 0x3fb8aa3b, v34, -v35
	v_rndne_f32_e32 v37, v35
	s_delay_alu instid0(VALU_DEP_1) | instskip(NEXT) | instid1(VALU_DEP_1)
	v_dual_fmamk_f32 v36, v34, 0x32a5705f, v36 :: v_dual_sub_f32 v35, v35, v37
	v_add_f32_e32 v35, v35, v36
	v_cvt_i32_f32_e32 v36, v37
	s_delay_alu instid0(VALU_DEP_2) | instskip(NEXT) | instid1(TRANS32_DEP_1)
	v_exp_f32_e32 v35, v35
	v_ldexp_f32 v35, v35, v36
	s_wait_alu 0xf1ff
	s_delay_alu instid0(VALU_DEP_1) | instskip(SKIP_2) | instid1(VALU_DEP_1)
	v_cndmask_b32_e64 v35, 0, v35, s1
	v_cmp_nlt_f32_e64 s1, 0x42b17218, v34
	s_wait_alu 0xf1ff
	v_cndmask_b32_e64 v36, 0x7f800000, v35, s1
	s_delay_alu instid0(VALU_DEP_1) | instskip(NEXT) | instid1(VALU_DEP_1)
	v_add_f32_e32 v37, 1.0, v36
	v_cvt_f64_f32_e32 v[34:35], v37
	s_delay_alu instid0(VALU_DEP_1) | instskip(SKIP_1) | instid1(VALU_DEP_1)
	v_frexp_exp_i32_f64_e32 v34, v[34:35]
	v_frexp_mant_f32_e32 v35, v37
	v_cmp_gt_f32_e64 s1, 0x3f2aaaab, v35
	v_add_f32_e32 v35, -1.0, v37
	s_delay_alu instid0(VALU_DEP_1)
	v_sub_f32_e32 v39, v35, v37
	v_sub_f32_e32 v35, v36, v35
	s_wait_alu 0xf1ff
	v_subrev_co_ci_u32_e64 v34, null, 0, v34, s1
	s_mov_b32 s1, 0x3e9b6dac
	v_sub_nc_u32_e32 v38, 0, v34
	v_cvt_f32_i32_e32 v34, v34
	s_delay_alu instid0(VALU_DEP_2) | instskip(NEXT) | instid1(VALU_DEP_1)
	v_ldexp_f32 v37, v37, v38
	v_dual_add_f32 v40, 1.0, v37 :: v_dual_add_f32 v39, 1.0, v39
	s_delay_alu instid0(VALU_DEP_1) | instskip(NEXT) | instid1(VALU_DEP_2)
	v_add_f32_e32 v35, v35, v39
	v_add_f32_e32 v39, -1.0, v40
	s_delay_alu instid0(VALU_DEP_2) | instskip(NEXT) | instid1(VALU_DEP_2)
	v_ldexp_f32 v35, v35, v38
	v_dual_add_f32 v38, -1.0, v37 :: v_dual_sub_f32 v39, v37, v39
	s_delay_alu instid0(VALU_DEP_1) | instskip(NEXT) | instid1(VALU_DEP_2)
	v_add_f32_e32 v41, 1.0, v38
	v_add_f32_e32 v39, v35, v39
	s_delay_alu instid0(VALU_DEP_2) | instskip(NEXT) | instid1(VALU_DEP_2)
	v_sub_f32_e32 v37, v37, v41
	v_add_f32_e32 v41, v40, v39
	s_delay_alu instid0(VALU_DEP_2) | instskip(NEXT) | instid1(VALU_DEP_2)
	v_add_f32_e32 v35, v35, v37
	v_rcp_f32_e32 v37, v41
	v_sub_f32_e32 v40, v40, v41
	s_delay_alu instid0(VALU_DEP_1) | instskip(NEXT) | instid1(VALU_DEP_1)
	v_dual_add_f32 v42, v38, v35 :: v_dual_add_f32 v39, v39, v40
	v_sub_f32_e32 v38, v38, v42
	s_delay_alu instid0(TRANS32_DEP_1) | instskip(NEXT) | instid1(VALU_DEP_1)
	v_mul_f32_e32 v43, v42, v37
	v_dual_add_f32 v35, v35, v38 :: v_dual_mul_f32 v44, v41, v43
	s_delay_alu instid0(VALU_DEP_1) | instskip(NEXT) | instid1(VALU_DEP_1)
	v_fma_f32 v40, v43, v41, -v44
	v_fmac_f32_e32 v40, v43, v39
	s_delay_alu instid0(VALU_DEP_1) | instskip(NEXT) | instid1(VALU_DEP_1)
	v_add_f32_e32 v45, v44, v40
	v_sub_f32_e32 v46, v42, v45
	v_sub_f32_e32 v38, v45, v44
	s_delay_alu instid0(VALU_DEP_2) | instskip(NEXT) | instid1(VALU_DEP_2)
	v_sub_f32_e32 v42, v42, v46
	v_sub_f32_e32 v38, v38, v40
	s_delay_alu instid0(VALU_DEP_2) | instskip(NEXT) | instid1(VALU_DEP_1)
	v_sub_f32_e32 v42, v42, v45
	v_add_f32_e32 v35, v35, v42
	s_delay_alu instid0(VALU_DEP_1) | instskip(NEXT) | instid1(VALU_DEP_1)
	v_add_f32_e32 v35, v38, v35
	v_add_f32_e32 v38, v46, v35
	s_delay_alu instid0(VALU_DEP_1) | instskip(NEXT) | instid1(VALU_DEP_1)
	v_mul_f32_e32 v40, v37, v38
	v_dual_sub_f32 v45, v46, v38 :: v_dual_mul_f32 v42, v41, v40
	s_delay_alu instid0(VALU_DEP_1) | instskip(NEXT) | instid1(VALU_DEP_2)
	v_add_f32_e32 v35, v35, v45
	v_fma_f32 v41, v40, v41, -v42
	s_delay_alu instid0(VALU_DEP_1) | instskip(NEXT) | instid1(VALU_DEP_1)
	v_fmac_f32_e32 v41, v40, v39
	v_add_f32_e32 v39, v42, v41
	s_delay_alu instid0(VALU_DEP_1) | instskip(SKIP_1) | instid1(VALU_DEP_2)
	v_sub_f32_e32 v44, v38, v39
	v_sub_f32_e32 v42, v39, v42
	;; [unrolled: 1-line block ×3, first 2 shown]
	s_delay_alu instid0(VALU_DEP_1) | instskip(NEXT) | instid1(VALU_DEP_3)
	v_sub_f32_e32 v38, v38, v39
	v_sub_f32_e32 v39, v42, v41
	s_delay_alu instid0(VALU_DEP_2) | instskip(SKIP_1) | instid1(VALU_DEP_2)
	v_add_f32_e32 v35, v35, v38
	v_add_f32_e32 v38, v43, v40
	;; [unrolled: 1-line block ×3, first 2 shown]
	s_delay_alu instid0(VALU_DEP_2) | instskip(NEXT) | instid1(VALU_DEP_2)
	v_sub_f32_e32 v39, v38, v43
	v_add_f32_e32 v35, v44, v35
	s_delay_alu instid0(VALU_DEP_2) | instskip(NEXT) | instid1(VALU_DEP_2)
	v_sub_f32_e32 v39, v40, v39
	v_mul_f32_e32 v35, v37, v35
	s_delay_alu instid0(VALU_DEP_1) | instskip(NEXT) | instid1(VALU_DEP_1)
	v_add_f32_e32 v35, v39, v35
	v_add_f32_e32 v37, v38, v35
	s_delay_alu instid0(VALU_DEP_1) | instskip(SKIP_1) | instid1(VALU_DEP_1)
	v_mul_f32_e32 v39, v37, v37
	s_wait_alu 0xfffe
	v_fmaak_f32 v40, s1, v39, 0x3ecc95a3
	v_mul_f32_e32 v41, v37, v39
	v_cmp_neq_f32_e64 s1, 0x7f800000, v36
	s_delay_alu instid0(VALU_DEP_3) | instskip(SKIP_2) | instid1(VALU_DEP_3)
	v_fmaak_f32 v39, v39, v40, 0x3f2aaada
	v_ldexp_f32 v40, v37, 1
	v_sub_f32_e32 v37, v37, v38
	v_mul_f32_e32 v39, v41, v39
	v_mul_f32_e32 v41, 0x3f317218, v34
	s_delay_alu instid0(VALU_DEP_2) | instskip(NEXT) | instid1(VALU_DEP_1)
	v_dual_sub_f32 v35, v35, v37 :: v_dual_add_f32 v38, v40, v39
	v_ldexp_f32 v35, v35, 1
	s_delay_alu instid0(VALU_DEP_2) | instskip(NEXT) | instid1(VALU_DEP_4)
	v_sub_f32_e32 v37, v38, v40
	v_fma_f32 v40, 0x3f317218, v34, -v41
	s_delay_alu instid0(VALU_DEP_1) | instskip(NEXT) | instid1(VALU_DEP_1)
	v_dual_sub_f32 v37, v39, v37 :: v_dual_fmamk_f32 v34, v34, 0xb102e308, v40
	v_add_f32_e32 v35, v35, v37
	s_delay_alu instid0(VALU_DEP_2) | instskip(NEXT) | instid1(VALU_DEP_2)
	v_add_f32_e32 v37, v41, v34
	v_add_f32_e32 v39, v38, v35
	s_delay_alu instid0(VALU_DEP_2) | instskip(NEXT) | instid1(VALU_DEP_2)
	v_sub_f32_e32 v41, v37, v41
	v_add_f32_e32 v40, v37, v39
	v_sub_f32_e32 v38, v39, v38
	s_delay_alu instid0(VALU_DEP_3) | instskip(NEXT) | instid1(VALU_DEP_2)
	v_sub_f32_e32 v34, v34, v41
	v_dual_sub_f32 v42, v40, v37 :: v_dual_sub_f32 v35, v35, v38
	s_delay_alu instid0(VALU_DEP_1) | instskip(NEXT) | instid1(VALU_DEP_2)
	v_sub_f32_e32 v43, v40, v42
	v_dual_sub_f32 v38, v39, v42 :: v_dual_add_f32 v39, v34, v35
	s_delay_alu instid0(VALU_DEP_2) | instskip(NEXT) | instid1(VALU_DEP_1)
	v_sub_f32_e32 v37, v37, v43
	v_dual_add_f32 v37, v38, v37 :: v_dual_sub_f32 v38, v39, v34
	s_delay_alu instid0(VALU_DEP_1) | instskip(NEXT) | instid1(VALU_DEP_2)
	v_add_f32_e32 v37, v39, v37
	v_sub_f32_e32 v39, v39, v38
	v_sub_f32_e32 v35, v35, v38
	s_delay_alu instid0(VALU_DEP_2) | instskip(NEXT) | instid1(VALU_DEP_1)
	v_dual_add_f32 v41, v40, v37 :: v_dual_sub_f32 v34, v34, v39
	v_sub_f32_e32 v38, v41, v40
	s_delay_alu instid0(VALU_DEP_2) | instskip(NEXT) | instid1(VALU_DEP_2)
	v_add_f32_e32 v34, v35, v34
	v_sub_f32_e32 v35, v37, v38
	s_delay_alu instid0(VALU_DEP_1) | instskip(NEXT) | instid1(VALU_DEP_1)
	v_add_f32_e32 v34, v34, v35
	v_add_f32_e32 v34, v41, v34
	s_wait_alu 0xf1ff
	s_delay_alu instid0(VALU_DEP_1) | instskip(SKIP_2) | instid1(VALU_DEP_1)
	v_cndmask_b32_e64 v34, 0x7f800000, v34, s1
	v_cmp_gt_f32_e64 s1, 0x33800000, |v36|
	s_wait_alu 0xf1ff
	v_cndmask_b32_e64 v34, v34, v36, s1
	s_delay_alu instid0(VALU_DEP_1)
	v_add_f32_e32 v34, v33, v34
.LBB517_51:
	s_or_b32 exec_lo, exec_lo, s28
	ds_load_u16 v33, v29 offset:6
	v_bfe_u32 v35, v34, 16, 1
	v_cmp_o_f32_e64 s1, v34, v34
	s_delay_alu instid0(VALU_DEP_2) | instskip(SKIP_2) | instid1(VALU_DEP_1)
	v_add3_u32 v35, v34, v35, 0x7fff
	s_wait_dscnt 0x0
	v_lshlrev_b32_e32 v33, 16, v33
	v_dual_max_num_f32 v36, v33, v33 :: v_dual_and_b32 v35, 0xffff0000, v35
	s_wait_alu 0xf1ff
	s_delay_alu instid0(VALU_DEP_1) | instskip(NEXT) | instid1(VALU_DEP_1)
	v_cndmask_b32_e64 v34, 0x7fc00000, v35, s1
	v_max_num_f32_e32 v35, v34, v34
	v_cmp_u_f32_e64 s1, v34, v34
	s_delay_alu instid0(VALU_DEP_2) | instskip(SKIP_2) | instid1(VALU_DEP_2)
	v_min_num_f32_e32 v37, v35, v36
	v_max_num_f32_e32 v35, v35, v36
	s_wait_alu 0xf1ff
	v_cndmask_b32_e64 v36, v37, v34, s1
	s_delay_alu instid0(VALU_DEP_2) | instskip(SKIP_2) | instid1(VALU_DEP_1)
	v_cndmask_b32_e64 v37, v35, v34, s1
	v_cmp_u_f32_e64 s1, v33, v33
	s_wait_alu 0xf1ff
	v_cndmask_b32_e64 v35, v36, v33, s1
	s_delay_alu instid0(VALU_DEP_3) | instskip(NEXT) | instid1(VALU_DEP_2)
	v_cndmask_b32_e64 v33, v37, v33, s1
	v_cmp_class_f32_e64 s28, v35, 0x1f8
	s_delay_alu instid0(VALU_DEP_2)
	v_cmp_neq_f32_e64 s1, v35, v33
	s_or_b32 s1, s1, s28
	s_wait_alu 0xfffe
	s_and_saveexec_b32 s28, s1
	s_cbranch_execz .LBB517_53
; %bb.52:
	v_sub_f32_e32 v34, v35, v33
	s_delay_alu instid0(VALU_DEP_1) | instskip(SKIP_1) | instid1(VALU_DEP_2)
	v_mul_f32_e32 v35, 0x3fb8aa3b, v34
	v_cmp_ngt_f32_e64 s1, 0xc2ce8ed0, v34
	v_fma_f32 v36, 0x3fb8aa3b, v34, -v35
	v_rndne_f32_e32 v37, v35
	s_delay_alu instid0(VALU_DEP_1) | instskip(NEXT) | instid1(VALU_DEP_1)
	v_dual_fmamk_f32 v36, v34, 0x32a5705f, v36 :: v_dual_sub_f32 v35, v35, v37
	v_add_f32_e32 v35, v35, v36
	v_cvt_i32_f32_e32 v36, v37
	s_delay_alu instid0(VALU_DEP_2) | instskip(NEXT) | instid1(TRANS32_DEP_1)
	v_exp_f32_e32 v35, v35
	v_ldexp_f32 v35, v35, v36
	s_wait_alu 0xf1ff
	s_delay_alu instid0(VALU_DEP_1) | instskip(SKIP_2) | instid1(VALU_DEP_1)
	v_cndmask_b32_e64 v35, 0, v35, s1
	v_cmp_nlt_f32_e64 s1, 0x42b17218, v34
	s_wait_alu 0xf1ff
	v_cndmask_b32_e64 v36, 0x7f800000, v35, s1
	s_delay_alu instid0(VALU_DEP_1) | instskip(NEXT) | instid1(VALU_DEP_1)
	v_add_f32_e32 v37, 1.0, v36
	v_cvt_f64_f32_e32 v[34:35], v37
	s_delay_alu instid0(VALU_DEP_1) | instskip(SKIP_1) | instid1(VALU_DEP_1)
	v_frexp_exp_i32_f64_e32 v34, v[34:35]
	v_frexp_mant_f32_e32 v35, v37
	v_cmp_gt_f32_e64 s1, 0x3f2aaaab, v35
	v_add_f32_e32 v35, -1.0, v37
	s_delay_alu instid0(VALU_DEP_1)
	v_sub_f32_e32 v39, v35, v37
	v_sub_f32_e32 v35, v36, v35
	s_wait_alu 0xf1ff
	v_subrev_co_ci_u32_e64 v34, null, 0, v34, s1
	s_mov_b32 s1, 0x3e9b6dac
	v_sub_nc_u32_e32 v38, 0, v34
	v_cvt_f32_i32_e32 v34, v34
	s_delay_alu instid0(VALU_DEP_2) | instskip(NEXT) | instid1(VALU_DEP_1)
	v_ldexp_f32 v37, v37, v38
	v_dual_add_f32 v40, 1.0, v37 :: v_dual_add_f32 v39, 1.0, v39
	s_delay_alu instid0(VALU_DEP_1) | instskip(NEXT) | instid1(VALU_DEP_2)
	v_add_f32_e32 v35, v35, v39
	v_add_f32_e32 v39, -1.0, v40
	s_delay_alu instid0(VALU_DEP_2) | instskip(NEXT) | instid1(VALU_DEP_2)
	v_ldexp_f32 v35, v35, v38
	v_dual_add_f32 v38, -1.0, v37 :: v_dual_sub_f32 v39, v37, v39
	s_delay_alu instid0(VALU_DEP_1) | instskip(NEXT) | instid1(VALU_DEP_2)
	v_add_f32_e32 v41, 1.0, v38
	v_add_f32_e32 v39, v35, v39
	s_delay_alu instid0(VALU_DEP_2) | instskip(NEXT) | instid1(VALU_DEP_2)
	v_sub_f32_e32 v37, v37, v41
	v_add_f32_e32 v41, v40, v39
	s_delay_alu instid0(VALU_DEP_2) | instskip(NEXT) | instid1(VALU_DEP_2)
	v_add_f32_e32 v35, v35, v37
	v_rcp_f32_e32 v37, v41
	v_sub_f32_e32 v40, v40, v41
	s_delay_alu instid0(VALU_DEP_1) | instskip(NEXT) | instid1(VALU_DEP_1)
	v_dual_add_f32 v42, v38, v35 :: v_dual_add_f32 v39, v39, v40
	v_sub_f32_e32 v38, v38, v42
	s_delay_alu instid0(TRANS32_DEP_1) | instskip(NEXT) | instid1(VALU_DEP_1)
	v_mul_f32_e32 v43, v42, v37
	v_dual_add_f32 v35, v35, v38 :: v_dual_mul_f32 v44, v41, v43
	s_delay_alu instid0(VALU_DEP_1) | instskip(NEXT) | instid1(VALU_DEP_1)
	v_fma_f32 v40, v43, v41, -v44
	v_fmac_f32_e32 v40, v43, v39
	s_delay_alu instid0(VALU_DEP_1) | instskip(NEXT) | instid1(VALU_DEP_1)
	v_add_f32_e32 v45, v44, v40
	v_sub_f32_e32 v46, v42, v45
	v_sub_f32_e32 v38, v45, v44
	s_delay_alu instid0(VALU_DEP_2) | instskip(NEXT) | instid1(VALU_DEP_2)
	v_sub_f32_e32 v42, v42, v46
	v_sub_f32_e32 v38, v38, v40
	s_delay_alu instid0(VALU_DEP_2) | instskip(NEXT) | instid1(VALU_DEP_1)
	v_sub_f32_e32 v42, v42, v45
	v_add_f32_e32 v35, v35, v42
	s_delay_alu instid0(VALU_DEP_1) | instskip(NEXT) | instid1(VALU_DEP_1)
	v_add_f32_e32 v35, v38, v35
	v_add_f32_e32 v38, v46, v35
	s_delay_alu instid0(VALU_DEP_1) | instskip(NEXT) | instid1(VALU_DEP_1)
	v_mul_f32_e32 v40, v37, v38
	v_dual_sub_f32 v45, v46, v38 :: v_dual_mul_f32 v42, v41, v40
	s_delay_alu instid0(VALU_DEP_1) | instskip(NEXT) | instid1(VALU_DEP_2)
	v_add_f32_e32 v35, v35, v45
	v_fma_f32 v41, v40, v41, -v42
	s_delay_alu instid0(VALU_DEP_1) | instskip(NEXT) | instid1(VALU_DEP_1)
	v_fmac_f32_e32 v41, v40, v39
	v_add_f32_e32 v39, v42, v41
	s_delay_alu instid0(VALU_DEP_1) | instskip(SKIP_1) | instid1(VALU_DEP_2)
	v_sub_f32_e32 v44, v38, v39
	v_sub_f32_e32 v42, v39, v42
	;; [unrolled: 1-line block ×3, first 2 shown]
	s_delay_alu instid0(VALU_DEP_1) | instskip(NEXT) | instid1(VALU_DEP_3)
	v_sub_f32_e32 v38, v38, v39
	v_sub_f32_e32 v39, v42, v41
	s_delay_alu instid0(VALU_DEP_2) | instskip(SKIP_1) | instid1(VALU_DEP_2)
	v_add_f32_e32 v35, v35, v38
	v_add_f32_e32 v38, v43, v40
	;; [unrolled: 1-line block ×3, first 2 shown]
	s_delay_alu instid0(VALU_DEP_2) | instskip(NEXT) | instid1(VALU_DEP_2)
	v_sub_f32_e32 v39, v38, v43
	v_add_f32_e32 v35, v44, v35
	s_delay_alu instid0(VALU_DEP_2) | instskip(NEXT) | instid1(VALU_DEP_2)
	v_sub_f32_e32 v39, v40, v39
	v_mul_f32_e32 v35, v37, v35
	s_delay_alu instid0(VALU_DEP_1) | instskip(NEXT) | instid1(VALU_DEP_1)
	v_add_f32_e32 v35, v39, v35
	v_add_f32_e32 v37, v38, v35
	s_delay_alu instid0(VALU_DEP_1) | instskip(SKIP_1) | instid1(VALU_DEP_1)
	v_mul_f32_e32 v39, v37, v37
	s_wait_alu 0xfffe
	v_fmaak_f32 v40, s1, v39, 0x3ecc95a3
	v_mul_f32_e32 v41, v37, v39
	v_cmp_neq_f32_e64 s1, 0x7f800000, v36
	s_delay_alu instid0(VALU_DEP_3) | instskip(SKIP_2) | instid1(VALU_DEP_3)
	v_fmaak_f32 v39, v39, v40, 0x3f2aaada
	v_ldexp_f32 v40, v37, 1
	v_sub_f32_e32 v37, v37, v38
	v_mul_f32_e32 v39, v41, v39
	v_mul_f32_e32 v41, 0x3f317218, v34
	s_delay_alu instid0(VALU_DEP_2) | instskip(NEXT) | instid1(VALU_DEP_1)
	v_dual_sub_f32 v35, v35, v37 :: v_dual_add_f32 v38, v40, v39
	v_ldexp_f32 v35, v35, 1
	s_delay_alu instid0(VALU_DEP_2) | instskip(NEXT) | instid1(VALU_DEP_4)
	v_sub_f32_e32 v37, v38, v40
	v_fma_f32 v40, 0x3f317218, v34, -v41
	s_delay_alu instid0(VALU_DEP_1) | instskip(NEXT) | instid1(VALU_DEP_1)
	v_dual_sub_f32 v37, v39, v37 :: v_dual_fmamk_f32 v34, v34, 0xb102e308, v40
	v_add_f32_e32 v35, v35, v37
	s_delay_alu instid0(VALU_DEP_2) | instskip(NEXT) | instid1(VALU_DEP_2)
	v_add_f32_e32 v37, v41, v34
	v_add_f32_e32 v39, v38, v35
	s_delay_alu instid0(VALU_DEP_2) | instskip(NEXT) | instid1(VALU_DEP_2)
	v_sub_f32_e32 v41, v37, v41
	v_add_f32_e32 v40, v37, v39
	v_sub_f32_e32 v38, v39, v38
	s_delay_alu instid0(VALU_DEP_3) | instskip(NEXT) | instid1(VALU_DEP_2)
	v_sub_f32_e32 v34, v34, v41
	v_dual_sub_f32 v42, v40, v37 :: v_dual_sub_f32 v35, v35, v38
	s_delay_alu instid0(VALU_DEP_1) | instskip(NEXT) | instid1(VALU_DEP_2)
	v_sub_f32_e32 v43, v40, v42
	v_dual_sub_f32 v38, v39, v42 :: v_dual_add_f32 v39, v34, v35
	s_delay_alu instid0(VALU_DEP_2) | instskip(NEXT) | instid1(VALU_DEP_1)
	v_sub_f32_e32 v37, v37, v43
	v_dual_add_f32 v37, v38, v37 :: v_dual_sub_f32 v38, v39, v34
	s_delay_alu instid0(VALU_DEP_1) | instskip(NEXT) | instid1(VALU_DEP_2)
	v_add_f32_e32 v37, v39, v37
	v_sub_f32_e32 v39, v39, v38
	v_sub_f32_e32 v35, v35, v38
	s_delay_alu instid0(VALU_DEP_2) | instskip(NEXT) | instid1(VALU_DEP_1)
	v_dual_add_f32 v41, v40, v37 :: v_dual_sub_f32 v34, v34, v39
	v_sub_f32_e32 v38, v41, v40
	s_delay_alu instid0(VALU_DEP_2) | instskip(NEXT) | instid1(VALU_DEP_2)
	v_add_f32_e32 v34, v35, v34
	v_sub_f32_e32 v35, v37, v38
	s_delay_alu instid0(VALU_DEP_1) | instskip(NEXT) | instid1(VALU_DEP_1)
	v_add_f32_e32 v34, v34, v35
	v_add_f32_e32 v34, v41, v34
	s_wait_alu 0xf1ff
	s_delay_alu instid0(VALU_DEP_1) | instskip(SKIP_2) | instid1(VALU_DEP_1)
	v_cndmask_b32_e64 v34, 0x7f800000, v34, s1
	v_cmp_gt_f32_e64 s1, 0x33800000, |v36|
	s_wait_alu 0xf1ff
	v_cndmask_b32_e64 v34, v34, v36, s1
	s_delay_alu instid0(VALU_DEP_1)
	v_add_f32_e32 v34, v33, v34
.LBB517_53:
	s_or_b32 exec_lo, exec_lo, s28
	ds_load_u16 v33, v29 offset:8
	v_bfe_u32 v35, v34, 16, 1
	v_cmp_o_f32_e64 s1, v34, v34
	s_delay_alu instid0(VALU_DEP_2) | instskip(SKIP_2) | instid1(VALU_DEP_1)
	v_add3_u32 v35, v34, v35, 0x7fff
	s_wait_dscnt 0x0
	v_lshlrev_b32_e32 v33, 16, v33
	v_dual_max_num_f32 v36, v33, v33 :: v_dual_and_b32 v35, 0xffff0000, v35
	s_wait_alu 0xf1ff
	s_delay_alu instid0(VALU_DEP_1) | instskip(NEXT) | instid1(VALU_DEP_1)
	v_cndmask_b32_e64 v34, 0x7fc00000, v35, s1
	v_max_num_f32_e32 v35, v34, v34
	v_cmp_u_f32_e64 s1, v34, v34
	s_delay_alu instid0(VALU_DEP_2) | instskip(SKIP_2) | instid1(VALU_DEP_2)
	v_min_num_f32_e32 v37, v35, v36
	v_max_num_f32_e32 v35, v35, v36
	s_wait_alu 0xf1ff
	v_cndmask_b32_e64 v36, v37, v34, s1
	s_delay_alu instid0(VALU_DEP_2) | instskip(SKIP_2) | instid1(VALU_DEP_1)
	v_cndmask_b32_e64 v37, v35, v34, s1
	v_cmp_u_f32_e64 s1, v33, v33
	s_wait_alu 0xf1ff
	v_cndmask_b32_e64 v35, v36, v33, s1
	s_delay_alu instid0(VALU_DEP_3) | instskip(NEXT) | instid1(VALU_DEP_2)
	v_cndmask_b32_e64 v33, v37, v33, s1
	v_cmp_class_f32_e64 s28, v35, 0x1f8
	s_delay_alu instid0(VALU_DEP_2)
	v_cmp_neq_f32_e64 s1, v35, v33
	s_or_b32 s1, s1, s28
	s_wait_alu 0xfffe
	s_and_saveexec_b32 s28, s1
	s_cbranch_execz .LBB517_55
; %bb.54:
	v_sub_f32_e32 v34, v35, v33
	s_delay_alu instid0(VALU_DEP_1) | instskip(SKIP_1) | instid1(VALU_DEP_2)
	v_mul_f32_e32 v35, 0x3fb8aa3b, v34
	v_cmp_ngt_f32_e64 s1, 0xc2ce8ed0, v34
	v_fma_f32 v36, 0x3fb8aa3b, v34, -v35
	v_rndne_f32_e32 v37, v35
	s_delay_alu instid0(VALU_DEP_1) | instskip(NEXT) | instid1(VALU_DEP_1)
	v_dual_fmamk_f32 v36, v34, 0x32a5705f, v36 :: v_dual_sub_f32 v35, v35, v37
	v_add_f32_e32 v35, v35, v36
	v_cvt_i32_f32_e32 v36, v37
	s_delay_alu instid0(VALU_DEP_2) | instskip(NEXT) | instid1(TRANS32_DEP_1)
	v_exp_f32_e32 v35, v35
	v_ldexp_f32 v35, v35, v36
	s_wait_alu 0xf1ff
	s_delay_alu instid0(VALU_DEP_1) | instskip(SKIP_2) | instid1(VALU_DEP_1)
	v_cndmask_b32_e64 v35, 0, v35, s1
	v_cmp_nlt_f32_e64 s1, 0x42b17218, v34
	s_wait_alu 0xf1ff
	v_cndmask_b32_e64 v36, 0x7f800000, v35, s1
	s_delay_alu instid0(VALU_DEP_1) | instskip(NEXT) | instid1(VALU_DEP_1)
	v_add_f32_e32 v37, 1.0, v36
	v_cvt_f64_f32_e32 v[34:35], v37
	s_delay_alu instid0(VALU_DEP_1) | instskip(SKIP_1) | instid1(VALU_DEP_1)
	v_frexp_exp_i32_f64_e32 v34, v[34:35]
	v_frexp_mant_f32_e32 v35, v37
	v_cmp_gt_f32_e64 s1, 0x3f2aaaab, v35
	v_add_f32_e32 v35, -1.0, v37
	s_delay_alu instid0(VALU_DEP_1)
	v_sub_f32_e32 v39, v35, v37
	v_sub_f32_e32 v35, v36, v35
	s_wait_alu 0xf1ff
	v_subrev_co_ci_u32_e64 v34, null, 0, v34, s1
	s_mov_b32 s1, 0x3e9b6dac
	v_sub_nc_u32_e32 v38, 0, v34
	v_cvt_f32_i32_e32 v34, v34
	s_delay_alu instid0(VALU_DEP_2) | instskip(NEXT) | instid1(VALU_DEP_1)
	v_ldexp_f32 v37, v37, v38
	v_dual_add_f32 v40, 1.0, v37 :: v_dual_add_f32 v39, 1.0, v39
	s_delay_alu instid0(VALU_DEP_1) | instskip(NEXT) | instid1(VALU_DEP_2)
	v_add_f32_e32 v35, v35, v39
	v_add_f32_e32 v39, -1.0, v40
	s_delay_alu instid0(VALU_DEP_2) | instskip(NEXT) | instid1(VALU_DEP_2)
	v_ldexp_f32 v35, v35, v38
	v_dual_add_f32 v38, -1.0, v37 :: v_dual_sub_f32 v39, v37, v39
	s_delay_alu instid0(VALU_DEP_1) | instskip(NEXT) | instid1(VALU_DEP_2)
	v_add_f32_e32 v41, 1.0, v38
	v_add_f32_e32 v39, v35, v39
	s_delay_alu instid0(VALU_DEP_2) | instskip(NEXT) | instid1(VALU_DEP_2)
	v_sub_f32_e32 v37, v37, v41
	v_add_f32_e32 v41, v40, v39
	s_delay_alu instid0(VALU_DEP_2) | instskip(NEXT) | instid1(VALU_DEP_2)
	v_add_f32_e32 v35, v35, v37
	v_rcp_f32_e32 v37, v41
	v_sub_f32_e32 v40, v40, v41
	s_delay_alu instid0(VALU_DEP_1) | instskip(NEXT) | instid1(VALU_DEP_1)
	v_dual_add_f32 v42, v38, v35 :: v_dual_add_f32 v39, v39, v40
	v_sub_f32_e32 v38, v38, v42
	s_delay_alu instid0(TRANS32_DEP_1) | instskip(NEXT) | instid1(VALU_DEP_1)
	v_mul_f32_e32 v43, v42, v37
	v_dual_add_f32 v35, v35, v38 :: v_dual_mul_f32 v44, v41, v43
	s_delay_alu instid0(VALU_DEP_1) | instskip(NEXT) | instid1(VALU_DEP_1)
	v_fma_f32 v40, v43, v41, -v44
	v_fmac_f32_e32 v40, v43, v39
	s_delay_alu instid0(VALU_DEP_1) | instskip(NEXT) | instid1(VALU_DEP_1)
	v_add_f32_e32 v45, v44, v40
	v_sub_f32_e32 v46, v42, v45
	v_sub_f32_e32 v38, v45, v44
	s_delay_alu instid0(VALU_DEP_2) | instskip(NEXT) | instid1(VALU_DEP_2)
	v_sub_f32_e32 v42, v42, v46
	v_sub_f32_e32 v38, v38, v40
	s_delay_alu instid0(VALU_DEP_2) | instskip(NEXT) | instid1(VALU_DEP_1)
	v_sub_f32_e32 v42, v42, v45
	v_add_f32_e32 v35, v35, v42
	s_delay_alu instid0(VALU_DEP_1) | instskip(NEXT) | instid1(VALU_DEP_1)
	v_add_f32_e32 v35, v38, v35
	v_add_f32_e32 v38, v46, v35
	s_delay_alu instid0(VALU_DEP_1) | instskip(NEXT) | instid1(VALU_DEP_1)
	v_mul_f32_e32 v40, v37, v38
	v_dual_sub_f32 v45, v46, v38 :: v_dual_mul_f32 v42, v41, v40
	s_delay_alu instid0(VALU_DEP_1) | instskip(NEXT) | instid1(VALU_DEP_2)
	v_add_f32_e32 v35, v35, v45
	v_fma_f32 v41, v40, v41, -v42
	s_delay_alu instid0(VALU_DEP_1) | instskip(NEXT) | instid1(VALU_DEP_1)
	v_fmac_f32_e32 v41, v40, v39
	v_add_f32_e32 v39, v42, v41
	s_delay_alu instid0(VALU_DEP_1) | instskip(SKIP_1) | instid1(VALU_DEP_2)
	v_sub_f32_e32 v44, v38, v39
	v_sub_f32_e32 v42, v39, v42
	;; [unrolled: 1-line block ×3, first 2 shown]
	s_delay_alu instid0(VALU_DEP_1) | instskip(NEXT) | instid1(VALU_DEP_3)
	v_sub_f32_e32 v38, v38, v39
	v_sub_f32_e32 v39, v42, v41
	s_delay_alu instid0(VALU_DEP_2) | instskip(SKIP_1) | instid1(VALU_DEP_2)
	v_add_f32_e32 v35, v35, v38
	v_add_f32_e32 v38, v43, v40
	;; [unrolled: 1-line block ×3, first 2 shown]
	s_delay_alu instid0(VALU_DEP_2) | instskip(NEXT) | instid1(VALU_DEP_2)
	v_sub_f32_e32 v39, v38, v43
	v_add_f32_e32 v35, v44, v35
	s_delay_alu instid0(VALU_DEP_2) | instskip(NEXT) | instid1(VALU_DEP_2)
	v_sub_f32_e32 v39, v40, v39
	v_mul_f32_e32 v35, v37, v35
	s_delay_alu instid0(VALU_DEP_1) | instskip(NEXT) | instid1(VALU_DEP_1)
	v_add_f32_e32 v35, v39, v35
	v_add_f32_e32 v37, v38, v35
	s_delay_alu instid0(VALU_DEP_1) | instskip(SKIP_1) | instid1(VALU_DEP_1)
	v_mul_f32_e32 v39, v37, v37
	s_wait_alu 0xfffe
	v_fmaak_f32 v40, s1, v39, 0x3ecc95a3
	v_mul_f32_e32 v41, v37, v39
	v_cmp_neq_f32_e64 s1, 0x7f800000, v36
	s_delay_alu instid0(VALU_DEP_3) | instskip(SKIP_2) | instid1(VALU_DEP_3)
	v_fmaak_f32 v39, v39, v40, 0x3f2aaada
	v_ldexp_f32 v40, v37, 1
	v_sub_f32_e32 v37, v37, v38
	v_mul_f32_e32 v39, v41, v39
	v_mul_f32_e32 v41, 0x3f317218, v34
	s_delay_alu instid0(VALU_DEP_2) | instskip(NEXT) | instid1(VALU_DEP_1)
	v_dual_sub_f32 v35, v35, v37 :: v_dual_add_f32 v38, v40, v39
	v_ldexp_f32 v35, v35, 1
	s_delay_alu instid0(VALU_DEP_2) | instskip(NEXT) | instid1(VALU_DEP_4)
	v_sub_f32_e32 v37, v38, v40
	v_fma_f32 v40, 0x3f317218, v34, -v41
	s_delay_alu instid0(VALU_DEP_1) | instskip(NEXT) | instid1(VALU_DEP_1)
	v_dual_sub_f32 v37, v39, v37 :: v_dual_fmamk_f32 v34, v34, 0xb102e308, v40
	v_add_f32_e32 v35, v35, v37
	s_delay_alu instid0(VALU_DEP_2) | instskip(NEXT) | instid1(VALU_DEP_2)
	v_add_f32_e32 v37, v41, v34
	v_add_f32_e32 v39, v38, v35
	s_delay_alu instid0(VALU_DEP_2) | instskip(NEXT) | instid1(VALU_DEP_2)
	v_sub_f32_e32 v41, v37, v41
	v_add_f32_e32 v40, v37, v39
	v_sub_f32_e32 v38, v39, v38
	s_delay_alu instid0(VALU_DEP_3) | instskip(NEXT) | instid1(VALU_DEP_2)
	v_sub_f32_e32 v34, v34, v41
	v_dual_sub_f32 v42, v40, v37 :: v_dual_sub_f32 v35, v35, v38
	s_delay_alu instid0(VALU_DEP_1) | instskip(NEXT) | instid1(VALU_DEP_2)
	v_sub_f32_e32 v43, v40, v42
	v_dual_sub_f32 v38, v39, v42 :: v_dual_add_f32 v39, v34, v35
	s_delay_alu instid0(VALU_DEP_2) | instskip(NEXT) | instid1(VALU_DEP_1)
	v_sub_f32_e32 v37, v37, v43
	v_dual_add_f32 v37, v38, v37 :: v_dual_sub_f32 v38, v39, v34
	s_delay_alu instid0(VALU_DEP_1) | instskip(NEXT) | instid1(VALU_DEP_2)
	v_add_f32_e32 v37, v39, v37
	v_sub_f32_e32 v39, v39, v38
	v_sub_f32_e32 v35, v35, v38
	s_delay_alu instid0(VALU_DEP_2) | instskip(NEXT) | instid1(VALU_DEP_1)
	v_dual_add_f32 v41, v40, v37 :: v_dual_sub_f32 v34, v34, v39
	v_sub_f32_e32 v38, v41, v40
	s_delay_alu instid0(VALU_DEP_2) | instskip(NEXT) | instid1(VALU_DEP_2)
	v_add_f32_e32 v34, v35, v34
	v_sub_f32_e32 v35, v37, v38
	s_delay_alu instid0(VALU_DEP_1) | instskip(NEXT) | instid1(VALU_DEP_1)
	v_add_f32_e32 v34, v34, v35
	v_add_f32_e32 v34, v41, v34
	s_wait_alu 0xf1ff
	s_delay_alu instid0(VALU_DEP_1) | instskip(SKIP_2) | instid1(VALU_DEP_1)
	v_cndmask_b32_e64 v34, 0x7f800000, v34, s1
	v_cmp_gt_f32_e64 s1, 0x33800000, |v36|
	s_wait_alu 0xf1ff
	v_cndmask_b32_e64 v34, v34, v36, s1
	s_delay_alu instid0(VALU_DEP_1)
	v_add_f32_e32 v34, v33, v34
.LBB517_55:
	s_or_b32 exec_lo, exec_lo, s28
	ds_load_u16 v33, v29 offset:10
	v_bfe_u32 v35, v34, 16, 1
	v_cmp_o_f32_e64 s1, v34, v34
	s_delay_alu instid0(VALU_DEP_2) | instskip(SKIP_2) | instid1(VALU_DEP_1)
	v_add3_u32 v35, v34, v35, 0x7fff
	s_wait_dscnt 0x0
	v_lshlrev_b32_e32 v33, 16, v33
	v_dual_max_num_f32 v36, v33, v33 :: v_dual_and_b32 v35, 0xffff0000, v35
	s_wait_alu 0xf1ff
	s_delay_alu instid0(VALU_DEP_1) | instskip(NEXT) | instid1(VALU_DEP_1)
	v_cndmask_b32_e64 v34, 0x7fc00000, v35, s1
	v_max_num_f32_e32 v35, v34, v34
	v_cmp_u_f32_e64 s1, v34, v34
	s_delay_alu instid0(VALU_DEP_2) | instskip(SKIP_2) | instid1(VALU_DEP_2)
	v_min_num_f32_e32 v37, v35, v36
	v_max_num_f32_e32 v35, v35, v36
	s_wait_alu 0xf1ff
	v_cndmask_b32_e64 v36, v37, v34, s1
	s_delay_alu instid0(VALU_DEP_2) | instskip(SKIP_2) | instid1(VALU_DEP_1)
	v_cndmask_b32_e64 v37, v35, v34, s1
	v_cmp_u_f32_e64 s1, v33, v33
	s_wait_alu 0xf1ff
	v_cndmask_b32_e64 v35, v36, v33, s1
	s_delay_alu instid0(VALU_DEP_3) | instskip(NEXT) | instid1(VALU_DEP_2)
	v_cndmask_b32_e64 v33, v37, v33, s1
	v_cmp_class_f32_e64 s28, v35, 0x1f8
	s_delay_alu instid0(VALU_DEP_2)
	v_cmp_neq_f32_e64 s1, v35, v33
	s_or_b32 s1, s1, s28
	s_wait_alu 0xfffe
	s_and_saveexec_b32 s28, s1
	s_cbranch_execz .LBB517_57
; %bb.56:
	v_sub_f32_e32 v34, v35, v33
	s_delay_alu instid0(VALU_DEP_1) | instskip(SKIP_1) | instid1(VALU_DEP_2)
	v_mul_f32_e32 v35, 0x3fb8aa3b, v34
	v_cmp_ngt_f32_e64 s1, 0xc2ce8ed0, v34
	v_fma_f32 v36, 0x3fb8aa3b, v34, -v35
	v_rndne_f32_e32 v37, v35
	s_delay_alu instid0(VALU_DEP_1) | instskip(NEXT) | instid1(VALU_DEP_1)
	v_dual_fmamk_f32 v36, v34, 0x32a5705f, v36 :: v_dual_sub_f32 v35, v35, v37
	v_add_f32_e32 v35, v35, v36
	v_cvt_i32_f32_e32 v36, v37
	s_delay_alu instid0(VALU_DEP_2) | instskip(NEXT) | instid1(TRANS32_DEP_1)
	v_exp_f32_e32 v35, v35
	v_ldexp_f32 v35, v35, v36
	s_wait_alu 0xf1ff
	s_delay_alu instid0(VALU_DEP_1) | instskip(SKIP_2) | instid1(VALU_DEP_1)
	v_cndmask_b32_e64 v35, 0, v35, s1
	v_cmp_nlt_f32_e64 s1, 0x42b17218, v34
	s_wait_alu 0xf1ff
	v_cndmask_b32_e64 v36, 0x7f800000, v35, s1
	s_delay_alu instid0(VALU_DEP_1) | instskip(NEXT) | instid1(VALU_DEP_1)
	v_add_f32_e32 v37, 1.0, v36
	v_cvt_f64_f32_e32 v[34:35], v37
	s_delay_alu instid0(VALU_DEP_1) | instskip(SKIP_1) | instid1(VALU_DEP_1)
	v_frexp_exp_i32_f64_e32 v34, v[34:35]
	v_frexp_mant_f32_e32 v35, v37
	v_cmp_gt_f32_e64 s1, 0x3f2aaaab, v35
	v_add_f32_e32 v35, -1.0, v37
	s_delay_alu instid0(VALU_DEP_1)
	v_sub_f32_e32 v39, v35, v37
	v_sub_f32_e32 v35, v36, v35
	s_wait_alu 0xf1ff
	v_subrev_co_ci_u32_e64 v34, null, 0, v34, s1
	s_mov_b32 s1, 0x3e9b6dac
	v_sub_nc_u32_e32 v38, 0, v34
	v_cvt_f32_i32_e32 v34, v34
	s_delay_alu instid0(VALU_DEP_2) | instskip(NEXT) | instid1(VALU_DEP_1)
	v_ldexp_f32 v37, v37, v38
	v_dual_add_f32 v40, 1.0, v37 :: v_dual_add_f32 v39, 1.0, v39
	s_delay_alu instid0(VALU_DEP_1) | instskip(NEXT) | instid1(VALU_DEP_2)
	v_add_f32_e32 v35, v35, v39
	v_add_f32_e32 v39, -1.0, v40
	s_delay_alu instid0(VALU_DEP_2) | instskip(NEXT) | instid1(VALU_DEP_2)
	v_ldexp_f32 v35, v35, v38
	v_dual_add_f32 v38, -1.0, v37 :: v_dual_sub_f32 v39, v37, v39
	s_delay_alu instid0(VALU_DEP_1) | instskip(NEXT) | instid1(VALU_DEP_2)
	v_add_f32_e32 v41, 1.0, v38
	v_add_f32_e32 v39, v35, v39
	s_delay_alu instid0(VALU_DEP_2) | instskip(NEXT) | instid1(VALU_DEP_2)
	v_sub_f32_e32 v37, v37, v41
	v_add_f32_e32 v41, v40, v39
	s_delay_alu instid0(VALU_DEP_2) | instskip(NEXT) | instid1(VALU_DEP_2)
	v_add_f32_e32 v35, v35, v37
	v_rcp_f32_e32 v37, v41
	v_sub_f32_e32 v40, v40, v41
	s_delay_alu instid0(VALU_DEP_1) | instskip(NEXT) | instid1(VALU_DEP_1)
	v_dual_add_f32 v42, v38, v35 :: v_dual_add_f32 v39, v39, v40
	v_sub_f32_e32 v38, v38, v42
	s_delay_alu instid0(TRANS32_DEP_1) | instskip(NEXT) | instid1(VALU_DEP_1)
	v_mul_f32_e32 v43, v42, v37
	v_dual_add_f32 v35, v35, v38 :: v_dual_mul_f32 v44, v41, v43
	s_delay_alu instid0(VALU_DEP_1) | instskip(NEXT) | instid1(VALU_DEP_1)
	v_fma_f32 v40, v43, v41, -v44
	v_fmac_f32_e32 v40, v43, v39
	s_delay_alu instid0(VALU_DEP_1) | instskip(NEXT) | instid1(VALU_DEP_1)
	v_add_f32_e32 v45, v44, v40
	v_sub_f32_e32 v46, v42, v45
	v_sub_f32_e32 v38, v45, v44
	s_delay_alu instid0(VALU_DEP_2) | instskip(NEXT) | instid1(VALU_DEP_2)
	v_sub_f32_e32 v42, v42, v46
	v_sub_f32_e32 v38, v38, v40
	s_delay_alu instid0(VALU_DEP_2) | instskip(NEXT) | instid1(VALU_DEP_1)
	v_sub_f32_e32 v42, v42, v45
	v_add_f32_e32 v35, v35, v42
	s_delay_alu instid0(VALU_DEP_1) | instskip(NEXT) | instid1(VALU_DEP_1)
	v_add_f32_e32 v35, v38, v35
	v_add_f32_e32 v38, v46, v35
	s_delay_alu instid0(VALU_DEP_1) | instskip(NEXT) | instid1(VALU_DEP_1)
	v_mul_f32_e32 v40, v37, v38
	v_dual_sub_f32 v45, v46, v38 :: v_dual_mul_f32 v42, v41, v40
	s_delay_alu instid0(VALU_DEP_1) | instskip(NEXT) | instid1(VALU_DEP_2)
	v_add_f32_e32 v35, v35, v45
	v_fma_f32 v41, v40, v41, -v42
	s_delay_alu instid0(VALU_DEP_1) | instskip(NEXT) | instid1(VALU_DEP_1)
	v_fmac_f32_e32 v41, v40, v39
	v_add_f32_e32 v39, v42, v41
	s_delay_alu instid0(VALU_DEP_1) | instskip(SKIP_1) | instid1(VALU_DEP_2)
	v_sub_f32_e32 v44, v38, v39
	v_sub_f32_e32 v42, v39, v42
	;; [unrolled: 1-line block ×3, first 2 shown]
	s_delay_alu instid0(VALU_DEP_1) | instskip(NEXT) | instid1(VALU_DEP_3)
	v_sub_f32_e32 v38, v38, v39
	v_sub_f32_e32 v39, v42, v41
	s_delay_alu instid0(VALU_DEP_2) | instskip(SKIP_1) | instid1(VALU_DEP_2)
	v_add_f32_e32 v35, v35, v38
	v_add_f32_e32 v38, v43, v40
	;; [unrolled: 1-line block ×3, first 2 shown]
	s_delay_alu instid0(VALU_DEP_2) | instskip(NEXT) | instid1(VALU_DEP_2)
	v_sub_f32_e32 v39, v38, v43
	v_add_f32_e32 v35, v44, v35
	s_delay_alu instid0(VALU_DEP_2) | instskip(NEXT) | instid1(VALU_DEP_2)
	v_sub_f32_e32 v39, v40, v39
	v_mul_f32_e32 v35, v37, v35
	s_delay_alu instid0(VALU_DEP_1) | instskip(NEXT) | instid1(VALU_DEP_1)
	v_add_f32_e32 v35, v39, v35
	v_add_f32_e32 v37, v38, v35
	s_delay_alu instid0(VALU_DEP_1) | instskip(SKIP_1) | instid1(VALU_DEP_1)
	v_mul_f32_e32 v39, v37, v37
	s_wait_alu 0xfffe
	v_fmaak_f32 v40, s1, v39, 0x3ecc95a3
	v_mul_f32_e32 v41, v37, v39
	v_cmp_neq_f32_e64 s1, 0x7f800000, v36
	s_delay_alu instid0(VALU_DEP_3) | instskip(SKIP_2) | instid1(VALU_DEP_3)
	v_fmaak_f32 v39, v39, v40, 0x3f2aaada
	v_ldexp_f32 v40, v37, 1
	v_sub_f32_e32 v37, v37, v38
	v_mul_f32_e32 v39, v41, v39
	v_mul_f32_e32 v41, 0x3f317218, v34
	s_delay_alu instid0(VALU_DEP_2) | instskip(NEXT) | instid1(VALU_DEP_1)
	v_dual_sub_f32 v35, v35, v37 :: v_dual_add_f32 v38, v40, v39
	v_ldexp_f32 v35, v35, 1
	s_delay_alu instid0(VALU_DEP_2) | instskip(NEXT) | instid1(VALU_DEP_4)
	v_sub_f32_e32 v37, v38, v40
	v_fma_f32 v40, 0x3f317218, v34, -v41
	s_delay_alu instid0(VALU_DEP_1) | instskip(NEXT) | instid1(VALU_DEP_1)
	v_dual_sub_f32 v37, v39, v37 :: v_dual_fmamk_f32 v34, v34, 0xb102e308, v40
	v_add_f32_e32 v35, v35, v37
	s_delay_alu instid0(VALU_DEP_2) | instskip(NEXT) | instid1(VALU_DEP_2)
	v_add_f32_e32 v37, v41, v34
	v_add_f32_e32 v39, v38, v35
	s_delay_alu instid0(VALU_DEP_2) | instskip(NEXT) | instid1(VALU_DEP_2)
	v_sub_f32_e32 v41, v37, v41
	v_add_f32_e32 v40, v37, v39
	v_sub_f32_e32 v38, v39, v38
	s_delay_alu instid0(VALU_DEP_3) | instskip(NEXT) | instid1(VALU_DEP_2)
	v_sub_f32_e32 v34, v34, v41
	v_dual_sub_f32 v42, v40, v37 :: v_dual_sub_f32 v35, v35, v38
	s_delay_alu instid0(VALU_DEP_1) | instskip(NEXT) | instid1(VALU_DEP_2)
	v_sub_f32_e32 v43, v40, v42
	v_dual_sub_f32 v38, v39, v42 :: v_dual_add_f32 v39, v34, v35
	s_delay_alu instid0(VALU_DEP_2) | instskip(NEXT) | instid1(VALU_DEP_1)
	v_sub_f32_e32 v37, v37, v43
	v_dual_add_f32 v37, v38, v37 :: v_dual_sub_f32 v38, v39, v34
	s_delay_alu instid0(VALU_DEP_1) | instskip(NEXT) | instid1(VALU_DEP_2)
	v_add_f32_e32 v37, v39, v37
	v_sub_f32_e32 v39, v39, v38
	v_sub_f32_e32 v35, v35, v38
	s_delay_alu instid0(VALU_DEP_2) | instskip(NEXT) | instid1(VALU_DEP_1)
	v_dual_add_f32 v41, v40, v37 :: v_dual_sub_f32 v34, v34, v39
	v_sub_f32_e32 v38, v41, v40
	s_delay_alu instid0(VALU_DEP_2) | instskip(NEXT) | instid1(VALU_DEP_2)
	v_add_f32_e32 v34, v35, v34
	v_sub_f32_e32 v35, v37, v38
	s_delay_alu instid0(VALU_DEP_1) | instskip(NEXT) | instid1(VALU_DEP_1)
	v_add_f32_e32 v34, v34, v35
	v_add_f32_e32 v34, v41, v34
	s_wait_alu 0xf1ff
	s_delay_alu instid0(VALU_DEP_1) | instskip(SKIP_2) | instid1(VALU_DEP_1)
	v_cndmask_b32_e64 v34, 0x7f800000, v34, s1
	v_cmp_gt_f32_e64 s1, 0x33800000, |v36|
	s_wait_alu 0xf1ff
	v_cndmask_b32_e64 v34, v34, v36, s1
	s_delay_alu instid0(VALU_DEP_1)
	v_add_f32_e32 v34, v33, v34
.LBB517_57:
	s_or_b32 exec_lo, exec_lo, s28
	ds_load_u16 v33, v29 offset:12
	v_bfe_u32 v35, v34, 16, 1
	v_cmp_o_f32_e64 s1, v34, v34
	s_delay_alu instid0(VALU_DEP_2) | instskip(SKIP_2) | instid1(VALU_DEP_1)
	v_add3_u32 v35, v34, v35, 0x7fff
	s_wait_dscnt 0x0
	v_lshlrev_b32_e32 v33, 16, v33
	v_dual_max_num_f32 v36, v33, v33 :: v_dual_and_b32 v35, 0xffff0000, v35
	s_wait_alu 0xf1ff
	s_delay_alu instid0(VALU_DEP_1) | instskip(NEXT) | instid1(VALU_DEP_1)
	v_cndmask_b32_e64 v34, 0x7fc00000, v35, s1
	v_max_num_f32_e32 v35, v34, v34
	v_cmp_u_f32_e64 s1, v34, v34
	s_delay_alu instid0(VALU_DEP_2) | instskip(SKIP_2) | instid1(VALU_DEP_2)
	v_min_num_f32_e32 v37, v35, v36
	v_max_num_f32_e32 v35, v35, v36
	s_wait_alu 0xf1ff
	v_cndmask_b32_e64 v36, v37, v34, s1
	s_delay_alu instid0(VALU_DEP_2) | instskip(SKIP_2) | instid1(VALU_DEP_1)
	v_cndmask_b32_e64 v37, v35, v34, s1
	v_cmp_u_f32_e64 s1, v33, v33
	s_wait_alu 0xf1ff
	v_cndmask_b32_e64 v35, v36, v33, s1
	s_delay_alu instid0(VALU_DEP_3) | instskip(NEXT) | instid1(VALU_DEP_2)
	v_cndmask_b32_e64 v33, v37, v33, s1
	v_cmp_class_f32_e64 s28, v35, 0x1f8
	s_delay_alu instid0(VALU_DEP_2)
	v_cmp_neq_f32_e64 s1, v35, v33
	s_or_b32 s1, s1, s28
	s_wait_alu 0xfffe
	s_and_saveexec_b32 s28, s1
	s_cbranch_execz .LBB517_59
; %bb.58:
	v_sub_f32_e32 v34, v35, v33
	s_delay_alu instid0(VALU_DEP_1) | instskip(SKIP_1) | instid1(VALU_DEP_2)
	v_mul_f32_e32 v35, 0x3fb8aa3b, v34
	v_cmp_ngt_f32_e64 s1, 0xc2ce8ed0, v34
	v_fma_f32 v36, 0x3fb8aa3b, v34, -v35
	v_rndne_f32_e32 v37, v35
	s_delay_alu instid0(VALU_DEP_1) | instskip(NEXT) | instid1(VALU_DEP_1)
	v_dual_fmamk_f32 v36, v34, 0x32a5705f, v36 :: v_dual_sub_f32 v35, v35, v37
	v_add_f32_e32 v35, v35, v36
	v_cvt_i32_f32_e32 v36, v37
	s_delay_alu instid0(VALU_DEP_2) | instskip(NEXT) | instid1(TRANS32_DEP_1)
	v_exp_f32_e32 v35, v35
	v_ldexp_f32 v35, v35, v36
	s_wait_alu 0xf1ff
	s_delay_alu instid0(VALU_DEP_1) | instskip(SKIP_2) | instid1(VALU_DEP_1)
	v_cndmask_b32_e64 v35, 0, v35, s1
	v_cmp_nlt_f32_e64 s1, 0x42b17218, v34
	s_wait_alu 0xf1ff
	v_cndmask_b32_e64 v36, 0x7f800000, v35, s1
	s_delay_alu instid0(VALU_DEP_1) | instskip(NEXT) | instid1(VALU_DEP_1)
	v_add_f32_e32 v37, 1.0, v36
	v_cvt_f64_f32_e32 v[34:35], v37
	s_delay_alu instid0(VALU_DEP_1) | instskip(SKIP_1) | instid1(VALU_DEP_1)
	v_frexp_exp_i32_f64_e32 v34, v[34:35]
	v_frexp_mant_f32_e32 v35, v37
	v_cmp_gt_f32_e64 s1, 0x3f2aaaab, v35
	v_add_f32_e32 v35, -1.0, v37
	s_delay_alu instid0(VALU_DEP_1)
	v_sub_f32_e32 v39, v35, v37
	v_sub_f32_e32 v35, v36, v35
	s_wait_alu 0xf1ff
	v_subrev_co_ci_u32_e64 v34, null, 0, v34, s1
	s_mov_b32 s1, 0x3e9b6dac
	v_sub_nc_u32_e32 v38, 0, v34
	v_cvt_f32_i32_e32 v34, v34
	s_delay_alu instid0(VALU_DEP_2) | instskip(NEXT) | instid1(VALU_DEP_1)
	v_ldexp_f32 v37, v37, v38
	v_dual_add_f32 v40, 1.0, v37 :: v_dual_add_f32 v39, 1.0, v39
	s_delay_alu instid0(VALU_DEP_1) | instskip(NEXT) | instid1(VALU_DEP_2)
	v_add_f32_e32 v35, v35, v39
	v_add_f32_e32 v39, -1.0, v40
	s_delay_alu instid0(VALU_DEP_2) | instskip(NEXT) | instid1(VALU_DEP_2)
	v_ldexp_f32 v35, v35, v38
	v_dual_add_f32 v38, -1.0, v37 :: v_dual_sub_f32 v39, v37, v39
	s_delay_alu instid0(VALU_DEP_1) | instskip(NEXT) | instid1(VALU_DEP_2)
	v_add_f32_e32 v41, 1.0, v38
	v_add_f32_e32 v39, v35, v39
	s_delay_alu instid0(VALU_DEP_2) | instskip(NEXT) | instid1(VALU_DEP_2)
	v_sub_f32_e32 v37, v37, v41
	v_add_f32_e32 v41, v40, v39
	s_delay_alu instid0(VALU_DEP_2) | instskip(NEXT) | instid1(VALU_DEP_2)
	v_add_f32_e32 v35, v35, v37
	v_rcp_f32_e32 v37, v41
	v_sub_f32_e32 v40, v40, v41
	s_delay_alu instid0(VALU_DEP_1) | instskip(NEXT) | instid1(VALU_DEP_1)
	v_dual_add_f32 v42, v38, v35 :: v_dual_add_f32 v39, v39, v40
	v_sub_f32_e32 v38, v38, v42
	s_delay_alu instid0(TRANS32_DEP_1) | instskip(NEXT) | instid1(VALU_DEP_1)
	v_mul_f32_e32 v43, v42, v37
	v_dual_add_f32 v35, v35, v38 :: v_dual_mul_f32 v44, v41, v43
	s_delay_alu instid0(VALU_DEP_1) | instskip(NEXT) | instid1(VALU_DEP_1)
	v_fma_f32 v40, v43, v41, -v44
	v_fmac_f32_e32 v40, v43, v39
	s_delay_alu instid0(VALU_DEP_1) | instskip(NEXT) | instid1(VALU_DEP_1)
	v_add_f32_e32 v45, v44, v40
	v_sub_f32_e32 v46, v42, v45
	v_sub_f32_e32 v38, v45, v44
	s_delay_alu instid0(VALU_DEP_2) | instskip(NEXT) | instid1(VALU_DEP_2)
	v_sub_f32_e32 v42, v42, v46
	v_sub_f32_e32 v38, v38, v40
	s_delay_alu instid0(VALU_DEP_2) | instskip(NEXT) | instid1(VALU_DEP_1)
	v_sub_f32_e32 v42, v42, v45
	v_add_f32_e32 v35, v35, v42
	s_delay_alu instid0(VALU_DEP_1) | instskip(NEXT) | instid1(VALU_DEP_1)
	v_add_f32_e32 v35, v38, v35
	v_add_f32_e32 v38, v46, v35
	s_delay_alu instid0(VALU_DEP_1) | instskip(NEXT) | instid1(VALU_DEP_1)
	v_mul_f32_e32 v40, v37, v38
	v_dual_sub_f32 v45, v46, v38 :: v_dual_mul_f32 v42, v41, v40
	s_delay_alu instid0(VALU_DEP_1) | instskip(NEXT) | instid1(VALU_DEP_2)
	v_add_f32_e32 v35, v35, v45
	v_fma_f32 v41, v40, v41, -v42
	s_delay_alu instid0(VALU_DEP_1) | instskip(NEXT) | instid1(VALU_DEP_1)
	v_fmac_f32_e32 v41, v40, v39
	v_add_f32_e32 v39, v42, v41
	s_delay_alu instid0(VALU_DEP_1) | instskip(SKIP_1) | instid1(VALU_DEP_2)
	v_sub_f32_e32 v44, v38, v39
	v_sub_f32_e32 v42, v39, v42
	;; [unrolled: 1-line block ×3, first 2 shown]
	s_delay_alu instid0(VALU_DEP_1) | instskip(NEXT) | instid1(VALU_DEP_3)
	v_sub_f32_e32 v38, v38, v39
	v_sub_f32_e32 v39, v42, v41
	s_delay_alu instid0(VALU_DEP_2) | instskip(SKIP_1) | instid1(VALU_DEP_2)
	v_add_f32_e32 v35, v35, v38
	v_add_f32_e32 v38, v43, v40
	;; [unrolled: 1-line block ×3, first 2 shown]
	s_delay_alu instid0(VALU_DEP_2) | instskip(NEXT) | instid1(VALU_DEP_2)
	v_sub_f32_e32 v39, v38, v43
	v_add_f32_e32 v35, v44, v35
	s_delay_alu instid0(VALU_DEP_2) | instskip(NEXT) | instid1(VALU_DEP_2)
	v_sub_f32_e32 v39, v40, v39
	v_mul_f32_e32 v35, v37, v35
	s_delay_alu instid0(VALU_DEP_1) | instskip(NEXT) | instid1(VALU_DEP_1)
	v_add_f32_e32 v35, v39, v35
	v_add_f32_e32 v37, v38, v35
	s_delay_alu instid0(VALU_DEP_1) | instskip(SKIP_1) | instid1(VALU_DEP_1)
	v_mul_f32_e32 v39, v37, v37
	s_wait_alu 0xfffe
	v_fmaak_f32 v40, s1, v39, 0x3ecc95a3
	v_mul_f32_e32 v41, v37, v39
	v_cmp_neq_f32_e64 s1, 0x7f800000, v36
	s_delay_alu instid0(VALU_DEP_3) | instskip(SKIP_2) | instid1(VALU_DEP_3)
	v_fmaak_f32 v39, v39, v40, 0x3f2aaada
	v_ldexp_f32 v40, v37, 1
	v_sub_f32_e32 v37, v37, v38
	v_mul_f32_e32 v39, v41, v39
	v_mul_f32_e32 v41, 0x3f317218, v34
	s_delay_alu instid0(VALU_DEP_2) | instskip(NEXT) | instid1(VALU_DEP_1)
	v_dual_sub_f32 v35, v35, v37 :: v_dual_add_f32 v38, v40, v39
	v_ldexp_f32 v35, v35, 1
	s_delay_alu instid0(VALU_DEP_2) | instskip(NEXT) | instid1(VALU_DEP_4)
	v_sub_f32_e32 v37, v38, v40
	v_fma_f32 v40, 0x3f317218, v34, -v41
	s_delay_alu instid0(VALU_DEP_1) | instskip(NEXT) | instid1(VALU_DEP_1)
	v_dual_sub_f32 v37, v39, v37 :: v_dual_fmamk_f32 v34, v34, 0xb102e308, v40
	v_add_f32_e32 v35, v35, v37
	s_delay_alu instid0(VALU_DEP_2) | instskip(NEXT) | instid1(VALU_DEP_2)
	v_add_f32_e32 v37, v41, v34
	v_add_f32_e32 v39, v38, v35
	s_delay_alu instid0(VALU_DEP_2) | instskip(NEXT) | instid1(VALU_DEP_2)
	v_sub_f32_e32 v41, v37, v41
	v_add_f32_e32 v40, v37, v39
	v_sub_f32_e32 v38, v39, v38
	s_delay_alu instid0(VALU_DEP_3) | instskip(NEXT) | instid1(VALU_DEP_2)
	v_sub_f32_e32 v34, v34, v41
	v_dual_sub_f32 v42, v40, v37 :: v_dual_sub_f32 v35, v35, v38
	s_delay_alu instid0(VALU_DEP_1) | instskip(NEXT) | instid1(VALU_DEP_2)
	v_sub_f32_e32 v43, v40, v42
	v_dual_sub_f32 v38, v39, v42 :: v_dual_add_f32 v39, v34, v35
	s_delay_alu instid0(VALU_DEP_2) | instskip(NEXT) | instid1(VALU_DEP_1)
	v_sub_f32_e32 v37, v37, v43
	v_dual_add_f32 v37, v38, v37 :: v_dual_sub_f32 v38, v39, v34
	s_delay_alu instid0(VALU_DEP_1) | instskip(NEXT) | instid1(VALU_DEP_2)
	v_add_f32_e32 v37, v39, v37
	v_sub_f32_e32 v39, v39, v38
	v_sub_f32_e32 v35, v35, v38
	s_delay_alu instid0(VALU_DEP_2) | instskip(NEXT) | instid1(VALU_DEP_1)
	v_dual_add_f32 v41, v40, v37 :: v_dual_sub_f32 v34, v34, v39
	v_sub_f32_e32 v38, v41, v40
	s_delay_alu instid0(VALU_DEP_2) | instskip(NEXT) | instid1(VALU_DEP_2)
	v_add_f32_e32 v34, v35, v34
	v_sub_f32_e32 v35, v37, v38
	s_delay_alu instid0(VALU_DEP_1) | instskip(NEXT) | instid1(VALU_DEP_1)
	v_add_f32_e32 v34, v34, v35
	v_add_f32_e32 v34, v41, v34
	s_wait_alu 0xf1ff
	s_delay_alu instid0(VALU_DEP_1) | instskip(SKIP_2) | instid1(VALU_DEP_1)
	v_cndmask_b32_e64 v34, 0x7f800000, v34, s1
	v_cmp_gt_f32_e64 s1, 0x33800000, |v36|
	s_wait_alu 0xf1ff
	v_cndmask_b32_e64 v34, v34, v36, s1
	s_delay_alu instid0(VALU_DEP_1)
	v_add_f32_e32 v34, v33, v34
.LBB517_59:
	s_or_b32 exec_lo, exec_lo, s28
	ds_load_u16 v33, v29 offset:14
	v_bfe_u32 v35, v34, 16, 1
	v_cmp_o_f32_e64 s1, v34, v34
	s_delay_alu instid0(VALU_DEP_2) | instskip(SKIP_2) | instid1(VALU_DEP_1)
	v_add3_u32 v35, v34, v35, 0x7fff
	s_wait_dscnt 0x0
	v_lshlrev_b32_e32 v33, 16, v33
	v_dual_max_num_f32 v36, v33, v33 :: v_dual_and_b32 v35, 0xffff0000, v35
	s_wait_alu 0xf1ff
	s_delay_alu instid0(VALU_DEP_1) | instskip(NEXT) | instid1(VALU_DEP_1)
	v_cndmask_b32_e64 v34, 0x7fc00000, v35, s1
	v_max_num_f32_e32 v35, v34, v34
	v_cmp_u_f32_e64 s1, v34, v34
	s_delay_alu instid0(VALU_DEP_2) | instskip(SKIP_2) | instid1(VALU_DEP_2)
	v_min_num_f32_e32 v37, v35, v36
	v_max_num_f32_e32 v35, v35, v36
	s_wait_alu 0xf1ff
	v_cndmask_b32_e64 v36, v37, v34, s1
	s_delay_alu instid0(VALU_DEP_2) | instskip(SKIP_2) | instid1(VALU_DEP_1)
	v_cndmask_b32_e64 v37, v35, v34, s1
	v_cmp_u_f32_e64 s1, v33, v33
	s_wait_alu 0xf1ff
	v_cndmask_b32_e64 v35, v36, v33, s1
	s_delay_alu instid0(VALU_DEP_3) | instskip(NEXT) | instid1(VALU_DEP_2)
	v_cndmask_b32_e64 v33, v37, v33, s1
	v_cmp_class_f32_e64 s28, v35, 0x1f8
	s_delay_alu instid0(VALU_DEP_2)
	v_cmp_neq_f32_e64 s1, v35, v33
	s_or_b32 s1, s1, s28
	s_wait_alu 0xfffe
	s_and_saveexec_b32 s28, s1
	s_cbranch_execz .LBB517_61
; %bb.60:
	v_sub_f32_e32 v34, v35, v33
	s_delay_alu instid0(VALU_DEP_1) | instskip(SKIP_1) | instid1(VALU_DEP_2)
	v_mul_f32_e32 v35, 0x3fb8aa3b, v34
	v_cmp_ngt_f32_e64 s1, 0xc2ce8ed0, v34
	v_fma_f32 v36, 0x3fb8aa3b, v34, -v35
	v_rndne_f32_e32 v37, v35
	s_delay_alu instid0(VALU_DEP_1) | instskip(NEXT) | instid1(VALU_DEP_1)
	v_dual_fmamk_f32 v36, v34, 0x32a5705f, v36 :: v_dual_sub_f32 v35, v35, v37
	v_add_f32_e32 v35, v35, v36
	v_cvt_i32_f32_e32 v36, v37
	s_delay_alu instid0(VALU_DEP_2) | instskip(NEXT) | instid1(TRANS32_DEP_1)
	v_exp_f32_e32 v35, v35
	v_ldexp_f32 v35, v35, v36
	s_wait_alu 0xf1ff
	s_delay_alu instid0(VALU_DEP_1) | instskip(SKIP_2) | instid1(VALU_DEP_1)
	v_cndmask_b32_e64 v35, 0, v35, s1
	v_cmp_nlt_f32_e64 s1, 0x42b17218, v34
	s_wait_alu 0xf1ff
	v_cndmask_b32_e64 v36, 0x7f800000, v35, s1
	s_delay_alu instid0(VALU_DEP_1) | instskip(NEXT) | instid1(VALU_DEP_1)
	v_add_f32_e32 v37, 1.0, v36
	v_cvt_f64_f32_e32 v[34:35], v37
	s_delay_alu instid0(VALU_DEP_1) | instskip(SKIP_1) | instid1(VALU_DEP_1)
	v_frexp_exp_i32_f64_e32 v34, v[34:35]
	v_frexp_mant_f32_e32 v35, v37
	v_cmp_gt_f32_e64 s1, 0x3f2aaaab, v35
	v_add_f32_e32 v35, -1.0, v37
	s_delay_alu instid0(VALU_DEP_1)
	v_sub_f32_e32 v39, v35, v37
	v_sub_f32_e32 v35, v36, v35
	s_wait_alu 0xf1ff
	v_subrev_co_ci_u32_e64 v34, null, 0, v34, s1
	s_mov_b32 s1, 0x3e9b6dac
	v_sub_nc_u32_e32 v38, 0, v34
	v_cvt_f32_i32_e32 v34, v34
	s_delay_alu instid0(VALU_DEP_2) | instskip(NEXT) | instid1(VALU_DEP_1)
	v_ldexp_f32 v37, v37, v38
	v_dual_add_f32 v40, 1.0, v37 :: v_dual_add_f32 v39, 1.0, v39
	s_delay_alu instid0(VALU_DEP_1) | instskip(NEXT) | instid1(VALU_DEP_2)
	v_add_f32_e32 v35, v35, v39
	v_add_f32_e32 v39, -1.0, v40
	s_delay_alu instid0(VALU_DEP_2) | instskip(NEXT) | instid1(VALU_DEP_2)
	v_ldexp_f32 v35, v35, v38
	v_dual_add_f32 v38, -1.0, v37 :: v_dual_sub_f32 v39, v37, v39
	s_delay_alu instid0(VALU_DEP_1) | instskip(NEXT) | instid1(VALU_DEP_2)
	v_add_f32_e32 v41, 1.0, v38
	v_add_f32_e32 v39, v35, v39
	s_delay_alu instid0(VALU_DEP_2) | instskip(NEXT) | instid1(VALU_DEP_2)
	v_sub_f32_e32 v37, v37, v41
	v_add_f32_e32 v41, v40, v39
	s_delay_alu instid0(VALU_DEP_2) | instskip(NEXT) | instid1(VALU_DEP_2)
	v_add_f32_e32 v35, v35, v37
	v_rcp_f32_e32 v37, v41
	v_sub_f32_e32 v40, v40, v41
	s_delay_alu instid0(VALU_DEP_1) | instskip(NEXT) | instid1(VALU_DEP_1)
	v_dual_add_f32 v42, v38, v35 :: v_dual_add_f32 v39, v39, v40
	v_sub_f32_e32 v38, v38, v42
	s_delay_alu instid0(TRANS32_DEP_1) | instskip(NEXT) | instid1(VALU_DEP_1)
	v_mul_f32_e32 v43, v42, v37
	v_dual_add_f32 v35, v35, v38 :: v_dual_mul_f32 v44, v41, v43
	s_delay_alu instid0(VALU_DEP_1) | instskip(NEXT) | instid1(VALU_DEP_1)
	v_fma_f32 v40, v43, v41, -v44
	v_fmac_f32_e32 v40, v43, v39
	s_delay_alu instid0(VALU_DEP_1) | instskip(NEXT) | instid1(VALU_DEP_1)
	v_add_f32_e32 v45, v44, v40
	v_sub_f32_e32 v46, v42, v45
	v_sub_f32_e32 v38, v45, v44
	s_delay_alu instid0(VALU_DEP_2) | instskip(NEXT) | instid1(VALU_DEP_2)
	v_sub_f32_e32 v42, v42, v46
	v_sub_f32_e32 v38, v38, v40
	s_delay_alu instid0(VALU_DEP_2) | instskip(NEXT) | instid1(VALU_DEP_1)
	v_sub_f32_e32 v42, v42, v45
	v_add_f32_e32 v35, v35, v42
	s_delay_alu instid0(VALU_DEP_1) | instskip(NEXT) | instid1(VALU_DEP_1)
	v_add_f32_e32 v35, v38, v35
	v_add_f32_e32 v38, v46, v35
	s_delay_alu instid0(VALU_DEP_1) | instskip(NEXT) | instid1(VALU_DEP_1)
	v_mul_f32_e32 v40, v37, v38
	v_dual_sub_f32 v45, v46, v38 :: v_dual_mul_f32 v42, v41, v40
	s_delay_alu instid0(VALU_DEP_1) | instskip(NEXT) | instid1(VALU_DEP_2)
	v_add_f32_e32 v35, v35, v45
	v_fma_f32 v41, v40, v41, -v42
	s_delay_alu instid0(VALU_DEP_1) | instskip(NEXT) | instid1(VALU_DEP_1)
	v_fmac_f32_e32 v41, v40, v39
	v_add_f32_e32 v39, v42, v41
	s_delay_alu instid0(VALU_DEP_1) | instskip(SKIP_1) | instid1(VALU_DEP_2)
	v_sub_f32_e32 v44, v38, v39
	v_sub_f32_e32 v42, v39, v42
	;; [unrolled: 1-line block ×3, first 2 shown]
	s_delay_alu instid0(VALU_DEP_1) | instskip(NEXT) | instid1(VALU_DEP_3)
	v_sub_f32_e32 v38, v38, v39
	v_sub_f32_e32 v39, v42, v41
	s_delay_alu instid0(VALU_DEP_2) | instskip(SKIP_1) | instid1(VALU_DEP_2)
	v_add_f32_e32 v35, v35, v38
	v_add_f32_e32 v38, v43, v40
	;; [unrolled: 1-line block ×3, first 2 shown]
	s_delay_alu instid0(VALU_DEP_2) | instskip(NEXT) | instid1(VALU_DEP_2)
	v_sub_f32_e32 v39, v38, v43
	v_add_f32_e32 v35, v44, v35
	s_delay_alu instid0(VALU_DEP_2) | instskip(NEXT) | instid1(VALU_DEP_2)
	v_sub_f32_e32 v39, v40, v39
	v_mul_f32_e32 v35, v37, v35
	s_delay_alu instid0(VALU_DEP_1) | instskip(NEXT) | instid1(VALU_DEP_1)
	v_add_f32_e32 v35, v39, v35
	v_add_f32_e32 v37, v38, v35
	s_delay_alu instid0(VALU_DEP_1) | instskip(SKIP_1) | instid1(VALU_DEP_1)
	v_mul_f32_e32 v39, v37, v37
	s_wait_alu 0xfffe
	v_fmaak_f32 v40, s1, v39, 0x3ecc95a3
	v_mul_f32_e32 v41, v37, v39
	v_cmp_neq_f32_e64 s1, 0x7f800000, v36
	s_delay_alu instid0(VALU_DEP_3) | instskip(SKIP_2) | instid1(VALU_DEP_3)
	v_fmaak_f32 v39, v39, v40, 0x3f2aaada
	v_ldexp_f32 v40, v37, 1
	v_sub_f32_e32 v37, v37, v38
	v_mul_f32_e32 v39, v41, v39
	v_mul_f32_e32 v41, 0x3f317218, v34
	s_delay_alu instid0(VALU_DEP_2) | instskip(NEXT) | instid1(VALU_DEP_1)
	v_dual_sub_f32 v35, v35, v37 :: v_dual_add_f32 v38, v40, v39
	v_ldexp_f32 v35, v35, 1
	s_delay_alu instid0(VALU_DEP_2) | instskip(NEXT) | instid1(VALU_DEP_4)
	v_sub_f32_e32 v37, v38, v40
	v_fma_f32 v40, 0x3f317218, v34, -v41
	s_delay_alu instid0(VALU_DEP_1) | instskip(NEXT) | instid1(VALU_DEP_1)
	v_dual_sub_f32 v37, v39, v37 :: v_dual_fmamk_f32 v34, v34, 0xb102e308, v40
	v_add_f32_e32 v35, v35, v37
	s_delay_alu instid0(VALU_DEP_2) | instskip(NEXT) | instid1(VALU_DEP_2)
	v_add_f32_e32 v37, v41, v34
	v_add_f32_e32 v39, v38, v35
	s_delay_alu instid0(VALU_DEP_2) | instskip(NEXT) | instid1(VALU_DEP_2)
	v_sub_f32_e32 v41, v37, v41
	v_add_f32_e32 v40, v37, v39
	v_sub_f32_e32 v38, v39, v38
	s_delay_alu instid0(VALU_DEP_3) | instskip(NEXT) | instid1(VALU_DEP_2)
	v_sub_f32_e32 v34, v34, v41
	v_dual_sub_f32 v42, v40, v37 :: v_dual_sub_f32 v35, v35, v38
	s_delay_alu instid0(VALU_DEP_1) | instskip(NEXT) | instid1(VALU_DEP_2)
	v_sub_f32_e32 v43, v40, v42
	v_dual_sub_f32 v38, v39, v42 :: v_dual_add_f32 v39, v34, v35
	s_delay_alu instid0(VALU_DEP_2) | instskip(NEXT) | instid1(VALU_DEP_1)
	v_sub_f32_e32 v37, v37, v43
	v_dual_add_f32 v37, v38, v37 :: v_dual_sub_f32 v38, v39, v34
	s_delay_alu instid0(VALU_DEP_1) | instskip(NEXT) | instid1(VALU_DEP_2)
	v_add_f32_e32 v37, v39, v37
	v_sub_f32_e32 v39, v39, v38
	v_sub_f32_e32 v35, v35, v38
	s_delay_alu instid0(VALU_DEP_2) | instskip(NEXT) | instid1(VALU_DEP_1)
	v_dual_add_f32 v41, v40, v37 :: v_dual_sub_f32 v34, v34, v39
	v_sub_f32_e32 v38, v41, v40
	s_delay_alu instid0(VALU_DEP_2) | instskip(NEXT) | instid1(VALU_DEP_2)
	v_add_f32_e32 v34, v35, v34
	v_sub_f32_e32 v35, v37, v38
	s_delay_alu instid0(VALU_DEP_1) | instskip(NEXT) | instid1(VALU_DEP_1)
	v_add_f32_e32 v34, v34, v35
	v_add_f32_e32 v34, v41, v34
	s_wait_alu 0xf1ff
	s_delay_alu instid0(VALU_DEP_1) | instskip(SKIP_2) | instid1(VALU_DEP_1)
	v_cndmask_b32_e64 v34, 0x7f800000, v34, s1
	v_cmp_gt_f32_e64 s1, 0x33800000, |v36|
	s_wait_alu 0xf1ff
	v_cndmask_b32_e64 v34, v34, v36, s1
	s_delay_alu instid0(VALU_DEP_1)
	v_add_f32_e32 v34, v33, v34
.LBB517_61:
	s_or_b32 exec_lo, exec_lo, s28
	s_delay_alu instid0(VALU_DEP_1) | instskip(SKIP_3) | instid1(VALU_DEP_1)
	v_bfe_u32 v33, v34, 16, 1
	v_cmp_o_f32_e64 s1, v34, v34
	s_mov_b32 s28, exec_lo
	v_add3_u32 v33, v34, v33, 0x7fff
	v_lshrrev_b32_e32 v33, 16, v33
	s_wait_alu 0xf1ff
	s_delay_alu instid0(VALU_DEP_1) | instskip(SKIP_1) | instid1(VALU_DEP_2)
	v_cndmask_b32_e64 v35, 0x7fc0, v33, s1
	v_mbcnt_lo_u32_b32 v33, -1, 0
	v_and_b32_e32 v36, 0xffff, v35
	s_delay_alu instid0(VALU_DEP_2) | instskip(NEXT) | instid1(VALU_DEP_2)
	v_and_b32_e32 v34, 15, v33
	v_mov_b32_dpp v37, v36 row_shr:1 row_mask:0xf bank_mask:0xf
	s_delay_alu instid0(VALU_DEP_2)
	v_cmpx_ne_u32_e32 0, v34
	s_xor_b32 s28, exec_lo, s28
	s_cbranch_execz .LBB517_65
; %bb.62:
	v_lshlrev_b32_e32 v35, 16, v36
	s_delay_alu instid0(VALU_DEP_1) | instskip(NEXT) | instid1(VALU_DEP_1)
	v_dual_max_num_f32 v37, v35, v35 :: v_dual_lshlrev_b32 v36, 16, v37
	v_max_num_f32_e32 v38, v36, v36
	v_cmp_u_f32_e64 s1, v36, v36
	s_delay_alu instid0(VALU_DEP_2) | instskip(SKIP_2) | instid1(VALU_DEP_2)
	v_min_num_f32_e32 v39, v38, v37
	v_max_num_f32_e32 v37, v38, v37
	s_wait_alu 0xf1ff
	v_cndmask_b32_e64 v38, v39, v36, s1
	s_delay_alu instid0(VALU_DEP_2) | instskip(SKIP_2) | instid1(VALU_DEP_1)
	v_cndmask_b32_e64 v39, v37, v36, s1
	v_cmp_u_f32_e64 s1, v35, v35
	s_wait_alu 0xf1ff
	v_cndmask_b32_e64 v37, v38, v35, s1
	s_delay_alu instid0(VALU_DEP_3) | instskip(NEXT) | instid1(VALU_DEP_2)
	v_cndmask_b32_e64 v35, v39, v35, s1
	v_cmp_class_f32_e64 s29, v37, 0x1f8
	s_delay_alu instid0(VALU_DEP_2)
	v_cmp_neq_f32_e64 s1, v37, v35
	s_or_b32 s1, s1, s29
	s_wait_alu 0xfffe
	s_and_saveexec_b32 s29, s1
	s_cbranch_execz .LBB517_64
; %bb.63:
	v_sub_f32_e32 v36, v37, v35
	s_delay_alu instid0(VALU_DEP_1) | instskip(SKIP_1) | instid1(VALU_DEP_2)
	v_mul_f32_e32 v37, 0x3fb8aa3b, v36
	v_cmp_ngt_f32_e64 s1, 0xc2ce8ed0, v36
	v_fma_f32 v38, 0x3fb8aa3b, v36, -v37
	v_rndne_f32_e32 v39, v37
	s_delay_alu instid0(VALU_DEP_1) | instskip(NEXT) | instid1(VALU_DEP_1)
	v_dual_fmamk_f32 v38, v36, 0x32a5705f, v38 :: v_dual_sub_f32 v37, v37, v39
	v_add_f32_e32 v37, v37, v38
	v_cvt_i32_f32_e32 v38, v39
	s_delay_alu instid0(VALU_DEP_2) | instskip(NEXT) | instid1(TRANS32_DEP_1)
	v_exp_f32_e32 v37, v37
	v_ldexp_f32 v37, v37, v38
	s_wait_alu 0xf1ff
	s_delay_alu instid0(VALU_DEP_1) | instskip(SKIP_2) | instid1(VALU_DEP_1)
	v_cndmask_b32_e64 v37, 0, v37, s1
	v_cmp_nlt_f32_e64 s1, 0x42b17218, v36
	s_wait_alu 0xf1ff
	v_cndmask_b32_e64 v38, 0x7f800000, v37, s1
	s_delay_alu instid0(VALU_DEP_1) | instskip(NEXT) | instid1(VALU_DEP_1)
	v_add_f32_e32 v39, 1.0, v38
	v_cvt_f64_f32_e32 v[36:37], v39
	s_delay_alu instid0(VALU_DEP_1) | instskip(SKIP_1) | instid1(VALU_DEP_1)
	v_frexp_exp_i32_f64_e32 v36, v[36:37]
	v_frexp_mant_f32_e32 v37, v39
	v_cmp_gt_f32_e64 s1, 0x3f2aaaab, v37
	v_add_f32_e32 v37, -1.0, v39
	s_delay_alu instid0(VALU_DEP_1)
	v_sub_f32_e32 v41, v37, v39
	v_sub_f32_e32 v37, v38, v37
	s_wait_alu 0xf1ff
	v_subrev_co_ci_u32_e64 v36, null, 0, v36, s1
	s_mov_b32 s1, 0x3e9b6dac
	v_sub_nc_u32_e32 v40, 0, v36
	v_cvt_f32_i32_e32 v36, v36
	s_delay_alu instid0(VALU_DEP_2) | instskip(NEXT) | instid1(VALU_DEP_1)
	v_ldexp_f32 v39, v39, v40
	v_dual_add_f32 v42, 1.0, v39 :: v_dual_add_f32 v41, 1.0, v41
	s_delay_alu instid0(VALU_DEP_1) | instskip(NEXT) | instid1(VALU_DEP_2)
	v_add_f32_e32 v37, v37, v41
	v_add_f32_e32 v41, -1.0, v42
	s_delay_alu instid0(VALU_DEP_2) | instskip(NEXT) | instid1(VALU_DEP_2)
	v_ldexp_f32 v37, v37, v40
	v_dual_add_f32 v40, -1.0, v39 :: v_dual_sub_f32 v41, v39, v41
	s_delay_alu instid0(VALU_DEP_1) | instskip(NEXT) | instid1(VALU_DEP_2)
	v_add_f32_e32 v43, 1.0, v40
	v_add_f32_e32 v41, v37, v41
	s_delay_alu instid0(VALU_DEP_2) | instskip(NEXT) | instid1(VALU_DEP_2)
	v_sub_f32_e32 v39, v39, v43
	v_add_f32_e32 v43, v42, v41
	s_delay_alu instid0(VALU_DEP_2) | instskip(NEXT) | instid1(VALU_DEP_2)
	v_add_f32_e32 v37, v37, v39
	v_rcp_f32_e32 v39, v43
	v_sub_f32_e32 v42, v42, v43
	s_delay_alu instid0(VALU_DEP_1) | instskip(NEXT) | instid1(VALU_DEP_1)
	v_dual_add_f32 v44, v40, v37 :: v_dual_add_f32 v41, v41, v42
	v_sub_f32_e32 v40, v40, v44
	s_delay_alu instid0(TRANS32_DEP_1) | instskip(NEXT) | instid1(VALU_DEP_1)
	v_mul_f32_e32 v45, v44, v39
	v_dual_add_f32 v37, v37, v40 :: v_dual_mul_f32 v46, v43, v45
	s_delay_alu instid0(VALU_DEP_1) | instskip(NEXT) | instid1(VALU_DEP_1)
	v_fma_f32 v42, v45, v43, -v46
	v_fmac_f32_e32 v42, v45, v41
	s_delay_alu instid0(VALU_DEP_1) | instskip(NEXT) | instid1(VALU_DEP_1)
	v_add_f32_e32 v47, v46, v42
	v_sub_f32_e32 v48, v44, v47
	v_sub_f32_e32 v40, v47, v46
	s_delay_alu instid0(VALU_DEP_2) | instskip(NEXT) | instid1(VALU_DEP_2)
	v_sub_f32_e32 v44, v44, v48
	v_sub_f32_e32 v40, v40, v42
	s_delay_alu instid0(VALU_DEP_2) | instskip(NEXT) | instid1(VALU_DEP_1)
	v_sub_f32_e32 v44, v44, v47
	v_add_f32_e32 v37, v37, v44
	s_delay_alu instid0(VALU_DEP_1) | instskip(NEXT) | instid1(VALU_DEP_1)
	v_add_f32_e32 v37, v40, v37
	v_add_f32_e32 v40, v48, v37
	s_delay_alu instid0(VALU_DEP_1) | instskip(NEXT) | instid1(VALU_DEP_1)
	v_mul_f32_e32 v42, v39, v40
	v_dual_sub_f32 v47, v48, v40 :: v_dual_mul_f32 v44, v43, v42
	s_delay_alu instid0(VALU_DEP_1) | instskip(NEXT) | instid1(VALU_DEP_2)
	v_add_f32_e32 v37, v37, v47
	v_fma_f32 v43, v42, v43, -v44
	s_delay_alu instid0(VALU_DEP_1) | instskip(NEXT) | instid1(VALU_DEP_1)
	v_fmac_f32_e32 v43, v42, v41
	v_add_f32_e32 v41, v44, v43
	s_delay_alu instid0(VALU_DEP_1) | instskip(SKIP_1) | instid1(VALU_DEP_2)
	v_sub_f32_e32 v46, v40, v41
	v_sub_f32_e32 v44, v41, v44
	;; [unrolled: 1-line block ×3, first 2 shown]
	s_delay_alu instid0(VALU_DEP_1) | instskip(NEXT) | instid1(VALU_DEP_3)
	v_sub_f32_e32 v40, v40, v41
	v_sub_f32_e32 v41, v44, v43
	s_delay_alu instid0(VALU_DEP_2) | instskip(SKIP_1) | instid1(VALU_DEP_2)
	v_add_f32_e32 v37, v37, v40
	v_add_f32_e32 v40, v45, v42
	;; [unrolled: 1-line block ×3, first 2 shown]
	s_delay_alu instid0(VALU_DEP_2) | instskip(NEXT) | instid1(VALU_DEP_2)
	v_sub_f32_e32 v41, v40, v45
	v_add_f32_e32 v37, v46, v37
	s_delay_alu instid0(VALU_DEP_2) | instskip(NEXT) | instid1(VALU_DEP_2)
	v_sub_f32_e32 v41, v42, v41
	v_mul_f32_e32 v37, v39, v37
	s_delay_alu instid0(VALU_DEP_1) | instskip(NEXT) | instid1(VALU_DEP_1)
	v_add_f32_e32 v37, v41, v37
	v_add_f32_e32 v39, v40, v37
	s_delay_alu instid0(VALU_DEP_1) | instskip(SKIP_1) | instid1(VALU_DEP_1)
	v_mul_f32_e32 v41, v39, v39
	s_wait_alu 0xfffe
	v_fmaak_f32 v42, s1, v41, 0x3ecc95a3
	v_mul_f32_e32 v43, v39, v41
	v_cmp_neq_f32_e64 s1, 0x7f800000, v38
	s_delay_alu instid0(VALU_DEP_3) | instskip(SKIP_2) | instid1(VALU_DEP_3)
	v_fmaak_f32 v41, v41, v42, 0x3f2aaada
	v_ldexp_f32 v42, v39, 1
	v_sub_f32_e32 v39, v39, v40
	v_mul_f32_e32 v41, v43, v41
	v_mul_f32_e32 v43, 0x3f317218, v36
	s_delay_alu instid0(VALU_DEP_2) | instskip(NEXT) | instid1(VALU_DEP_1)
	v_dual_sub_f32 v37, v37, v39 :: v_dual_add_f32 v40, v42, v41
	v_ldexp_f32 v37, v37, 1
	s_delay_alu instid0(VALU_DEP_2) | instskip(NEXT) | instid1(VALU_DEP_4)
	v_sub_f32_e32 v39, v40, v42
	v_fma_f32 v42, 0x3f317218, v36, -v43
	s_delay_alu instid0(VALU_DEP_1) | instskip(NEXT) | instid1(VALU_DEP_1)
	v_dual_sub_f32 v39, v41, v39 :: v_dual_fmamk_f32 v36, v36, 0xb102e308, v42
	v_add_f32_e32 v37, v37, v39
	s_delay_alu instid0(VALU_DEP_2) | instskip(NEXT) | instid1(VALU_DEP_2)
	v_add_f32_e32 v39, v43, v36
	v_add_f32_e32 v41, v40, v37
	s_delay_alu instid0(VALU_DEP_2) | instskip(NEXT) | instid1(VALU_DEP_2)
	v_sub_f32_e32 v43, v39, v43
	v_add_f32_e32 v42, v39, v41
	v_sub_f32_e32 v40, v41, v40
	s_delay_alu instid0(VALU_DEP_3) | instskip(NEXT) | instid1(VALU_DEP_2)
	v_sub_f32_e32 v36, v36, v43
	v_dual_sub_f32 v44, v42, v39 :: v_dual_sub_f32 v37, v37, v40
	s_delay_alu instid0(VALU_DEP_1) | instskip(NEXT) | instid1(VALU_DEP_2)
	v_sub_f32_e32 v45, v42, v44
	v_dual_sub_f32 v40, v41, v44 :: v_dual_add_f32 v41, v36, v37
	s_delay_alu instid0(VALU_DEP_2) | instskip(NEXT) | instid1(VALU_DEP_1)
	v_sub_f32_e32 v39, v39, v45
	v_dual_add_f32 v39, v40, v39 :: v_dual_sub_f32 v40, v41, v36
	s_delay_alu instid0(VALU_DEP_1) | instskip(NEXT) | instid1(VALU_DEP_2)
	v_add_f32_e32 v39, v41, v39
	v_sub_f32_e32 v41, v41, v40
	v_sub_f32_e32 v37, v37, v40
	s_delay_alu instid0(VALU_DEP_2) | instskip(NEXT) | instid1(VALU_DEP_1)
	v_dual_add_f32 v43, v42, v39 :: v_dual_sub_f32 v36, v36, v41
	v_sub_f32_e32 v40, v43, v42
	s_delay_alu instid0(VALU_DEP_2) | instskip(NEXT) | instid1(VALU_DEP_2)
	v_add_f32_e32 v36, v37, v36
	v_sub_f32_e32 v37, v39, v40
	s_delay_alu instid0(VALU_DEP_1) | instskip(NEXT) | instid1(VALU_DEP_1)
	v_add_f32_e32 v36, v36, v37
	v_add_f32_e32 v36, v43, v36
	s_wait_alu 0xf1ff
	s_delay_alu instid0(VALU_DEP_1) | instskip(SKIP_2) | instid1(VALU_DEP_1)
	v_cndmask_b32_e64 v36, 0x7f800000, v36, s1
	v_cmp_gt_f32_e64 s1, 0x33800000, |v38|
	s_wait_alu 0xf1ff
	v_cndmask_b32_e64 v36, v36, v38, s1
	s_delay_alu instid0(VALU_DEP_1)
	v_add_f32_e32 v36, v35, v36
.LBB517_64:
	s_or_b32 exec_lo, exec_lo, s29
	s_delay_alu instid0(VALU_DEP_1) | instskip(SKIP_1) | instid1(VALU_DEP_2)
	v_bfe_u32 v35, v36, 16, 1
	v_cmp_o_f32_e64 s1, v36, v36
	v_add3_u32 v35, v36, v35, 0x7fff
	s_delay_alu instid0(VALU_DEP_1) | instskip(SKIP_1) | instid1(VALU_DEP_1)
	v_lshrrev_b32_e32 v35, 16, v35
	s_wait_alu 0xf1ff
	v_cndmask_b32_e64 v35, 0x7fc0, v35, s1
	s_delay_alu instid0(VALU_DEP_1)
	v_and_b32_e32 v36, 0xffff, v35
.LBB517_65:
	s_or_b32 exec_lo, exec_lo, s28
	s_delay_alu instid0(VALU_DEP_1)
	v_mov_b32_dpp v37, v36 row_shr:2 row_mask:0xf bank_mask:0xf
	s_mov_b32 s28, exec_lo
	v_cmpx_lt_u32_e32 1, v34
	s_cbranch_execz .LBB517_69
; %bb.66:
	v_lshlrev_b32_e32 v35, 16, v36
	s_delay_alu instid0(VALU_DEP_1) | instskip(NEXT) | instid1(VALU_DEP_1)
	v_dual_max_num_f32 v37, v35, v35 :: v_dual_lshlrev_b32 v36, 16, v37
	v_max_num_f32_e32 v38, v36, v36
	v_cmp_u_f32_e64 s1, v36, v36
	s_delay_alu instid0(VALU_DEP_2) | instskip(SKIP_2) | instid1(VALU_DEP_2)
	v_min_num_f32_e32 v39, v38, v37
	v_max_num_f32_e32 v37, v38, v37
	s_wait_alu 0xf1ff
	v_cndmask_b32_e64 v38, v39, v36, s1
	s_delay_alu instid0(VALU_DEP_2) | instskip(SKIP_2) | instid1(VALU_DEP_1)
	v_cndmask_b32_e64 v39, v37, v36, s1
	v_cmp_u_f32_e64 s1, v35, v35
	s_wait_alu 0xf1ff
	v_cndmask_b32_e64 v37, v38, v35, s1
	s_delay_alu instid0(VALU_DEP_3) | instskip(NEXT) | instid1(VALU_DEP_2)
	v_cndmask_b32_e64 v35, v39, v35, s1
	v_cmp_class_f32_e64 s29, v37, 0x1f8
	s_delay_alu instid0(VALU_DEP_2)
	v_cmp_neq_f32_e64 s1, v37, v35
	s_or_b32 s1, s1, s29
	s_wait_alu 0xfffe
	s_and_saveexec_b32 s29, s1
	s_cbranch_execz .LBB517_68
; %bb.67:
	v_sub_f32_e32 v36, v37, v35
	s_delay_alu instid0(VALU_DEP_1) | instskip(SKIP_1) | instid1(VALU_DEP_2)
	v_mul_f32_e32 v37, 0x3fb8aa3b, v36
	v_cmp_ngt_f32_e64 s1, 0xc2ce8ed0, v36
	v_fma_f32 v38, 0x3fb8aa3b, v36, -v37
	v_rndne_f32_e32 v39, v37
	s_delay_alu instid0(VALU_DEP_1) | instskip(NEXT) | instid1(VALU_DEP_1)
	v_dual_fmamk_f32 v38, v36, 0x32a5705f, v38 :: v_dual_sub_f32 v37, v37, v39
	v_add_f32_e32 v37, v37, v38
	v_cvt_i32_f32_e32 v38, v39
	s_delay_alu instid0(VALU_DEP_2) | instskip(NEXT) | instid1(TRANS32_DEP_1)
	v_exp_f32_e32 v37, v37
	v_ldexp_f32 v37, v37, v38
	s_wait_alu 0xf1ff
	s_delay_alu instid0(VALU_DEP_1) | instskip(SKIP_2) | instid1(VALU_DEP_1)
	v_cndmask_b32_e64 v37, 0, v37, s1
	v_cmp_nlt_f32_e64 s1, 0x42b17218, v36
	s_wait_alu 0xf1ff
	v_cndmask_b32_e64 v38, 0x7f800000, v37, s1
	s_delay_alu instid0(VALU_DEP_1) | instskip(NEXT) | instid1(VALU_DEP_1)
	v_add_f32_e32 v39, 1.0, v38
	v_cvt_f64_f32_e32 v[36:37], v39
	s_delay_alu instid0(VALU_DEP_1) | instskip(SKIP_1) | instid1(VALU_DEP_1)
	v_frexp_exp_i32_f64_e32 v36, v[36:37]
	v_frexp_mant_f32_e32 v37, v39
	v_cmp_gt_f32_e64 s1, 0x3f2aaaab, v37
	v_add_f32_e32 v37, -1.0, v39
	s_delay_alu instid0(VALU_DEP_1)
	v_sub_f32_e32 v41, v37, v39
	v_sub_f32_e32 v37, v38, v37
	s_wait_alu 0xf1ff
	v_subrev_co_ci_u32_e64 v36, null, 0, v36, s1
	s_mov_b32 s1, 0x3e9b6dac
	v_sub_nc_u32_e32 v40, 0, v36
	v_cvt_f32_i32_e32 v36, v36
	s_delay_alu instid0(VALU_DEP_2) | instskip(NEXT) | instid1(VALU_DEP_1)
	v_ldexp_f32 v39, v39, v40
	v_dual_add_f32 v42, 1.0, v39 :: v_dual_add_f32 v41, 1.0, v41
	s_delay_alu instid0(VALU_DEP_1) | instskip(NEXT) | instid1(VALU_DEP_2)
	v_add_f32_e32 v37, v37, v41
	v_add_f32_e32 v41, -1.0, v42
	s_delay_alu instid0(VALU_DEP_2) | instskip(NEXT) | instid1(VALU_DEP_2)
	v_ldexp_f32 v37, v37, v40
	v_dual_add_f32 v40, -1.0, v39 :: v_dual_sub_f32 v41, v39, v41
	s_delay_alu instid0(VALU_DEP_1) | instskip(NEXT) | instid1(VALU_DEP_2)
	v_add_f32_e32 v43, 1.0, v40
	v_add_f32_e32 v41, v37, v41
	s_delay_alu instid0(VALU_DEP_2) | instskip(NEXT) | instid1(VALU_DEP_2)
	v_sub_f32_e32 v39, v39, v43
	v_add_f32_e32 v43, v42, v41
	s_delay_alu instid0(VALU_DEP_2) | instskip(NEXT) | instid1(VALU_DEP_2)
	v_add_f32_e32 v37, v37, v39
	v_rcp_f32_e32 v39, v43
	v_sub_f32_e32 v42, v42, v43
	s_delay_alu instid0(VALU_DEP_1) | instskip(NEXT) | instid1(VALU_DEP_1)
	v_dual_add_f32 v44, v40, v37 :: v_dual_add_f32 v41, v41, v42
	v_sub_f32_e32 v40, v40, v44
	s_delay_alu instid0(TRANS32_DEP_1) | instskip(NEXT) | instid1(VALU_DEP_1)
	v_mul_f32_e32 v45, v44, v39
	v_dual_add_f32 v37, v37, v40 :: v_dual_mul_f32 v46, v43, v45
	s_delay_alu instid0(VALU_DEP_1) | instskip(NEXT) | instid1(VALU_DEP_1)
	v_fma_f32 v42, v45, v43, -v46
	v_fmac_f32_e32 v42, v45, v41
	s_delay_alu instid0(VALU_DEP_1) | instskip(NEXT) | instid1(VALU_DEP_1)
	v_add_f32_e32 v47, v46, v42
	v_sub_f32_e32 v48, v44, v47
	v_sub_f32_e32 v40, v47, v46
	s_delay_alu instid0(VALU_DEP_2) | instskip(NEXT) | instid1(VALU_DEP_2)
	v_sub_f32_e32 v44, v44, v48
	v_sub_f32_e32 v40, v40, v42
	s_delay_alu instid0(VALU_DEP_2) | instskip(NEXT) | instid1(VALU_DEP_1)
	v_sub_f32_e32 v44, v44, v47
	v_add_f32_e32 v37, v37, v44
	s_delay_alu instid0(VALU_DEP_1) | instskip(NEXT) | instid1(VALU_DEP_1)
	v_add_f32_e32 v37, v40, v37
	v_add_f32_e32 v40, v48, v37
	s_delay_alu instid0(VALU_DEP_1) | instskip(NEXT) | instid1(VALU_DEP_1)
	v_mul_f32_e32 v42, v39, v40
	v_dual_sub_f32 v47, v48, v40 :: v_dual_mul_f32 v44, v43, v42
	s_delay_alu instid0(VALU_DEP_1) | instskip(NEXT) | instid1(VALU_DEP_2)
	v_add_f32_e32 v37, v37, v47
	v_fma_f32 v43, v42, v43, -v44
	s_delay_alu instid0(VALU_DEP_1) | instskip(NEXT) | instid1(VALU_DEP_1)
	v_fmac_f32_e32 v43, v42, v41
	v_add_f32_e32 v41, v44, v43
	s_delay_alu instid0(VALU_DEP_1) | instskip(SKIP_1) | instid1(VALU_DEP_2)
	v_sub_f32_e32 v46, v40, v41
	v_sub_f32_e32 v44, v41, v44
	;; [unrolled: 1-line block ×3, first 2 shown]
	s_delay_alu instid0(VALU_DEP_1) | instskip(NEXT) | instid1(VALU_DEP_3)
	v_sub_f32_e32 v40, v40, v41
	v_sub_f32_e32 v41, v44, v43
	s_delay_alu instid0(VALU_DEP_2) | instskip(SKIP_1) | instid1(VALU_DEP_2)
	v_add_f32_e32 v37, v37, v40
	v_add_f32_e32 v40, v45, v42
	v_add_f32_e32 v37, v41, v37
	s_delay_alu instid0(VALU_DEP_2) | instskip(NEXT) | instid1(VALU_DEP_2)
	v_sub_f32_e32 v41, v40, v45
	v_add_f32_e32 v37, v46, v37
	s_delay_alu instid0(VALU_DEP_2) | instskip(NEXT) | instid1(VALU_DEP_2)
	v_sub_f32_e32 v41, v42, v41
	v_mul_f32_e32 v37, v39, v37
	s_delay_alu instid0(VALU_DEP_1) | instskip(NEXT) | instid1(VALU_DEP_1)
	v_add_f32_e32 v37, v41, v37
	v_add_f32_e32 v39, v40, v37
	s_delay_alu instid0(VALU_DEP_1) | instskip(SKIP_1) | instid1(VALU_DEP_1)
	v_mul_f32_e32 v41, v39, v39
	s_wait_alu 0xfffe
	v_fmaak_f32 v42, s1, v41, 0x3ecc95a3
	v_mul_f32_e32 v43, v39, v41
	v_cmp_neq_f32_e64 s1, 0x7f800000, v38
	s_delay_alu instid0(VALU_DEP_3) | instskip(SKIP_2) | instid1(VALU_DEP_3)
	v_fmaak_f32 v41, v41, v42, 0x3f2aaada
	v_ldexp_f32 v42, v39, 1
	v_sub_f32_e32 v39, v39, v40
	v_mul_f32_e32 v41, v43, v41
	v_mul_f32_e32 v43, 0x3f317218, v36
	s_delay_alu instid0(VALU_DEP_2) | instskip(NEXT) | instid1(VALU_DEP_1)
	v_dual_sub_f32 v37, v37, v39 :: v_dual_add_f32 v40, v42, v41
	v_ldexp_f32 v37, v37, 1
	s_delay_alu instid0(VALU_DEP_2) | instskip(NEXT) | instid1(VALU_DEP_4)
	v_sub_f32_e32 v39, v40, v42
	v_fma_f32 v42, 0x3f317218, v36, -v43
	s_delay_alu instid0(VALU_DEP_1) | instskip(NEXT) | instid1(VALU_DEP_1)
	v_dual_sub_f32 v39, v41, v39 :: v_dual_fmamk_f32 v36, v36, 0xb102e308, v42
	v_add_f32_e32 v37, v37, v39
	s_delay_alu instid0(VALU_DEP_2) | instskip(NEXT) | instid1(VALU_DEP_2)
	v_add_f32_e32 v39, v43, v36
	v_add_f32_e32 v41, v40, v37
	s_delay_alu instid0(VALU_DEP_2) | instskip(NEXT) | instid1(VALU_DEP_2)
	v_sub_f32_e32 v43, v39, v43
	v_add_f32_e32 v42, v39, v41
	v_sub_f32_e32 v40, v41, v40
	s_delay_alu instid0(VALU_DEP_3) | instskip(NEXT) | instid1(VALU_DEP_2)
	v_sub_f32_e32 v36, v36, v43
	v_dual_sub_f32 v44, v42, v39 :: v_dual_sub_f32 v37, v37, v40
	s_delay_alu instid0(VALU_DEP_1) | instskip(NEXT) | instid1(VALU_DEP_2)
	v_sub_f32_e32 v45, v42, v44
	v_dual_sub_f32 v40, v41, v44 :: v_dual_add_f32 v41, v36, v37
	s_delay_alu instid0(VALU_DEP_2) | instskip(NEXT) | instid1(VALU_DEP_1)
	v_sub_f32_e32 v39, v39, v45
	v_dual_add_f32 v39, v40, v39 :: v_dual_sub_f32 v40, v41, v36
	s_delay_alu instid0(VALU_DEP_1) | instskip(NEXT) | instid1(VALU_DEP_2)
	v_add_f32_e32 v39, v41, v39
	v_sub_f32_e32 v41, v41, v40
	v_sub_f32_e32 v37, v37, v40
	s_delay_alu instid0(VALU_DEP_2) | instskip(NEXT) | instid1(VALU_DEP_1)
	v_dual_add_f32 v43, v42, v39 :: v_dual_sub_f32 v36, v36, v41
	v_sub_f32_e32 v40, v43, v42
	s_delay_alu instid0(VALU_DEP_2) | instskip(NEXT) | instid1(VALU_DEP_2)
	v_add_f32_e32 v36, v37, v36
	v_sub_f32_e32 v37, v39, v40
	s_delay_alu instid0(VALU_DEP_1) | instskip(NEXT) | instid1(VALU_DEP_1)
	v_add_f32_e32 v36, v36, v37
	v_add_f32_e32 v36, v43, v36
	s_wait_alu 0xf1ff
	s_delay_alu instid0(VALU_DEP_1) | instskip(SKIP_2) | instid1(VALU_DEP_1)
	v_cndmask_b32_e64 v36, 0x7f800000, v36, s1
	v_cmp_gt_f32_e64 s1, 0x33800000, |v38|
	s_wait_alu 0xf1ff
	v_cndmask_b32_e64 v36, v36, v38, s1
	s_delay_alu instid0(VALU_DEP_1)
	v_add_f32_e32 v36, v35, v36
.LBB517_68:
	s_or_b32 exec_lo, exec_lo, s29
	s_delay_alu instid0(VALU_DEP_1) | instskip(SKIP_1) | instid1(VALU_DEP_2)
	v_bfe_u32 v35, v36, 16, 1
	v_cmp_o_f32_e64 s1, v36, v36
	v_add3_u32 v35, v36, v35, 0x7fff
	s_delay_alu instid0(VALU_DEP_1) | instskip(SKIP_1) | instid1(VALU_DEP_1)
	v_lshrrev_b32_e32 v35, 16, v35
	s_wait_alu 0xf1ff
	v_cndmask_b32_e64 v35, 0x7fc0, v35, s1
	s_delay_alu instid0(VALU_DEP_1)
	v_and_b32_e32 v36, 0xffff, v35
.LBB517_69:
	s_or_b32 exec_lo, exec_lo, s28
	s_delay_alu instid0(VALU_DEP_1)
	v_mov_b32_dpp v37, v36 row_shr:4 row_mask:0xf bank_mask:0xf
	s_mov_b32 s28, exec_lo
	v_cmpx_lt_u32_e32 3, v34
	s_cbranch_execz .LBB517_73
; %bb.70:
	v_lshlrev_b32_e32 v35, 16, v36
	s_delay_alu instid0(VALU_DEP_1) | instskip(NEXT) | instid1(VALU_DEP_1)
	v_dual_max_num_f32 v37, v35, v35 :: v_dual_lshlrev_b32 v36, 16, v37
	v_max_num_f32_e32 v38, v36, v36
	v_cmp_u_f32_e64 s1, v36, v36
	s_delay_alu instid0(VALU_DEP_2) | instskip(SKIP_2) | instid1(VALU_DEP_2)
	v_min_num_f32_e32 v39, v38, v37
	v_max_num_f32_e32 v37, v38, v37
	s_wait_alu 0xf1ff
	v_cndmask_b32_e64 v38, v39, v36, s1
	s_delay_alu instid0(VALU_DEP_2) | instskip(SKIP_2) | instid1(VALU_DEP_1)
	v_cndmask_b32_e64 v39, v37, v36, s1
	v_cmp_u_f32_e64 s1, v35, v35
	s_wait_alu 0xf1ff
	v_cndmask_b32_e64 v37, v38, v35, s1
	s_delay_alu instid0(VALU_DEP_3) | instskip(NEXT) | instid1(VALU_DEP_2)
	v_cndmask_b32_e64 v35, v39, v35, s1
	v_cmp_class_f32_e64 s29, v37, 0x1f8
	s_delay_alu instid0(VALU_DEP_2)
	v_cmp_neq_f32_e64 s1, v37, v35
	s_or_b32 s1, s1, s29
	s_wait_alu 0xfffe
	s_and_saveexec_b32 s29, s1
	s_cbranch_execz .LBB517_72
; %bb.71:
	v_sub_f32_e32 v36, v37, v35
	s_delay_alu instid0(VALU_DEP_1) | instskip(SKIP_1) | instid1(VALU_DEP_2)
	v_mul_f32_e32 v37, 0x3fb8aa3b, v36
	v_cmp_ngt_f32_e64 s1, 0xc2ce8ed0, v36
	v_fma_f32 v38, 0x3fb8aa3b, v36, -v37
	v_rndne_f32_e32 v39, v37
	s_delay_alu instid0(VALU_DEP_1) | instskip(NEXT) | instid1(VALU_DEP_1)
	v_dual_fmamk_f32 v38, v36, 0x32a5705f, v38 :: v_dual_sub_f32 v37, v37, v39
	v_add_f32_e32 v37, v37, v38
	v_cvt_i32_f32_e32 v38, v39
	s_delay_alu instid0(VALU_DEP_2) | instskip(NEXT) | instid1(TRANS32_DEP_1)
	v_exp_f32_e32 v37, v37
	v_ldexp_f32 v37, v37, v38
	s_wait_alu 0xf1ff
	s_delay_alu instid0(VALU_DEP_1) | instskip(SKIP_2) | instid1(VALU_DEP_1)
	v_cndmask_b32_e64 v37, 0, v37, s1
	v_cmp_nlt_f32_e64 s1, 0x42b17218, v36
	s_wait_alu 0xf1ff
	v_cndmask_b32_e64 v38, 0x7f800000, v37, s1
	s_delay_alu instid0(VALU_DEP_1) | instskip(NEXT) | instid1(VALU_DEP_1)
	v_add_f32_e32 v39, 1.0, v38
	v_cvt_f64_f32_e32 v[36:37], v39
	s_delay_alu instid0(VALU_DEP_1) | instskip(SKIP_1) | instid1(VALU_DEP_1)
	v_frexp_exp_i32_f64_e32 v36, v[36:37]
	v_frexp_mant_f32_e32 v37, v39
	v_cmp_gt_f32_e64 s1, 0x3f2aaaab, v37
	v_add_f32_e32 v37, -1.0, v39
	s_delay_alu instid0(VALU_DEP_1)
	v_sub_f32_e32 v41, v37, v39
	v_sub_f32_e32 v37, v38, v37
	s_wait_alu 0xf1ff
	v_subrev_co_ci_u32_e64 v36, null, 0, v36, s1
	s_mov_b32 s1, 0x3e9b6dac
	v_sub_nc_u32_e32 v40, 0, v36
	v_cvt_f32_i32_e32 v36, v36
	s_delay_alu instid0(VALU_DEP_2) | instskip(NEXT) | instid1(VALU_DEP_1)
	v_ldexp_f32 v39, v39, v40
	v_dual_add_f32 v42, 1.0, v39 :: v_dual_add_f32 v41, 1.0, v41
	s_delay_alu instid0(VALU_DEP_1) | instskip(NEXT) | instid1(VALU_DEP_2)
	v_add_f32_e32 v37, v37, v41
	v_add_f32_e32 v41, -1.0, v42
	s_delay_alu instid0(VALU_DEP_2) | instskip(NEXT) | instid1(VALU_DEP_2)
	v_ldexp_f32 v37, v37, v40
	v_dual_add_f32 v40, -1.0, v39 :: v_dual_sub_f32 v41, v39, v41
	s_delay_alu instid0(VALU_DEP_1) | instskip(NEXT) | instid1(VALU_DEP_2)
	v_add_f32_e32 v43, 1.0, v40
	v_add_f32_e32 v41, v37, v41
	s_delay_alu instid0(VALU_DEP_2) | instskip(NEXT) | instid1(VALU_DEP_2)
	v_sub_f32_e32 v39, v39, v43
	v_add_f32_e32 v43, v42, v41
	s_delay_alu instid0(VALU_DEP_2) | instskip(NEXT) | instid1(VALU_DEP_2)
	v_add_f32_e32 v37, v37, v39
	v_rcp_f32_e32 v39, v43
	v_sub_f32_e32 v42, v42, v43
	s_delay_alu instid0(VALU_DEP_1) | instskip(NEXT) | instid1(VALU_DEP_1)
	v_dual_add_f32 v44, v40, v37 :: v_dual_add_f32 v41, v41, v42
	v_sub_f32_e32 v40, v40, v44
	s_delay_alu instid0(TRANS32_DEP_1) | instskip(NEXT) | instid1(VALU_DEP_1)
	v_mul_f32_e32 v45, v44, v39
	v_dual_add_f32 v37, v37, v40 :: v_dual_mul_f32 v46, v43, v45
	s_delay_alu instid0(VALU_DEP_1) | instskip(NEXT) | instid1(VALU_DEP_1)
	v_fma_f32 v42, v45, v43, -v46
	v_fmac_f32_e32 v42, v45, v41
	s_delay_alu instid0(VALU_DEP_1) | instskip(NEXT) | instid1(VALU_DEP_1)
	v_add_f32_e32 v47, v46, v42
	v_sub_f32_e32 v48, v44, v47
	v_sub_f32_e32 v40, v47, v46
	s_delay_alu instid0(VALU_DEP_2) | instskip(NEXT) | instid1(VALU_DEP_2)
	v_sub_f32_e32 v44, v44, v48
	v_sub_f32_e32 v40, v40, v42
	s_delay_alu instid0(VALU_DEP_2) | instskip(NEXT) | instid1(VALU_DEP_1)
	v_sub_f32_e32 v44, v44, v47
	v_add_f32_e32 v37, v37, v44
	s_delay_alu instid0(VALU_DEP_1) | instskip(NEXT) | instid1(VALU_DEP_1)
	v_add_f32_e32 v37, v40, v37
	v_add_f32_e32 v40, v48, v37
	s_delay_alu instid0(VALU_DEP_1) | instskip(NEXT) | instid1(VALU_DEP_1)
	v_mul_f32_e32 v42, v39, v40
	v_dual_sub_f32 v47, v48, v40 :: v_dual_mul_f32 v44, v43, v42
	s_delay_alu instid0(VALU_DEP_1) | instskip(NEXT) | instid1(VALU_DEP_2)
	v_add_f32_e32 v37, v37, v47
	v_fma_f32 v43, v42, v43, -v44
	s_delay_alu instid0(VALU_DEP_1) | instskip(NEXT) | instid1(VALU_DEP_1)
	v_fmac_f32_e32 v43, v42, v41
	v_add_f32_e32 v41, v44, v43
	s_delay_alu instid0(VALU_DEP_1) | instskip(SKIP_1) | instid1(VALU_DEP_2)
	v_sub_f32_e32 v46, v40, v41
	v_sub_f32_e32 v44, v41, v44
	;; [unrolled: 1-line block ×3, first 2 shown]
	s_delay_alu instid0(VALU_DEP_1) | instskip(NEXT) | instid1(VALU_DEP_3)
	v_sub_f32_e32 v40, v40, v41
	v_sub_f32_e32 v41, v44, v43
	s_delay_alu instid0(VALU_DEP_2) | instskip(SKIP_1) | instid1(VALU_DEP_2)
	v_add_f32_e32 v37, v37, v40
	v_add_f32_e32 v40, v45, v42
	;; [unrolled: 1-line block ×3, first 2 shown]
	s_delay_alu instid0(VALU_DEP_2) | instskip(NEXT) | instid1(VALU_DEP_2)
	v_sub_f32_e32 v41, v40, v45
	v_add_f32_e32 v37, v46, v37
	s_delay_alu instid0(VALU_DEP_2) | instskip(NEXT) | instid1(VALU_DEP_2)
	v_sub_f32_e32 v41, v42, v41
	v_mul_f32_e32 v37, v39, v37
	s_delay_alu instid0(VALU_DEP_1) | instskip(NEXT) | instid1(VALU_DEP_1)
	v_add_f32_e32 v37, v41, v37
	v_add_f32_e32 v39, v40, v37
	s_delay_alu instid0(VALU_DEP_1) | instskip(SKIP_1) | instid1(VALU_DEP_1)
	v_mul_f32_e32 v41, v39, v39
	s_wait_alu 0xfffe
	v_fmaak_f32 v42, s1, v41, 0x3ecc95a3
	v_mul_f32_e32 v43, v39, v41
	v_cmp_neq_f32_e64 s1, 0x7f800000, v38
	s_delay_alu instid0(VALU_DEP_3) | instskip(SKIP_2) | instid1(VALU_DEP_3)
	v_fmaak_f32 v41, v41, v42, 0x3f2aaada
	v_ldexp_f32 v42, v39, 1
	v_sub_f32_e32 v39, v39, v40
	v_mul_f32_e32 v41, v43, v41
	v_mul_f32_e32 v43, 0x3f317218, v36
	s_delay_alu instid0(VALU_DEP_2) | instskip(NEXT) | instid1(VALU_DEP_1)
	v_dual_sub_f32 v37, v37, v39 :: v_dual_add_f32 v40, v42, v41
	v_ldexp_f32 v37, v37, 1
	s_delay_alu instid0(VALU_DEP_2) | instskip(NEXT) | instid1(VALU_DEP_4)
	v_sub_f32_e32 v39, v40, v42
	v_fma_f32 v42, 0x3f317218, v36, -v43
	s_delay_alu instid0(VALU_DEP_1) | instskip(NEXT) | instid1(VALU_DEP_1)
	v_dual_sub_f32 v39, v41, v39 :: v_dual_fmamk_f32 v36, v36, 0xb102e308, v42
	v_add_f32_e32 v37, v37, v39
	s_delay_alu instid0(VALU_DEP_2) | instskip(NEXT) | instid1(VALU_DEP_2)
	v_add_f32_e32 v39, v43, v36
	v_add_f32_e32 v41, v40, v37
	s_delay_alu instid0(VALU_DEP_2) | instskip(NEXT) | instid1(VALU_DEP_2)
	v_sub_f32_e32 v43, v39, v43
	v_add_f32_e32 v42, v39, v41
	v_sub_f32_e32 v40, v41, v40
	s_delay_alu instid0(VALU_DEP_3) | instskip(NEXT) | instid1(VALU_DEP_2)
	v_sub_f32_e32 v36, v36, v43
	v_dual_sub_f32 v44, v42, v39 :: v_dual_sub_f32 v37, v37, v40
	s_delay_alu instid0(VALU_DEP_1) | instskip(NEXT) | instid1(VALU_DEP_2)
	v_sub_f32_e32 v45, v42, v44
	v_dual_sub_f32 v40, v41, v44 :: v_dual_add_f32 v41, v36, v37
	s_delay_alu instid0(VALU_DEP_2) | instskip(NEXT) | instid1(VALU_DEP_1)
	v_sub_f32_e32 v39, v39, v45
	v_dual_add_f32 v39, v40, v39 :: v_dual_sub_f32 v40, v41, v36
	s_delay_alu instid0(VALU_DEP_1) | instskip(NEXT) | instid1(VALU_DEP_2)
	v_add_f32_e32 v39, v41, v39
	v_sub_f32_e32 v41, v41, v40
	v_sub_f32_e32 v37, v37, v40
	s_delay_alu instid0(VALU_DEP_2) | instskip(NEXT) | instid1(VALU_DEP_1)
	v_dual_add_f32 v43, v42, v39 :: v_dual_sub_f32 v36, v36, v41
	v_sub_f32_e32 v40, v43, v42
	s_delay_alu instid0(VALU_DEP_2) | instskip(NEXT) | instid1(VALU_DEP_2)
	v_add_f32_e32 v36, v37, v36
	v_sub_f32_e32 v37, v39, v40
	s_delay_alu instid0(VALU_DEP_1) | instskip(NEXT) | instid1(VALU_DEP_1)
	v_add_f32_e32 v36, v36, v37
	v_add_f32_e32 v36, v43, v36
	s_wait_alu 0xf1ff
	s_delay_alu instid0(VALU_DEP_1) | instskip(SKIP_2) | instid1(VALU_DEP_1)
	v_cndmask_b32_e64 v36, 0x7f800000, v36, s1
	v_cmp_gt_f32_e64 s1, 0x33800000, |v38|
	s_wait_alu 0xf1ff
	v_cndmask_b32_e64 v36, v36, v38, s1
	s_delay_alu instid0(VALU_DEP_1)
	v_add_f32_e32 v36, v35, v36
.LBB517_72:
	s_or_b32 exec_lo, exec_lo, s29
	s_delay_alu instid0(VALU_DEP_1) | instskip(SKIP_1) | instid1(VALU_DEP_2)
	v_bfe_u32 v35, v36, 16, 1
	v_cmp_o_f32_e64 s1, v36, v36
	v_add3_u32 v35, v36, v35, 0x7fff
	s_delay_alu instid0(VALU_DEP_1) | instskip(SKIP_1) | instid1(VALU_DEP_1)
	v_lshrrev_b32_e32 v35, 16, v35
	s_wait_alu 0xf1ff
	v_cndmask_b32_e64 v35, 0x7fc0, v35, s1
	s_delay_alu instid0(VALU_DEP_1)
	v_and_b32_e32 v36, 0xffff, v35
.LBB517_73:
	s_or_b32 exec_lo, exec_lo, s28
	s_delay_alu instid0(VALU_DEP_1)
	v_mov_b32_dpp v37, v36 row_shr:8 row_mask:0xf bank_mask:0xf
	s_mov_b32 s28, exec_lo
	v_cmpx_lt_u32_e32 7, v34
	s_cbranch_execz .LBB517_77
; %bb.74:
	s_delay_alu instid0(VALU_DEP_2) | instskip(NEXT) | instid1(VALU_DEP_1)
	v_lshlrev_b32_e32 v35, 16, v37
	v_dual_max_num_f32 v37, v35, v35 :: v_dual_lshlrev_b32 v34, 16, v36
	s_delay_alu instid0(VALU_DEP_1) | instskip(SKIP_1) | instid1(VALU_DEP_2)
	v_max_num_f32_e32 v36, v34, v34
	v_cmp_u_f32_e64 s1, v35, v35
	v_min_num_f32_e32 v38, v37, v36
	v_max_num_f32_e32 v36, v37, v36
	s_wait_alu 0xf1ff
	s_delay_alu instid0(VALU_DEP_2) | instskip(NEXT) | instid1(VALU_DEP_2)
	v_cndmask_b32_e64 v37, v38, v35, s1
	v_cndmask_b32_e64 v38, v36, v35, s1
	v_cmp_u_f32_e64 s1, v34, v34
	s_wait_alu 0xf1ff
	s_delay_alu instid0(VALU_DEP_1) | instskip(NEXT) | instid1(VALU_DEP_3)
	v_cndmask_b32_e64 v36, v37, v34, s1
	v_cndmask_b32_e64 v34, v38, v34, s1
	s_delay_alu instid0(VALU_DEP_2) | instskip(NEXT) | instid1(VALU_DEP_2)
	v_cmp_class_f32_e64 s29, v36, 0x1f8
	v_cmp_neq_f32_e64 s1, v36, v34
	s_or_b32 s1, s1, s29
	s_wait_alu 0xfffe
	s_and_saveexec_b32 s29, s1
	s_cbranch_execz .LBB517_76
; %bb.75:
	v_sub_f32_e32 v35, v36, v34
	s_delay_alu instid0(VALU_DEP_1) | instskip(SKIP_1) | instid1(VALU_DEP_2)
	v_mul_f32_e32 v36, 0x3fb8aa3b, v35
	v_cmp_ngt_f32_e64 s1, 0xc2ce8ed0, v35
	v_fma_f32 v37, 0x3fb8aa3b, v35, -v36
	v_rndne_f32_e32 v38, v36
	s_delay_alu instid0(VALU_DEP_1) | instskip(NEXT) | instid1(VALU_DEP_1)
	v_dual_fmamk_f32 v37, v35, 0x32a5705f, v37 :: v_dual_sub_f32 v36, v36, v38
	v_add_f32_e32 v36, v36, v37
	v_cvt_i32_f32_e32 v37, v38
	s_delay_alu instid0(VALU_DEP_2) | instskip(NEXT) | instid1(TRANS32_DEP_1)
	v_exp_f32_e32 v36, v36
	v_ldexp_f32 v36, v36, v37
	s_wait_alu 0xf1ff
	s_delay_alu instid0(VALU_DEP_1) | instskip(SKIP_2) | instid1(VALU_DEP_1)
	v_cndmask_b32_e64 v36, 0, v36, s1
	v_cmp_nlt_f32_e64 s1, 0x42b17218, v35
	s_wait_alu 0xf1ff
	v_cndmask_b32_e64 v37, 0x7f800000, v36, s1
	s_delay_alu instid0(VALU_DEP_1) | instskip(NEXT) | instid1(VALU_DEP_1)
	v_add_f32_e32 v38, 1.0, v37
	v_cvt_f64_f32_e32 v[35:36], v38
	s_delay_alu instid0(VALU_DEP_1) | instskip(SKIP_1) | instid1(VALU_DEP_1)
	v_frexp_exp_i32_f64_e32 v35, v[35:36]
	v_frexp_mant_f32_e32 v36, v38
	v_cmp_gt_f32_e64 s1, 0x3f2aaaab, v36
	v_add_f32_e32 v36, -1.0, v38
	s_delay_alu instid0(VALU_DEP_1)
	v_sub_f32_e32 v40, v36, v38
	v_sub_f32_e32 v36, v37, v36
	s_wait_alu 0xf1ff
	v_subrev_co_ci_u32_e64 v35, null, 0, v35, s1
	s_mov_b32 s1, 0x3e9b6dac
	v_sub_nc_u32_e32 v39, 0, v35
	v_cvt_f32_i32_e32 v35, v35
	s_delay_alu instid0(VALU_DEP_2) | instskip(NEXT) | instid1(VALU_DEP_1)
	v_ldexp_f32 v38, v38, v39
	v_dual_add_f32 v41, 1.0, v38 :: v_dual_add_f32 v40, 1.0, v40
	s_delay_alu instid0(VALU_DEP_1) | instskip(NEXT) | instid1(VALU_DEP_2)
	v_add_f32_e32 v36, v36, v40
	v_add_f32_e32 v40, -1.0, v41
	s_delay_alu instid0(VALU_DEP_2) | instskip(NEXT) | instid1(VALU_DEP_2)
	v_ldexp_f32 v36, v36, v39
	v_dual_add_f32 v39, -1.0, v38 :: v_dual_sub_f32 v40, v38, v40
	s_delay_alu instid0(VALU_DEP_1) | instskip(NEXT) | instid1(VALU_DEP_2)
	v_add_f32_e32 v42, 1.0, v39
	v_add_f32_e32 v40, v36, v40
	s_delay_alu instid0(VALU_DEP_2) | instskip(NEXT) | instid1(VALU_DEP_2)
	v_sub_f32_e32 v38, v38, v42
	v_add_f32_e32 v42, v41, v40
	s_delay_alu instid0(VALU_DEP_2) | instskip(NEXT) | instid1(VALU_DEP_2)
	v_add_f32_e32 v36, v36, v38
	v_rcp_f32_e32 v38, v42
	v_sub_f32_e32 v41, v41, v42
	s_delay_alu instid0(VALU_DEP_1) | instskip(NEXT) | instid1(VALU_DEP_1)
	v_dual_add_f32 v43, v39, v36 :: v_dual_add_f32 v40, v40, v41
	v_sub_f32_e32 v39, v39, v43
	s_delay_alu instid0(TRANS32_DEP_1) | instskip(NEXT) | instid1(VALU_DEP_1)
	v_mul_f32_e32 v44, v43, v38
	v_dual_add_f32 v36, v36, v39 :: v_dual_mul_f32 v45, v42, v44
	s_delay_alu instid0(VALU_DEP_1) | instskip(NEXT) | instid1(VALU_DEP_1)
	v_fma_f32 v41, v44, v42, -v45
	v_fmac_f32_e32 v41, v44, v40
	s_delay_alu instid0(VALU_DEP_1) | instskip(NEXT) | instid1(VALU_DEP_1)
	v_add_f32_e32 v46, v45, v41
	v_sub_f32_e32 v47, v43, v46
	v_sub_f32_e32 v39, v46, v45
	s_delay_alu instid0(VALU_DEP_2) | instskip(NEXT) | instid1(VALU_DEP_2)
	v_sub_f32_e32 v43, v43, v47
	v_sub_f32_e32 v39, v39, v41
	s_delay_alu instid0(VALU_DEP_2) | instskip(NEXT) | instid1(VALU_DEP_1)
	v_sub_f32_e32 v43, v43, v46
	v_add_f32_e32 v36, v36, v43
	s_delay_alu instid0(VALU_DEP_1) | instskip(NEXT) | instid1(VALU_DEP_1)
	v_add_f32_e32 v36, v39, v36
	v_add_f32_e32 v39, v47, v36
	s_delay_alu instid0(VALU_DEP_1) | instskip(NEXT) | instid1(VALU_DEP_1)
	v_mul_f32_e32 v41, v38, v39
	v_dual_sub_f32 v46, v47, v39 :: v_dual_mul_f32 v43, v42, v41
	s_delay_alu instid0(VALU_DEP_1) | instskip(NEXT) | instid1(VALU_DEP_2)
	v_add_f32_e32 v36, v36, v46
	v_fma_f32 v42, v41, v42, -v43
	s_delay_alu instid0(VALU_DEP_1) | instskip(NEXT) | instid1(VALU_DEP_1)
	v_fmac_f32_e32 v42, v41, v40
	v_add_f32_e32 v40, v43, v42
	s_delay_alu instid0(VALU_DEP_1) | instskip(SKIP_1) | instid1(VALU_DEP_2)
	v_sub_f32_e32 v45, v39, v40
	v_sub_f32_e32 v43, v40, v43
	;; [unrolled: 1-line block ×3, first 2 shown]
	s_delay_alu instid0(VALU_DEP_1) | instskip(NEXT) | instid1(VALU_DEP_3)
	v_sub_f32_e32 v39, v39, v40
	v_sub_f32_e32 v40, v43, v42
	s_delay_alu instid0(VALU_DEP_2) | instskip(SKIP_1) | instid1(VALU_DEP_2)
	v_add_f32_e32 v36, v36, v39
	v_add_f32_e32 v39, v44, v41
	;; [unrolled: 1-line block ×3, first 2 shown]
	s_delay_alu instid0(VALU_DEP_2) | instskip(NEXT) | instid1(VALU_DEP_2)
	v_sub_f32_e32 v40, v39, v44
	v_add_f32_e32 v36, v45, v36
	s_delay_alu instid0(VALU_DEP_2) | instskip(NEXT) | instid1(VALU_DEP_2)
	v_sub_f32_e32 v40, v41, v40
	v_mul_f32_e32 v36, v38, v36
	s_delay_alu instid0(VALU_DEP_1) | instskip(NEXT) | instid1(VALU_DEP_1)
	v_add_f32_e32 v36, v40, v36
	v_add_f32_e32 v38, v39, v36
	s_delay_alu instid0(VALU_DEP_1) | instskip(SKIP_1) | instid1(VALU_DEP_1)
	v_mul_f32_e32 v40, v38, v38
	s_wait_alu 0xfffe
	v_fmaak_f32 v41, s1, v40, 0x3ecc95a3
	v_mul_f32_e32 v42, v38, v40
	v_cmp_neq_f32_e64 s1, 0x7f800000, v37
	s_delay_alu instid0(VALU_DEP_3) | instskip(SKIP_2) | instid1(VALU_DEP_3)
	v_fmaak_f32 v40, v40, v41, 0x3f2aaada
	v_ldexp_f32 v41, v38, 1
	v_sub_f32_e32 v38, v38, v39
	v_mul_f32_e32 v40, v42, v40
	v_mul_f32_e32 v42, 0x3f317218, v35
	s_delay_alu instid0(VALU_DEP_2) | instskip(NEXT) | instid1(VALU_DEP_1)
	v_dual_sub_f32 v36, v36, v38 :: v_dual_add_f32 v39, v41, v40
	v_ldexp_f32 v36, v36, 1
	s_delay_alu instid0(VALU_DEP_2) | instskip(NEXT) | instid1(VALU_DEP_4)
	v_sub_f32_e32 v38, v39, v41
	v_fma_f32 v41, 0x3f317218, v35, -v42
	s_delay_alu instid0(VALU_DEP_1) | instskip(NEXT) | instid1(VALU_DEP_1)
	v_dual_sub_f32 v38, v40, v38 :: v_dual_fmamk_f32 v35, v35, 0xb102e308, v41
	v_add_f32_e32 v36, v36, v38
	s_delay_alu instid0(VALU_DEP_2) | instskip(NEXT) | instid1(VALU_DEP_2)
	v_add_f32_e32 v38, v42, v35
	v_add_f32_e32 v40, v39, v36
	s_delay_alu instid0(VALU_DEP_2) | instskip(NEXT) | instid1(VALU_DEP_2)
	v_sub_f32_e32 v42, v38, v42
	v_add_f32_e32 v41, v38, v40
	v_sub_f32_e32 v39, v40, v39
	s_delay_alu instid0(VALU_DEP_3) | instskip(NEXT) | instid1(VALU_DEP_2)
	v_sub_f32_e32 v35, v35, v42
	v_dual_sub_f32 v43, v41, v38 :: v_dual_sub_f32 v36, v36, v39
	s_delay_alu instid0(VALU_DEP_1) | instskip(NEXT) | instid1(VALU_DEP_2)
	v_sub_f32_e32 v44, v41, v43
	v_dual_sub_f32 v39, v40, v43 :: v_dual_add_f32 v40, v35, v36
	s_delay_alu instid0(VALU_DEP_2) | instskip(NEXT) | instid1(VALU_DEP_1)
	v_sub_f32_e32 v38, v38, v44
	v_dual_add_f32 v38, v39, v38 :: v_dual_sub_f32 v39, v40, v35
	s_delay_alu instid0(VALU_DEP_1) | instskip(NEXT) | instid1(VALU_DEP_2)
	v_add_f32_e32 v38, v40, v38
	v_sub_f32_e32 v40, v40, v39
	v_sub_f32_e32 v36, v36, v39
	s_delay_alu instid0(VALU_DEP_2) | instskip(NEXT) | instid1(VALU_DEP_1)
	v_dual_add_f32 v42, v41, v38 :: v_dual_sub_f32 v35, v35, v40
	v_sub_f32_e32 v39, v42, v41
	s_delay_alu instid0(VALU_DEP_2) | instskip(NEXT) | instid1(VALU_DEP_2)
	v_add_f32_e32 v35, v36, v35
	v_sub_f32_e32 v36, v38, v39
	s_delay_alu instid0(VALU_DEP_1) | instskip(NEXT) | instid1(VALU_DEP_1)
	v_add_f32_e32 v35, v35, v36
	v_add_f32_e32 v35, v42, v35
	s_wait_alu 0xf1ff
	s_delay_alu instid0(VALU_DEP_1) | instskip(SKIP_2) | instid1(VALU_DEP_1)
	v_cndmask_b32_e64 v35, 0x7f800000, v35, s1
	v_cmp_gt_f32_e64 s1, 0x33800000, |v37|
	s_wait_alu 0xf1ff
	v_cndmask_b32_e64 v35, v35, v37, s1
	s_delay_alu instid0(VALU_DEP_1)
	v_add_f32_e32 v35, v34, v35
.LBB517_76:
	s_or_b32 exec_lo, exec_lo, s29
	s_delay_alu instid0(VALU_DEP_1) | instskip(SKIP_1) | instid1(VALU_DEP_2)
	v_bfe_u32 v34, v35, 16, 1
	v_cmp_o_f32_e64 s1, v35, v35
	v_add3_u32 v34, v35, v34, 0x7fff
	s_delay_alu instid0(VALU_DEP_1) | instskip(SKIP_1) | instid1(VALU_DEP_1)
	v_lshrrev_b32_e32 v34, 16, v34
	s_wait_alu 0xf1ff
	v_cndmask_b32_e64 v35, 0x7fc0, v34, s1
	s_delay_alu instid0(VALU_DEP_1)
	v_and_b32_e32 v36, 0xffff, v35
.LBB517_77:
	s_or_b32 exec_lo, exec_lo, s28
	ds_swizzle_b32 v34, v36 offset:swizzle(BROADCAST,32,15)
	v_and_b32_e32 v37, 16, v33
	s_mov_b32 s28, exec_lo
	s_delay_alu instid0(VALU_DEP_1)
	v_cmpx_ne_u32_e32 0, v37
	s_cbranch_execz .LBB517_81
; %bb.78:
	s_wait_dscnt 0x0
	v_lshlrev_b32_e32 v35, 16, v34
	s_delay_alu instid0(VALU_DEP_1) | instskip(NEXT) | instid1(VALU_DEP_1)
	v_dual_max_num_f32 v36, v35, v35 :: v_dual_lshlrev_b32 v37, 16, v36
	v_max_num_f32_e32 v34, v37, v37
	v_cmp_u_f32_e64 s1, v35, v35
	s_delay_alu instid0(VALU_DEP_2) | instskip(SKIP_2) | instid1(VALU_DEP_2)
	v_min_num_f32_e32 v38, v36, v34
	v_max_num_f32_e32 v34, v36, v34
	s_wait_alu 0xf1ff
	v_cndmask_b32_e64 v36, v38, v35, s1
	s_delay_alu instid0(VALU_DEP_2) | instskip(SKIP_2) | instid1(VALU_DEP_1)
	v_cndmask_b32_e64 v34, v34, v35, s1
	v_cmp_u_f32_e64 s1, v37, v37
	s_wait_alu 0xf1ff
	v_cndmask_b32_e64 v36, v36, v37, s1
	s_delay_alu instid0(VALU_DEP_3) | instskip(NEXT) | instid1(VALU_DEP_2)
	v_cndmask_b32_e64 v34, v34, v37, s1
	v_cmp_class_f32_e64 s29, v36, 0x1f8
	s_delay_alu instid0(VALU_DEP_2)
	v_cmp_neq_f32_e64 s1, v36, v34
	s_or_b32 s1, s1, s29
	s_wait_alu 0xfffe
	s_and_saveexec_b32 s29, s1
	s_cbranch_execz .LBB517_80
; %bb.79:
	v_sub_f32_e32 v35, v36, v34
	s_delay_alu instid0(VALU_DEP_1) | instskip(SKIP_1) | instid1(VALU_DEP_2)
	v_mul_f32_e32 v36, 0x3fb8aa3b, v35
	v_cmp_ngt_f32_e64 s1, 0xc2ce8ed0, v35
	v_fma_f32 v37, 0x3fb8aa3b, v35, -v36
	v_rndne_f32_e32 v38, v36
	s_delay_alu instid0(VALU_DEP_1) | instskip(NEXT) | instid1(VALU_DEP_1)
	v_dual_fmamk_f32 v37, v35, 0x32a5705f, v37 :: v_dual_sub_f32 v36, v36, v38
	v_add_f32_e32 v36, v36, v37
	v_cvt_i32_f32_e32 v37, v38
	s_delay_alu instid0(VALU_DEP_2) | instskip(NEXT) | instid1(TRANS32_DEP_1)
	v_exp_f32_e32 v36, v36
	v_ldexp_f32 v36, v36, v37
	s_wait_alu 0xf1ff
	s_delay_alu instid0(VALU_DEP_1) | instskip(SKIP_2) | instid1(VALU_DEP_1)
	v_cndmask_b32_e64 v36, 0, v36, s1
	v_cmp_nlt_f32_e64 s1, 0x42b17218, v35
	s_wait_alu 0xf1ff
	v_cndmask_b32_e64 v37, 0x7f800000, v36, s1
	s_delay_alu instid0(VALU_DEP_1) | instskip(NEXT) | instid1(VALU_DEP_1)
	v_add_f32_e32 v38, 1.0, v37
	v_cvt_f64_f32_e32 v[35:36], v38
	s_delay_alu instid0(VALU_DEP_1) | instskip(SKIP_1) | instid1(VALU_DEP_1)
	v_frexp_exp_i32_f64_e32 v35, v[35:36]
	v_frexp_mant_f32_e32 v36, v38
	v_cmp_gt_f32_e64 s1, 0x3f2aaaab, v36
	v_add_f32_e32 v36, -1.0, v38
	s_delay_alu instid0(VALU_DEP_1)
	v_sub_f32_e32 v40, v36, v38
	v_sub_f32_e32 v36, v37, v36
	s_wait_alu 0xf1ff
	v_subrev_co_ci_u32_e64 v35, null, 0, v35, s1
	s_mov_b32 s1, 0x3e9b6dac
	v_sub_nc_u32_e32 v39, 0, v35
	v_cvt_f32_i32_e32 v35, v35
	s_delay_alu instid0(VALU_DEP_2) | instskip(NEXT) | instid1(VALU_DEP_1)
	v_ldexp_f32 v38, v38, v39
	v_dual_add_f32 v41, 1.0, v38 :: v_dual_add_f32 v40, 1.0, v40
	s_delay_alu instid0(VALU_DEP_1) | instskip(NEXT) | instid1(VALU_DEP_2)
	v_add_f32_e32 v36, v36, v40
	v_add_f32_e32 v40, -1.0, v41
	s_delay_alu instid0(VALU_DEP_2) | instskip(NEXT) | instid1(VALU_DEP_2)
	v_ldexp_f32 v36, v36, v39
	v_dual_add_f32 v39, -1.0, v38 :: v_dual_sub_f32 v40, v38, v40
	s_delay_alu instid0(VALU_DEP_1) | instskip(NEXT) | instid1(VALU_DEP_2)
	v_add_f32_e32 v42, 1.0, v39
	v_add_f32_e32 v40, v36, v40
	s_delay_alu instid0(VALU_DEP_2) | instskip(NEXT) | instid1(VALU_DEP_2)
	v_sub_f32_e32 v38, v38, v42
	v_add_f32_e32 v42, v41, v40
	s_delay_alu instid0(VALU_DEP_2) | instskip(NEXT) | instid1(VALU_DEP_2)
	v_add_f32_e32 v36, v36, v38
	v_rcp_f32_e32 v38, v42
	v_sub_f32_e32 v41, v41, v42
	s_delay_alu instid0(VALU_DEP_1) | instskip(NEXT) | instid1(VALU_DEP_1)
	v_dual_add_f32 v43, v39, v36 :: v_dual_add_f32 v40, v40, v41
	v_sub_f32_e32 v39, v39, v43
	s_delay_alu instid0(TRANS32_DEP_1) | instskip(NEXT) | instid1(VALU_DEP_1)
	v_mul_f32_e32 v44, v43, v38
	v_dual_add_f32 v36, v36, v39 :: v_dual_mul_f32 v45, v42, v44
	s_delay_alu instid0(VALU_DEP_1) | instskip(NEXT) | instid1(VALU_DEP_1)
	v_fma_f32 v41, v44, v42, -v45
	v_fmac_f32_e32 v41, v44, v40
	s_delay_alu instid0(VALU_DEP_1) | instskip(NEXT) | instid1(VALU_DEP_1)
	v_add_f32_e32 v46, v45, v41
	v_sub_f32_e32 v47, v43, v46
	v_sub_f32_e32 v39, v46, v45
	s_delay_alu instid0(VALU_DEP_2) | instskip(NEXT) | instid1(VALU_DEP_2)
	v_sub_f32_e32 v43, v43, v47
	v_sub_f32_e32 v39, v39, v41
	s_delay_alu instid0(VALU_DEP_2) | instskip(NEXT) | instid1(VALU_DEP_1)
	v_sub_f32_e32 v43, v43, v46
	v_add_f32_e32 v36, v36, v43
	s_delay_alu instid0(VALU_DEP_1) | instskip(NEXT) | instid1(VALU_DEP_1)
	v_add_f32_e32 v36, v39, v36
	v_add_f32_e32 v39, v47, v36
	s_delay_alu instid0(VALU_DEP_1) | instskip(NEXT) | instid1(VALU_DEP_1)
	v_mul_f32_e32 v41, v38, v39
	v_dual_sub_f32 v46, v47, v39 :: v_dual_mul_f32 v43, v42, v41
	s_delay_alu instid0(VALU_DEP_1) | instskip(NEXT) | instid1(VALU_DEP_2)
	v_add_f32_e32 v36, v36, v46
	v_fma_f32 v42, v41, v42, -v43
	s_delay_alu instid0(VALU_DEP_1) | instskip(NEXT) | instid1(VALU_DEP_1)
	v_fmac_f32_e32 v42, v41, v40
	v_add_f32_e32 v40, v43, v42
	s_delay_alu instid0(VALU_DEP_1) | instskip(SKIP_1) | instid1(VALU_DEP_2)
	v_sub_f32_e32 v45, v39, v40
	v_sub_f32_e32 v43, v40, v43
	;; [unrolled: 1-line block ×3, first 2 shown]
	s_delay_alu instid0(VALU_DEP_1) | instskip(NEXT) | instid1(VALU_DEP_3)
	v_sub_f32_e32 v39, v39, v40
	v_sub_f32_e32 v40, v43, v42
	s_delay_alu instid0(VALU_DEP_2) | instskip(SKIP_1) | instid1(VALU_DEP_2)
	v_add_f32_e32 v36, v36, v39
	v_add_f32_e32 v39, v44, v41
	;; [unrolled: 1-line block ×3, first 2 shown]
	s_delay_alu instid0(VALU_DEP_2) | instskip(NEXT) | instid1(VALU_DEP_2)
	v_sub_f32_e32 v40, v39, v44
	v_add_f32_e32 v36, v45, v36
	s_delay_alu instid0(VALU_DEP_2) | instskip(NEXT) | instid1(VALU_DEP_2)
	v_sub_f32_e32 v40, v41, v40
	v_mul_f32_e32 v36, v38, v36
	s_delay_alu instid0(VALU_DEP_1) | instskip(NEXT) | instid1(VALU_DEP_1)
	v_add_f32_e32 v36, v40, v36
	v_add_f32_e32 v38, v39, v36
	s_delay_alu instid0(VALU_DEP_1) | instskip(SKIP_1) | instid1(VALU_DEP_1)
	v_mul_f32_e32 v40, v38, v38
	s_wait_alu 0xfffe
	v_fmaak_f32 v41, s1, v40, 0x3ecc95a3
	v_mul_f32_e32 v42, v38, v40
	v_cmp_neq_f32_e64 s1, 0x7f800000, v37
	s_delay_alu instid0(VALU_DEP_3) | instskip(SKIP_2) | instid1(VALU_DEP_3)
	v_fmaak_f32 v40, v40, v41, 0x3f2aaada
	v_ldexp_f32 v41, v38, 1
	v_sub_f32_e32 v38, v38, v39
	v_mul_f32_e32 v40, v42, v40
	v_mul_f32_e32 v42, 0x3f317218, v35
	s_delay_alu instid0(VALU_DEP_2) | instskip(NEXT) | instid1(VALU_DEP_1)
	v_dual_sub_f32 v36, v36, v38 :: v_dual_add_f32 v39, v41, v40
	v_ldexp_f32 v36, v36, 1
	s_delay_alu instid0(VALU_DEP_2) | instskip(NEXT) | instid1(VALU_DEP_4)
	v_sub_f32_e32 v38, v39, v41
	v_fma_f32 v41, 0x3f317218, v35, -v42
	s_delay_alu instid0(VALU_DEP_1) | instskip(NEXT) | instid1(VALU_DEP_1)
	v_dual_sub_f32 v38, v40, v38 :: v_dual_fmamk_f32 v35, v35, 0xb102e308, v41
	v_add_f32_e32 v36, v36, v38
	s_delay_alu instid0(VALU_DEP_2) | instskip(NEXT) | instid1(VALU_DEP_2)
	v_add_f32_e32 v38, v42, v35
	v_add_f32_e32 v40, v39, v36
	s_delay_alu instid0(VALU_DEP_2) | instskip(NEXT) | instid1(VALU_DEP_2)
	v_sub_f32_e32 v42, v38, v42
	v_add_f32_e32 v41, v38, v40
	v_sub_f32_e32 v39, v40, v39
	s_delay_alu instid0(VALU_DEP_3) | instskip(NEXT) | instid1(VALU_DEP_2)
	v_sub_f32_e32 v35, v35, v42
	v_dual_sub_f32 v43, v41, v38 :: v_dual_sub_f32 v36, v36, v39
	s_delay_alu instid0(VALU_DEP_1) | instskip(NEXT) | instid1(VALU_DEP_2)
	v_sub_f32_e32 v44, v41, v43
	v_dual_sub_f32 v39, v40, v43 :: v_dual_add_f32 v40, v35, v36
	s_delay_alu instid0(VALU_DEP_2) | instskip(NEXT) | instid1(VALU_DEP_1)
	v_sub_f32_e32 v38, v38, v44
	v_dual_add_f32 v38, v39, v38 :: v_dual_sub_f32 v39, v40, v35
	s_delay_alu instid0(VALU_DEP_1) | instskip(NEXT) | instid1(VALU_DEP_2)
	v_add_f32_e32 v38, v40, v38
	v_sub_f32_e32 v40, v40, v39
	v_sub_f32_e32 v36, v36, v39
	s_delay_alu instid0(VALU_DEP_2) | instskip(NEXT) | instid1(VALU_DEP_1)
	v_dual_add_f32 v42, v41, v38 :: v_dual_sub_f32 v35, v35, v40
	v_sub_f32_e32 v39, v42, v41
	s_delay_alu instid0(VALU_DEP_2) | instskip(NEXT) | instid1(VALU_DEP_2)
	v_add_f32_e32 v35, v36, v35
	v_sub_f32_e32 v36, v38, v39
	s_delay_alu instid0(VALU_DEP_1) | instskip(NEXT) | instid1(VALU_DEP_1)
	v_add_f32_e32 v35, v35, v36
	v_add_f32_e32 v35, v42, v35
	s_wait_alu 0xf1ff
	s_delay_alu instid0(VALU_DEP_1) | instskip(SKIP_2) | instid1(VALU_DEP_1)
	v_cndmask_b32_e64 v35, 0x7f800000, v35, s1
	v_cmp_gt_f32_e64 s1, 0x33800000, |v37|
	s_wait_alu 0xf1ff
	v_cndmask_b32_e64 v35, v35, v37, s1
	s_delay_alu instid0(VALU_DEP_1)
	v_add_f32_e32 v35, v34, v35
.LBB517_80:
	s_or_b32 exec_lo, exec_lo, s29
	s_delay_alu instid0(VALU_DEP_1) | instskip(SKIP_1) | instid1(VALU_DEP_2)
	v_bfe_u32 v34, v35, 16, 1
	v_cmp_o_f32_e64 s1, v35, v35
	v_add3_u32 v34, v35, v34, 0x7fff
	s_delay_alu instid0(VALU_DEP_1) | instskip(SKIP_1) | instid1(VALU_DEP_1)
	v_lshrrev_b32_e32 v34, 16, v34
	s_wait_alu 0xf1ff
	v_cndmask_b32_e64 v35, 0x7fc0, v34, s1
.LBB517_81:
	s_or_b32 exec_lo, exec_lo, s28
	s_wait_dscnt 0x0
	v_add_nc_u32_e32 v34, -1, v33
	s_delay_alu instid0(VALU_DEP_1) | instskip(SKIP_1) | instid1(VALU_DEP_1)
	v_cmp_gt_i32_e64 s1, 0, v34
	s_wait_alu 0xf1ff
	v_cndmask_b32_e64 v33, v34, v33, s1
	v_and_b32_e32 v34, 0xffff, v35
	s_delay_alu instid0(VALU_DEP_2) | instskip(SKIP_3) | instid1(VALU_DEP_1)
	v_lshlrev_b32_e32 v33, 2, v33
	ds_bpermute_b32 v33, v33, v34
	s_wait_dscnt 0x0
	v_lshlrev_b32_e32 v33, 16, v33
	v_max_num_f32_e32 v34, v33, v33
	v_cmp_u_f32_e64 s1, v33, v33
	s_delay_alu instid0(VALU_DEP_2) | instskip(SKIP_2) | instid1(VALU_DEP_2)
	v_min_num_f32_e32 v35, v34, v32
	v_max_num_f32_e32 v32, v34, v32
	s_wait_alu 0xf1ff
	v_cndmask_b32_e64 v34, v35, v33, s1
	s_delay_alu instid0(VALU_DEP_2) | instskip(NEXT) | instid1(VALU_DEP_2)
	v_cndmask_b32_e64 v35, v32, v33, s1
	v_cndmask_b32_e64 v32, v34, v31, s0
	s_delay_alu instid0(VALU_DEP_2) | instskip(NEXT) | instid1(VALU_DEP_2)
	v_cndmask_b32_e64 v31, v35, v31, s0
	v_cmp_class_f32_e64 s1, v32, 0x1f8
	s_delay_alu instid0(VALU_DEP_2)
	v_cmp_neq_f32_e64 s0, v32, v31
	s_or_b32 s0, s0, s1
	s_wait_alu 0xfffe
	s_and_saveexec_b32 s1, s0
	s_cbranch_execz .LBB517_83
; %bb.82:
	v_sub_f32_e32 v32, v32, v31
	s_delay_alu instid0(VALU_DEP_1) | instskip(NEXT) | instid1(VALU_DEP_1)
	v_mul_f32_e32 v33, 0x3fb8aa3b, v32
	v_fma_f32 v34, 0x3fb8aa3b, v32, -v33
	v_rndne_f32_e32 v35, v33
	s_delay_alu instid0(VALU_DEP_1) | instskip(NEXT) | instid1(VALU_DEP_1)
	v_dual_fmamk_f32 v34, v32, 0x32a5705f, v34 :: v_dual_sub_f32 v33, v33, v35
	v_add_f32_e32 v33, v33, v34
	v_cvt_i32_f32_e32 v34, v35
	v_cmp_ngt_f32_e64 s0, 0xc2ce8ed0, v32
	s_delay_alu instid0(VALU_DEP_3) | instskip(NEXT) | instid1(TRANS32_DEP_1)
	v_exp_f32_e32 v33, v33
	v_ldexp_f32 v33, v33, v34
	s_wait_alu 0xf1ff
	s_delay_alu instid0(VALU_DEP_1) | instskip(SKIP_2) | instid1(VALU_DEP_1)
	v_cndmask_b32_e64 v33, 0, v33, s0
	v_cmp_nlt_f32_e64 s0, 0x42b17218, v32
	s_wait_alu 0xf1ff
	v_cndmask_b32_e64 v34, 0x7f800000, v33, s0
	s_delay_alu instid0(VALU_DEP_1) | instskip(NEXT) | instid1(VALU_DEP_1)
	v_add_f32_e32 v35, 1.0, v34
	v_cvt_f64_f32_e32 v[32:33], v35
	s_delay_alu instid0(VALU_DEP_1) | instskip(SKIP_1) | instid1(VALU_DEP_1)
	v_frexp_exp_i32_f64_e32 v32, v[32:33]
	v_frexp_mant_f32_e32 v33, v35
	v_cmp_gt_f32_e64 s0, 0x3f2aaaab, v33
	v_add_f32_e32 v33, -1.0, v35
	s_delay_alu instid0(VALU_DEP_1) | instskip(SKIP_1) | instid1(VALU_DEP_3)
	v_sub_f32_e32 v37, v33, v35
	s_wait_alu 0xf1ff
	v_subrev_co_ci_u32_e64 v32, null, 0, v32, s0
	s_mov_b32 s0, 0x3e9b6dac
	v_sub_nc_u32_e32 v36, 0, v32
	v_cvt_f32_i32_e32 v32, v32
	s_delay_alu instid0(VALU_DEP_2) | instskip(NEXT) | instid1(VALU_DEP_1)
	v_ldexp_f32 v35, v35, v36
	v_dual_sub_f32 v33, v34, v33 :: v_dual_add_f32 v38, 1.0, v35
	v_add_f32_e32 v37, 1.0, v37
	s_delay_alu instid0(VALU_DEP_1) | instskip(NEXT) | instid1(VALU_DEP_3)
	v_add_f32_e32 v33, v33, v37
	v_add_f32_e32 v37, -1.0, v38
	s_delay_alu instid0(VALU_DEP_2) | instskip(NEXT) | instid1(VALU_DEP_2)
	v_ldexp_f32 v33, v33, v36
	v_dual_add_f32 v36, -1.0, v35 :: v_dual_sub_f32 v37, v35, v37
	s_delay_alu instid0(VALU_DEP_1) | instskip(NEXT) | instid1(VALU_DEP_2)
	v_add_f32_e32 v39, 1.0, v36
	v_add_f32_e32 v37, v33, v37
	s_delay_alu instid0(VALU_DEP_2) | instskip(NEXT) | instid1(VALU_DEP_2)
	v_sub_f32_e32 v35, v35, v39
	v_add_f32_e32 v39, v38, v37
	s_delay_alu instid0(VALU_DEP_2) | instskip(NEXT) | instid1(VALU_DEP_2)
	v_add_f32_e32 v33, v33, v35
	v_rcp_f32_e32 v35, v39
	v_sub_f32_e32 v38, v38, v39
	s_delay_alu instid0(VALU_DEP_1) | instskip(NEXT) | instid1(VALU_DEP_1)
	v_dual_add_f32 v40, v36, v33 :: v_dual_add_f32 v37, v37, v38
	v_sub_f32_e32 v36, v36, v40
	s_delay_alu instid0(TRANS32_DEP_1) | instskip(NEXT) | instid1(VALU_DEP_1)
	v_mul_f32_e32 v41, v40, v35
	v_dual_add_f32 v33, v33, v36 :: v_dual_mul_f32 v42, v39, v41
	s_delay_alu instid0(VALU_DEP_1) | instskip(NEXT) | instid1(VALU_DEP_1)
	v_fma_f32 v38, v41, v39, -v42
	v_fmac_f32_e32 v38, v41, v37
	s_delay_alu instid0(VALU_DEP_1) | instskip(NEXT) | instid1(VALU_DEP_1)
	v_add_f32_e32 v43, v42, v38
	v_sub_f32_e32 v44, v40, v43
	v_sub_f32_e32 v36, v43, v42
	s_delay_alu instid0(VALU_DEP_2) | instskip(NEXT) | instid1(VALU_DEP_2)
	v_sub_f32_e32 v40, v40, v44
	v_sub_f32_e32 v36, v36, v38
	s_delay_alu instid0(VALU_DEP_2) | instskip(NEXT) | instid1(VALU_DEP_1)
	v_sub_f32_e32 v40, v40, v43
	v_add_f32_e32 v33, v33, v40
	s_delay_alu instid0(VALU_DEP_1) | instskip(NEXT) | instid1(VALU_DEP_1)
	v_add_f32_e32 v33, v36, v33
	v_add_f32_e32 v36, v44, v33
	s_delay_alu instid0(VALU_DEP_1) | instskip(NEXT) | instid1(VALU_DEP_1)
	v_mul_f32_e32 v38, v35, v36
	v_dual_sub_f32 v43, v44, v36 :: v_dual_mul_f32 v40, v39, v38
	s_delay_alu instid0(VALU_DEP_1) | instskip(NEXT) | instid1(VALU_DEP_2)
	v_add_f32_e32 v33, v33, v43
	v_fma_f32 v39, v38, v39, -v40
	s_delay_alu instid0(VALU_DEP_1) | instskip(NEXT) | instid1(VALU_DEP_1)
	v_fmac_f32_e32 v39, v38, v37
	v_add_f32_e32 v37, v40, v39
	s_delay_alu instid0(VALU_DEP_1) | instskip(SKIP_1) | instid1(VALU_DEP_2)
	v_sub_f32_e32 v42, v36, v37
	v_sub_f32_e32 v40, v37, v40
	;; [unrolled: 1-line block ×3, first 2 shown]
	s_delay_alu instid0(VALU_DEP_1) | instskip(NEXT) | instid1(VALU_DEP_3)
	v_sub_f32_e32 v36, v36, v37
	v_sub_f32_e32 v37, v40, v39
	s_delay_alu instid0(VALU_DEP_2) | instskip(SKIP_1) | instid1(VALU_DEP_2)
	v_add_f32_e32 v33, v33, v36
	v_add_f32_e32 v36, v41, v38
	;; [unrolled: 1-line block ×3, first 2 shown]
	s_delay_alu instid0(VALU_DEP_2) | instskip(NEXT) | instid1(VALU_DEP_2)
	v_sub_f32_e32 v37, v36, v41
	v_add_f32_e32 v33, v42, v33
	s_delay_alu instid0(VALU_DEP_2) | instskip(NEXT) | instid1(VALU_DEP_2)
	v_sub_f32_e32 v37, v38, v37
	v_mul_f32_e32 v33, v35, v33
	s_delay_alu instid0(VALU_DEP_1) | instskip(NEXT) | instid1(VALU_DEP_1)
	v_add_f32_e32 v33, v37, v33
	v_add_f32_e32 v35, v36, v33
	s_delay_alu instid0(VALU_DEP_1) | instskip(SKIP_1) | instid1(VALU_DEP_1)
	v_mul_f32_e32 v37, v35, v35
	s_wait_alu 0xfffe
	v_fmaak_f32 v38, s0, v37, 0x3ecc95a3
	v_mul_f32_e32 v39, v35, v37
	v_cmp_neq_f32_e64 s0, 0x7f800000, v34
	s_delay_alu instid0(VALU_DEP_3) | instskip(SKIP_2) | instid1(VALU_DEP_3)
	v_fmaak_f32 v37, v37, v38, 0x3f2aaada
	v_ldexp_f32 v38, v35, 1
	v_sub_f32_e32 v35, v35, v36
	v_mul_f32_e32 v37, v39, v37
	v_mul_f32_e32 v39, 0x3f317218, v32
	s_delay_alu instid0(VALU_DEP_2) | instskip(NEXT) | instid1(VALU_DEP_1)
	v_dual_sub_f32 v33, v33, v35 :: v_dual_add_f32 v36, v38, v37
	v_ldexp_f32 v33, v33, 1
	s_delay_alu instid0(VALU_DEP_2) | instskip(NEXT) | instid1(VALU_DEP_4)
	v_sub_f32_e32 v35, v36, v38
	v_fma_f32 v38, 0x3f317218, v32, -v39
	s_delay_alu instid0(VALU_DEP_1) | instskip(NEXT) | instid1(VALU_DEP_1)
	v_dual_sub_f32 v35, v37, v35 :: v_dual_fmamk_f32 v32, v32, 0xb102e308, v38
	v_add_f32_e32 v33, v33, v35
	s_delay_alu instid0(VALU_DEP_2) | instskip(NEXT) | instid1(VALU_DEP_2)
	v_add_f32_e32 v35, v39, v32
	v_add_f32_e32 v37, v36, v33
	s_delay_alu instid0(VALU_DEP_2) | instskip(NEXT) | instid1(VALU_DEP_2)
	v_sub_f32_e32 v39, v35, v39
	v_add_f32_e32 v38, v35, v37
	v_sub_f32_e32 v36, v37, v36
	s_delay_alu instid0(VALU_DEP_3) | instskip(NEXT) | instid1(VALU_DEP_2)
	v_sub_f32_e32 v32, v32, v39
	v_dual_sub_f32 v40, v38, v35 :: v_dual_sub_f32 v33, v33, v36
	s_delay_alu instid0(VALU_DEP_1) | instskip(NEXT) | instid1(VALU_DEP_2)
	v_sub_f32_e32 v41, v38, v40
	v_dual_sub_f32 v36, v37, v40 :: v_dual_add_f32 v37, v32, v33
	s_delay_alu instid0(VALU_DEP_2) | instskip(NEXT) | instid1(VALU_DEP_1)
	v_sub_f32_e32 v35, v35, v41
	v_dual_add_f32 v35, v36, v35 :: v_dual_sub_f32 v36, v37, v32
	s_delay_alu instid0(VALU_DEP_1) | instskip(NEXT) | instid1(VALU_DEP_2)
	v_add_f32_e32 v35, v37, v35
	v_sub_f32_e32 v37, v37, v36
	v_sub_f32_e32 v33, v33, v36
	s_delay_alu instid0(VALU_DEP_2) | instskip(NEXT) | instid1(VALU_DEP_1)
	v_dual_add_f32 v39, v38, v35 :: v_dual_sub_f32 v32, v32, v37
	v_sub_f32_e32 v36, v39, v38
	s_delay_alu instid0(VALU_DEP_2) | instskip(NEXT) | instid1(VALU_DEP_2)
	v_add_f32_e32 v32, v33, v32
	v_sub_f32_e32 v33, v35, v36
	s_delay_alu instid0(VALU_DEP_1) | instskip(NEXT) | instid1(VALU_DEP_1)
	v_add_f32_e32 v32, v32, v33
	v_add_f32_e32 v32, v39, v32
	s_wait_alu 0xf1ff
	s_delay_alu instid0(VALU_DEP_1) | instskip(SKIP_2) | instid1(VALU_DEP_1)
	v_cndmask_b32_e64 v32, 0x7f800000, v32, s0
	v_cmp_gt_f32_e64 s0, 0x33800000, |v34|
	s_wait_alu 0xf1ff
	v_cndmask_b32_e64 v32, v32, v34, s0
	s_delay_alu instid0(VALU_DEP_1)
	v_add_f32_e32 v33, v31, v32
.LBB517_83:
	s_wait_alu 0xfffe
	s_or_b32 exec_lo, exec_lo, s1
	s_delay_alu instid0(VALU_DEP_1) | instskip(SKIP_1) | instid1(VALU_DEP_2)
	v_bfe_u32 v31, v33, 16, 1
	v_cmp_o_f32_e64 s0, v33, v33
	; wave barrier
	v_add3_u32 v31, v33, v31, 0x7fff
	s_delay_alu instid0(VALU_DEP_1) | instskip(SKIP_1) | instid1(VALU_DEP_1)
	v_lshrrev_b32_e32 v31, 16, v31
	s_wait_alu 0xf1ff
	v_cndmask_b32_e64 v31, 0x7fc0, v31, s0
	v_cmp_eq_u32_e64 s0, 0, v0
	s_wait_alu 0xf1ff
	s_delay_alu instid0(VALU_DEP_1)
	v_cndmask_b32_e64 v30, v31, v30, s0
	ds_store_b16 v29, v30
	; wave barrier
	ds_load_u16 v32, v29 offset:2
	v_lshlrev_b32_e32 v31, 16, v30
	s_wait_dscnt 0x0
	v_lshlrev_b32_e32 v30, 16, v32
	s_delay_alu instid0(VALU_DEP_1) | instskip(NEXT) | instid1(VALU_DEP_1)
	v_dual_max_num_f32 v32, v31, v31 :: v_dual_max_num_f32 v33, v30, v30
	v_min_num_f32_e32 v34, v32, v33
	v_max_num_f32_e32 v32, v32, v33
	v_cmp_u_f32_e64 s0, v31, v31
	s_wait_alu 0xf1ff
	s_delay_alu instid0(VALU_DEP_1) | instskip(NEXT) | instid1(VALU_DEP_3)
	v_cndmask_b32_e64 v33, v34, v31, s0
	v_cndmask_b32_e64 v34, v32, v31, s0
	v_cmp_u_f32_e64 s0, v30, v30
	s_wait_alu 0xf1ff
	s_delay_alu instid0(VALU_DEP_1) | instskip(NEXT) | instid1(VALU_DEP_3)
	v_cndmask_b32_e64 v32, v33, v30, s0
	v_cndmask_b32_e64 v30, v34, v30, s0
	s_delay_alu instid0(VALU_DEP_2) | instskip(NEXT) | instid1(VALU_DEP_2)
	v_cmp_class_f32_e64 s1, v32, 0x1f8
	v_cmp_neq_f32_e64 s0, v32, v30
	s_or_b32 s0, s0, s1
	s_wait_alu 0xfffe
	s_and_saveexec_b32 s1, s0
	s_cbranch_execz .LBB517_85
; %bb.84:
	v_sub_f32_e32 v31, v32, v30
	s_delay_alu instid0(VALU_DEP_1) | instskip(SKIP_1) | instid1(VALU_DEP_2)
	v_mul_f32_e32 v32, 0x3fb8aa3b, v31
	v_cmp_ngt_f32_e64 s0, 0xc2ce8ed0, v31
	v_fma_f32 v33, 0x3fb8aa3b, v31, -v32
	v_rndne_f32_e32 v34, v32
	s_delay_alu instid0(VALU_DEP_1) | instskip(NEXT) | instid1(VALU_DEP_1)
	v_dual_fmamk_f32 v33, v31, 0x32a5705f, v33 :: v_dual_sub_f32 v32, v32, v34
	v_add_f32_e32 v32, v32, v33
	v_cvt_i32_f32_e32 v33, v34
	s_delay_alu instid0(VALU_DEP_2) | instskip(NEXT) | instid1(TRANS32_DEP_1)
	v_exp_f32_e32 v32, v32
	v_ldexp_f32 v32, v32, v33
	s_wait_alu 0xf1ff
	s_delay_alu instid0(VALU_DEP_1) | instskip(SKIP_2) | instid1(VALU_DEP_1)
	v_cndmask_b32_e64 v32, 0, v32, s0
	v_cmp_nlt_f32_e64 s0, 0x42b17218, v31
	s_wait_alu 0xf1ff
	v_cndmask_b32_e64 v33, 0x7f800000, v32, s0
	s_delay_alu instid0(VALU_DEP_1) | instskip(NEXT) | instid1(VALU_DEP_1)
	v_add_f32_e32 v34, 1.0, v33
	v_cvt_f64_f32_e32 v[31:32], v34
	s_delay_alu instid0(VALU_DEP_1) | instskip(SKIP_1) | instid1(VALU_DEP_1)
	v_frexp_exp_i32_f64_e32 v31, v[31:32]
	v_frexp_mant_f32_e32 v32, v34
	v_cmp_gt_f32_e64 s0, 0x3f2aaaab, v32
	v_add_f32_e32 v32, -1.0, v34
	s_delay_alu instid0(VALU_DEP_1)
	v_sub_f32_e32 v36, v32, v34
	v_sub_f32_e32 v32, v33, v32
	s_wait_alu 0xf1ff
	v_subrev_co_ci_u32_e64 v31, null, 0, v31, s0
	s_mov_b32 s0, 0x3e9b6dac
	v_sub_nc_u32_e32 v35, 0, v31
	v_cvt_f32_i32_e32 v31, v31
	s_delay_alu instid0(VALU_DEP_2) | instskip(NEXT) | instid1(VALU_DEP_1)
	v_ldexp_f32 v34, v34, v35
	v_dual_add_f32 v37, 1.0, v34 :: v_dual_add_f32 v36, 1.0, v36
	s_delay_alu instid0(VALU_DEP_1) | instskip(NEXT) | instid1(VALU_DEP_2)
	v_add_f32_e32 v32, v32, v36
	v_add_f32_e32 v36, -1.0, v37
	s_delay_alu instid0(VALU_DEP_2) | instskip(NEXT) | instid1(VALU_DEP_2)
	v_ldexp_f32 v32, v32, v35
	v_dual_add_f32 v35, -1.0, v34 :: v_dual_sub_f32 v36, v34, v36
	s_delay_alu instid0(VALU_DEP_1) | instskip(NEXT) | instid1(VALU_DEP_2)
	v_add_f32_e32 v38, 1.0, v35
	v_add_f32_e32 v36, v32, v36
	s_delay_alu instid0(VALU_DEP_2) | instskip(NEXT) | instid1(VALU_DEP_2)
	v_sub_f32_e32 v34, v34, v38
	v_add_f32_e32 v38, v37, v36
	s_delay_alu instid0(VALU_DEP_2) | instskip(NEXT) | instid1(VALU_DEP_2)
	v_add_f32_e32 v32, v32, v34
	v_rcp_f32_e32 v34, v38
	v_sub_f32_e32 v37, v37, v38
	s_delay_alu instid0(VALU_DEP_1) | instskip(NEXT) | instid1(VALU_DEP_1)
	v_dual_add_f32 v39, v35, v32 :: v_dual_add_f32 v36, v36, v37
	v_sub_f32_e32 v35, v35, v39
	s_delay_alu instid0(TRANS32_DEP_1) | instskip(NEXT) | instid1(VALU_DEP_1)
	v_mul_f32_e32 v40, v39, v34
	v_dual_add_f32 v32, v32, v35 :: v_dual_mul_f32 v41, v38, v40
	s_delay_alu instid0(VALU_DEP_1) | instskip(NEXT) | instid1(VALU_DEP_1)
	v_fma_f32 v37, v40, v38, -v41
	v_fmac_f32_e32 v37, v40, v36
	s_delay_alu instid0(VALU_DEP_1) | instskip(NEXT) | instid1(VALU_DEP_1)
	v_add_f32_e32 v42, v41, v37
	v_sub_f32_e32 v43, v39, v42
	v_sub_f32_e32 v35, v42, v41
	s_delay_alu instid0(VALU_DEP_2) | instskip(NEXT) | instid1(VALU_DEP_2)
	v_sub_f32_e32 v39, v39, v43
	v_sub_f32_e32 v35, v35, v37
	s_delay_alu instid0(VALU_DEP_2) | instskip(NEXT) | instid1(VALU_DEP_1)
	v_sub_f32_e32 v39, v39, v42
	v_add_f32_e32 v32, v32, v39
	s_delay_alu instid0(VALU_DEP_1) | instskip(NEXT) | instid1(VALU_DEP_1)
	v_add_f32_e32 v32, v35, v32
	v_add_f32_e32 v35, v43, v32
	s_delay_alu instid0(VALU_DEP_1) | instskip(NEXT) | instid1(VALU_DEP_1)
	v_mul_f32_e32 v37, v34, v35
	v_dual_sub_f32 v42, v43, v35 :: v_dual_mul_f32 v39, v38, v37
	s_delay_alu instid0(VALU_DEP_1) | instskip(NEXT) | instid1(VALU_DEP_2)
	v_add_f32_e32 v32, v32, v42
	v_fma_f32 v38, v37, v38, -v39
	s_delay_alu instid0(VALU_DEP_1) | instskip(NEXT) | instid1(VALU_DEP_1)
	v_fmac_f32_e32 v38, v37, v36
	v_add_f32_e32 v36, v39, v38
	s_delay_alu instid0(VALU_DEP_1) | instskip(SKIP_1) | instid1(VALU_DEP_2)
	v_sub_f32_e32 v41, v35, v36
	v_sub_f32_e32 v39, v36, v39
	;; [unrolled: 1-line block ×3, first 2 shown]
	s_delay_alu instid0(VALU_DEP_1) | instskip(NEXT) | instid1(VALU_DEP_3)
	v_sub_f32_e32 v35, v35, v36
	v_sub_f32_e32 v36, v39, v38
	s_delay_alu instid0(VALU_DEP_2) | instskip(SKIP_1) | instid1(VALU_DEP_2)
	v_add_f32_e32 v32, v32, v35
	v_add_f32_e32 v35, v40, v37
	;; [unrolled: 1-line block ×3, first 2 shown]
	s_delay_alu instid0(VALU_DEP_2) | instskip(NEXT) | instid1(VALU_DEP_2)
	v_sub_f32_e32 v36, v35, v40
	v_add_f32_e32 v32, v41, v32
	s_delay_alu instid0(VALU_DEP_2) | instskip(NEXT) | instid1(VALU_DEP_2)
	v_sub_f32_e32 v36, v37, v36
	v_mul_f32_e32 v32, v34, v32
	s_delay_alu instid0(VALU_DEP_1) | instskip(NEXT) | instid1(VALU_DEP_1)
	v_add_f32_e32 v32, v36, v32
	v_add_f32_e32 v34, v35, v32
	s_delay_alu instid0(VALU_DEP_1) | instskip(SKIP_1) | instid1(VALU_DEP_1)
	v_mul_f32_e32 v36, v34, v34
	s_wait_alu 0xfffe
	v_fmaak_f32 v37, s0, v36, 0x3ecc95a3
	v_mul_f32_e32 v38, v34, v36
	v_cmp_neq_f32_e64 s0, 0x7f800000, v33
	s_delay_alu instid0(VALU_DEP_3) | instskip(SKIP_2) | instid1(VALU_DEP_3)
	v_fmaak_f32 v36, v36, v37, 0x3f2aaada
	v_ldexp_f32 v37, v34, 1
	v_sub_f32_e32 v34, v34, v35
	v_mul_f32_e32 v36, v38, v36
	v_mul_f32_e32 v38, 0x3f317218, v31
	s_delay_alu instid0(VALU_DEP_2) | instskip(NEXT) | instid1(VALU_DEP_1)
	v_dual_sub_f32 v32, v32, v34 :: v_dual_add_f32 v35, v37, v36
	v_ldexp_f32 v32, v32, 1
	s_delay_alu instid0(VALU_DEP_2) | instskip(NEXT) | instid1(VALU_DEP_4)
	v_sub_f32_e32 v34, v35, v37
	v_fma_f32 v37, 0x3f317218, v31, -v38
	s_delay_alu instid0(VALU_DEP_1) | instskip(NEXT) | instid1(VALU_DEP_1)
	v_dual_sub_f32 v34, v36, v34 :: v_dual_fmamk_f32 v31, v31, 0xb102e308, v37
	v_add_f32_e32 v32, v32, v34
	s_delay_alu instid0(VALU_DEP_2) | instskip(NEXT) | instid1(VALU_DEP_2)
	v_add_f32_e32 v34, v38, v31
	v_add_f32_e32 v36, v35, v32
	s_delay_alu instid0(VALU_DEP_2) | instskip(NEXT) | instid1(VALU_DEP_2)
	v_sub_f32_e32 v38, v34, v38
	v_add_f32_e32 v37, v34, v36
	v_sub_f32_e32 v35, v36, v35
	s_delay_alu instid0(VALU_DEP_3) | instskip(NEXT) | instid1(VALU_DEP_2)
	v_sub_f32_e32 v31, v31, v38
	v_dual_sub_f32 v39, v37, v34 :: v_dual_sub_f32 v32, v32, v35
	s_delay_alu instid0(VALU_DEP_1) | instskip(NEXT) | instid1(VALU_DEP_2)
	v_sub_f32_e32 v40, v37, v39
	v_dual_sub_f32 v35, v36, v39 :: v_dual_add_f32 v36, v31, v32
	s_delay_alu instid0(VALU_DEP_2) | instskip(NEXT) | instid1(VALU_DEP_1)
	v_sub_f32_e32 v34, v34, v40
	v_dual_add_f32 v34, v35, v34 :: v_dual_sub_f32 v35, v36, v31
	s_delay_alu instid0(VALU_DEP_1) | instskip(NEXT) | instid1(VALU_DEP_2)
	v_add_f32_e32 v34, v36, v34
	v_sub_f32_e32 v36, v36, v35
	v_sub_f32_e32 v32, v32, v35
	s_delay_alu instid0(VALU_DEP_2) | instskip(NEXT) | instid1(VALU_DEP_1)
	v_dual_add_f32 v38, v37, v34 :: v_dual_sub_f32 v31, v31, v36
	v_sub_f32_e32 v35, v38, v37
	s_delay_alu instid0(VALU_DEP_2) | instskip(NEXT) | instid1(VALU_DEP_2)
	v_add_f32_e32 v31, v32, v31
	v_sub_f32_e32 v32, v34, v35
	s_delay_alu instid0(VALU_DEP_1) | instskip(NEXT) | instid1(VALU_DEP_1)
	v_add_f32_e32 v31, v31, v32
	v_add_f32_e32 v31, v38, v31
	s_wait_alu 0xf1ff
	s_delay_alu instid0(VALU_DEP_1) | instskip(SKIP_2) | instid1(VALU_DEP_1)
	v_cndmask_b32_e64 v31, 0x7f800000, v31, s0
	v_cmp_gt_f32_e64 s0, 0x33800000, |v33|
	s_wait_alu 0xf1ff
	v_cndmask_b32_e64 v31, v31, v33, s0
	s_delay_alu instid0(VALU_DEP_1)
	v_add_f32_e32 v31, v30, v31
.LBB517_85:
	s_wait_alu 0xfffe
	s_or_b32 exec_lo, exec_lo, s1
	s_delay_alu instid0(VALU_DEP_1) | instskip(SKIP_3) | instid1(VALU_DEP_1)
	v_bfe_u32 v30, v31, 16, 1
	ds_load_u16 v32, v29 offset:4
	v_cmp_o_f32_e64 s0, v31, v31
	v_add3_u32 v30, v31, v30, 0x7fff
	v_lshrrev_b32_e32 v30, 16, v30
	s_wait_alu 0xf1ff
	s_delay_alu instid0(VALU_DEP_1) | instskip(SKIP_3) | instid1(VALU_DEP_1)
	v_cndmask_b32_e64 v33, 0x7fc0, v30, s0
	ds_store_b16 v29, v33 offset:2
	s_wait_dscnt 0x1
	v_lshlrev_b32_e32 v30, 16, v32
	v_dual_max_num_f32 v34, v30, v30 :: v_dual_lshlrev_b32 v31, 16, v33
	s_delay_alu instid0(VALU_DEP_1) | instskip(SKIP_1) | instid1(VALU_DEP_2)
	v_max_num_f32_e32 v32, v31, v31
	v_cmp_u_f32_e64 s0, v31, v31
	v_min_num_f32_e32 v35, v32, v34
	v_max_num_f32_e32 v32, v32, v34
	s_wait_alu 0xf1ff
	s_delay_alu instid0(VALU_DEP_2) | instskip(NEXT) | instid1(VALU_DEP_2)
	v_cndmask_b32_e64 v34, v35, v31, s0
	v_cndmask_b32_e64 v35, v32, v31, s0
	v_cmp_u_f32_e64 s0, v30, v30
	s_wait_alu 0xf1ff
	s_delay_alu instid0(VALU_DEP_1) | instskip(NEXT) | instid1(VALU_DEP_3)
	v_cndmask_b32_e64 v32, v34, v30, s0
	v_cndmask_b32_e64 v30, v35, v30, s0
	s_delay_alu instid0(VALU_DEP_2) | instskip(NEXT) | instid1(VALU_DEP_2)
	v_cmp_class_f32_e64 s1, v32, 0x1f8
	v_cmp_neq_f32_e64 s0, v32, v30
	s_or_b32 s0, s0, s1
	s_wait_alu 0xfffe
	s_and_saveexec_b32 s1, s0
	s_cbranch_execz .LBB517_87
; %bb.86:
	v_sub_f32_e32 v31, v32, v30
	s_delay_alu instid0(VALU_DEP_1) | instskip(SKIP_1) | instid1(VALU_DEP_2)
	v_mul_f32_e32 v32, 0x3fb8aa3b, v31
	v_cmp_ngt_f32_e64 s0, 0xc2ce8ed0, v31
	v_fma_f32 v33, 0x3fb8aa3b, v31, -v32
	v_rndne_f32_e32 v34, v32
	s_delay_alu instid0(VALU_DEP_1) | instskip(NEXT) | instid1(VALU_DEP_1)
	v_dual_fmamk_f32 v33, v31, 0x32a5705f, v33 :: v_dual_sub_f32 v32, v32, v34
	v_add_f32_e32 v32, v32, v33
	v_cvt_i32_f32_e32 v33, v34
	s_delay_alu instid0(VALU_DEP_2) | instskip(NEXT) | instid1(TRANS32_DEP_1)
	v_exp_f32_e32 v32, v32
	v_ldexp_f32 v32, v32, v33
	s_wait_alu 0xf1ff
	s_delay_alu instid0(VALU_DEP_1) | instskip(SKIP_2) | instid1(VALU_DEP_1)
	v_cndmask_b32_e64 v32, 0, v32, s0
	v_cmp_nlt_f32_e64 s0, 0x42b17218, v31
	s_wait_alu 0xf1ff
	v_cndmask_b32_e64 v33, 0x7f800000, v32, s0
	s_delay_alu instid0(VALU_DEP_1) | instskip(NEXT) | instid1(VALU_DEP_1)
	v_add_f32_e32 v34, 1.0, v33
	v_cvt_f64_f32_e32 v[31:32], v34
	s_delay_alu instid0(VALU_DEP_1) | instskip(SKIP_1) | instid1(VALU_DEP_1)
	v_frexp_exp_i32_f64_e32 v31, v[31:32]
	v_frexp_mant_f32_e32 v32, v34
	v_cmp_gt_f32_e64 s0, 0x3f2aaaab, v32
	v_add_f32_e32 v32, -1.0, v34
	s_delay_alu instid0(VALU_DEP_1)
	v_sub_f32_e32 v36, v32, v34
	v_sub_f32_e32 v32, v33, v32
	s_wait_alu 0xf1ff
	v_subrev_co_ci_u32_e64 v31, null, 0, v31, s0
	s_mov_b32 s0, 0x3e9b6dac
	v_sub_nc_u32_e32 v35, 0, v31
	v_cvt_f32_i32_e32 v31, v31
	s_delay_alu instid0(VALU_DEP_2) | instskip(NEXT) | instid1(VALU_DEP_1)
	v_ldexp_f32 v34, v34, v35
	v_dual_add_f32 v37, 1.0, v34 :: v_dual_add_f32 v36, 1.0, v36
	s_delay_alu instid0(VALU_DEP_1) | instskip(NEXT) | instid1(VALU_DEP_2)
	v_add_f32_e32 v32, v32, v36
	v_add_f32_e32 v36, -1.0, v37
	s_delay_alu instid0(VALU_DEP_2) | instskip(NEXT) | instid1(VALU_DEP_2)
	v_ldexp_f32 v32, v32, v35
	v_dual_add_f32 v35, -1.0, v34 :: v_dual_sub_f32 v36, v34, v36
	s_delay_alu instid0(VALU_DEP_1) | instskip(NEXT) | instid1(VALU_DEP_2)
	v_add_f32_e32 v38, 1.0, v35
	v_add_f32_e32 v36, v32, v36
	s_delay_alu instid0(VALU_DEP_2) | instskip(NEXT) | instid1(VALU_DEP_2)
	v_sub_f32_e32 v34, v34, v38
	v_add_f32_e32 v38, v37, v36
	s_delay_alu instid0(VALU_DEP_2) | instskip(NEXT) | instid1(VALU_DEP_2)
	v_add_f32_e32 v32, v32, v34
	v_rcp_f32_e32 v34, v38
	v_sub_f32_e32 v37, v37, v38
	s_delay_alu instid0(VALU_DEP_1) | instskip(NEXT) | instid1(VALU_DEP_1)
	v_dual_add_f32 v39, v35, v32 :: v_dual_add_f32 v36, v36, v37
	v_sub_f32_e32 v35, v35, v39
	s_delay_alu instid0(TRANS32_DEP_1) | instskip(NEXT) | instid1(VALU_DEP_1)
	v_mul_f32_e32 v40, v39, v34
	v_dual_add_f32 v32, v32, v35 :: v_dual_mul_f32 v41, v38, v40
	s_delay_alu instid0(VALU_DEP_1) | instskip(NEXT) | instid1(VALU_DEP_1)
	v_fma_f32 v37, v40, v38, -v41
	v_fmac_f32_e32 v37, v40, v36
	s_delay_alu instid0(VALU_DEP_1) | instskip(NEXT) | instid1(VALU_DEP_1)
	v_add_f32_e32 v42, v41, v37
	v_sub_f32_e32 v43, v39, v42
	v_sub_f32_e32 v35, v42, v41
	s_delay_alu instid0(VALU_DEP_2) | instskip(NEXT) | instid1(VALU_DEP_2)
	v_sub_f32_e32 v39, v39, v43
	v_sub_f32_e32 v35, v35, v37
	s_delay_alu instid0(VALU_DEP_2) | instskip(NEXT) | instid1(VALU_DEP_1)
	v_sub_f32_e32 v39, v39, v42
	v_add_f32_e32 v32, v32, v39
	s_delay_alu instid0(VALU_DEP_1) | instskip(NEXT) | instid1(VALU_DEP_1)
	v_add_f32_e32 v32, v35, v32
	v_add_f32_e32 v35, v43, v32
	s_delay_alu instid0(VALU_DEP_1) | instskip(NEXT) | instid1(VALU_DEP_1)
	v_mul_f32_e32 v37, v34, v35
	v_dual_sub_f32 v42, v43, v35 :: v_dual_mul_f32 v39, v38, v37
	s_delay_alu instid0(VALU_DEP_1) | instskip(NEXT) | instid1(VALU_DEP_2)
	v_add_f32_e32 v32, v32, v42
	v_fma_f32 v38, v37, v38, -v39
	s_delay_alu instid0(VALU_DEP_1) | instskip(NEXT) | instid1(VALU_DEP_1)
	v_fmac_f32_e32 v38, v37, v36
	v_add_f32_e32 v36, v39, v38
	s_delay_alu instid0(VALU_DEP_1) | instskip(SKIP_1) | instid1(VALU_DEP_2)
	v_sub_f32_e32 v41, v35, v36
	v_sub_f32_e32 v39, v36, v39
	;; [unrolled: 1-line block ×3, first 2 shown]
	s_delay_alu instid0(VALU_DEP_1) | instskip(NEXT) | instid1(VALU_DEP_3)
	v_sub_f32_e32 v35, v35, v36
	v_sub_f32_e32 v36, v39, v38
	s_delay_alu instid0(VALU_DEP_2) | instskip(SKIP_1) | instid1(VALU_DEP_2)
	v_add_f32_e32 v32, v32, v35
	v_add_f32_e32 v35, v40, v37
	;; [unrolled: 1-line block ×3, first 2 shown]
	s_delay_alu instid0(VALU_DEP_2) | instskip(NEXT) | instid1(VALU_DEP_2)
	v_sub_f32_e32 v36, v35, v40
	v_add_f32_e32 v32, v41, v32
	s_delay_alu instid0(VALU_DEP_2) | instskip(NEXT) | instid1(VALU_DEP_2)
	v_sub_f32_e32 v36, v37, v36
	v_mul_f32_e32 v32, v34, v32
	s_delay_alu instid0(VALU_DEP_1) | instskip(NEXT) | instid1(VALU_DEP_1)
	v_add_f32_e32 v32, v36, v32
	v_add_f32_e32 v34, v35, v32
	s_delay_alu instid0(VALU_DEP_1) | instskip(SKIP_1) | instid1(VALU_DEP_1)
	v_mul_f32_e32 v36, v34, v34
	s_wait_alu 0xfffe
	v_fmaak_f32 v37, s0, v36, 0x3ecc95a3
	v_mul_f32_e32 v38, v34, v36
	v_cmp_neq_f32_e64 s0, 0x7f800000, v33
	s_delay_alu instid0(VALU_DEP_3) | instskip(SKIP_2) | instid1(VALU_DEP_3)
	v_fmaak_f32 v36, v36, v37, 0x3f2aaada
	v_ldexp_f32 v37, v34, 1
	v_sub_f32_e32 v34, v34, v35
	v_mul_f32_e32 v36, v38, v36
	v_mul_f32_e32 v38, 0x3f317218, v31
	s_delay_alu instid0(VALU_DEP_2) | instskip(NEXT) | instid1(VALU_DEP_1)
	v_dual_sub_f32 v32, v32, v34 :: v_dual_add_f32 v35, v37, v36
	v_ldexp_f32 v32, v32, 1
	s_delay_alu instid0(VALU_DEP_2) | instskip(NEXT) | instid1(VALU_DEP_4)
	v_sub_f32_e32 v34, v35, v37
	v_fma_f32 v37, 0x3f317218, v31, -v38
	s_delay_alu instid0(VALU_DEP_1) | instskip(NEXT) | instid1(VALU_DEP_1)
	v_dual_sub_f32 v34, v36, v34 :: v_dual_fmamk_f32 v31, v31, 0xb102e308, v37
	v_add_f32_e32 v32, v32, v34
	s_delay_alu instid0(VALU_DEP_2) | instskip(NEXT) | instid1(VALU_DEP_2)
	v_add_f32_e32 v34, v38, v31
	v_add_f32_e32 v36, v35, v32
	s_delay_alu instid0(VALU_DEP_2) | instskip(NEXT) | instid1(VALU_DEP_2)
	v_sub_f32_e32 v38, v34, v38
	v_add_f32_e32 v37, v34, v36
	v_sub_f32_e32 v35, v36, v35
	s_delay_alu instid0(VALU_DEP_3) | instskip(NEXT) | instid1(VALU_DEP_2)
	v_sub_f32_e32 v31, v31, v38
	v_dual_sub_f32 v39, v37, v34 :: v_dual_sub_f32 v32, v32, v35
	s_delay_alu instid0(VALU_DEP_1) | instskip(NEXT) | instid1(VALU_DEP_2)
	v_sub_f32_e32 v40, v37, v39
	v_dual_sub_f32 v35, v36, v39 :: v_dual_add_f32 v36, v31, v32
	s_delay_alu instid0(VALU_DEP_2) | instskip(NEXT) | instid1(VALU_DEP_1)
	v_sub_f32_e32 v34, v34, v40
	v_dual_add_f32 v34, v35, v34 :: v_dual_sub_f32 v35, v36, v31
	s_delay_alu instid0(VALU_DEP_1) | instskip(NEXT) | instid1(VALU_DEP_2)
	v_add_f32_e32 v34, v36, v34
	v_sub_f32_e32 v36, v36, v35
	v_sub_f32_e32 v32, v32, v35
	s_delay_alu instid0(VALU_DEP_2) | instskip(NEXT) | instid1(VALU_DEP_1)
	v_dual_add_f32 v38, v37, v34 :: v_dual_sub_f32 v31, v31, v36
	v_sub_f32_e32 v35, v38, v37
	s_delay_alu instid0(VALU_DEP_2) | instskip(NEXT) | instid1(VALU_DEP_2)
	v_add_f32_e32 v31, v32, v31
	v_sub_f32_e32 v32, v34, v35
	s_delay_alu instid0(VALU_DEP_1) | instskip(NEXT) | instid1(VALU_DEP_1)
	v_add_f32_e32 v31, v31, v32
	v_add_f32_e32 v31, v38, v31
	s_wait_alu 0xf1ff
	s_delay_alu instid0(VALU_DEP_1) | instskip(SKIP_2) | instid1(VALU_DEP_1)
	v_cndmask_b32_e64 v31, 0x7f800000, v31, s0
	v_cmp_gt_f32_e64 s0, 0x33800000, |v33|
	s_wait_alu 0xf1ff
	v_cndmask_b32_e64 v31, v31, v33, s0
	s_delay_alu instid0(VALU_DEP_1)
	v_add_f32_e32 v31, v30, v31
.LBB517_87:
	s_wait_alu 0xfffe
	s_or_b32 exec_lo, exec_lo, s1
	s_delay_alu instid0(VALU_DEP_1) | instskip(SKIP_3) | instid1(VALU_DEP_1)
	v_bfe_u32 v30, v31, 16, 1
	ds_load_u16 v32, v29 offset:6
	v_cmp_o_f32_e64 s0, v31, v31
	v_add3_u32 v30, v31, v30, 0x7fff
	v_lshrrev_b32_e32 v30, 16, v30
	s_wait_alu 0xf1ff
	s_delay_alu instid0(VALU_DEP_1) | instskip(SKIP_3) | instid1(VALU_DEP_1)
	v_cndmask_b32_e64 v33, 0x7fc0, v30, s0
	ds_store_b16 v29, v33 offset:4
	s_wait_dscnt 0x1
	v_lshlrev_b32_e32 v30, 16, v32
	v_dual_max_num_f32 v34, v30, v30 :: v_dual_lshlrev_b32 v31, 16, v33
	s_delay_alu instid0(VALU_DEP_1) | instskip(SKIP_1) | instid1(VALU_DEP_2)
	v_max_num_f32_e32 v32, v31, v31
	v_cmp_u_f32_e64 s0, v31, v31
	v_min_num_f32_e32 v35, v32, v34
	v_max_num_f32_e32 v32, v32, v34
	s_wait_alu 0xf1ff
	s_delay_alu instid0(VALU_DEP_2) | instskip(NEXT) | instid1(VALU_DEP_2)
	v_cndmask_b32_e64 v34, v35, v31, s0
	v_cndmask_b32_e64 v35, v32, v31, s0
	v_cmp_u_f32_e64 s0, v30, v30
	s_wait_alu 0xf1ff
	s_delay_alu instid0(VALU_DEP_1) | instskip(NEXT) | instid1(VALU_DEP_3)
	v_cndmask_b32_e64 v32, v34, v30, s0
	v_cndmask_b32_e64 v30, v35, v30, s0
	s_delay_alu instid0(VALU_DEP_2) | instskip(NEXT) | instid1(VALU_DEP_2)
	v_cmp_class_f32_e64 s1, v32, 0x1f8
	v_cmp_neq_f32_e64 s0, v32, v30
	s_or_b32 s0, s0, s1
	s_wait_alu 0xfffe
	s_and_saveexec_b32 s1, s0
	s_cbranch_execz .LBB517_89
; %bb.88:
	v_sub_f32_e32 v31, v32, v30
	s_delay_alu instid0(VALU_DEP_1) | instskip(SKIP_1) | instid1(VALU_DEP_2)
	v_mul_f32_e32 v32, 0x3fb8aa3b, v31
	v_cmp_ngt_f32_e64 s0, 0xc2ce8ed0, v31
	v_fma_f32 v33, 0x3fb8aa3b, v31, -v32
	v_rndne_f32_e32 v34, v32
	s_delay_alu instid0(VALU_DEP_1) | instskip(NEXT) | instid1(VALU_DEP_1)
	v_dual_fmamk_f32 v33, v31, 0x32a5705f, v33 :: v_dual_sub_f32 v32, v32, v34
	v_add_f32_e32 v32, v32, v33
	v_cvt_i32_f32_e32 v33, v34
	s_delay_alu instid0(VALU_DEP_2) | instskip(NEXT) | instid1(TRANS32_DEP_1)
	v_exp_f32_e32 v32, v32
	v_ldexp_f32 v32, v32, v33
	s_wait_alu 0xf1ff
	s_delay_alu instid0(VALU_DEP_1) | instskip(SKIP_2) | instid1(VALU_DEP_1)
	v_cndmask_b32_e64 v32, 0, v32, s0
	v_cmp_nlt_f32_e64 s0, 0x42b17218, v31
	s_wait_alu 0xf1ff
	v_cndmask_b32_e64 v33, 0x7f800000, v32, s0
	s_delay_alu instid0(VALU_DEP_1) | instskip(NEXT) | instid1(VALU_DEP_1)
	v_add_f32_e32 v34, 1.0, v33
	v_cvt_f64_f32_e32 v[31:32], v34
	s_delay_alu instid0(VALU_DEP_1) | instskip(SKIP_1) | instid1(VALU_DEP_1)
	v_frexp_exp_i32_f64_e32 v31, v[31:32]
	v_frexp_mant_f32_e32 v32, v34
	v_cmp_gt_f32_e64 s0, 0x3f2aaaab, v32
	v_add_f32_e32 v32, -1.0, v34
	s_delay_alu instid0(VALU_DEP_1)
	v_sub_f32_e32 v36, v32, v34
	v_sub_f32_e32 v32, v33, v32
	s_wait_alu 0xf1ff
	v_subrev_co_ci_u32_e64 v31, null, 0, v31, s0
	s_mov_b32 s0, 0x3e9b6dac
	v_sub_nc_u32_e32 v35, 0, v31
	v_cvt_f32_i32_e32 v31, v31
	s_delay_alu instid0(VALU_DEP_2) | instskip(NEXT) | instid1(VALU_DEP_1)
	v_ldexp_f32 v34, v34, v35
	v_dual_add_f32 v37, 1.0, v34 :: v_dual_add_f32 v36, 1.0, v36
	s_delay_alu instid0(VALU_DEP_1) | instskip(NEXT) | instid1(VALU_DEP_2)
	v_add_f32_e32 v32, v32, v36
	v_add_f32_e32 v36, -1.0, v37
	s_delay_alu instid0(VALU_DEP_2) | instskip(NEXT) | instid1(VALU_DEP_2)
	v_ldexp_f32 v32, v32, v35
	v_dual_add_f32 v35, -1.0, v34 :: v_dual_sub_f32 v36, v34, v36
	s_delay_alu instid0(VALU_DEP_1) | instskip(NEXT) | instid1(VALU_DEP_2)
	v_add_f32_e32 v38, 1.0, v35
	v_add_f32_e32 v36, v32, v36
	s_delay_alu instid0(VALU_DEP_2) | instskip(NEXT) | instid1(VALU_DEP_2)
	v_sub_f32_e32 v34, v34, v38
	v_add_f32_e32 v38, v37, v36
	s_delay_alu instid0(VALU_DEP_2) | instskip(NEXT) | instid1(VALU_DEP_2)
	v_add_f32_e32 v32, v32, v34
	v_rcp_f32_e32 v34, v38
	v_sub_f32_e32 v37, v37, v38
	s_delay_alu instid0(VALU_DEP_1) | instskip(NEXT) | instid1(VALU_DEP_1)
	v_dual_add_f32 v39, v35, v32 :: v_dual_add_f32 v36, v36, v37
	v_sub_f32_e32 v35, v35, v39
	s_delay_alu instid0(TRANS32_DEP_1) | instskip(NEXT) | instid1(VALU_DEP_1)
	v_mul_f32_e32 v40, v39, v34
	v_dual_add_f32 v32, v32, v35 :: v_dual_mul_f32 v41, v38, v40
	s_delay_alu instid0(VALU_DEP_1) | instskip(NEXT) | instid1(VALU_DEP_1)
	v_fma_f32 v37, v40, v38, -v41
	v_fmac_f32_e32 v37, v40, v36
	s_delay_alu instid0(VALU_DEP_1) | instskip(NEXT) | instid1(VALU_DEP_1)
	v_add_f32_e32 v42, v41, v37
	v_sub_f32_e32 v43, v39, v42
	v_sub_f32_e32 v35, v42, v41
	s_delay_alu instid0(VALU_DEP_2) | instskip(NEXT) | instid1(VALU_DEP_2)
	v_sub_f32_e32 v39, v39, v43
	v_sub_f32_e32 v35, v35, v37
	s_delay_alu instid0(VALU_DEP_2) | instskip(NEXT) | instid1(VALU_DEP_1)
	v_sub_f32_e32 v39, v39, v42
	v_add_f32_e32 v32, v32, v39
	s_delay_alu instid0(VALU_DEP_1) | instskip(NEXT) | instid1(VALU_DEP_1)
	v_add_f32_e32 v32, v35, v32
	v_add_f32_e32 v35, v43, v32
	s_delay_alu instid0(VALU_DEP_1) | instskip(NEXT) | instid1(VALU_DEP_1)
	v_mul_f32_e32 v37, v34, v35
	v_dual_sub_f32 v42, v43, v35 :: v_dual_mul_f32 v39, v38, v37
	s_delay_alu instid0(VALU_DEP_1) | instskip(NEXT) | instid1(VALU_DEP_2)
	v_add_f32_e32 v32, v32, v42
	v_fma_f32 v38, v37, v38, -v39
	s_delay_alu instid0(VALU_DEP_1) | instskip(NEXT) | instid1(VALU_DEP_1)
	v_fmac_f32_e32 v38, v37, v36
	v_add_f32_e32 v36, v39, v38
	s_delay_alu instid0(VALU_DEP_1) | instskip(SKIP_1) | instid1(VALU_DEP_2)
	v_sub_f32_e32 v41, v35, v36
	v_sub_f32_e32 v39, v36, v39
	;; [unrolled: 1-line block ×3, first 2 shown]
	s_delay_alu instid0(VALU_DEP_1) | instskip(NEXT) | instid1(VALU_DEP_3)
	v_sub_f32_e32 v35, v35, v36
	v_sub_f32_e32 v36, v39, v38
	s_delay_alu instid0(VALU_DEP_2) | instskip(SKIP_1) | instid1(VALU_DEP_2)
	v_add_f32_e32 v32, v32, v35
	v_add_f32_e32 v35, v40, v37
	;; [unrolled: 1-line block ×3, first 2 shown]
	s_delay_alu instid0(VALU_DEP_2) | instskip(NEXT) | instid1(VALU_DEP_2)
	v_sub_f32_e32 v36, v35, v40
	v_add_f32_e32 v32, v41, v32
	s_delay_alu instid0(VALU_DEP_2) | instskip(NEXT) | instid1(VALU_DEP_2)
	v_sub_f32_e32 v36, v37, v36
	v_mul_f32_e32 v32, v34, v32
	s_delay_alu instid0(VALU_DEP_1) | instskip(NEXT) | instid1(VALU_DEP_1)
	v_add_f32_e32 v32, v36, v32
	v_add_f32_e32 v34, v35, v32
	s_delay_alu instid0(VALU_DEP_1) | instskip(SKIP_1) | instid1(VALU_DEP_1)
	v_mul_f32_e32 v36, v34, v34
	s_wait_alu 0xfffe
	v_fmaak_f32 v37, s0, v36, 0x3ecc95a3
	v_mul_f32_e32 v38, v34, v36
	v_cmp_neq_f32_e64 s0, 0x7f800000, v33
	s_delay_alu instid0(VALU_DEP_3) | instskip(SKIP_2) | instid1(VALU_DEP_3)
	v_fmaak_f32 v36, v36, v37, 0x3f2aaada
	v_ldexp_f32 v37, v34, 1
	v_sub_f32_e32 v34, v34, v35
	v_mul_f32_e32 v36, v38, v36
	v_mul_f32_e32 v38, 0x3f317218, v31
	s_delay_alu instid0(VALU_DEP_2) | instskip(NEXT) | instid1(VALU_DEP_1)
	v_dual_sub_f32 v32, v32, v34 :: v_dual_add_f32 v35, v37, v36
	v_ldexp_f32 v32, v32, 1
	s_delay_alu instid0(VALU_DEP_2) | instskip(NEXT) | instid1(VALU_DEP_4)
	v_sub_f32_e32 v34, v35, v37
	v_fma_f32 v37, 0x3f317218, v31, -v38
	s_delay_alu instid0(VALU_DEP_1) | instskip(NEXT) | instid1(VALU_DEP_1)
	v_dual_sub_f32 v34, v36, v34 :: v_dual_fmamk_f32 v31, v31, 0xb102e308, v37
	v_add_f32_e32 v32, v32, v34
	s_delay_alu instid0(VALU_DEP_2) | instskip(NEXT) | instid1(VALU_DEP_2)
	v_add_f32_e32 v34, v38, v31
	v_add_f32_e32 v36, v35, v32
	s_delay_alu instid0(VALU_DEP_2) | instskip(NEXT) | instid1(VALU_DEP_2)
	v_sub_f32_e32 v38, v34, v38
	v_add_f32_e32 v37, v34, v36
	v_sub_f32_e32 v35, v36, v35
	s_delay_alu instid0(VALU_DEP_3) | instskip(NEXT) | instid1(VALU_DEP_2)
	v_sub_f32_e32 v31, v31, v38
	v_dual_sub_f32 v39, v37, v34 :: v_dual_sub_f32 v32, v32, v35
	s_delay_alu instid0(VALU_DEP_1) | instskip(NEXT) | instid1(VALU_DEP_2)
	v_sub_f32_e32 v40, v37, v39
	v_dual_sub_f32 v35, v36, v39 :: v_dual_add_f32 v36, v31, v32
	s_delay_alu instid0(VALU_DEP_2) | instskip(NEXT) | instid1(VALU_DEP_1)
	v_sub_f32_e32 v34, v34, v40
	v_dual_add_f32 v34, v35, v34 :: v_dual_sub_f32 v35, v36, v31
	s_delay_alu instid0(VALU_DEP_1) | instskip(NEXT) | instid1(VALU_DEP_2)
	v_add_f32_e32 v34, v36, v34
	v_sub_f32_e32 v36, v36, v35
	v_sub_f32_e32 v32, v32, v35
	s_delay_alu instid0(VALU_DEP_2) | instskip(NEXT) | instid1(VALU_DEP_1)
	v_dual_add_f32 v38, v37, v34 :: v_dual_sub_f32 v31, v31, v36
	v_sub_f32_e32 v35, v38, v37
	s_delay_alu instid0(VALU_DEP_2) | instskip(NEXT) | instid1(VALU_DEP_2)
	v_add_f32_e32 v31, v32, v31
	v_sub_f32_e32 v32, v34, v35
	s_delay_alu instid0(VALU_DEP_1) | instskip(NEXT) | instid1(VALU_DEP_1)
	v_add_f32_e32 v31, v31, v32
	v_add_f32_e32 v31, v38, v31
	s_wait_alu 0xf1ff
	s_delay_alu instid0(VALU_DEP_1) | instskip(SKIP_2) | instid1(VALU_DEP_1)
	v_cndmask_b32_e64 v31, 0x7f800000, v31, s0
	v_cmp_gt_f32_e64 s0, 0x33800000, |v33|
	s_wait_alu 0xf1ff
	v_cndmask_b32_e64 v31, v31, v33, s0
	s_delay_alu instid0(VALU_DEP_1)
	v_add_f32_e32 v31, v30, v31
.LBB517_89:
	s_wait_alu 0xfffe
	s_or_b32 exec_lo, exec_lo, s1
	s_delay_alu instid0(VALU_DEP_1) | instskip(SKIP_3) | instid1(VALU_DEP_1)
	v_bfe_u32 v30, v31, 16, 1
	ds_load_u16 v32, v29 offset:8
	v_cmp_o_f32_e64 s0, v31, v31
	v_add3_u32 v30, v31, v30, 0x7fff
	v_lshrrev_b32_e32 v30, 16, v30
	s_wait_alu 0xf1ff
	s_delay_alu instid0(VALU_DEP_1) | instskip(SKIP_3) | instid1(VALU_DEP_1)
	v_cndmask_b32_e64 v33, 0x7fc0, v30, s0
	ds_store_b16 v29, v33 offset:6
	s_wait_dscnt 0x1
	v_lshlrev_b32_e32 v30, 16, v32
	v_dual_max_num_f32 v34, v30, v30 :: v_dual_lshlrev_b32 v31, 16, v33
	s_delay_alu instid0(VALU_DEP_1) | instskip(SKIP_1) | instid1(VALU_DEP_2)
	v_max_num_f32_e32 v32, v31, v31
	v_cmp_u_f32_e64 s0, v31, v31
	v_min_num_f32_e32 v35, v32, v34
	v_max_num_f32_e32 v32, v32, v34
	s_wait_alu 0xf1ff
	s_delay_alu instid0(VALU_DEP_2) | instskip(NEXT) | instid1(VALU_DEP_2)
	v_cndmask_b32_e64 v34, v35, v31, s0
	v_cndmask_b32_e64 v35, v32, v31, s0
	v_cmp_u_f32_e64 s0, v30, v30
	s_wait_alu 0xf1ff
	s_delay_alu instid0(VALU_DEP_1) | instskip(NEXT) | instid1(VALU_DEP_3)
	v_cndmask_b32_e64 v32, v34, v30, s0
	v_cndmask_b32_e64 v30, v35, v30, s0
	s_delay_alu instid0(VALU_DEP_2) | instskip(NEXT) | instid1(VALU_DEP_2)
	v_cmp_class_f32_e64 s1, v32, 0x1f8
	v_cmp_neq_f32_e64 s0, v32, v30
	s_or_b32 s0, s0, s1
	s_wait_alu 0xfffe
	s_and_saveexec_b32 s1, s0
	s_cbranch_execz .LBB517_91
; %bb.90:
	v_sub_f32_e32 v31, v32, v30
	s_delay_alu instid0(VALU_DEP_1) | instskip(SKIP_1) | instid1(VALU_DEP_2)
	v_mul_f32_e32 v32, 0x3fb8aa3b, v31
	v_cmp_ngt_f32_e64 s0, 0xc2ce8ed0, v31
	v_fma_f32 v33, 0x3fb8aa3b, v31, -v32
	v_rndne_f32_e32 v34, v32
	s_delay_alu instid0(VALU_DEP_1) | instskip(NEXT) | instid1(VALU_DEP_1)
	v_dual_fmamk_f32 v33, v31, 0x32a5705f, v33 :: v_dual_sub_f32 v32, v32, v34
	v_add_f32_e32 v32, v32, v33
	v_cvt_i32_f32_e32 v33, v34
	s_delay_alu instid0(VALU_DEP_2) | instskip(NEXT) | instid1(TRANS32_DEP_1)
	v_exp_f32_e32 v32, v32
	v_ldexp_f32 v32, v32, v33
	s_wait_alu 0xf1ff
	s_delay_alu instid0(VALU_DEP_1) | instskip(SKIP_2) | instid1(VALU_DEP_1)
	v_cndmask_b32_e64 v32, 0, v32, s0
	v_cmp_nlt_f32_e64 s0, 0x42b17218, v31
	s_wait_alu 0xf1ff
	v_cndmask_b32_e64 v33, 0x7f800000, v32, s0
	s_delay_alu instid0(VALU_DEP_1) | instskip(NEXT) | instid1(VALU_DEP_1)
	v_add_f32_e32 v34, 1.0, v33
	v_cvt_f64_f32_e32 v[31:32], v34
	s_delay_alu instid0(VALU_DEP_1) | instskip(SKIP_1) | instid1(VALU_DEP_1)
	v_frexp_exp_i32_f64_e32 v31, v[31:32]
	v_frexp_mant_f32_e32 v32, v34
	v_cmp_gt_f32_e64 s0, 0x3f2aaaab, v32
	v_add_f32_e32 v32, -1.0, v34
	s_delay_alu instid0(VALU_DEP_1)
	v_sub_f32_e32 v36, v32, v34
	v_sub_f32_e32 v32, v33, v32
	s_wait_alu 0xf1ff
	v_subrev_co_ci_u32_e64 v31, null, 0, v31, s0
	s_mov_b32 s0, 0x3e9b6dac
	v_sub_nc_u32_e32 v35, 0, v31
	v_cvt_f32_i32_e32 v31, v31
	s_delay_alu instid0(VALU_DEP_2) | instskip(NEXT) | instid1(VALU_DEP_1)
	v_ldexp_f32 v34, v34, v35
	v_dual_add_f32 v37, 1.0, v34 :: v_dual_add_f32 v36, 1.0, v36
	s_delay_alu instid0(VALU_DEP_1) | instskip(NEXT) | instid1(VALU_DEP_2)
	v_add_f32_e32 v32, v32, v36
	v_add_f32_e32 v36, -1.0, v37
	s_delay_alu instid0(VALU_DEP_2) | instskip(NEXT) | instid1(VALU_DEP_2)
	v_ldexp_f32 v32, v32, v35
	v_dual_add_f32 v35, -1.0, v34 :: v_dual_sub_f32 v36, v34, v36
	s_delay_alu instid0(VALU_DEP_1) | instskip(NEXT) | instid1(VALU_DEP_2)
	v_add_f32_e32 v38, 1.0, v35
	v_add_f32_e32 v36, v32, v36
	s_delay_alu instid0(VALU_DEP_2) | instskip(NEXT) | instid1(VALU_DEP_2)
	v_sub_f32_e32 v34, v34, v38
	v_add_f32_e32 v38, v37, v36
	s_delay_alu instid0(VALU_DEP_2) | instskip(NEXT) | instid1(VALU_DEP_2)
	v_add_f32_e32 v32, v32, v34
	v_rcp_f32_e32 v34, v38
	v_sub_f32_e32 v37, v37, v38
	s_delay_alu instid0(VALU_DEP_1) | instskip(NEXT) | instid1(VALU_DEP_1)
	v_dual_add_f32 v39, v35, v32 :: v_dual_add_f32 v36, v36, v37
	v_sub_f32_e32 v35, v35, v39
	s_delay_alu instid0(TRANS32_DEP_1) | instskip(NEXT) | instid1(VALU_DEP_1)
	v_mul_f32_e32 v40, v39, v34
	v_dual_add_f32 v32, v32, v35 :: v_dual_mul_f32 v41, v38, v40
	s_delay_alu instid0(VALU_DEP_1) | instskip(NEXT) | instid1(VALU_DEP_1)
	v_fma_f32 v37, v40, v38, -v41
	v_fmac_f32_e32 v37, v40, v36
	s_delay_alu instid0(VALU_DEP_1) | instskip(NEXT) | instid1(VALU_DEP_1)
	v_add_f32_e32 v42, v41, v37
	v_sub_f32_e32 v43, v39, v42
	v_sub_f32_e32 v35, v42, v41
	s_delay_alu instid0(VALU_DEP_2) | instskip(NEXT) | instid1(VALU_DEP_2)
	v_sub_f32_e32 v39, v39, v43
	v_sub_f32_e32 v35, v35, v37
	s_delay_alu instid0(VALU_DEP_2) | instskip(NEXT) | instid1(VALU_DEP_1)
	v_sub_f32_e32 v39, v39, v42
	v_add_f32_e32 v32, v32, v39
	s_delay_alu instid0(VALU_DEP_1) | instskip(NEXT) | instid1(VALU_DEP_1)
	v_add_f32_e32 v32, v35, v32
	v_add_f32_e32 v35, v43, v32
	s_delay_alu instid0(VALU_DEP_1) | instskip(NEXT) | instid1(VALU_DEP_1)
	v_mul_f32_e32 v37, v34, v35
	v_dual_sub_f32 v42, v43, v35 :: v_dual_mul_f32 v39, v38, v37
	s_delay_alu instid0(VALU_DEP_1) | instskip(NEXT) | instid1(VALU_DEP_2)
	v_add_f32_e32 v32, v32, v42
	v_fma_f32 v38, v37, v38, -v39
	s_delay_alu instid0(VALU_DEP_1) | instskip(NEXT) | instid1(VALU_DEP_1)
	v_fmac_f32_e32 v38, v37, v36
	v_add_f32_e32 v36, v39, v38
	s_delay_alu instid0(VALU_DEP_1) | instskip(SKIP_1) | instid1(VALU_DEP_2)
	v_sub_f32_e32 v41, v35, v36
	v_sub_f32_e32 v39, v36, v39
	;; [unrolled: 1-line block ×3, first 2 shown]
	s_delay_alu instid0(VALU_DEP_1) | instskip(NEXT) | instid1(VALU_DEP_3)
	v_sub_f32_e32 v35, v35, v36
	v_sub_f32_e32 v36, v39, v38
	s_delay_alu instid0(VALU_DEP_2) | instskip(SKIP_1) | instid1(VALU_DEP_2)
	v_add_f32_e32 v32, v32, v35
	v_add_f32_e32 v35, v40, v37
	;; [unrolled: 1-line block ×3, first 2 shown]
	s_delay_alu instid0(VALU_DEP_2) | instskip(NEXT) | instid1(VALU_DEP_2)
	v_sub_f32_e32 v36, v35, v40
	v_add_f32_e32 v32, v41, v32
	s_delay_alu instid0(VALU_DEP_2) | instskip(NEXT) | instid1(VALU_DEP_2)
	v_sub_f32_e32 v36, v37, v36
	v_mul_f32_e32 v32, v34, v32
	s_delay_alu instid0(VALU_DEP_1) | instskip(NEXT) | instid1(VALU_DEP_1)
	v_add_f32_e32 v32, v36, v32
	v_add_f32_e32 v34, v35, v32
	s_delay_alu instid0(VALU_DEP_1) | instskip(SKIP_1) | instid1(VALU_DEP_1)
	v_mul_f32_e32 v36, v34, v34
	s_wait_alu 0xfffe
	v_fmaak_f32 v37, s0, v36, 0x3ecc95a3
	v_mul_f32_e32 v38, v34, v36
	v_cmp_neq_f32_e64 s0, 0x7f800000, v33
	s_delay_alu instid0(VALU_DEP_3) | instskip(SKIP_2) | instid1(VALU_DEP_3)
	v_fmaak_f32 v36, v36, v37, 0x3f2aaada
	v_ldexp_f32 v37, v34, 1
	v_sub_f32_e32 v34, v34, v35
	v_mul_f32_e32 v36, v38, v36
	v_mul_f32_e32 v38, 0x3f317218, v31
	s_delay_alu instid0(VALU_DEP_2) | instskip(NEXT) | instid1(VALU_DEP_1)
	v_dual_sub_f32 v32, v32, v34 :: v_dual_add_f32 v35, v37, v36
	v_ldexp_f32 v32, v32, 1
	s_delay_alu instid0(VALU_DEP_2) | instskip(NEXT) | instid1(VALU_DEP_4)
	v_sub_f32_e32 v34, v35, v37
	v_fma_f32 v37, 0x3f317218, v31, -v38
	s_delay_alu instid0(VALU_DEP_1) | instskip(NEXT) | instid1(VALU_DEP_1)
	v_dual_sub_f32 v34, v36, v34 :: v_dual_fmamk_f32 v31, v31, 0xb102e308, v37
	v_add_f32_e32 v32, v32, v34
	s_delay_alu instid0(VALU_DEP_2) | instskip(NEXT) | instid1(VALU_DEP_2)
	v_add_f32_e32 v34, v38, v31
	v_add_f32_e32 v36, v35, v32
	s_delay_alu instid0(VALU_DEP_2) | instskip(NEXT) | instid1(VALU_DEP_2)
	v_sub_f32_e32 v38, v34, v38
	v_add_f32_e32 v37, v34, v36
	v_sub_f32_e32 v35, v36, v35
	s_delay_alu instid0(VALU_DEP_3) | instskip(NEXT) | instid1(VALU_DEP_2)
	v_sub_f32_e32 v31, v31, v38
	v_dual_sub_f32 v39, v37, v34 :: v_dual_sub_f32 v32, v32, v35
	s_delay_alu instid0(VALU_DEP_1) | instskip(NEXT) | instid1(VALU_DEP_2)
	v_sub_f32_e32 v40, v37, v39
	v_dual_sub_f32 v35, v36, v39 :: v_dual_add_f32 v36, v31, v32
	s_delay_alu instid0(VALU_DEP_2) | instskip(NEXT) | instid1(VALU_DEP_1)
	v_sub_f32_e32 v34, v34, v40
	v_dual_add_f32 v34, v35, v34 :: v_dual_sub_f32 v35, v36, v31
	s_delay_alu instid0(VALU_DEP_1) | instskip(NEXT) | instid1(VALU_DEP_2)
	v_add_f32_e32 v34, v36, v34
	v_sub_f32_e32 v36, v36, v35
	v_sub_f32_e32 v32, v32, v35
	s_delay_alu instid0(VALU_DEP_2) | instskip(NEXT) | instid1(VALU_DEP_1)
	v_dual_add_f32 v38, v37, v34 :: v_dual_sub_f32 v31, v31, v36
	v_sub_f32_e32 v35, v38, v37
	s_delay_alu instid0(VALU_DEP_2) | instskip(NEXT) | instid1(VALU_DEP_2)
	v_add_f32_e32 v31, v32, v31
	v_sub_f32_e32 v32, v34, v35
	s_delay_alu instid0(VALU_DEP_1) | instskip(NEXT) | instid1(VALU_DEP_1)
	v_add_f32_e32 v31, v31, v32
	v_add_f32_e32 v31, v38, v31
	s_wait_alu 0xf1ff
	s_delay_alu instid0(VALU_DEP_1) | instskip(SKIP_2) | instid1(VALU_DEP_1)
	v_cndmask_b32_e64 v31, 0x7f800000, v31, s0
	v_cmp_gt_f32_e64 s0, 0x33800000, |v33|
	s_wait_alu 0xf1ff
	v_cndmask_b32_e64 v31, v31, v33, s0
	s_delay_alu instid0(VALU_DEP_1)
	v_add_f32_e32 v31, v30, v31
.LBB517_91:
	s_wait_alu 0xfffe
	s_or_b32 exec_lo, exec_lo, s1
	s_delay_alu instid0(VALU_DEP_1) | instskip(SKIP_3) | instid1(VALU_DEP_1)
	v_bfe_u32 v30, v31, 16, 1
	ds_load_u16 v32, v29 offset:10
	v_cmp_o_f32_e64 s0, v31, v31
	v_add3_u32 v30, v31, v30, 0x7fff
	v_lshrrev_b32_e32 v30, 16, v30
	s_wait_alu 0xf1ff
	s_delay_alu instid0(VALU_DEP_1) | instskip(SKIP_3) | instid1(VALU_DEP_1)
	v_cndmask_b32_e64 v33, 0x7fc0, v30, s0
	ds_store_b16 v29, v33 offset:8
	s_wait_dscnt 0x1
	v_lshlrev_b32_e32 v30, 16, v32
	v_dual_max_num_f32 v34, v30, v30 :: v_dual_lshlrev_b32 v31, 16, v33
	s_delay_alu instid0(VALU_DEP_1) | instskip(SKIP_1) | instid1(VALU_DEP_2)
	v_max_num_f32_e32 v32, v31, v31
	v_cmp_u_f32_e64 s0, v31, v31
	v_min_num_f32_e32 v35, v32, v34
	v_max_num_f32_e32 v32, v32, v34
	s_wait_alu 0xf1ff
	s_delay_alu instid0(VALU_DEP_2) | instskip(NEXT) | instid1(VALU_DEP_2)
	v_cndmask_b32_e64 v34, v35, v31, s0
	v_cndmask_b32_e64 v35, v32, v31, s0
	v_cmp_u_f32_e64 s0, v30, v30
	s_wait_alu 0xf1ff
	s_delay_alu instid0(VALU_DEP_1) | instskip(NEXT) | instid1(VALU_DEP_3)
	v_cndmask_b32_e64 v32, v34, v30, s0
	v_cndmask_b32_e64 v30, v35, v30, s0
	s_delay_alu instid0(VALU_DEP_2) | instskip(NEXT) | instid1(VALU_DEP_2)
	v_cmp_class_f32_e64 s1, v32, 0x1f8
	v_cmp_neq_f32_e64 s0, v32, v30
	s_or_b32 s0, s0, s1
	s_wait_alu 0xfffe
	s_and_saveexec_b32 s1, s0
	s_cbranch_execz .LBB517_93
; %bb.92:
	v_sub_f32_e32 v31, v32, v30
	s_delay_alu instid0(VALU_DEP_1) | instskip(SKIP_1) | instid1(VALU_DEP_2)
	v_mul_f32_e32 v32, 0x3fb8aa3b, v31
	v_cmp_ngt_f32_e64 s0, 0xc2ce8ed0, v31
	v_fma_f32 v33, 0x3fb8aa3b, v31, -v32
	v_rndne_f32_e32 v34, v32
	s_delay_alu instid0(VALU_DEP_1) | instskip(NEXT) | instid1(VALU_DEP_1)
	v_dual_fmamk_f32 v33, v31, 0x32a5705f, v33 :: v_dual_sub_f32 v32, v32, v34
	v_add_f32_e32 v32, v32, v33
	v_cvt_i32_f32_e32 v33, v34
	s_delay_alu instid0(VALU_DEP_2) | instskip(NEXT) | instid1(TRANS32_DEP_1)
	v_exp_f32_e32 v32, v32
	v_ldexp_f32 v32, v32, v33
	s_wait_alu 0xf1ff
	s_delay_alu instid0(VALU_DEP_1) | instskip(SKIP_2) | instid1(VALU_DEP_1)
	v_cndmask_b32_e64 v32, 0, v32, s0
	v_cmp_nlt_f32_e64 s0, 0x42b17218, v31
	s_wait_alu 0xf1ff
	v_cndmask_b32_e64 v33, 0x7f800000, v32, s0
	s_delay_alu instid0(VALU_DEP_1) | instskip(NEXT) | instid1(VALU_DEP_1)
	v_add_f32_e32 v34, 1.0, v33
	v_cvt_f64_f32_e32 v[31:32], v34
	s_delay_alu instid0(VALU_DEP_1) | instskip(SKIP_1) | instid1(VALU_DEP_1)
	v_frexp_exp_i32_f64_e32 v31, v[31:32]
	v_frexp_mant_f32_e32 v32, v34
	v_cmp_gt_f32_e64 s0, 0x3f2aaaab, v32
	v_add_f32_e32 v32, -1.0, v34
	s_delay_alu instid0(VALU_DEP_1)
	v_sub_f32_e32 v36, v32, v34
	v_sub_f32_e32 v32, v33, v32
	s_wait_alu 0xf1ff
	v_subrev_co_ci_u32_e64 v31, null, 0, v31, s0
	s_mov_b32 s0, 0x3e9b6dac
	v_sub_nc_u32_e32 v35, 0, v31
	v_cvt_f32_i32_e32 v31, v31
	s_delay_alu instid0(VALU_DEP_2) | instskip(NEXT) | instid1(VALU_DEP_1)
	v_ldexp_f32 v34, v34, v35
	v_dual_add_f32 v37, 1.0, v34 :: v_dual_add_f32 v36, 1.0, v36
	s_delay_alu instid0(VALU_DEP_1) | instskip(NEXT) | instid1(VALU_DEP_2)
	v_add_f32_e32 v32, v32, v36
	v_add_f32_e32 v36, -1.0, v37
	s_delay_alu instid0(VALU_DEP_2) | instskip(NEXT) | instid1(VALU_DEP_2)
	v_ldexp_f32 v32, v32, v35
	v_dual_add_f32 v35, -1.0, v34 :: v_dual_sub_f32 v36, v34, v36
	s_delay_alu instid0(VALU_DEP_1) | instskip(NEXT) | instid1(VALU_DEP_2)
	v_add_f32_e32 v38, 1.0, v35
	v_add_f32_e32 v36, v32, v36
	s_delay_alu instid0(VALU_DEP_2) | instskip(NEXT) | instid1(VALU_DEP_2)
	v_sub_f32_e32 v34, v34, v38
	v_add_f32_e32 v38, v37, v36
	s_delay_alu instid0(VALU_DEP_2) | instskip(NEXT) | instid1(VALU_DEP_2)
	v_add_f32_e32 v32, v32, v34
	v_rcp_f32_e32 v34, v38
	v_sub_f32_e32 v37, v37, v38
	s_delay_alu instid0(VALU_DEP_1) | instskip(NEXT) | instid1(VALU_DEP_1)
	v_dual_add_f32 v39, v35, v32 :: v_dual_add_f32 v36, v36, v37
	v_sub_f32_e32 v35, v35, v39
	s_delay_alu instid0(TRANS32_DEP_1) | instskip(NEXT) | instid1(VALU_DEP_1)
	v_mul_f32_e32 v40, v39, v34
	v_dual_add_f32 v32, v32, v35 :: v_dual_mul_f32 v41, v38, v40
	s_delay_alu instid0(VALU_DEP_1) | instskip(NEXT) | instid1(VALU_DEP_1)
	v_fma_f32 v37, v40, v38, -v41
	v_fmac_f32_e32 v37, v40, v36
	s_delay_alu instid0(VALU_DEP_1) | instskip(NEXT) | instid1(VALU_DEP_1)
	v_add_f32_e32 v42, v41, v37
	v_sub_f32_e32 v43, v39, v42
	v_sub_f32_e32 v35, v42, v41
	s_delay_alu instid0(VALU_DEP_2) | instskip(NEXT) | instid1(VALU_DEP_2)
	v_sub_f32_e32 v39, v39, v43
	v_sub_f32_e32 v35, v35, v37
	s_delay_alu instid0(VALU_DEP_2) | instskip(NEXT) | instid1(VALU_DEP_1)
	v_sub_f32_e32 v39, v39, v42
	v_add_f32_e32 v32, v32, v39
	s_delay_alu instid0(VALU_DEP_1) | instskip(NEXT) | instid1(VALU_DEP_1)
	v_add_f32_e32 v32, v35, v32
	v_add_f32_e32 v35, v43, v32
	s_delay_alu instid0(VALU_DEP_1) | instskip(NEXT) | instid1(VALU_DEP_1)
	v_mul_f32_e32 v37, v34, v35
	v_dual_sub_f32 v42, v43, v35 :: v_dual_mul_f32 v39, v38, v37
	s_delay_alu instid0(VALU_DEP_1) | instskip(NEXT) | instid1(VALU_DEP_2)
	v_add_f32_e32 v32, v32, v42
	v_fma_f32 v38, v37, v38, -v39
	s_delay_alu instid0(VALU_DEP_1) | instskip(NEXT) | instid1(VALU_DEP_1)
	v_fmac_f32_e32 v38, v37, v36
	v_add_f32_e32 v36, v39, v38
	s_delay_alu instid0(VALU_DEP_1) | instskip(SKIP_1) | instid1(VALU_DEP_2)
	v_sub_f32_e32 v41, v35, v36
	v_sub_f32_e32 v39, v36, v39
	;; [unrolled: 1-line block ×3, first 2 shown]
	s_delay_alu instid0(VALU_DEP_1) | instskip(NEXT) | instid1(VALU_DEP_3)
	v_sub_f32_e32 v35, v35, v36
	v_sub_f32_e32 v36, v39, v38
	s_delay_alu instid0(VALU_DEP_2) | instskip(SKIP_1) | instid1(VALU_DEP_2)
	v_add_f32_e32 v32, v32, v35
	v_add_f32_e32 v35, v40, v37
	;; [unrolled: 1-line block ×3, first 2 shown]
	s_delay_alu instid0(VALU_DEP_2) | instskip(NEXT) | instid1(VALU_DEP_2)
	v_sub_f32_e32 v36, v35, v40
	v_add_f32_e32 v32, v41, v32
	s_delay_alu instid0(VALU_DEP_2) | instskip(NEXT) | instid1(VALU_DEP_2)
	v_sub_f32_e32 v36, v37, v36
	v_mul_f32_e32 v32, v34, v32
	s_delay_alu instid0(VALU_DEP_1) | instskip(NEXT) | instid1(VALU_DEP_1)
	v_add_f32_e32 v32, v36, v32
	v_add_f32_e32 v34, v35, v32
	s_delay_alu instid0(VALU_DEP_1) | instskip(SKIP_1) | instid1(VALU_DEP_1)
	v_mul_f32_e32 v36, v34, v34
	s_wait_alu 0xfffe
	v_fmaak_f32 v37, s0, v36, 0x3ecc95a3
	v_mul_f32_e32 v38, v34, v36
	v_cmp_neq_f32_e64 s0, 0x7f800000, v33
	s_delay_alu instid0(VALU_DEP_3) | instskip(SKIP_2) | instid1(VALU_DEP_3)
	v_fmaak_f32 v36, v36, v37, 0x3f2aaada
	v_ldexp_f32 v37, v34, 1
	v_sub_f32_e32 v34, v34, v35
	v_mul_f32_e32 v36, v38, v36
	v_mul_f32_e32 v38, 0x3f317218, v31
	s_delay_alu instid0(VALU_DEP_2) | instskip(NEXT) | instid1(VALU_DEP_1)
	v_dual_sub_f32 v32, v32, v34 :: v_dual_add_f32 v35, v37, v36
	v_ldexp_f32 v32, v32, 1
	s_delay_alu instid0(VALU_DEP_2) | instskip(NEXT) | instid1(VALU_DEP_4)
	v_sub_f32_e32 v34, v35, v37
	v_fma_f32 v37, 0x3f317218, v31, -v38
	s_delay_alu instid0(VALU_DEP_1) | instskip(NEXT) | instid1(VALU_DEP_1)
	v_dual_sub_f32 v34, v36, v34 :: v_dual_fmamk_f32 v31, v31, 0xb102e308, v37
	v_add_f32_e32 v32, v32, v34
	s_delay_alu instid0(VALU_DEP_2) | instskip(NEXT) | instid1(VALU_DEP_2)
	v_add_f32_e32 v34, v38, v31
	v_add_f32_e32 v36, v35, v32
	s_delay_alu instid0(VALU_DEP_2) | instskip(NEXT) | instid1(VALU_DEP_2)
	v_sub_f32_e32 v38, v34, v38
	v_add_f32_e32 v37, v34, v36
	v_sub_f32_e32 v35, v36, v35
	s_delay_alu instid0(VALU_DEP_3) | instskip(NEXT) | instid1(VALU_DEP_2)
	v_sub_f32_e32 v31, v31, v38
	v_dual_sub_f32 v39, v37, v34 :: v_dual_sub_f32 v32, v32, v35
	s_delay_alu instid0(VALU_DEP_1) | instskip(NEXT) | instid1(VALU_DEP_2)
	v_sub_f32_e32 v40, v37, v39
	v_dual_sub_f32 v35, v36, v39 :: v_dual_add_f32 v36, v31, v32
	s_delay_alu instid0(VALU_DEP_2) | instskip(NEXT) | instid1(VALU_DEP_1)
	v_sub_f32_e32 v34, v34, v40
	v_dual_add_f32 v34, v35, v34 :: v_dual_sub_f32 v35, v36, v31
	s_delay_alu instid0(VALU_DEP_1) | instskip(NEXT) | instid1(VALU_DEP_2)
	v_add_f32_e32 v34, v36, v34
	v_sub_f32_e32 v36, v36, v35
	v_sub_f32_e32 v32, v32, v35
	s_delay_alu instid0(VALU_DEP_2) | instskip(NEXT) | instid1(VALU_DEP_1)
	v_dual_add_f32 v38, v37, v34 :: v_dual_sub_f32 v31, v31, v36
	v_sub_f32_e32 v35, v38, v37
	s_delay_alu instid0(VALU_DEP_2) | instskip(NEXT) | instid1(VALU_DEP_2)
	v_add_f32_e32 v31, v32, v31
	v_sub_f32_e32 v32, v34, v35
	s_delay_alu instid0(VALU_DEP_1) | instskip(NEXT) | instid1(VALU_DEP_1)
	v_add_f32_e32 v31, v31, v32
	v_add_f32_e32 v31, v38, v31
	s_wait_alu 0xf1ff
	s_delay_alu instid0(VALU_DEP_1) | instskip(SKIP_2) | instid1(VALU_DEP_1)
	v_cndmask_b32_e64 v31, 0x7f800000, v31, s0
	v_cmp_gt_f32_e64 s0, 0x33800000, |v33|
	s_wait_alu 0xf1ff
	v_cndmask_b32_e64 v31, v31, v33, s0
	s_delay_alu instid0(VALU_DEP_1)
	v_add_f32_e32 v31, v30, v31
.LBB517_93:
	s_wait_alu 0xfffe
	s_or_b32 exec_lo, exec_lo, s1
	s_delay_alu instid0(VALU_DEP_1) | instskip(SKIP_3) | instid1(VALU_DEP_1)
	v_bfe_u32 v30, v31, 16, 1
	ds_load_u16 v32, v29 offset:12
	v_cmp_o_f32_e64 s0, v31, v31
	v_add3_u32 v30, v31, v30, 0x7fff
	v_lshrrev_b32_e32 v30, 16, v30
	s_wait_alu 0xf1ff
	s_delay_alu instid0(VALU_DEP_1) | instskip(SKIP_3) | instid1(VALU_DEP_1)
	v_cndmask_b32_e64 v33, 0x7fc0, v30, s0
	ds_store_b16 v29, v33 offset:10
	s_wait_dscnt 0x1
	v_lshlrev_b32_e32 v30, 16, v32
	v_dual_max_num_f32 v34, v30, v30 :: v_dual_lshlrev_b32 v31, 16, v33
	s_delay_alu instid0(VALU_DEP_1) | instskip(SKIP_1) | instid1(VALU_DEP_2)
	v_max_num_f32_e32 v32, v31, v31
	v_cmp_u_f32_e64 s0, v31, v31
	v_min_num_f32_e32 v35, v32, v34
	v_max_num_f32_e32 v32, v32, v34
	s_wait_alu 0xf1ff
	s_delay_alu instid0(VALU_DEP_2) | instskip(NEXT) | instid1(VALU_DEP_2)
	v_cndmask_b32_e64 v34, v35, v31, s0
	v_cndmask_b32_e64 v35, v32, v31, s0
	v_cmp_u_f32_e64 s0, v30, v30
	s_wait_alu 0xf1ff
	s_delay_alu instid0(VALU_DEP_1) | instskip(NEXT) | instid1(VALU_DEP_3)
	v_cndmask_b32_e64 v32, v34, v30, s0
	v_cndmask_b32_e64 v30, v35, v30, s0
	s_delay_alu instid0(VALU_DEP_2) | instskip(NEXT) | instid1(VALU_DEP_2)
	v_cmp_class_f32_e64 s1, v32, 0x1f8
	v_cmp_neq_f32_e64 s0, v32, v30
	s_or_b32 s0, s0, s1
	s_wait_alu 0xfffe
	s_and_saveexec_b32 s1, s0
	s_cbranch_execz .LBB517_95
; %bb.94:
	v_sub_f32_e32 v31, v32, v30
	s_delay_alu instid0(VALU_DEP_1) | instskip(SKIP_1) | instid1(VALU_DEP_2)
	v_mul_f32_e32 v32, 0x3fb8aa3b, v31
	v_cmp_ngt_f32_e64 s0, 0xc2ce8ed0, v31
	v_fma_f32 v33, 0x3fb8aa3b, v31, -v32
	v_rndne_f32_e32 v34, v32
	s_delay_alu instid0(VALU_DEP_1) | instskip(NEXT) | instid1(VALU_DEP_1)
	v_dual_fmamk_f32 v33, v31, 0x32a5705f, v33 :: v_dual_sub_f32 v32, v32, v34
	v_add_f32_e32 v32, v32, v33
	v_cvt_i32_f32_e32 v33, v34
	s_delay_alu instid0(VALU_DEP_2) | instskip(NEXT) | instid1(TRANS32_DEP_1)
	v_exp_f32_e32 v32, v32
	v_ldexp_f32 v32, v32, v33
	s_wait_alu 0xf1ff
	s_delay_alu instid0(VALU_DEP_1) | instskip(SKIP_2) | instid1(VALU_DEP_1)
	v_cndmask_b32_e64 v32, 0, v32, s0
	v_cmp_nlt_f32_e64 s0, 0x42b17218, v31
	s_wait_alu 0xf1ff
	v_cndmask_b32_e64 v33, 0x7f800000, v32, s0
	s_delay_alu instid0(VALU_DEP_1) | instskip(NEXT) | instid1(VALU_DEP_1)
	v_add_f32_e32 v34, 1.0, v33
	v_cvt_f64_f32_e32 v[31:32], v34
	s_delay_alu instid0(VALU_DEP_1) | instskip(SKIP_1) | instid1(VALU_DEP_1)
	v_frexp_exp_i32_f64_e32 v31, v[31:32]
	v_frexp_mant_f32_e32 v32, v34
	v_cmp_gt_f32_e64 s0, 0x3f2aaaab, v32
	v_add_f32_e32 v32, -1.0, v34
	s_delay_alu instid0(VALU_DEP_1)
	v_sub_f32_e32 v36, v32, v34
	v_sub_f32_e32 v32, v33, v32
	s_wait_alu 0xf1ff
	v_subrev_co_ci_u32_e64 v31, null, 0, v31, s0
	s_mov_b32 s0, 0x3e9b6dac
	v_sub_nc_u32_e32 v35, 0, v31
	v_cvt_f32_i32_e32 v31, v31
	s_delay_alu instid0(VALU_DEP_2) | instskip(NEXT) | instid1(VALU_DEP_1)
	v_ldexp_f32 v34, v34, v35
	v_dual_add_f32 v37, 1.0, v34 :: v_dual_add_f32 v36, 1.0, v36
	s_delay_alu instid0(VALU_DEP_1) | instskip(NEXT) | instid1(VALU_DEP_2)
	v_add_f32_e32 v32, v32, v36
	v_add_f32_e32 v36, -1.0, v37
	s_delay_alu instid0(VALU_DEP_2) | instskip(NEXT) | instid1(VALU_DEP_2)
	v_ldexp_f32 v32, v32, v35
	v_dual_add_f32 v35, -1.0, v34 :: v_dual_sub_f32 v36, v34, v36
	s_delay_alu instid0(VALU_DEP_1) | instskip(NEXT) | instid1(VALU_DEP_2)
	v_add_f32_e32 v38, 1.0, v35
	v_add_f32_e32 v36, v32, v36
	s_delay_alu instid0(VALU_DEP_2) | instskip(NEXT) | instid1(VALU_DEP_2)
	v_sub_f32_e32 v34, v34, v38
	v_add_f32_e32 v38, v37, v36
	s_delay_alu instid0(VALU_DEP_2) | instskip(NEXT) | instid1(VALU_DEP_2)
	v_add_f32_e32 v32, v32, v34
	v_rcp_f32_e32 v34, v38
	v_sub_f32_e32 v37, v37, v38
	s_delay_alu instid0(VALU_DEP_1) | instskip(NEXT) | instid1(VALU_DEP_1)
	v_dual_add_f32 v39, v35, v32 :: v_dual_add_f32 v36, v36, v37
	v_sub_f32_e32 v35, v35, v39
	s_delay_alu instid0(TRANS32_DEP_1) | instskip(NEXT) | instid1(VALU_DEP_1)
	v_mul_f32_e32 v40, v39, v34
	v_dual_add_f32 v32, v32, v35 :: v_dual_mul_f32 v41, v38, v40
	s_delay_alu instid0(VALU_DEP_1) | instskip(NEXT) | instid1(VALU_DEP_1)
	v_fma_f32 v37, v40, v38, -v41
	v_fmac_f32_e32 v37, v40, v36
	s_delay_alu instid0(VALU_DEP_1) | instskip(NEXT) | instid1(VALU_DEP_1)
	v_add_f32_e32 v42, v41, v37
	v_sub_f32_e32 v43, v39, v42
	v_sub_f32_e32 v35, v42, v41
	s_delay_alu instid0(VALU_DEP_2) | instskip(NEXT) | instid1(VALU_DEP_2)
	v_sub_f32_e32 v39, v39, v43
	v_sub_f32_e32 v35, v35, v37
	s_delay_alu instid0(VALU_DEP_2) | instskip(NEXT) | instid1(VALU_DEP_1)
	v_sub_f32_e32 v39, v39, v42
	v_add_f32_e32 v32, v32, v39
	s_delay_alu instid0(VALU_DEP_1) | instskip(NEXT) | instid1(VALU_DEP_1)
	v_add_f32_e32 v32, v35, v32
	v_add_f32_e32 v35, v43, v32
	s_delay_alu instid0(VALU_DEP_1) | instskip(NEXT) | instid1(VALU_DEP_1)
	v_mul_f32_e32 v37, v34, v35
	v_dual_sub_f32 v42, v43, v35 :: v_dual_mul_f32 v39, v38, v37
	s_delay_alu instid0(VALU_DEP_1) | instskip(NEXT) | instid1(VALU_DEP_2)
	v_add_f32_e32 v32, v32, v42
	v_fma_f32 v38, v37, v38, -v39
	s_delay_alu instid0(VALU_DEP_1) | instskip(NEXT) | instid1(VALU_DEP_1)
	v_fmac_f32_e32 v38, v37, v36
	v_add_f32_e32 v36, v39, v38
	s_delay_alu instid0(VALU_DEP_1) | instskip(SKIP_1) | instid1(VALU_DEP_2)
	v_sub_f32_e32 v41, v35, v36
	v_sub_f32_e32 v39, v36, v39
	v_sub_f32_e32 v35, v35, v41
	s_delay_alu instid0(VALU_DEP_1) | instskip(NEXT) | instid1(VALU_DEP_3)
	v_sub_f32_e32 v35, v35, v36
	v_sub_f32_e32 v36, v39, v38
	s_delay_alu instid0(VALU_DEP_2) | instskip(SKIP_1) | instid1(VALU_DEP_2)
	v_add_f32_e32 v32, v32, v35
	v_add_f32_e32 v35, v40, v37
	;; [unrolled: 1-line block ×3, first 2 shown]
	s_delay_alu instid0(VALU_DEP_2) | instskip(NEXT) | instid1(VALU_DEP_2)
	v_sub_f32_e32 v36, v35, v40
	v_add_f32_e32 v32, v41, v32
	s_delay_alu instid0(VALU_DEP_2) | instskip(NEXT) | instid1(VALU_DEP_2)
	v_sub_f32_e32 v36, v37, v36
	v_mul_f32_e32 v32, v34, v32
	s_delay_alu instid0(VALU_DEP_1) | instskip(NEXT) | instid1(VALU_DEP_1)
	v_add_f32_e32 v32, v36, v32
	v_add_f32_e32 v34, v35, v32
	s_delay_alu instid0(VALU_DEP_1) | instskip(SKIP_1) | instid1(VALU_DEP_1)
	v_mul_f32_e32 v36, v34, v34
	s_wait_alu 0xfffe
	v_fmaak_f32 v37, s0, v36, 0x3ecc95a3
	v_mul_f32_e32 v38, v34, v36
	v_cmp_neq_f32_e64 s0, 0x7f800000, v33
	s_delay_alu instid0(VALU_DEP_3) | instskip(SKIP_2) | instid1(VALU_DEP_3)
	v_fmaak_f32 v36, v36, v37, 0x3f2aaada
	v_ldexp_f32 v37, v34, 1
	v_sub_f32_e32 v34, v34, v35
	v_mul_f32_e32 v36, v38, v36
	v_mul_f32_e32 v38, 0x3f317218, v31
	s_delay_alu instid0(VALU_DEP_2) | instskip(NEXT) | instid1(VALU_DEP_1)
	v_dual_sub_f32 v32, v32, v34 :: v_dual_add_f32 v35, v37, v36
	v_ldexp_f32 v32, v32, 1
	s_delay_alu instid0(VALU_DEP_2) | instskip(NEXT) | instid1(VALU_DEP_4)
	v_sub_f32_e32 v34, v35, v37
	v_fma_f32 v37, 0x3f317218, v31, -v38
	s_delay_alu instid0(VALU_DEP_1) | instskip(NEXT) | instid1(VALU_DEP_1)
	v_dual_sub_f32 v34, v36, v34 :: v_dual_fmamk_f32 v31, v31, 0xb102e308, v37
	v_add_f32_e32 v32, v32, v34
	s_delay_alu instid0(VALU_DEP_2) | instskip(NEXT) | instid1(VALU_DEP_2)
	v_add_f32_e32 v34, v38, v31
	v_add_f32_e32 v36, v35, v32
	s_delay_alu instid0(VALU_DEP_2) | instskip(NEXT) | instid1(VALU_DEP_2)
	v_sub_f32_e32 v38, v34, v38
	v_add_f32_e32 v37, v34, v36
	v_sub_f32_e32 v35, v36, v35
	s_delay_alu instid0(VALU_DEP_3) | instskip(NEXT) | instid1(VALU_DEP_2)
	v_sub_f32_e32 v31, v31, v38
	v_dual_sub_f32 v39, v37, v34 :: v_dual_sub_f32 v32, v32, v35
	s_delay_alu instid0(VALU_DEP_1) | instskip(NEXT) | instid1(VALU_DEP_2)
	v_sub_f32_e32 v40, v37, v39
	v_dual_sub_f32 v35, v36, v39 :: v_dual_add_f32 v36, v31, v32
	s_delay_alu instid0(VALU_DEP_2) | instskip(NEXT) | instid1(VALU_DEP_1)
	v_sub_f32_e32 v34, v34, v40
	v_dual_add_f32 v34, v35, v34 :: v_dual_sub_f32 v35, v36, v31
	s_delay_alu instid0(VALU_DEP_1) | instskip(NEXT) | instid1(VALU_DEP_2)
	v_add_f32_e32 v34, v36, v34
	v_sub_f32_e32 v36, v36, v35
	v_sub_f32_e32 v32, v32, v35
	s_delay_alu instid0(VALU_DEP_2) | instskip(NEXT) | instid1(VALU_DEP_1)
	v_dual_add_f32 v38, v37, v34 :: v_dual_sub_f32 v31, v31, v36
	v_sub_f32_e32 v35, v38, v37
	s_delay_alu instid0(VALU_DEP_2) | instskip(NEXT) | instid1(VALU_DEP_2)
	v_add_f32_e32 v31, v32, v31
	v_sub_f32_e32 v32, v34, v35
	s_delay_alu instid0(VALU_DEP_1) | instskip(NEXT) | instid1(VALU_DEP_1)
	v_add_f32_e32 v31, v31, v32
	v_add_f32_e32 v31, v38, v31
	s_wait_alu 0xf1ff
	s_delay_alu instid0(VALU_DEP_1) | instskip(SKIP_2) | instid1(VALU_DEP_1)
	v_cndmask_b32_e64 v31, 0x7f800000, v31, s0
	v_cmp_gt_f32_e64 s0, 0x33800000, |v33|
	s_wait_alu 0xf1ff
	v_cndmask_b32_e64 v31, v31, v33, s0
	s_delay_alu instid0(VALU_DEP_1)
	v_add_f32_e32 v31, v30, v31
.LBB517_95:
	s_wait_alu 0xfffe
	s_or_b32 exec_lo, exec_lo, s1
	s_delay_alu instid0(VALU_DEP_1) | instskip(SKIP_3) | instid1(VALU_DEP_1)
	v_bfe_u32 v30, v31, 16, 1
	ds_load_u16 v32, v29 offset:14
	v_cmp_o_f32_e64 s0, v31, v31
	v_add3_u32 v30, v31, v30, 0x7fff
	v_lshrrev_b32_e32 v30, 16, v30
	s_wait_alu 0xf1ff
	s_delay_alu instid0(VALU_DEP_1) | instskip(SKIP_3) | instid1(VALU_DEP_1)
	v_cndmask_b32_e64 v33, 0x7fc0, v30, s0
	ds_store_b16 v29, v33 offset:12
	s_wait_dscnt 0x1
	v_lshlrev_b32_e32 v30, 16, v32
	v_dual_max_num_f32 v34, v30, v30 :: v_dual_lshlrev_b32 v31, 16, v33
	s_delay_alu instid0(VALU_DEP_1) | instskip(SKIP_1) | instid1(VALU_DEP_2)
	v_max_num_f32_e32 v32, v31, v31
	v_cmp_u_f32_e64 s0, v31, v31
	v_min_num_f32_e32 v35, v32, v34
	v_max_num_f32_e32 v32, v32, v34
	s_wait_alu 0xf1ff
	s_delay_alu instid0(VALU_DEP_2) | instskip(NEXT) | instid1(VALU_DEP_2)
	v_cndmask_b32_e64 v34, v35, v31, s0
	v_cndmask_b32_e64 v35, v32, v31, s0
	v_cmp_u_f32_e64 s0, v30, v30
	s_wait_alu 0xf1ff
	s_delay_alu instid0(VALU_DEP_1) | instskip(NEXT) | instid1(VALU_DEP_3)
	v_cndmask_b32_e64 v32, v34, v30, s0
	v_cndmask_b32_e64 v30, v35, v30, s0
	s_delay_alu instid0(VALU_DEP_2) | instskip(NEXT) | instid1(VALU_DEP_2)
	v_cmp_class_f32_e64 s1, v32, 0x1f8
	v_cmp_neq_f32_e64 s0, v32, v30
	s_or_b32 s0, s0, s1
	s_wait_alu 0xfffe
	s_and_saveexec_b32 s1, s0
	s_cbranch_execz .LBB517_97
; %bb.96:
	v_sub_f32_e32 v31, v32, v30
	s_delay_alu instid0(VALU_DEP_1) | instskip(SKIP_1) | instid1(VALU_DEP_2)
	v_mul_f32_e32 v32, 0x3fb8aa3b, v31
	v_cmp_ngt_f32_e64 s0, 0xc2ce8ed0, v31
	v_fma_f32 v33, 0x3fb8aa3b, v31, -v32
	v_rndne_f32_e32 v34, v32
	s_delay_alu instid0(VALU_DEP_1) | instskip(NEXT) | instid1(VALU_DEP_1)
	v_dual_fmamk_f32 v33, v31, 0x32a5705f, v33 :: v_dual_sub_f32 v32, v32, v34
	v_add_f32_e32 v32, v32, v33
	v_cvt_i32_f32_e32 v33, v34
	s_delay_alu instid0(VALU_DEP_2) | instskip(NEXT) | instid1(TRANS32_DEP_1)
	v_exp_f32_e32 v32, v32
	v_ldexp_f32 v32, v32, v33
	s_wait_alu 0xf1ff
	s_delay_alu instid0(VALU_DEP_1) | instskip(SKIP_2) | instid1(VALU_DEP_1)
	v_cndmask_b32_e64 v32, 0, v32, s0
	v_cmp_nlt_f32_e64 s0, 0x42b17218, v31
	s_wait_alu 0xf1ff
	v_cndmask_b32_e64 v33, 0x7f800000, v32, s0
	s_delay_alu instid0(VALU_DEP_1) | instskip(NEXT) | instid1(VALU_DEP_1)
	v_add_f32_e32 v34, 1.0, v33
	v_cvt_f64_f32_e32 v[31:32], v34
	s_delay_alu instid0(VALU_DEP_1) | instskip(SKIP_1) | instid1(VALU_DEP_1)
	v_frexp_exp_i32_f64_e32 v31, v[31:32]
	v_frexp_mant_f32_e32 v32, v34
	v_cmp_gt_f32_e64 s0, 0x3f2aaaab, v32
	v_add_f32_e32 v32, -1.0, v34
	s_delay_alu instid0(VALU_DEP_1)
	v_sub_f32_e32 v36, v32, v34
	v_sub_f32_e32 v32, v33, v32
	s_wait_alu 0xf1ff
	v_subrev_co_ci_u32_e64 v31, null, 0, v31, s0
	s_mov_b32 s0, 0x3e9b6dac
	v_sub_nc_u32_e32 v35, 0, v31
	v_cvt_f32_i32_e32 v31, v31
	s_delay_alu instid0(VALU_DEP_2) | instskip(NEXT) | instid1(VALU_DEP_1)
	v_ldexp_f32 v34, v34, v35
	v_dual_add_f32 v37, 1.0, v34 :: v_dual_add_f32 v36, 1.0, v36
	s_delay_alu instid0(VALU_DEP_1) | instskip(NEXT) | instid1(VALU_DEP_2)
	v_add_f32_e32 v32, v32, v36
	v_add_f32_e32 v36, -1.0, v37
	s_delay_alu instid0(VALU_DEP_2) | instskip(NEXT) | instid1(VALU_DEP_2)
	v_ldexp_f32 v32, v32, v35
	v_dual_add_f32 v35, -1.0, v34 :: v_dual_sub_f32 v36, v34, v36
	s_delay_alu instid0(VALU_DEP_1) | instskip(NEXT) | instid1(VALU_DEP_2)
	v_add_f32_e32 v38, 1.0, v35
	v_add_f32_e32 v36, v32, v36
	s_delay_alu instid0(VALU_DEP_2) | instskip(NEXT) | instid1(VALU_DEP_2)
	v_sub_f32_e32 v34, v34, v38
	v_add_f32_e32 v38, v37, v36
	s_delay_alu instid0(VALU_DEP_2) | instskip(NEXT) | instid1(VALU_DEP_2)
	v_add_f32_e32 v32, v32, v34
	v_rcp_f32_e32 v34, v38
	v_sub_f32_e32 v37, v37, v38
	s_delay_alu instid0(VALU_DEP_1) | instskip(NEXT) | instid1(VALU_DEP_1)
	v_dual_add_f32 v39, v35, v32 :: v_dual_add_f32 v36, v36, v37
	v_sub_f32_e32 v35, v35, v39
	s_delay_alu instid0(TRANS32_DEP_1) | instskip(NEXT) | instid1(VALU_DEP_1)
	v_mul_f32_e32 v40, v39, v34
	v_dual_add_f32 v32, v32, v35 :: v_dual_mul_f32 v41, v38, v40
	s_delay_alu instid0(VALU_DEP_1) | instskip(NEXT) | instid1(VALU_DEP_1)
	v_fma_f32 v37, v40, v38, -v41
	v_fmac_f32_e32 v37, v40, v36
	s_delay_alu instid0(VALU_DEP_1) | instskip(NEXT) | instid1(VALU_DEP_1)
	v_add_f32_e32 v42, v41, v37
	v_sub_f32_e32 v43, v39, v42
	v_sub_f32_e32 v35, v42, v41
	s_delay_alu instid0(VALU_DEP_2) | instskip(NEXT) | instid1(VALU_DEP_2)
	v_sub_f32_e32 v39, v39, v43
	v_sub_f32_e32 v35, v35, v37
	s_delay_alu instid0(VALU_DEP_2) | instskip(NEXT) | instid1(VALU_DEP_1)
	v_sub_f32_e32 v39, v39, v42
	v_add_f32_e32 v32, v32, v39
	s_delay_alu instid0(VALU_DEP_1) | instskip(NEXT) | instid1(VALU_DEP_1)
	v_add_f32_e32 v32, v35, v32
	v_add_f32_e32 v35, v43, v32
	s_delay_alu instid0(VALU_DEP_1) | instskip(NEXT) | instid1(VALU_DEP_1)
	v_mul_f32_e32 v37, v34, v35
	v_dual_sub_f32 v42, v43, v35 :: v_dual_mul_f32 v39, v38, v37
	s_delay_alu instid0(VALU_DEP_1) | instskip(NEXT) | instid1(VALU_DEP_2)
	v_add_f32_e32 v32, v32, v42
	v_fma_f32 v38, v37, v38, -v39
	s_delay_alu instid0(VALU_DEP_1) | instskip(NEXT) | instid1(VALU_DEP_1)
	v_fmac_f32_e32 v38, v37, v36
	v_add_f32_e32 v36, v39, v38
	s_delay_alu instid0(VALU_DEP_1) | instskip(SKIP_1) | instid1(VALU_DEP_2)
	v_sub_f32_e32 v41, v35, v36
	v_sub_f32_e32 v39, v36, v39
	;; [unrolled: 1-line block ×3, first 2 shown]
	s_delay_alu instid0(VALU_DEP_1) | instskip(NEXT) | instid1(VALU_DEP_3)
	v_sub_f32_e32 v35, v35, v36
	v_sub_f32_e32 v36, v39, v38
	s_delay_alu instid0(VALU_DEP_2) | instskip(SKIP_1) | instid1(VALU_DEP_2)
	v_add_f32_e32 v32, v32, v35
	v_add_f32_e32 v35, v40, v37
	;; [unrolled: 1-line block ×3, first 2 shown]
	s_delay_alu instid0(VALU_DEP_2) | instskip(NEXT) | instid1(VALU_DEP_2)
	v_sub_f32_e32 v36, v35, v40
	v_add_f32_e32 v32, v41, v32
	s_delay_alu instid0(VALU_DEP_2) | instskip(NEXT) | instid1(VALU_DEP_2)
	v_sub_f32_e32 v36, v37, v36
	v_mul_f32_e32 v32, v34, v32
	s_delay_alu instid0(VALU_DEP_1) | instskip(NEXT) | instid1(VALU_DEP_1)
	v_add_f32_e32 v32, v36, v32
	v_add_f32_e32 v34, v35, v32
	s_delay_alu instid0(VALU_DEP_1) | instskip(SKIP_1) | instid1(VALU_DEP_1)
	v_mul_f32_e32 v36, v34, v34
	s_wait_alu 0xfffe
	v_fmaak_f32 v37, s0, v36, 0x3ecc95a3
	v_mul_f32_e32 v38, v34, v36
	v_cmp_neq_f32_e64 s0, 0x7f800000, v33
	s_delay_alu instid0(VALU_DEP_3) | instskip(SKIP_2) | instid1(VALU_DEP_3)
	v_fmaak_f32 v36, v36, v37, 0x3f2aaada
	v_ldexp_f32 v37, v34, 1
	v_sub_f32_e32 v34, v34, v35
	v_mul_f32_e32 v36, v38, v36
	v_mul_f32_e32 v38, 0x3f317218, v31
	s_delay_alu instid0(VALU_DEP_2) | instskip(NEXT) | instid1(VALU_DEP_1)
	v_dual_sub_f32 v32, v32, v34 :: v_dual_add_f32 v35, v37, v36
	v_ldexp_f32 v32, v32, 1
	s_delay_alu instid0(VALU_DEP_2) | instskip(NEXT) | instid1(VALU_DEP_4)
	v_sub_f32_e32 v34, v35, v37
	v_fma_f32 v37, 0x3f317218, v31, -v38
	s_delay_alu instid0(VALU_DEP_1) | instskip(NEXT) | instid1(VALU_DEP_1)
	v_dual_sub_f32 v34, v36, v34 :: v_dual_fmamk_f32 v31, v31, 0xb102e308, v37
	v_add_f32_e32 v32, v32, v34
	s_delay_alu instid0(VALU_DEP_2) | instskip(NEXT) | instid1(VALU_DEP_2)
	v_add_f32_e32 v34, v38, v31
	v_add_f32_e32 v36, v35, v32
	s_delay_alu instid0(VALU_DEP_2) | instskip(NEXT) | instid1(VALU_DEP_2)
	v_sub_f32_e32 v38, v34, v38
	v_add_f32_e32 v37, v34, v36
	v_sub_f32_e32 v35, v36, v35
	s_delay_alu instid0(VALU_DEP_3) | instskip(NEXT) | instid1(VALU_DEP_2)
	v_sub_f32_e32 v31, v31, v38
	v_dual_sub_f32 v39, v37, v34 :: v_dual_sub_f32 v32, v32, v35
	s_delay_alu instid0(VALU_DEP_1) | instskip(NEXT) | instid1(VALU_DEP_2)
	v_sub_f32_e32 v40, v37, v39
	v_dual_sub_f32 v35, v36, v39 :: v_dual_add_f32 v36, v31, v32
	s_delay_alu instid0(VALU_DEP_2) | instskip(NEXT) | instid1(VALU_DEP_1)
	v_sub_f32_e32 v34, v34, v40
	v_dual_add_f32 v34, v35, v34 :: v_dual_sub_f32 v35, v36, v31
	s_delay_alu instid0(VALU_DEP_1) | instskip(NEXT) | instid1(VALU_DEP_2)
	v_add_f32_e32 v34, v36, v34
	v_sub_f32_e32 v36, v36, v35
	v_sub_f32_e32 v32, v32, v35
	s_delay_alu instid0(VALU_DEP_2) | instskip(NEXT) | instid1(VALU_DEP_1)
	v_dual_add_f32 v38, v37, v34 :: v_dual_sub_f32 v31, v31, v36
	v_sub_f32_e32 v35, v38, v37
	s_delay_alu instid0(VALU_DEP_2) | instskip(NEXT) | instid1(VALU_DEP_2)
	v_add_f32_e32 v31, v32, v31
	v_sub_f32_e32 v32, v34, v35
	s_delay_alu instid0(VALU_DEP_1) | instskip(NEXT) | instid1(VALU_DEP_1)
	v_add_f32_e32 v31, v31, v32
	v_add_f32_e32 v31, v38, v31
	s_wait_alu 0xf1ff
	s_delay_alu instid0(VALU_DEP_1) | instskip(SKIP_2) | instid1(VALU_DEP_1)
	v_cndmask_b32_e64 v31, 0x7f800000, v31, s0
	v_cmp_gt_f32_e64 s0, 0x33800000, |v33|
	s_wait_alu 0xf1ff
	v_cndmask_b32_e64 v31, v31, v33, s0
	s_delay_alu instid0(VALU_DEP_1)
	v_add_f32_e32 v31, v30, v31
.LBB517_97:
	s_wait_alu 0xfffe
	s_or_b32 exec_lo, exec_lo, s1
	s_delay_alu instid0(VALU_DEP_1) | instskip(SKIP_1) | instid1(VALU_DEP_2)
	v_bfe_u32 v30, v31, 16, 1
	v_cmp_o_f32_e64 s0, v31, v31
	v_add3_u32 v30, v31, v30, 0x7fff
	s_delay_alu instid0(VALU_DEP_1) | instskip(SKIP_1) | instid1(VALU_DEP_1)
	v_lshrrev_b32_e32 v30, 16, v30
	s_wait_alu 0xf1ff
	v_cndmask_b32_e64 v30, 0x7fc0, v30, s0
	ds_store_b16 v29, v30 offset:14
.LBB517_98:
	s_wait_alu 0xfffe
	s_or_b32 exec_lo, exec_lo, s25
	v_mul_u32_u24_e32 v29, 22, v0
	s_mov_b32 s1, exec_lo
	s_wait_loadcnt_dscnt 0x0
	s_barrier_signal -1
	s_barrier_wait -1
	global_inv scope:SCOPE_SE
	v_cmpx_ne_u32_e32 0, v0
	s_cbranch_execz .LBB517_102
; %bb.99:
	v_add_nc_u32_e32 v1, -1, v0
	s_delay_alu instid0(VALU_DEP_1) | instskip(NEXT) | instid1(VALU_DEP_1)
	v_lshrrev_b32_e32 v26, 4, v1
	v_and_b32_e32 v26, 0xffffffe, v26
	s_delay_alu instid0(VALU_DEP_1) | instskip(SKIP_3) | instid1(VALU_DEP_1)
	v_lshl_add_u32 v1, v1, 1, v26
	ds_load_u16 v1, v1
	s_wait_dscnt 0x0
	v_lshlrev_b32_e32 v26, 16, v1
	v_max_num_f32_e32 v1, v26, v26
	s_delay_alu instid0(VALU_DEP_1) | instskip(SKIP_3) | instid1(VALU_DEP_1)
	v_min_num_f32_e32 v27, v1, v28
	v_max_num_f32_e32 v1, v1, v28
	v_cmp_u_f32_e64 s0, v26, v26
	s_wait_alu 0xf1ff
	v_cndmask_b32_e64 v27, v27, v26, s0
	s_delay_alu instid0(VALU_DEP_3) | instskip(NEXT) | instid1(VALU_DEP_2)
	v_cndmask_b32_e64 v1, v1, v26, s0
	v_cndmask_b32_e64 v27, v27, v25, s24
	s_delay_alu instid0(VALU_DEP_2) | instskip(NEXT) | instid1(VALU_DEP_2)
	v_cndmask_b32_e64 v1, v1, v25, s24
	v_cmp_class_f32_e64 s24, v27, 0x1f8
	s_delay_alu instid0(VALU_DEP_2)
	v_cmp_neq_f32_e64 s0, v27, v1
	s_or_b32 s0, s0, s24
	s_wait_alu 0xfffe
	s_and_saveexec_b32 s24, s0
	s_cbranch_execz .LBB517_101
; %bb.100:
	v_sub_f32_e32 v25, v27, v1
	s_delay_alu instid0(VALU_DEP_1) | instskip(NEXT) | instid1(VALU_DEP_1)
	v_mul_f32_e32 v26, 0x3fb8aa3b, v25
	v_fma_f32 v27, 0x3fb8aa3b, v25, -v26
	v_rndne_f32_e32 v28, v26
	s_delay_alu instid0(VALU_DEP_1) | instskip(SKIP_1) | instid1(VALU_DEP_2)
	v_dual_sub_f32 v26, v26, v28 :: v_dual_fmamk_f32 v27, v25, 0x32a5705f, v27
	v_cmp_ngt_f32_e64 s0, 0xc2ce8ed0, v25
	v_add_f32_e32 v26, v26, v27
	v_cvt_i32_f32_e32 v27, v28
	s_delay_alu instid0(VALU_DEP_2) | instskip(NEXT) | instid1(TRANS32_DEP_1)
	v_exp_f32_e32 v26, v26
	v_ldexp_f32 v26, v26, v27
	s_wait_alu 0xf1ff
	s_delay_alu instid0(VALU_DEP_1) | instskip(SKIP_2) | instid1(VALU_DEP_1)
	v_cndmask_b32_e64 v26, 0, v26, s0
	v_cmp_nlt_f32_e64 s0, 0x42b17218, v25
	s_wait_alu 0xf1ff
	v_cndmask_b32_e64 v27, 0x7f800000, v26, s0
	s_delay_alu instid0(VALU_DEP_1) | instskip(NEXT) | instid1(VALU_DEP_1)
	v_add_f32_e32 v28, 1.0, v27
	v_cvt_f64_f32_e32 v[25:26], v28
	s_delay_alu instid0(VALU_DEP_1) | instskip(SKIP_1) | instid1(VALU_DEP_1)
	v_frexp_exp_i32_f64_e32 v25, v[25:26]
	v_frexp_mant_f32_e32 v26, v28
	v_cmp_gt_f32_e64 s0, 0x3f2aaaab, v26
	v_add_f32_e32 v26, -1.0, v28
	s_delay_alu instid0(VALU_DEP_1) | instskip(NEXT) | instid1(VALU_DEP_1)
	v_dual_sub_f32 v31, v26, v28 :: v_dual_sub_f32 v26, v27, v26
	v_add_f32_e32 v31, 1.0, v31
	s_delay_alu instid0(VALU_DEP_1)
	v_add_f32_e32 v26, v26, v31
	s_wait_alu 0xf1ff
	v_subrev_co_ci_u32_e64 v25, null, 0, v25, s0
	s_mov_b32 s0, 0x3e9b6dac
	v_sub_nc_u32_e32 v30, 0, v25
	v_cvt_f32_i32_e32 v25, v25
	s_delay_alu instid0(VALU_DEP_2) | instskip(SKIP_1) | instid1(VALU_DEP_2)
	v_ldexp_f32 v28, v28, v30
	v_ldexp_f32 v26, v26, v30
	v_add_f32_e32 v32, 1.0, v28
	s_delay_alu instid0(VALU_DEP_1) | instskip(NEXT) | instid1(VALU_DEP_1)
	v_add_f32_e32 v31, -1.0, v32
	v_dual_sub_f32 v31, v28, v31 :: v_dual_add_f32 v30, -1.0, v28
	s_delay_alu instid0(VALU_DEP_1) | instskip(NEXT) | instid1(VALU_DEP_2)
	v_add_f32_e32 v31, v26, v31
	v_add_f32_e32 v33, 1.0, v30
	s_delay_alu instid0(VALU_DEP_1) | instskip(NEXT) | instid1(VALU_DEP_1)
	v_sub_f32_e32 v28, v28, v33
	v_dual_add_f32 v33, v32, v31 :: v_dual_add_f32 v26, v26, v28
	s_delay_alu instid0(VALU_DEP_1) | instskip(SKIP_1) | instid1(VALU_DEP_1)
	v_rcp_f32_e32 v28, v33
	v_sub_f32_e32 v32, v32, v33
	v_dual_add_f32 v34, v30, v26 :: v_dual_add_f32 v31, v31, v32
	s_delay_alu instid0(TRANS32_DEP_1) | instid1(VALU_DEP_1)
	v_mul_f32_e32 v35, v34, v28
	s_delay_alu instid0(VALU_DEP_1) | instskip(NEXT) | instid1(VALU_DEP_1)
	v_mul_f32_e32 v36, v33, v35
	v_fma_f32 v32, v35, v33, -v36
	s_delay_alu instid0(VALU_DEP_1) | instskip(NEXT) | instid1(VALU_DEP_1)
	v_fmac_f32_e32 v32, v35, v31
	v_dual_add_f32 v37, v36, v32 :: v_dual_sub_f32 v30, v30, v34
	s_delay_alu instid0(VALU_DEP_1) | instskip(NEXT) | instid1(VALU_DEP_2)
	v_sub_f32_e32 v38, v34, v37
	v_add_f32_e32 v26, v26, v30
	v_sub_f32_e32 v30, v37, v36
	s_delay_alu instid0(VALU_DEP_3) | instskip(NEXT) | instid1(VALU_DEP_2)
	v_sub_f32_e32 v34, v34, v38
	v_sub_f32_e32 v30, v30, v32
	s_delay_alu instid0(VALU_DEP_2) | instskip(NEXT) | instid1(VALU_DEP_1)
	v_sub_f32_e32 v34, v34, v37
	v_add_f32_e32 v26, v26, v34
	s_delay_alu instid0(VALU_DEP_1) | instskip(NEXT) | instid1(VALU_DEP_1)
	v_add_f32_e32 v26, v30, v26
	v_add_f32_e32 v30, v38, v26
	s_delay_alu instid0(VALU_DEP_1) | instskip(NEXT) | instid1(VALU_DEP_1)
	v_mul_f32_e32 v32, v28, v30
	v_mul_f32_e32 v34, v33, v32
	s_delay_alu instid0(VALU_DEP_1) | instskip(NEXT) | instid1(VALU_DEP_1)
	v_fma_f32 v33, v32, v33, -v34
	v_fmac_f32_e32 v33, v32, v31
	v_sub_f32_e32 v37, v38, v30
	s_delay_alu instid0(VALU_DEP_2) | instskip(NEXT) | instid1(VALU_DEP_2)
	v_add_f32_e32 v31, v34, v33
	v_add_f32_e32 v26, v26, v37
	s_delay_alu instid0(VALU_DEP_2) | instskip(SKIP_1) | instid1(VALU_DEP_2)
	v_sub_f32_e32 v36, v30, v31
	v_sub_f32_e32 v34, v31, v34
	;; [unrolled: 1-line block ×3, first 2 shown]
	s_delay_alu instid0(VALU_DEP_1) | instskip(NEXT) | instid1(VALU_DEP_3)
	v_sub_f32_e32 v30, v30, v31
	v_sub_f32_e32 v31, v34, v33
	s_delay_alu instid0(VALU_DEP_2) | instskip(SKIP_1) | instid1(VALU_DEP_1)
	v_add_f32_e32 v26, v26, v30
	v_add_f32_e32 v30, v35, v32
	v_dual_add_f32 v26, v31, v26 :: v_dual_sub_f32 v31, v30, v35
	s_delay_alu instid0(VALU_DEP_1) | instskip(NEXT) | instid1(VALU_DEP_2)
	v_add_f32_e32 v26, v36, v26
	v_sub_f32_e32 v31, v32, v31
	s_delay_alu instid0(VALU_DEP_2) | instskip(NEXT) | instid1(VALU_DEP_1)
	v_mul_f32_e32 v26, v28, v26
	v_add_f32_e32 v26, v31, v26
	s_delay_alu instid0(VALU_DEP_1) | instskip(NEXT) | instid1(VALU_DEP_1)
	v_add_f32_e32 v28, v30, v26
	v_mul_f32_e32 v31, v28, v28
	s_wait_alu 0xfffe
	s_delay_alu instid0(VALU_DEP_1) | instskip(SKIP_2) | instid1(VALU_DEP_3)
	v_fmaak_f32 v32, s0, v31, 0x3ecc95a3
	v_mul_f32_e32 v33, v28, v31
	v_cmp_neq_f32_e64 s0, 0x7f800000, v27
	v_fmaak_f32 v31, v31, v32, 0x3f2aaada
	v_ldexp_f32 v32, v28, 1
	s_delay_alu instid0(VALU_DEP_2) | instskip(NEXT) | instid1(VALU_DEP_1)
	v_dual_sub_f32 v28, v28, v30 :: v_dual_mul_f32 v31, v33, v31
	v_dual_mul_f32 v33, 0x3f317218, v25 :: v_dual_sub_f32 v26, v26, v28
	s_delay_alu instid0(VALU_DEP_2) | instskip(NEXT) | instid1(VALU_DEP_2)
	v_add_f32_e32 v30, v32, v31
	v_ldexp_f32 v26, v26, 1
	s_delay_alu instid0(VALU_DEP_2) | instskip(NEXT) | instid1(VALU_DEP_4)
	v_sub_f32_e32 v28, v30, v32
	v_fma_f32 v32, 0x3f317218, v25, -v33
	s_delay_alu instid0(VALU_DEP_1) | instskip(NEXT) | instid1(VALU_DEP_1)
	v_dual_sub_f32 v28, v31, v28 :: v_dual_fmamk_f32 v25, v25, 0xb102e308, v32
	v_add_f32_e32 v26, v26, v28
	s_delay_alu instid0(VALU_DEP_1) | instskip(NEXT) | instid1(VALU_DEP_1)
	v_dual_add_f32 v28, v33, v25 :: v_dual_add_f32 v31, v30, v26
	v_sub_f32_e32 v33, v28, v33
	s_delay_alu instid0(VALU_DEP_2) | instskip(NEXT) | instid1(VALU_DEP_2)
	v_add_f32_e32 v32, v28, v31
	v_dual_sub_f32 v30, v31, v30 :: v_dual_sub_f32 v25, v25, v33
	s_delay_alu instid0(VALU_DEP_2) | instskip(NEXT) | instid1(VALU_DEP_2)
	v_sub_f32_e32 v34, v32, v28
	v_sub_f32_e32 v26, v26, v30
	s_delay_alu instid0(VALU_DEP_2) | instskip(SKIP_1) | instid1(VALU_DEP_2)
	v_sub_f32_e32 v35, v32, v34
	v_sub_f32_e32 v30, v31, v34
	v_dual_add_f32 v31, v25, v26 :: v_dual_sub_f32 v28, v28, v35
	s_delay_alu instid0(VALU_DEP_1) | instskip(NEXT) | instid1(VALU_DEP_2)
	v_add_f32_e32 v28, v30, v28
	v_sub_f32_e32 v30, v31, v25
	s_delay_alu instid0(VALU_DEP_2) | instskip(NEXT) | instid1(VALU_DEP_2)
	v_add_f32_e32 v28, v31, v28
	v_sub_f32_e32 v31, v31, v30
	s_delay_alu instid0(VALU_DEP_2) | instskip(NEXT) | instid1(VALU_DEP_2)
	v_dual_sub_f32 v26, v26, v30 :: v_dual_add_f32 v33, v32, v28
	v_sub_f32_e32 v25, v25, v31
	s_delay_alu instid0(VALU_DEP_1) | instskip(NEXT) | instid1(VALU_DEP_1)
	v_dual_sub_f32 v30, v33, v32 :: v_dual_add_f32 v25, v26, v25
	v_sub_f32_e32 v26, v28, v30
	s_delay_alu instid0(VALU_DEP_1) | instskip(NEXT) | instid1(VALU_DEP_1)
	v_add_f32_e32 v25, v25, v26
	v_add_f32_e32 v25, v33, v25
	s_wait_alu 0xf1ff
	s_delay_alu instid0(VALU_DEP_1) | instskip(SKIP_2) | instid1(VALU_DEP_1)
	v_cndmask_b32_e64 v25, 0x7f800000, v25, s0
	v_cmp_gt_f32_e64 s0, 0x33800000, |v27|
	s_wait_alu 0xf1ff
	v_cndmask_b32_e64 v25, v25, v27, s0
	s_delay_alu instid0(VALU_DEP_1)
	v_add_f32_e32 v26, v1, v25
.LBB517_101:
	s_wait_alu 0xfffe
	s_or_b32 exec_lo, exec_lo, s24
	s_delay_alu instid0(VALU_DEP_1) | instskip(SKIP_2) | instid1(VALU_DEP_2)
	v_bfe_u32 v1, v26, 16, 1
	v_cmp_o_f32_e64 s0, v26, v26
	;;#ASMSTART
	;;#ASMEND
	v_add3_u32 v1, v26, v1, 0x7fff
	s_delay_alu instid0(VALU_DEP_1) | instskip(SKIP_1) | instid1(VALU_DEP_1)
	v_lshrrev_b32_e32 v1, 16, v1
	s_wait_alu 0xf1ff
	v_cndmask_b32_e64 v1, 0x7fc0, v1, s0
	s_delay_alu instid0(VALU_DEP_1) | instskip(NEXT) | instid1(VALU_DEP_1)
	v_lshlrev_b32_e32 v25, 16, v1
	v_max_num_f32_e32 v27, v25, v25
	s_delay_alu instid0(VALU_DEP_1)
	v_min_num_f32_e32 v26, v27, v12
	v_max_num_f32_e32 v27, v27, v12
.LBB517_102:
	s_wait_alu 0xfffe
	s_or_b32 exec_lo, exec_lo, s1
	v_cmp_u_f32_e64 s0, v25, v25
	s_wait_alu 0xf1ff
	s_delay_alu instid0(VALU_DEP_1) | instskip(SKIP_1) | instid1(VALU_DEP_2)
	v_cndmask_b32_e64 v12, v26, v25, s0
	v_cndmask_b32_e64 v26, v27, v25, s0
	;; [unrolled: 1-line block ×3, first 2 shown]
	s_delay_alu instid0(VALU_DEP_2) | instskip(NEXT) | instid1(VALU_DEP_2)
	v_cndmask_b32_e64 v8, v26, v8, s13
	v_cmp_class_f32_e64 s1, v12, 0x1f8
	s_delay_alu instid0(VALU_DEP_2)
	v_cmp_neq_f32_e64 s0, v12, v8
	s_or_b32 s0, s0, s1
	s_wait_alu 0xfffe
	s_and_saveexec_b32 s1, s0
	s_cbranch_execz .LBB517_104
; %bb.103:
	v_sub_f32_e32 v12, v12, v8
	s_delay_alu instid0(VALU_DEP_1) | instskip(NEXT) | instid1(VALU_DEP_1)
	v_mul_f32_e32 v25, 0x3fb8aa3b, v12
	v_fma_f32 v26, 0x3fb8aa3b, v12, -v25
	v_rndne_f32_e32 v27, v25
	s_delay_alu instid0(VALU_DEP_1) | instskip(SKIP_1) | instid1(VALU_DEP_2)
	v_dual_sub_f32 v25, v25, v27 :: v_dual_fmamk_f32 v26, v12, 0x32a5705f, v26
	v_cmp_ngt_f32_e64 s0, 0xc2ce8ed0, v12
	v_add_f32_e32 v25, v25, v26
	v_cvt_i32_f32_e32 v26, v27
	s_delay_alu instid0(VALU_DEP_2) | instskip(NEXT) | instid1(TRANS32_DEP_1)
	v_exp_f32_e32 v25, v25
	v_ldexp_f32 v25, v25, v26
	s_wait_alu 0xf1ff
	s_delay_alu instid0(VALU_DEP_1) | instskip(SKIP_2) | instid1(VALU_DEP_1)
	v_cndmask_b32_e64 v25, 0, v25, s0
	v_cmp_nlt_f32_e64 s0, 0x42b17218, v12
	s_wait_alu 0xf1ff
	v_cndmask_b32_e64 v12, 0x7f800000, v25, s0
	s_delay_alu instid0(VALU_DEP_1) | instskip(NEXT) | instid1(VALU_DEP_1)
	v_add_f32_e32 v27, 1.0, v12
	v_cvt_f64_f32_e32 v[25:26], v27
	s_delay_alu instid0(VALU_DEP_1) | instskip(SKIP_1) | instid1(VALU_DEP_1)
	v_frexp_exp_i32_f64_e32 v25, v[25:26]
	v_frexp_mant_f32_e32 v26, v27
	v_cmp_gt_f32_e64 s0, 0x3f2aaaab, v26
	v_add_f32_e32 v26, -1.0, v27
	s_delay_alu instid0(VALU_DEP_1) | instskip(SKIP_1) | instid1(VALU_DEP_3)
	v_sub_f32_e32 v30, v26, v27
	s_wait_alu 0xf1ff
	v_subrev_co_ci_u32_e64 v25, null, 0, v25, s0
	s_mov_b32 s0, 0x3e9b6dac
	v_sub_nc_u32_e32 v28, 0, v25
	v_cvt_f32_i32_e32 v25, v25
	s_delay_alu instid0(VALU_DEP_2) | instskip(SKIP_1) | instid1(VALU_DEP_2)
	v_ldexp_f32 v27, v27, v28
	v_sub_f32_e32 v26, v12, v26
	v_dual_add_f32 v30, 1.0, v30 :: v_dual_add_f32 v31, 1.0, v27
	s_delay_alu instid0(VALU_DEP_1) | instskip(NEXT) | instid1(VALU_DEP_1)
	v_add_f32_e32 v26, v26, v30
	v_ldexp_f32 v26, v26, v28
	v_add_f32_e32 v28, -1.0, v27
	s_delay_alu instid0(VALU_DEP_4) | instskip(NEXT) | instid1(VALU_DEP_2)
	v_add_f32_e32 v30, -1.0, v31
	v_add_f32_e32 v32, 1.0, v28
	s_delay_alu instid0(VALU_DEP_2) | instskip(NEXT) | instid1(VALU_DEP_1)
	v_sub_f32_e32 v30, v27, v30
	v_dual_sub_f32 v27, v27, v32 :: v_dual_add_f32 v30, v26, v30
	s_delay_alu instid0(VALU_DEP_1) | instskip(NEXT) | instid1(VALU_DEP_2)
	v_add_f32_e32 v26, v26, v27
	v_add_f32_e32 v32, v31, v30
	s_delay_alu instid0(VALU_DEP_2) | instskip(NEXT) | instid1(VALU_DEP_2)
	v_add_f32_e32 v33, v28, v26
	v_rcp_f32_e32 v27, v32
	v_sub_f32_e32 v31, v31, v32
	s_delay_alu instid0(VALU_DEP_1) | instskip(NEXT) | instid1(TRANS32_DEP_1)
	v_add_f32_e32 v30, v30, v31
	v_mul_f32_e32 v34, v33, v27
	s_delay_alu instid0(VALU_DEP_1) | instskip(SKIP_1) | instid1(VALU_DEP_2)
	v_mul_f32_e32 v35, v32, v34
	v_sub_f32_e32 v28, v28, v33
	v_fma_f32 v31, v34, v32, -v35
	s_delay_alu instid0(VALU_DEP_2) | instskip(NEXT) | instid1(VALU_DEP_2)
	v_add_f32_e32 v26, v26, v28
	v_fmac_f32_e32 v31, v34, v30
	s_delay_alu instid0(VALU_DEP_1) | instskip(NEXT) | instid1(VALU_DEP_1)
	v_add_f32_e32 v36, v35, v31
	v_dual_sub_f32 v37, v33, v36 :: v_dual_sub_f32 v28, v36, v35
	s_delay_alu instid0(VALU_DEP_1) | instskip(NEXT) | instid1(VALU_DEP_1)
	v_dual_sub_f32 v33, v33, v37 :: v_dual_sub_f32 v28, v28, v31
	v_sub_f32_e32 v33, v33, v36
	s_delay_alu instid0(VALU_DEP_1) | instskip(NEXT) | instid1(VALU_DEP_1)
	v_add_f32_e32 v26, v26, v33
	v_add_f32_e32 v26, v28, v26
	s_delay_alu instid0(VALU_DEP_1) | instskip(NEXT) | instid1(VALU_DEP_1)
	v_add_f32_e32 v28, v37, v26
	v_mul_f32_e32 v31, v27, v28
	s_delay_alu instid0(VALU_DEP_1) | instskip(NEXT) | instid1(VALU_DEP_1)
	v_dual_sub_f32 v36, v37, v28 :: v_dual_mul_f32 v33, v32, v31
	v_add_f32_e32 v26, v26, v36
	s_delay_alu instid0(VALU_DEP_2) | instskip(NEXT) | instid1(VALU_DEP_1)
	v_fma_f32 v32, v31, v32, -v33
	v_fmac_f32_e32 v32, v31, v30
	s_delay_alu instid0(VALU_DEP_1) | instskip(NEXT) | instid1(VALU_DEP_1)
	v_add_f32_e32 v30, v33, v32
	v_sub_f32_e32 v35, v28, v30
	s_delay_alu instid0(VALU_DEP_1) | instskip(NEXT) | instid1(VALU_DEP_1)
	v_dual_sub_f32 v33, v30, v33 :: v_dual_sub_f32 v28, v28, v35
	v_sub_f32_e32 v28, v28, v30
	s_delay_alu instid0(VALU_DEP_2) | instskip(NEXT) | instid1(VALU_DEP_2)
	v_sub_f32_e32 v30, v33, v32
	v_add_f32_e32 v26, v26, v28
	v_add_f32_e32 v28, v34, v31
	s_delay_alu instid0(VALU_DEP_2) | instskip(NEXT) | instid1(VALU_DEP_2)
	v_add_f32_e32 v26, v30, v26
	v_sub_f32_e32 v30, v28, v34
	s_delay_alu instid0(VALU_DEP_2) | instskip(NEXT) | instid1(VALU_DEP_2)
	v_add_f32_e32 v26, v35, v26
	v_sub_f32_e32 v30, v31, v30
	s_delay_alu instid0(VALU_DEP_2) | instskip(NEXT) | instid1(VALU_DEP_1)
	v_mul_f32_e32 v26, v27, v26
	v_add_f32_e32 v26, v30, v26
	s_delay_alu instid0(VALU_DEP_1) | instskip(NEXT) | instid1(VALU_DEP_1)
	v_add_f32_e32 v27, v28, v26
	v_mul_f32_e32 v30, v27, v27
	s_wait_alu 0xfffe
	s_delay_alu instid0(VALU_DEP_1) | instskip(SKIP_2) | instid1(VALU_DEP_3)
	v_fmaak_f32 v31, s0, v30, 0x3ecc95a3
	v_mul_f32_e32 v32, v27, v30
	v_cmp_neq_f32_e64 s0, 0x7f800000, v12
	v_fmaak_f32 v30, v30, v31, 0x3f2aaada
	v_ldexp_f32 v31, v27, 1
	s_delay_alu instid0(VALU_DEP_2) | instskip(SKIP_1) | instid1(VALU_DEP_2)
	v_dual_sub_f32 v27, v27, v28 :: v_dual_mul_f32 v30, v32, v30
	v_mul_f32_e32 v32, 0x3f317218, v25
	v_sub_f32_e32 v26, v26, v27
	s_delay_alu instid0(VALU_DEP_3) | instskip(NEXT) | instid1(VALU_DEP_2)
	v_add_f32_e32 v28, v31, v30
	v_ldexp_f32 v26, v26, 1
	s_delay_alu instid0(VALU_DEP_2) | instskip(SKIP_1) | instid1(VALU_DEP_2)
	v_sub_f32_e32 v27, v28, v31
	v_fma_f32 v31, 0x3f317218, v25, -v32
	v_sub_f32_e32 v27, v30, v27
	s_delay_alu instid0(VALU_DEP_1) | instskip(NEXT) | instid1(VALU_DEP_1)
	v_dual_fmamk_f32 v25, v25, 0xb102e308, v31 :: v_dual_add_f32 v26, v26, v27
	v_add_f32_e32 v27, v32, v25
	s_delay_alu instid0(VALU_DEP_2) | instskip(NEXT) | instid1(VALU_DEP_2)
	v_add_f32_e32 v30, v28, v26
	v_sub_f32_e32 v32, v27, v32
	s_delay_alu instid0(VALU_DEP_2) | instskip(NEXT) | instid1(VALU_DEP_2)
	v_dual_add_f32 v31, v27, v30 :: v_dual_sub_f32 v28, v30, v28
	v_sub_f32_e32 v25, v25, v32
	s_delay_alu instid0(VALU_DEP_2) | instskip(NEXT) | instid1(VALU_DEP_1)
	v_dual_sub_f32 v33, v31, v27 :: v_dual_sub_f32 v26, v26, v28
	v_sub_f32_e32 v34, v31, v33
	v_sub_f32_e32 v28, v30, v33
	s_delay_alu instid0(VALU_DEP_3) | instskip(NEXT) | instid1(VALU_DEP_3)
	v_add_f32_e32 v30, v25, v26
	v_sub_f32_e32 v27, v27, v34
	s_delay_alu instid0(VALU_DEP_1) | instskip(NEXT) | instid1(VALU_DEP_1)
	v_dual_add_f32 v27, v28, v27 :: v_dual_sub_f32 v28, v30, v25
	v_add_f32_e32 v27, v30, v27
	s_delay_alu instid0(VALU_DEP_2) | instskip(SKIP_1) | instid1(VALU_DEP_2)
	v_sub_f32_e32 v30, v30, v28
	v_sub_f32_e32 v26, v26, v28
	v_dual_add_f32 v32, v31, v27 :: v_dual_sub_f32 v25, v25, v30
	s_delay_alu instid0(VALU_DEP_1) | instskip(NEXT) | instid1(VALU_DEP_1)
	v_dual_sub_f32 v28, v32, v31 :: v_dual_add_f32 v25, v26, v25
	v_sub_f32_e32 v26, v27, v28
	s_delay_alu instid0(VALU_DEP_1) | instskip(NEXT) | instid1(VALU_DEP_1)
	v_add_f32_e32 v25, v25, v26
	v_add_f32_e32 v25, v32, v25
	s_wait_alu 0xf1ff
	s_delay_alu instid0(VALU_DEP_1) | instskip(SKIP_2) | instid1(VALU_DEP_1)
	v_cndmask_b32_e64 v25, 0x7f800000, v25, s0
	v_cmp_gt_f32_e64 s0, 0x33800000, |v12|
	s_wait_alu 0xf1ff
	v_cndmask_b32_e64 v12, v25, v12, s0
	s_delay_alu instid0(VALU_DEP_1)
	v_add_f32_e32 v25, v8, v12
.LBB517_104:
	s_wait_alu 0xfffe
	s_or_b32 exec_lo, exec_lo, s1
	s_delay_alu instid0(VALU_DEP_1) | instskip(SKIP_1) | instid1(VALU_DEP_2)
	v_bfe_u32 v8, v25, 16, 1
	v_cmp_o_f32_e64 s0, v25, v25
	v_add3_u32 v8, v25, v8, 0x7fff
	s_delay_alu instid0(VALU_DEP_1) | instskip(SKIP_1) | instid1(VALU_DEP_1)
	v_lshrrev_b32_e32 v8, 16, v8
	s_wait_alu 0xf1ff
	v_cndmask_b32_e64 v8, 0x7fc0, v8, s0
	s_delay_alu instid0(VALU_DEP_1) | instskip(NEXT) | instid1(VALU_DEP_1)
	v_lshlrev_b32_e32 v12, 16, v8
	v_max_num_f32_e32 v25, v12, v12
	s_delay_alu instid0(VALU_DEP_1) | instskip(SKIP_3) | instid1(VALU_DEP_1)
	v_min_num_f32_e32 v26, v25, v11
	v_max_num_f32_e32 v11, v25, v11
	v_cmp_u_f32_e64 s0, v12, v12
	s_wait_alu 0xf1ff
	v_cndmask_b32_e64 v25, v26, v12, s0
	s_delay_alu instid0(VALU_DEP_3) | instskip(NEXT) | instid1(VALU_DEP_2)
	v_cndmask_b32_e64 v26, v11, v12, s0
	v_cndmask_b32_e64 v11, v25, v9, s14
	s_delay_alu instid0(VALU_DEP_2) | instskip(NEXT) | instid1(VALU_DEP_2)
	v_cndmask_b32_e64 v9, v26, v9, s14
	v_cmp_class_f32_e64 s1, v11, 0x1f8
	s_delay_alu instid0(VALU_DEP_2)
	v_cmp_neq_f32_e64 s0, v11, v9
	s_or_b32 s0, s0, s1
	s_wait_alu 0xfffe
	s_and_saveexec_b32 s1, s0
	s_cbranch_execz .LBB517_106
; %bb.105:
	v_sub_f32_e32 v11, v11, v9
	s_delay_alu instid0(VALU_DEP_1) | instskip(NEXT) | instid1(VALU_DEP_1)
	v_mul_f32_e32 v12, 0x3fb8aa3b, v11
	v_fma_f32 v25, 0x3fb8aa3b, v11, -v12
	v_rndne_f32_e32 v26, v12
	s_delay_alu instid0(VALU_DEP_1) | instskip(SKIP_1) | instid1(VALU_DEP_2)
	v_dual_sub_f32 v12, v12, v26 :: v_dual_fmamk_f32 v25, v11, 0x32a5705f, v25
	v_cmp_ngt_f32_e64 s0, 0xc2ce8ed0, v11
	v_add_f32_e32 v12, v12, v25
	v_cvt_i32_f32_e32 v25, v26
	s_delay_alu instid0(VALU_DEP_2) | instskip(NEXT) | instid1(TRANS32_DEP_1)
	v_exp_f32_e32 v12, v12
	v_ldexp_f32 v12, v12, v25
	s_wait_alu 0xf1ff
	s_delay_alu instid0(VALU_DEP_1) | instskip(SKIP_2) | instid1(VALU_DEP_1)
	v_cndmask_b32_e64 v12, 0, v12, s0
	v_cmp_nlt_f32_e64 s0, 0x42b17218, v11
	s_wait_alu 0xf1ff
	v_cndmask_b32_e64 v25, 0x7f800000, v12, s0
	s_delay_alu instid0(VALU_DEP_1) | instskip(NEXT) | instid1(VALU_DEP_1)
	v_add_f32_e32 v26, 1.0, v25
	v_cvt_f64_f32_e32 v[11:12], v26
	s_delay_alu instid0(VALU_DEP_1) | instskip(SKIP_1) | instid1(VALU_DEP_1)
	v_frexp_exp_i32_f64_e32 v11, v[11:12]
	v_frexp_mant_f32_e32 v12, v26
	v_cmp_gt_f32_e64 s0, 0x3f2aaaab, v12
	v_add_f32_e32 v12, -1.0, v26
	s_delay_alu instid0(VALU_DEP_1) | instskip(SKIP_1) | instid1(VALU_DEP_2)
	v_sub_f32_e32 v28, v12, v26
	v_sub_f32_e32 v12, v25, v12
	v_add_f32_e32 v28, 1.0, v28
	s_delay_alu instid0(VALU_DEP_1)
	v_add_f32_e32 v12, v12, v28
	s_wait_alu 0xf1ff
	v_subrev_co_ci_u32_e64 v11, null, 0, v11, s0
	s_mov_b32 s0, 0x3e9b6dac
	v_sub_nc_u32_e32 v27, 0, v11
	v_cvt_f32_i32_e32 v11, v11
	s_delay_alu instid0(VALU_DEP_2) | instskip(SKIP_1) | instid1(VALU_DEP_2)
	v_ldexp_f32 v26, v26, v27
	v_ldexp_f32 v12, v12, v27
	v_add_f32_e32 v30, 1.0, v26
	v_add_f32_e32 v27, -1.0, v26
	s_delay_alu instid0(VALU_DEP_1) | instskip(NEXT) | instid1(VALU_DEP_1)
	v_dual_add_f32 v28, -1.0, v30 :: v_dual_add_f32 v31, 1.0, v27
	v_sub_f32_e32 v28, v26, v28
	s_delay_alu instid0(VALU_DEP_2) | instskip(NEXT) | instid1(VALU_DEP_2)
	v_sub_f32_e32 v26, v26, v31
	v_add_f32_e32 v28, v12, v28
	s_delay_alu instid0(VALU_DEP_1) | instskip(NEXT) | instid1(VALU_DEP_1)
	v_add_f32_e32 v31, v30, v28
	v_sub_f32_e32 v30, v30, v31
	s_delay_alu instid0(VALU_DEP_1) | instskip(SKIP_2) | instid1(VALU_DEP_1)
	v_add_f32_e32 v28, v28, v30
	v_add_f32_e32 v12, v12, v26
	v_rcp_f32_e32 v26, v31
	v_add_f32_e32 v32, v27, v12
	s_delay_alu instid0(VALU_DEP_1) | instskip(NEXT) | instid1(TRANS32_DEP_1)
	v_sub_f32_e32 v27, v27, v32
	v_mul_f32_e32 v33, v32, v26
	s_delay_alu instid0(VALU_DEP_2) | instskip(NEXT) | instid1(VALU_DEP_2)
	v_add_f32_e32 v12, v12, v27
	v_mul_f32_e32 v34, v31, v33
	s_delay_alu instid0(VALU_DEP_1) | instskip(NEXT) | instid1(VALU_DEP_1)
	v_fma_f32 v30, v33, v31, -v34
	v_fmac_f32_e32 v30, v33, v28
	s_delay_alu instid0(VALU_DEP_1) | instskip(NEXT) | instid1(VALU_DEP_1)
	v_add_f32_e32 v35, v34, v30
	v_dual_sub_f32 v36, v32, v35 :: v_dual_sub_f32 v27, v35, v34
	s_delay_alu instid0(VALU_DEP_1) | instskip(NEXT) | instid1(VALU_DEP_1)
	v_dual_sub_f32 v32, v32, v36 :: v_dual_sub_f32 v27, v27, v30
	v_sub_f32_e32 v32, v32, v35
	s_delay_alu instid0(VALU_DEP_1) | instskip(NEXT) | instid1(VALU_DEP_1)
	v_add_f32_e32 v12, v12, v32
	v_add_f32_e32 v12, v27, v12
	s_delay_alu instid0(VALU_DEP_1) | instskip(NEXT) | instid1(VALU_DEP_1)
	v_add_f32_e32 v27, v36, v12
	v_mul_f32_e32 v30, v26, v27
	s_delay_alu instid0(VALU_DEP_1) | instskip(NEXT) | instid1(VALU_DEP_1)
	v_dual_sub_f32 v35, v36, v27 :: v_dual_mul_f32 v32, v31, v30
	v_add_f32_e32 v12, v12, v35
	s_delay_alu instid0(VALU_DEP_2) | instskip(NEXT) | instid1(VALU_DEP_1)
	v_fma_f32 v31, v30, v31, -v32
	v_fmac_f32_e32 v31, v30, v28
	s_delay_alu instid0(VALU_DEP_1) | instskip(NEXT) | instid1(VALU_DEP_1)
	v_add_f32_e32 v28, v32, v31
	v_sub_f32_e32 v34, v27, v28
	s_delay_alu instid0(VALU_DEP_1) | instskip(NEXT) | instid1(VALU_DEP_1)
	v_dual_sub_f32 v32, v28, v32 :: v_dual_sub_f32 v27, v27, v34
	v_dual_sub_f32 v27, v27, v28 :: v_dual_sub_f32 v28, v32, v31
	s_delay_alu instid0(VALU_DEP_1) | instskip(NEXT) | instid1(VALU_DEP_1)
	v_dual_add_f32 v12, v12, v27 :: v_dual_add_f32 v27, v33, v30
	v_add_f32_e32 v12, v28, v12
	s_delay_alu instid0(VALU_DEP_2) | instskip(NEXT) | instid1(VALU_DEP_2)
	v_sub_f32_e32 v28, v27, v33
	v_add_f32_e32 v12, v34, v12
	s_delay_alu instid0(VALU_DEP_2) | instskip(NEXT) | instid1(VALU_DEP_2)
	v_sub_f32_e32 v28, v30, v28
	v_mul_f32_e32 v12, v26, v12
	s_delay_alu instid0(VALU_DEP_1) | instskip(NEXT) | instid1(VALU_DEP_1)
	v_add_f32_e32 v12, v28, v12
	v_add_f32_e32 v26, v27, v12
	s_delay_alu instid0(VALU_DEP_1) | instskip(SKIP_1) | instid1(VALU_DEP_1)
	v_mul_f32_e32 v28, v26, v26
	s_wait_alu 0xfffe
	v_fmaak_f32 v30, s0, v28, 0x3ecc95a3
	v_mul_f32_e32 v31, v26, v28
	v_cmp_neq_f32_e64 s0, 0x7f800000, v25
	s_delay_alu instid0(VALU_DEP_3) | instskip(SKIP_2) | instid1(VALU_DEP_3)
	v_fmaak_f32 v28, v28, v30, 0x3f2aaada
	v_ldexp_f32 v30, v26, 1
	v_sub_f32_e32 v26, v26, v27
	v_dual_mul_f32 v28, v31, v28 :: v_dual_mul_f32 v31, 0x3f317218, v11
	s_delay_alu instid0(VALU_DEP_1) | instskip(NEXT) | instid1(VALU_DEP_1)
	v_dual_sub_f32 v12, v12, v26 :: v_dual_add_f32 v27, v30, v28
	v_ldexp_f32 v12, v12, 1
	s_delay_alu instid0(VALU_DEP_2) | instskip(NEXT) | instid1(VALU_DEP_4)
	v_sub_f32_e32 v26, v27, v30
	v_fma_f32 v30, 0x3f317218, v11, -v31
	s_delay_alu instid0(VALU_DEP_1) | instskip(NEXT) | instid1(VALU_DEP_1)
	v_dual_sub_f32 v26, v28, v26 :: v_dual_fmamk_f32 v11, v11, 0xb102e308, v30
	v_add_f32_e32 v12, v12, v26
	s_delay_alu instid0(VALU_DEP_2) | instskip(NEXT) | instid1(VALU_DEP_1)
	v_add_f32_e32 v26, v31, v11
	v_dual_add_f32 v28, v27, v12 :: v_dual_sub_f32 v31, v26, v31
	s_delay_alu instid0(VALU_DEP_1) | instskip(NEXT) | instid1(VALU_DEP_1)
	v_dual_add_f32 v30, v26, v28 :: v_dual_sub_f32 v27, v28, v27
	v_dual_sub_f32 v11, v11, v31 :: v_dual_sub_f32 v32, v30, v26
	s_delay_alu instid0(VALU_DEP_1) | instskip(SKIP_1) | instid1(VALU_DEP_2)
	v_dual_sub_f32 v12, v12, v27 :: v_dual_sub_f32 v33, v30, v32
	v_sub_f32_e32 v27, v28, v32
	v_add_f32_e32 v28, v11, v12
	s_delay_alu instid0(VALU_DEP_3) | instskip(NEXT) | instid1(VALU_DEP_1)
	v_sub_f32_e32 v26, v26, v33
	v_dual_add_f32 v26, v27, v26 :: v_dual_sub_f32 v27, v28, v11
	s_delay_alu instid0(VALU_DEP_1) | instskip(NEXT) | instid1(VALU_DEP_2)
	v_add_f32_e32 v26, v28, v26
	v_sub_f32_e32 v28, v28, v27
	s_delay_alu instid0(VALU_DEP_2) | instskip(NEXT) | instid1(VALU_DEP_2)
	v_dual_sub_f32 v12, v12, v27 :: v_dual_add_f32 v31, v30, v26
	v_sub_f32_e32 v11, v11, v28
	s_delay_alu instid0(VALU_DEP_2) | instskip(NEXT) | instid1(VALU_DEP_2)
	v_sub_f32_e32 v27, v31, v30
	v_add_f32_e32 v11, v12, v11
	s_delay_alu instid0(VALU_DEP_2) | instskip(NEXT) | instid1(VALU_DEP_1)
	v_sub_f32_e32 v12, v26, v27
	v_add_f32_e32 v11, v11, v12
	s_delay_alu instid0(VALU_DEP_1) | instskip(SKIP_1) | instid1(VALU_DEP_1)
	v_add_f32_e32 v11, v31, v11
	s_wait_alu 0xf1ff
	v_cndmask_b32_e64 v11, 0x7f800000, v11, s0
	v_cmp_gt_f32_e64 s0, 0x33800000, |v25|
	s_wait_alu 0xf1ff
	s_delay_alu instid0(VALU_DEP_1) | instskip(NEXT) | instid1(VALU_DEP_1)
	v_cndmask_b32_e64 v11, v11, v25, s0
	v_add_f32_e32 v12, v9, v11
.LBB517_106:
	s_wait_alu 0xfffe
	s_or_b32 exec_lo, exec_lo, s1
	s_delay_alu instid0(VALU_DEP_1) | instskip(SKIP_1) | instid1(VALU_DEP_2)
	v_bfe_u32 v9, v12, 16, 1
	v_cmp_o_f32_e64 s0, v12, v12
	v_add3_u32 v9, v12, v9, 0x7fff
	s_delay_alu instid0(VALU_DEP_1) | instskip(SKIP_1) | instid1(VALU_DEP_1)
	v_lshrrev_b32_e32 v9, 16, v9
	s_wait_alu 0xf1ff
	v_cndmask_b32_e64 v9, 0x7fc0, v9, s0
	s_delay_alu instid0(VALU_DEP_1) | instskip(NEXT) | instid1(VALU_DEP_1)
	v_lshlrev_b32_e32 v11, 16, v9
	v_max_num_f32_e32 v12, v11, v11
	v_cmp_u_f32_e64 s0, v11, v11
	s_delay_alu instid0(VALU_DEP_2) | instskip(SKIP_2) | instid1(VALU_DEP_2)
	v_min_num_f32_e32 v25, v12, v13
	v_max_num_f32_e32 v12, v12, v13
	s_wait_alu 0xf1ff
	v_cndmask_b32_e64 v13, v25, v11, s0
	s_delay_alu instid0(VALU_DEP_2) | instskip(NEXT) | instid1(VALU_DEP_2)
	v_cndmask_b32_e64 v25, v12, v11, s0
	v_cndmask_b32_e64 v12, v13, v2, s15
	s_delay_alu instid0(VALU_DEP_2) | instskip(NEXT) | instid1(VALU_DEP_2)
	v_cndmask_b32_e64 v2, v25, v2, s15
	v_cmp_class_f32_e64 s1, v12, 0x1f8
	s_delay_alu instid0(VALU_DEP_2)
	v_cmp_neq_f32_e64 s0, v12, v2
	s_or_b32 s0, s0, s1
	s_wait_alu 0xfffe
	s_and_saveexec_b32 s1, s0
	s_cbranch_execz .LBB517_108
; %bb.107:
	v_sub_f32_e32 v11, v12, v2
	s_delay_alu instid0(VALU_DEP_1) | instskip(SKIP_1) | instid1(VALU_DEP_2)
	v_mul_f32_e32 v12, 0x3fb8aa3b, v11
	v_cmp_ngt_f32_e64 s0, 0xc2ce8ed0, v11
	v_fma_f32 v13, 0x3fb8aa3b, v11, -v12
	v_rndne_f32_e32 v25, v12
	s_delay_alu instid0(VALU_DEP_1) | instskip(NEXT) | instid1(VALU_DEP_1)
	v_dual_fmamk_f32 v13, v11, 0x32a5705f, v13 :: v_dual_sub_f32 v12, v12, v25
	v_add_f32_e32 v12, v12, v13
	v_cvt_i32_f32_e32 v13, v25
	s_delay_alu instid0(VALU_DEP_2) | instskip(NEXT) | instid1(TRANS32_DEP_1)
	v_exp_f32_e32 v12, v12
	v_ldexp_f32 v12, v12, v13
	s_wait_alu 0xf1ff
	s_delay_alu instid0(VALU_DEP_1) | instskip(SKIP_2) | instid1(VALU_DEP_1)
	v_cndmask_b32_e64 v12, 0, v12, s0
	v_cmp_nlt_f32_e64 s0, 0x42b17218, v11
	s_wait_alu 0xf1ff
	v_cndmask_b32_e64 v13, 0x7f800000, v12, s0
	s_delay_alu instid0(VALU_DEP_1) | instskip(NEXT) | instid1(VALU_DEP_1)
	v_add_f32_e32 v25, 1.0, v13
	v_cvt_f64_f32_e32 v[11:12], v25
	s_delay_alu instid0(VALU_DEP_1) | instskip(SKIP_1) | instid1(VALU_DEP_1)
	v_frexp_exp_i32_f64_e32 v11, v[11:12]
	v_frexp_mant_f32_e32 v12, v25
	v_cmp_gt_f32_e64 s0, 0x3f2aaaab, v12
	v_add_f32_e32 v12, -1.0, v25
	s_delay_alu instid0(VALU_DEP_1) | instskip(NEXT) | instid1(VALU_DEP_1)
	v_dual_sub_f32 v27, v12, v25 :: v_dual_sub_f32 v12, v13, v12
	v_add_f32_e32 v27, 1.0, v27
	s_wait_alu 0xf1ff
	v_subrev_co_ci_u32_e64 v11, null, 0, v11, s0
	s_mov_b32 s0, 0x3e9b6dac
	v_sub_nc_u32_e32 v26, 0, v11
	v_cvt_f32_i32_e32 v11, v11
	s_delay_alu instid0(VALU_DEP_2) | instskip(NEXT) | instid1(VALU_DEP_1)
	v_ldexp_f32 v25, v25, v26
	v_add_f32_e32 v28, 1.0, v25
	s_delay_alu instid0(VALU_DEP_1) | instskip(NEXT) | instid1(VALU_DEP_1)
	v_dual_add_f32 v12, v12, v27 :: v_dual_add_f32 v27, -1.0, v28
	v_ldexp_f32 v12, v12, v26
	s_delay_alu instid0(VALU_DEP_2) | instskip(NEXT) | instid1(VALU_DEP_1)
	v_dual_sub_f32 v27, v25, v27 :: v_dual_add_f32 v26, -1.0, v25
	v_dual_add_f32 v27, v12, v27 :: v_dual_add_f32 v30, 1.0, v26
	s_delay_alu instid0(VALU_DEP_1) | instskip(NEXT) | instid1(VALU_DEP_1)
	v_dual_sub_f32 v25, v25, v30 :: v_dual_add_f32 v30, v28, v27
	v_add_f32_e32 v12, v12, v25
	s_delay_alu instid0(VALU_DEP_2) | instskip(NEXT) | instid1(VALU_DEP_1)
	v_rcp_f32_e32 v25, v30
	v_dual_add_f32 v31, v26, v12 :: v_dual_sub_f32 v28, v28, v30
	s_delay_alu instid0(VALU_DEP_1) | instskip(NEXT) | instid1(TRANS32_DEP_1)
	v_dual_sub_f32 v26, v26, v31 :: v_dual_add_f32 v27, v27, v28
	v_mul_f32_e32 v32, v31, v25
	s_delay_alu instid0(VALU_DEP_1) | instskip(NEXT) | instid1(VALU_DEP_1)
	v_dual_mul_f32 v33, v30, v32 :: v_dual_add_f32 v12, v12, v26
	v_fma_f32 v28, v32, v30, -v33
	s_delay_alu instid0(VALU_DEP_1) | instskip(NEXT) | instid1(VALU_DEP_1)
	v_fmac_f32_e32 v28, v32, v27
	v_add_f32_e32 v34, v33, v28
	s_delay_alu instid0(VALU_DEP_1) | instskip(NEXT) | instid1(VALU_DEP_1)
	v_sub_f32_e32 v35, v31, v34
	v_dual_sub_f32 v31, v31, v35 :: v_dual_sub_f32 v26, v34, v33
	s_delay_alu instid0(VALU_DEP_1) | instskip(NEXT) | instid1(VALU_DEP_1)
	v_dual_sub_f32 v31, v31, v34 :: v_dual_sub_f32 v26, v26, v28
	v_add_f32_e32 v12, v12, v31
	s_delay_alu instid0(VALU_DEP_1) | instskip(NEXT) | instid1(VALU_DEP_1)
	v_add_f32_e32 v12, v26, v12
	v_add_f32_e32 v26, v35, v12
	s_delay_alu instid0(VALU_DEP_1) | instskip(NEXT) | instid1(VALU_DEP_1)
	v_mul_f32_e32 v28, v25, v26
	v_dual_sub_f32 v34, v35, v26 :: v_dual_mul_f32 v31, v30, v28
	s_delay_alu instid0(VALU_DEP_1) | instskip(NEXT) | instid1(VALU_DEP_2)
	v_add_f32_e32 v12, v12, v34
	v_fma_f32 v30, v28, v30, -v31
	s_delay_alu instid0(VALU_DEP_1) | instskip(NEXT) | instid1(VALU_DEP_1)
	v_fmac_f32_e32 v30, v28, v27
	v_add_f32_e32 v27, v31, v30
	s_delay_alu instid0(VALU_DEP_1) | instskip(NEXT) | instid1(VALU_DEP_1)
	v_sub_f32_e32 v33, v26, v27
	v_dual_sub_f32 v31, v27, v31 :: v_dual_sub_f32 v26, v26, v33
	s_delay_alu instid0(VALU_DEP_1) | instskip(NEXT) | instid1(VALU_DEP_1)
	v_dual_sub_f32 v26, v26, v27 :: v_dual_sub_f32 v27, v31, v30
	v_add_f32_e32 v12, v12, v26
	v_add_f32_e32 v26, v32, v28
	s_delay_alu instid0(VALU_DEP_2) | instskip(NEXT) | instid1(VALU_DEP_2)
	v_add_f32_e32 v12, v27, v12
	v_sub_f32_e32 v27, v26, v32
	s_delay_alu instid0(VALU_DEP_1) | instskip(NEXT) | instid1(VALU_DEP_1)
	v_dual_add_f32 v12, v33, v12 :: v_dual_sub_f32 v27, v28, v27
	v_mul_f32_e32 v12, v25, v12
	s_delay_alu instid0(VALU_DEP_1) | instskip(NEXT) | instid1(VALU_DEP_1)
	v_add_f32_e32 v12, v27, v12
	v_add_f32_e32 v25, v26, v12
	s_delay_alu instid0(VALU_DEP_1) | instskip(SKIP_1) | instid1(VALU_DEP_1)
	v_mul_f32_e32 v27, v25, v25
	s_wait_alu 0xfffe
	v_fmaak_f32 v28, s0, v27, 0x3ecc95a3
	v_mul_f32_e32 v30, v25, v27
	v_cmp_neq_f32_e64 s0, 0x7f800000, v13
	s_delay_alu instid0(VALU_DEP_3) | instskip(SKIP_2) | instid1(VALU_DEP_3)
	v_fmaak_f32 v27, v27, v28, 0x3f2aaada
	v_ldexp_f32 v28, v25, 1
	v_sub_f32_e32 v25, v25, v26
	v_mul_f32_e32 v27, v30, v27
	v_mul_f32_e32 v30, 0x3f317218, v11
	s_delay_alu instid0(VALU_DEP_3) | instskip(NEXT) | instid1(VALU_DEP_3)
	v_sub_f32_e32 v12, v12, v25
	v_add_f32_e32 v26, v28, v27
	s_delay_alu instid0(VALU_DEP_2) | instskip(NEXT) | instid1(VALU_DEP_2)
	v_ldexp_f32 v12, v12, 1
	v_sub_f32_e32 v25, v26, v28
	v_fma_f32 v28, 0x3f317218, v11, -v30
	s_delay_alu instid0(VALU_DEP_2) | instskip(NEXT) | instid1(VALU_DEP_1)
	v_sub_f32_e32 v25, v27, v25
	v_dual_fmamk_f32 v11, v11, 0xb102e308, v28 :: v_dual_add_f32 v12, v12, v25
	s_delay_alu instid0(VALU_DEP_1) | instskip(NEXT) | instid1(VALU_DEP_1)
	v_add_f32_e32 v25, v30, v11
	v_dual_add_f32 v27, v26, v12 :: v_dual_sub_f32 v30, v25, v30
	s_delay_alu instid0(VALU_DEP_1) | instskip(NEXT) | instid1(VALU_DEP_1)
	v_dual_add_f32 v28, v25, v27 :: v_dual_sub_f32 v11, v11, v30
	v_sub_f32_e32 v31, v28, v25
	s_delay_alu instid0(VALU_DEP_1) | instskip(NEXT) | instid1(VALU_DEP_1)
	v_sub_f32_e32 v32, v28, v31
	v_dual_sub_f32 v25, v25, v32 :: v_dual_sub_f32 v26, v27, v26
	s_delay_alu instid0(VALU_DEP_1) | instskip(SKIP_1) | instid1(VALU_DEP_2)
	v_sub_f32_e32 v12, v12, v26
	v_sub_f32_e32 v26, v27, v31
	v_add_f32_e32 v27, v11, v12
	s_delay_alu instid0(VALU_DEP_1) | instskip(NEXT) | instid1(VALU_DEP_1)
	v_dual_add_f32 v25, v26, v25 :: v_dual_sub_f32 v26, v27, v11
	v_add_f32_e32 v25, v27, v25
	s_delay_alu instid0(VALU_DEP_1) | instskip(NEXT) | instid1(VALU_DEP_1)
	v_dual_sub_f32 v27, v27, v26 :: v_dual_add_f32 v30, v28, v25
	v_dual_sub_f32 v12, v12, v26 :: v_dual_sub_f32 v11, v11, v27
	s_delay_alu instid0(VALU_DEP_1) | instskip(NEXT) | instid1(VALU_DEP_1)
	v_dual_sub_f32 v26, v30, v28 :: v_dual_add_f32 v11, v12, v11
	v_sub_f32_e32 v12, v25, v26
	s_delay_alu instid0(VALU_DEP_1) | instskip(NEXT) | instid1(VALU_DEP_1)
	v_add_f32_e32 v11, v11, v12
	v_add_f32_e32 v11, v30, v11
	s_wait_alu 0xf1ff
	s_delay_alu instid0(VALU_DEP_1) | instskip(SKIP_2) | instid1(VALU_DEP_1)
	v_cndmask_b32_e64 v11, 0x7f800000, v11, s0
	v_cmp_gt_f32_e64 s0, 0x33800000, |v13|
	s_wait_alu 0xf1ff
	v_cndmask_b32_e64 v11, v11, v13, s0
	s_delay_alu instid0(VALU_DEP_1)
	v_add_f32_e32 v11, v2, v11
.LBB517_108:
	s_wait_alu 0xfffe
	s_or_b32 exec_lo, exec_lo, s1
	s_delay_alu instid0(VALU_DEP_1) | instskip(SKIP_1) | instid1(VALU_DEP_2)
	v_bfe_u32 v2, v11, 16, 1
	v_cmp_o_f32_e64 s0, v11, v11
	v_add3_u32 v2, v11, v2, 0x7fff
	s_delay_alu instid0(VALU_DEP_1) | instskip(SKIP_1) | instid1(VALU_DEP_1)
	v_lshrrev_b32_e32 v2, 16, v2
	s_wait_alu 0xf1ff
	v_cndmask_b32_e64 v2, 0x7fc0, v2, s0
	s_delay_alu instid0(VALU_DEP_1) | instskip(NEXT) | instid1(VALU_DEP_1)
	v_lshlrev_b32_e32 v11, 16, v2
	v_max_num_f32_e32 v12, v11, v11
	s_delay_alu instid0(VALU_DEP_1) | instskip(SKIP_3) | instid1(VALU_DEP_1)
	v_min_num_f32_e32 v13, v12, v15
	v_max_num_f32_e32 v12, v12, v15
	v_cmp_u_f32_e64 s0, v11, v11
	s_wait_alu 0xf1ff
	v_cndmask_b32_e64 v13, v13, v11, s0
	s_delay_alu instid0(VALU_DEP_3) | instskip(NEXT) | instid1(VALU_DEP_2)
	v_cndmask_b32_e64 v15, v12, v11, s0
	v_cndmask_b32_e64 v12, v13, v10, s16
	s_delay_alu instid0(VALU_DEP_2) | instskip(NEXT) | instid1(VALU_DEP_2)
	v_cndmask_b32_e64 v10, v15, v10, s16
	v_cmp_class_f32_e64 s1, v12, 0x1f8
	s_delay_alu instid0(VALU_DEP_2)
	v_cmp_neq_f32_e64 s0, v12, v10
	s_or_b32 s0, s0, s1
	s_wait_alu 0xfffe
	s_and_saveexec_b32 s1, s0
	s_cbranch_execz .LBB517_110
; %bb.109:
	v_sub_f32_e32 v11, v12, v10
	s_delay_alu instid0(VALU_DEP_1) | instskip(SKIP_1) | instid1(VALU_DEP_2)
	v_mul_f32_e32 v12, 0x3fb8aa3b, v11
	v_cmp_ngt_f32_e64 s0, 0xc2ce8ed0, v11
	v_fma_f32 v13, 0x3fb8aa3b, v11, -v12
	v_rndne_f32_e32 v15, v12
	s_delay_alu instid0(VALU_DEP_1) | instskip(NEXT) | instid1(VALU_DEP_1)
	v_dual_fmamk_f32 v13, v11, 0x32a5705f, v13 :: v_dual_sub_f32 v12, v12, v15
	v_add_f32_e32 v12, v12, v13
	v_cvt_i32_f32_e32 v13, v15
	s_delay_alu instid0(VALU_DEP_2) | instskip(NEXT) | instid1(TRANS32_DEP_1)
	v_exp_f32_e32 v12, v12
	v_ldexp_f32 v12, v12, v13
	s_wait_alu 0xf1ff
	s_delay_alu instid0(VALU_DEP_1) | instskip(SKIP_2) | instid1(VALU_DEP_1)
	v_cndmask_b32_e64 v12, 0, v12, s0
	v_cmp_nlt_f32_e64 s0, 0x42b17218, v11
	s_wait_alu 0xf1ff
	v_cndmask_b32_e64 v13, 0x7f800000, v12, s0
	s_delay_alu instid0(VALU_DEP_1) | instskip(NEXT) | instid1(VALU_DEP_1)
	v_add_f32_e32 v15, 1.0, v13
	v_cvt_f64_f32_e32 v[11:12], v15
	s_delay_alu instid0(VALU_DEP_1) | instskip(SKIP_1) | instid1(VALU_DEP_1)
	v_frexp_exp_i32_f64_e32 v11, v[11:12]
	v_frexp_mant_f32_e32 v12, v15
	v_cmp_gt_f32_e64 s0, 0x3f2aaaab, v12
	v_add_f32_e32 v12, -1.0, v15
	s_delay_alu instid0(VALU_DEP_1) | instskip(NEXT) | instid1(VALU_DEP_1)
	v_sub_f32_e32 v26, v12, v15
	v_add_f32_e32 v26, 1.0, v26
	s_wait_alu 0xf1ff
	v_subrev_co_ci_u32_e64 v11, null, 0, v11, s0
	s_mov_b32 s0, 0x3e9b6dac
	v_sub_nc_u32_e32 v25, 0, v11
	v_cvt_f32_i32_e32 v11, v11
	s_delay_alu instid0(VALU_DEP_2) | instskip(NEXT) | instid1(VALU_DEP_1)
	v_ldexp_f32 v15, v15, v25
	v_dual_sub_f32 v12, v13, v12 :: v_dual_add_f32 v27, 1.0, v15
	s_delay_alu instid0(VALU_DEP_1) | instskip(NEXT) | instid1(VALU_DEP_1)
	v_add_f32_e32 v12, v12, v26
	v_ldexp_f32 v12, v12, v25
	v_add_f32_e32 v25, -1.0, v15
	s_delay_alu instid0(VALU_DEP_4) | instskip(NEXT) | instid1(VALU_DEP_2)
	v_add_f32_e32 v26, -1.0, v27
	v_add_f32_e32 v28, 1.0, v25
	s_delay_alu instid0(VALU_DEP_2) | instskip(NEXT) | instid1(VALU_DEP_1)
	v_sub_f32_e32 v26, v15, v26
	v_dual_sub_f32 v15, v15, v28 :: v_dual_add_f32 v26, v12, v26
	s_delay_alu instid0(VALU_DEP_1) | instskip(NEXT) | instid1(VALU_DEP_2)
	v_add_f32_e32 v12, v12, v15
	v_add_f32_e32 v28, v27, v26
	s_delay_alu instid0(VALU_DEP_2) | instskip(NEXT) | instid1(VALU_DEP_2)
	v_add_f32_e32 v30, v25, v12
	v_rcp_f32_e32 v15, v28
	v_sub_f32_e32 v27, v27, v28
	s_delay_alu instid0(VALU_DEP_1)
	v_dual_sub_f32 v25, v25, v30 :: v_dual_add_f32 v26, v26, v27
	s_delay_alu instid0(TRANS32_DEP_1) | instid1(VALU_DEP_1)
	v_dual_add_f32 v12, v12, v25 :: v_dual_mul_f32 v31, v30, v15
	s_delay_alu instid0(VALU_DEP_1) | instskip(NEXT) | instid1(VALU_DEP_1)
	v_mul_f32_e32 v32, v28, v31
	v_fma_f32 v27, v31, v28, -v32
	s_delay_alu instid0(VALU_DEP_1) | instskip(NEXT) | instid1(VALU_DEP_1)
	v_fmac_f32_e32 v27, v31, v26
	v_add_f32_e32 v33, v32, v27
	s_delay_alu instid0(VALU_DEP_1) | instskip(NEXT) | instid1(VALU_DEP_1)
	v_dual_sub_f32 v34, v30, v33 :: v_dual_sub_f32 v25, v33, v32
	v_dual_sub_f32 v30, v30, v34 :: v_dual_sub_f32 v25, v25, v27
	s_delay_alu instid0(VALU_DEP_1) | instskip(NEXT) | instid1(VALU_DEP_1)
	v_sub_f32_e32 v30, v30, v33
	v_add_f32_e32 v12, v12, v30
	s_delay_alu instid0(VALU_DEP_1) | instskip(NEXT) | instid1(VALU_DEP_1)
	v_add_f32_e32 v12, v25, v12
	v_add_f32_e32 v25, v34, v12
	s_delay_alu instid0(VALU_DEP_1) | instskip(NEXT) | instid1(VALU_DEP_1)
	v_mul_f32_e32 v27, v15, v25
	v_dual_sub_f32 v33, v34, v25 :: v_dual_mul_f32 v30, v28, v27
	s_delay_alu instid0(VALU_DEP_1) | instskip(NEXT) | instid1(VALU_DEP_2)
	v_add_f32_e32 v12, v12, v33
	v_fma_f32 v28, v27, v28, -v30
	s_delay_alu instid0(VALU_DEP_1) | instskip(NEXT) | instid1(VALU_DEP_1)
	v_fmac_f32_e32 v28, v27, v26
	v_add_f32_e32 v26, v30, v28
	s_delay_alu instid0(VALU_DEP_1) | instskip(NEXT) | instid1(VALU_DEP_1)
	v_sub_f32_e32 v32, v25, v26
	v_dual_sub_f32 v30, v26, v30 :: v_dual_sub_f32 v25, v25, v32
	s_delay_alu instid0(VALU_DEP_1) | instskip(NEXT) | instid1(VALU_DEP_1)
	v_dual_sub_f32 v25, v25, v26 :: v_dual_sub_f32 v26, v30, v28
	v_dual_add_f32 v12, v12, v25 :: v_dual_add_f32 v25, v31, v27
	s_delay_alu instid0(VALU_DEP_1) | instskip(NEXT) | instid1(VALU_DEP_2)
	v_add_f32_e32 v12, v26, v12
	v_sub_f32_e32 v26, v25, v31
	s_delay_alu instid0(VALU_DEP_2) | instskip(NEXT) | instid1(VALU_DEP_2)
	v_add_f32_e32 v12, v32, v12
	v_sub_f32_e32 v26, v27, v26
	s_delay_alu instid0(VALU_DEP_2) | instskip(NEXT) | instid1(VALU_DEP_1)
	v_mul_f32_e32 v12, v15, v12
	v_add_f32_e32 v12, v26, v12
	s_delay_alu instid0(VALU_DEP_1) | instskip(NEXT) | instid1(VALU_DEP_1)
	v_add_f32_e32 v15, v25, v12
	v_mul_f32_e32 v26, v15, v15
	s_wait_alu 0xfffe
	s_delay_alu instid0(VALU_DEP_1) | instskip(SKIP_2) | instid1(VALU_DEP_3)
	v_fmaak_f32 v27, s0, v26, 0x3ecc95a3
	v_mul_f32_e32 v28, v15, v26
	v_cmp_neq_f32_e64 s0, 0x7f800000, v13
	v_fmaak_f32 v26, v26, v27, 0x3f2aaada
	v_ldexp_f32 v27, v15, 1
	s_delay_alu instid0(VALU_DEP_2) | instskip(SKIP_1) | instid1(VALU_DEP_2)
	v_dual_sub_f32 v15, v15, v25 :: v_dual_mul_f32 v26, v28, v26
	v_mul_f32_e32 v28, 0x3f317218, v11
	v_dual_sub_f32 v12, v12, v15 :: v_dual_add_f32 v25, v27, v26
	s_delay_alu instid0(VALU_DEP_1) | instskip(NEXT) | instid1(VALU_DEP_2)
	v_ldexp_f32 v12, v12, 1
	v_sub_f32_e32 v15, v25, v27
	s_delay_alu instid0(VALU_DEP_4) | instskip(NEXT) | instid1(VALU_DEP_2)
	v_fma_f32 v27, 0x3f317218, v11, -v28
	v_sub_f32_e32 v15, v26, v15
	s_delay_alu instid0(VALU_DEP_1) | instskip(NEXT) | instid1(VALU_DEP_1)
	v_dual_fmamk_f32 v11, v11, 0xb102e308, v27 :: v_dual_add_f32 v12, v12, v15
	v_dual_add_f32 v15, v28, v11 :: v_dual_add_f32 v26, v25, v12
	s_delay_alu instid0(VALU_DEP_1) | instskip(NEXT) | instid1(VALU_DEP_2)
	v_sub_f32_e32 v28, v15, v28
	v_add_f32_e32 v27, v15, v26
	v_sub_f32_e32 v25, v26, v25
	s_delay_alu instid0(VALU_DEP_3) | instskip(NEXT) | instid1(VALU_DEP_3)
	v_sub_f32_e32 v11, v11, v28
	v_sub_f32_e32 v30, v27, v15
	s_delay_alu instid0(VALU_DEP_1) | instskip(NEXT) | instid1(VALU_DEP_1)
	v_dual_sub_f32 v12, v12, v25 :: v_dual_sub_f32 v31, v27, v30
	v_dual_sub_f32 v25, v26, v30 :: v_dual_add_f32 v26, v11, v12
	s_delay_alu instid0(VALU_DEP_2) | instskip(NEXT) | instid1(VALU_DEP_1)
	v_sub_f32_e32 v15, v15, v31
	v_add_f32_e32 v15, v25, v15
	s_delay_alu instid0(VALU_DEP_3) | instskip(NEXT) | instid1(VALU_DEP_2)
	v_sub_f32_e32 v25, v26, v11
	v_add_f32_e32 v15, v26, v15
	s_delay_alu instid0(VALU_DEP_2) | instskip(SKIP_1) | instid1(VALU_DEP_3)
	v_sub_f32_e32 v26, v26, v25
	v_sub_f32_e32 v12, v12, v25
	v_add_f32_e32 v28, v27, v15
	s_delay_alu instid0(VALU_DEP_3) | instskip(NEXT) | instid1(VALU_DEP_2)
	v_sub_f32_e32 v11, v11, v26
	v_sub_f32_e32 v25, v28, v27
	s_delay_alu instid0(VALU_DEP_1) | instskip(NEXT) | instid1(VALU_DEP_1)
	v_dual_add_f32 v11, v12, v11 :: v_dual_sub_f32 v12, v15, v25
	v_add_f32_e32 v11, v11, v12
	s_delay_alu instid0(VALU_DEP_1) | instskip(SKIP_1) | instid1(VALU_DEP_1)
	v_add_f32_e32 v11, v28, v11
	s_wait_alu 0xf1ff
	v_cndmask_b32_e64 v11, 0x7f800000, v11, s0
	v_cmp_gt_f32_e64 s0, 0x33800000, |v13|
	s_wait_alu 0xf1ff
	s_delay_alu instid0(VALU_DEP_1) | instskip(NEXT) | instid1(VALU_DEP_1)
	v_cndmask_b32_e64 v11, v11, v13, s0
	v_add_f32_e32 v11, v10, v11
.LBB517_110:
	s_wait_alu 0xfffe
	s_or_b32 exec_lo, exec_lo, s1
	s_delay_alu instid0(VALU_DEP_1) | instskip(SKIP_1) | instid1(VALU_DEP_2)
	v_bfe_u32 v10, v11, 16, 1
	v_cmp_o_f32_e64 s0, v11, v11
	v_add3_u32 v10, v11, v10, 0x7fff
	s_delay_alu instid0(VALU_DEP_1) | instskip(SKIP_1) | instid1(VALU_DEP_1)
	v_lshrrev_b32_e32 v10, 16, v10
	s_wait_alu 0xf1ff
	v_cndmask_b32_e64 v10, 0x7fc0, v10, s0
	s_delay_alu instid0(VALU_DEP_1) | instskip(NEXT) | instid1(VALU_DEP_1)
	v_lshlrev_b32_e32 v11, 16, v10
	v_max_num_f32_e32 v12, v11, v11
	s_delay_alu instid0(VALU_DEP_1) | instskip(SKIP_3) | instid1(VALU_DEP_1)
	v_min_num_f32_e32 v13, v12, v16
	v_max_num_f32_e32 v12, v12, v16
	v_cmp_u_f32_e64 s0, v11, v11
	s_wait_alu 0xf1ff
	v_cndmask_b32_e64 v13, v13, v11, s0
	s_delay_alu instid0(VALU_DEP_3) | instskip(NEXT) | instid1(VALU_DEP_2)
	v_cndmask_b32_e64 v15, v12, v11, s0
	v_cndmask_b32_e64 v12, v13, v3, s17
	s_delay_alu instid0(VALU_DEP_2) | instskip(NEXT) | instid1(VALU_DEP_2)
	v_cndmask_b32_e64 v3, v15, v3, s17
	v_cmp_class_f32_e64 s1, v12, 0x1f8
	s_delay_alu instid0(VALU_DEP_2)
	v_cmp_neq_f32_e64 s0, v12, v3
	s_or_b32 s0, s0, s1
	s_wait_alu 0xfffe
	s_and_saveexec_b32 s1, s0
	s_cbranch_execz .LBB517_112
; %bb.111:
	v_sub_f32_e32 v11, v12, v3
	s_delay_alu instid0(VALU_DEP_1) | instskip(SKIP_1) | instid1(VALU_DEP_2)
	v_mul_f32_e32 v12, 0x3fb8aa3b, v11
	v_cmp_ngt_f32_e64 s0, 0xc2ce8ed0, v11
	v_fma_f32 v13, 0x3fb8aa3b, v11, -v12
	v_rndne_f32_e32 v15, v12
	s_delay_alu instid0(VALU_DEP_1) | instskip(NEXT) | instid1(VALU_DEP_1)
	v_dual_fmamk_f32 v13, v11, 0x32a5705f, v13 :: v_dual_sub_f32 v12, v12, v15
	v_add_f32_e32 v12, v12, v13
	v_cvt_i32_f32_e32 v13, v15
	s_delay_alu instid0(VALU_DEP_2) | instskip(NEXT) | instid1(TRANS32_DEP_1)
	v_exp_f32_e32 v12, v12
	v_ldexp_f32 v12, v12, v13
	s_wait_alu 0xf1ff
	s_delay_alu instid0(VALU_DEP_1) | instskip(SKIP_2) | instid1(VALU_DEP_1)
	v_cndmask_b32_e64 v12, 0, v12, s0
	v_cmp_nlt_f32_e64 s0, 0x42b17218, v11
	s_wait_alu 0xf1ff
	v_cndmask_b32_e64 v13, 0x7f800000, v12, s0
	s_delay_alu instid0(VALU_DEP_1) | instskip(NEXT) | instid1(VALU_DEP_1)
	v_add_f32_e32 v15, 1.0, v13
	v_cvt_f64_f32_e32 v[11:12], v15
	s_delay_alu instid0(VALU_DEP_1) | instskip(SKIP_1) | instid1(VALU_DEP_1)
	v_frexp_exp_i32_f64_e32 v11, v[11:12]
	v_frexp_mant_f32_e32 v12, v15
	v_cmp_gt_f32_e64 s0, 0x3f2aaaab, v12
	v_add_f32_e32 v12, -1.0, v15
	s_delay_alu instid0(VALU_DEP_1) | instskip(NEXT) | instid1(VALU_DEP_1)
	v_sub_f32_e32 v25, v12, v15
	v_dual_add_f32 v25, 1.0, v25 :: v_dual_sub_f32 v12, v13, v12
	s_delay_alu instid0(VALU_DEP_1)
	v_add_f32_e32 v12, v12, v25
	s_wait_alu 0xf1ff
	v_subrev_co_ci_u32_e64 v11, null, 0, v11, s0
	s_mov_b32 s0, 0x3e9b6dac
	v_sub_nc_u32_e32 v16, 0, v11
	v_cvt_f32_i32_e32 v11, v11
	s_delay_alu instid0(VALU_DEP_2) | instskip(SKIP_1) | instid1(VALU_DEP_2)
	v_ldexp_f32 v15, v15, v16
	v_ldexp_f32 v12, v12, v16
	v_add_f32_e32 v26, 1.0, v15
	s_delay_alu instid0(VALU_DEP_1) | instskip(NEXT) | instid1(VALU_DEP_1)
	v_add_f32_e32 v25, -1.0, v26
	v_dual_sub_f32 v25, v15, v25 :: v_dual_add_f32 v16, -1.0, v15
	s_delay_alu instid0(VALU_DEP_1) | instskip(NEXT) | instid1(VALU_DEP_2)
	v_add_f32_e32 v25, v12, v25
	v_add_f32_e32 v27, 1.0, v16
	s_delay_alu instid0(VALU_DEP_1) | instskip(NEXT) | instid1(VALU_DEP_1)
	v_sub_f32_e32 v15, v15, v27
	v_dual_add_f32 v27, v26, v25 :: v_dual_add_f32 v12, v12, v15
	s_delay_alu instid0(VALU_DEP_1) | instskip(SKIP_1) | instid1(VALU_DEP_1)
	v_rcp_f32_e32 v15, v27
	v_sub_f32_e32 v26, v26, v27
	v_dual_add_f32 v28, v16, v12 :: v_dual_add_f32 v25, v25, v26
	s_delay_alu instid0(VALU_DEP_1) | instskip(NEXT) | instid1(TRANS32_DEP_1)
	v_sub_f32_e32 v16, v16, v28
	v_mul_f32_e32 v30, v28, v15
	s_delay_alu instid0(VALU_DEP_1) | instskip(NEXT) | instid1(VALU_DEP_1)
	v_dual_add_f32 v12, v12, v16 :: v_dual_mul_f32 v31, v27, v30
	v_fma_f32 v26, v30, v27, -v31
	s_delay_alu instid0(VALU_DEP_1) | instskip(NEXT) | instid1(VALU_DEP_1)
	v_fmac_f32_e32 v26, v30, v25
	v_add_f32_e32 v32, v31, v26
	s_delay_alu instid0(VALU_DEP_1) | instskip(SKIP_1) | instid1(VALU_DEP_2)
	v_sub_f32_e32 v33, v28, v32
	v_sub_f32_e32 v16, v32, v31
	v_sub_f32_e32 v28, v28, v33
	s_delay_alu instid0(VALU_DEP_2) | instskip(NEXT) | instid1(VALU_DEP_2)
	v_sub_f32_e32 v16, v16, v26
	v_sub_f32_e32 v28, v28, v32
	s_delay_alu instid0(VALU_DEP_1) | instskip(NEXT) | instid1(VALU_DEP_1)
	v_add_f32_e32 v12, v12, v28
	v_add_f32_e32 v12, v16, v12
	s_delay_alu instid0(VALU_DEP_1) | instskip(NEXT) | instid1(VALU_DEP_1)
	v_add_f32_e32 v16, v33, v12
	v_mul_f32_e32 v26, v15, v16
	s_delay_alu instid0(VALU_DEP_1) | instskip(NEXT) | instid1(VALU_DEP_1)
	v_mul_f32_e32 v28, v27, v26
	v_fma_f32 v27, v26, v27, -v28
	s_delay_alu instid0(VALU_DEP_1) | instskip(NEXT) | instid1(VALU_DEP_1)
	v_fmac_f32_e32 v27, v26, v25
	v_add_f32_e32 v25, v28, v27
	s_delay_alu instid0(VALU_DEP_1) | instskip(SKIP_1) | instid1(VALU_DEP_2)
	v_dual_sub_f32 v31, v16, v25 :: v_dual_sub_f32 v28, v25, v28
	v_sub_f32_e32 v32, v33, v16
	v_sub_f32_e32 v16, v16, v31
	s_delay_alu instid0(VALU_DEP_1) | instskip(NEXT) | instid1(VALU_DEP_4)
	v_sub_f32_e32 v16, v16, v25
	v_sub_f32_e32 v25, v28, v27
	s_delay_alu instid0(VALU_DEP_4) | instskip(NEXT) | instid1(VALU_DEP_1)
	v_add_f32_e32 v12, v12, v32
	v_add_f32_e32 v12, v12, v16
	v_add_f32_e32 v16, v30, v26
	s_delay_alu instid0(VALU_DEP_1) | instskip(NEXT) | instid1(VALU_DEP_1)
	v_dual_add_f32 v12, v25, v12 :: v_dual_sub_f32 v25, v16, v30
	v_dual_add_f32 v12, v31, v12 :: v_dual_sub_f32 v25, v26, v25
	s_delay_alu instid0(VALU_DEP_1) | instskip(NEXT) | instid1(VALU_DEP_1)
	v_mul_f32_e32 v12, v15, v12
	v_add_f32_e32 v12, v25, v12
	s_delay_alu instid0(VALU_DEP_1) | instskip(NEXT) | instid1(VALU_DEP_1)
	v_add_f32_e32 v15, v16, v12
	v_mul_f32_e32 v25, v15, v15
	s_wait_alu 0xfffe
	s_delay_alu instid0(VALU_DEP_1) | instskip(SKIP_2) | instid1(VALU_DEP_3)
	v_fmaak_f32 v26, s0, v25, 0x3ecc95a3
	v_mul_f32_e32 v27, v15, v25
	v_cmp_neq_f32_e64 s0, 0x7f800000, v13
	v_fmaak_f32 v25, v25, v26, 0x3f2aaada
	v_ldexp_f32 v26, v15, 1
	v_sub_f32_e32 v15, v15, v16
	s_delay_alu instid0(VALU_DEP_3) | instskip(SKIP_1) | instid1(VALU_DEP_3)
	v_mul_f32_e32 v25, v27, v25
	v_mul_f32_e32 v27, 0x3f317218, v11
	v_sub_f32_e32 v12, v12, v15
	s_delay_alu instid0(VALU_DEP_3) | instskip(NEXT) | instid1(VALU_DEP_2)
	v_add_f32_e32 v16, v26, v25
	v_ldexp_f32 v12, v12, 1
	s_delay_alu instid0(VALU_DEP_2) | instskip(SKIP_1) | instid1(VALU_DEP_2)
	v_sub_f32_e32 v15, v16, v26
	v_fma_f32 v26, 0x3f317218, v11, -v27
	v_sub_f32_e32 v15, v25, v15
	s_delay_alu instid0(VALU_DEP_1) | instskip(NEXT) | instid1(VALU_DEP_1)
	v_dual_fmamk_f32 v11, v11, 0xb102e308, v26 :: v_dual_add_f32 v12, v12, v15
	v_add_f32_e32 v15, v27, v11
	s_delay_alu instid0(VALU_DEP_2) | instskip(NEXT) | instid1(VALU_DEP_2)
	v_add_f32_e32 v25, v16, v12
	v_sub_f32_e32 v27, v15, v27
	s_delay_alu instid0(VALU_DEP_2) | instskip(NEXT) | instid1(VALU_DEP_2)
	v_add_f32_e32 v26, v15, v25
	v_sub_f32_e32 v11, v11, v27
	s_delay_alu instid0(VALU_DEP_2) | instskip(SKIP_1) | instid1(VALU_DEP_2)
	v_sub_f32_e32 v28, v26, v15
	v_sub_f32_e32 v16, v25, v16
	;; [unrolled: 1-line block ×3, first 2 shown]
	s_delay_alu instid0(VALU_DEP_2) | instskip(NEXT) | instid1(VALU_DEP_2)
	v_sub_f32_e32 v12, v12, v16
	v_dual_sub_f32 v16, v25, v28 :: v_dual_sub_f32 v15, v15, v30
	s_delay_alu instid0(VALU_DEP_2) | instskip(NEXT) | instid1(VALU_DEP_2)
	v_add_f32_e32 v25, v11, v12
	v_add_f32_e32 v15, v16, v15
	s_delay_alu instid0(VALU_DEP_2) | instskip(NEXT) | instid1(VALU_DEP_2)
	v_sub_f32_e32 v16, v25, v11
	v_add_f32_e32 v15, v25, v15
	s_delay_alu instid0(VALU_DEP_2) | instskip(NEXT) | instid1(VALU_DEP_2)
	v_sub_f32_e32 v25, v25, v16
	v_dual_sub_f32 v12, v12, v16 :: v_dual_add_f32 v27, v26, v15
	s_delay_alu instid0(VALU_DEP_2) | instskip(NEXT) | instid1(VALU_DEP_1)
	v_sub_f32_e32 v11, v11, v25
	v_dual_sub_f32 v16, v27, v26 :: v_dual_add_f32 v11, v12, v11
	s_delay_alu instid0(VALU_DEP_1) | instskip(NEXT) | instid1(VALU_DEP_1)
	v_sub_f32_e32 v12, v15, v16
	v_add_f32_e32 v11, v11, v12
	s_delay_alu instid0(VALU_DEP_1) | instskip(SKIP_1) | instid1(VALU_DEP_1)
	v_add_f32_e32 v11, v27, v11
	s_wait_alu 0xf1ff
	v_cndmask_b32_e64 v11, 0x7f800000, v11, s0
	v_cmp_gt_f32_e64 s0, 0x33800000, |v13|
	s_wait_alu 0xf1ff
	s_delay_alu instid0(VALU_DEP_1) | instskip(NEXT) | instid1(VALU_DEP_1)
	v_cndmask_b32_e64 v11, v11, v13, s0
	v_add_f32_e32 v11, v3, v11
.LBB517_112:
	s_wait_alu 0xfffe
	s_or_b32 exec_lo, exec_lo, s1
	s_delay_alu instid0(VALU_DEP_1) | instskip(SKIP_1) | instid1(VALU_DEP_2)
	v_bfe_u32 v3, v11, 16, 1
	v_cmp_o_f32_e64 s0, v11, v11
	v_add3_u32 v3, v11, v3, 0x7fff
	s_delay_alu instid0(VALU_DEP_1) | instskip(SKIP_1) | instid1(VALU_DEP_1)
	v_lshrrev_b32_e32 v3, 16, v3
	s_wait_alu 0xf1ff
	v_cndmask_b32_e64 v3, 0x7fc0, v3, s0
	s_delay_alu instid0(VALU_DEP_1) | instskip(NEXT) | instid1(VALU_DEP_1)
	v_lshlrev_b32_e32 v12, 16, v3
	v_max_num_f32_e32 v11, v12, v12
	s_delay_alu instid0(VALU_DEP_1) | instskip(SKIP_3) | instid1(VALU_DEP_1)
	v_min_num_f32_e32 v13, v11, v18
	v_max_num_f32_e32 v11, v11, v18
	v_cmp_u_f32_e64 s0, v12, v12
	s_wait_alu 0xf1ff
	v_cndmask_b32_e64 v13, v13, v12, s0
	s_delay_alu instid0(VALU_DEP_3) | instskip(NEXT) | instid1(VALU_DEP_2)
	v_cndmask_b32_e64 v11, v11, v12, s0
	v_cndmask_b32_e64 v13, v13, v14, s18
	s_delay_alu instid0(VALU_DEP_2) | instskip(NEXT) | instid1(VALU_DEP_2)
	v_cndmask_b32_e64 v11, v11, v14, s18
	v_cmp_class_f32_e64 s1, v13, 0x1f8
	s_delay_alu instid0(VALU_DEP_2)
	v_cmp_neq_f32_e64 s0, v13, v11
	s_or_b32 s0, s0, s1
	s_wait_alu 0xfffe
	s_and_saveexec_b32 s1, s0
	s_cbranch_execz .LBB517_114
; %bb.113:
	v_sub_f32_e32 v12, v13, v11
	s_delay_alu instid0(VALU_DEP_1) | instskip(SKIP_1) | instid1(VALU_DEP_2)
	v_mul_f32_e32 v13, 0x3fb8aa3b, v12
	v_cmp_ngt_f32_e64 s0, 0xc2ce8ed0, v12
	v_fma_f32 v14, 0x3fb8aa3b, v12, -v13
	v_rndne_f32_e32 v15, v13
	s_delay_alu instid0(VALU_DEP_1) | instskip(NEXT) | instid1(VALU_DEP_1)
	v_dual_fmamk_f32 v14, v12, 0x32a5705f, v14 :: v_dual_sub_f32 v13, v13, v15
	v_add_f32_e32 v13, v13, v14
	v_cvt_i32_f32_e32 v14, v15
	s_delay_alu instid0(VALU_DEP_2) | instskip(NEXT) | instid1(TRANS32_DEP_1)
	v_exp_f32_e32 v13, v13
	v_ldexp_f32 v13, v13, v14
	s_wait_alu 0xf1ff
	s_delay_alu instid0(VALU_DEP_1) | instskip(SKIP_2) | instid1(VALU_DEP_1)
	v_cndmask_b32_e64 v13, 0, v13, s0
	v_cmp_nlt_f32_e64 s0, 0x42b17218, v12
	s_wait_alu 0xf1ff
	v_cndmask_b32_e64 v14, 0x7f800000, v13, s0
	s_delay_alu instid0(VALU_DEP_1) | instskip(NEXT) | instid1(VALU_DEP_1)
	v_add_f32_e32 v15, 1.0, v14
	v_cvt_f64_f32_e32 v[12:13], v15
	s_delay_alu instid0(VALU_DEP_1) | instskip(SKIP_1) | instid1(VALU_DEP_1)
	v_frexp_exp_i32_f64_e32 v12, v[12:13]
	v_frexp_mant_f32_e32 v13, v15
	v_cmp_gt_f32_e64 s0, 0x3f2aaaab, v13
	v_add_f32_e32 v13, -1.0, v15
	s_delay_alu instid0(VALU_DEP_1) | instskip(NEXT) | instid1(VALU_DEP_1)
	v_dual_sub_f32 v18, v13, v15 :: v_dual_sub_f32 v13, v14, v13
	v_add_f32_e32 v18, 1.0, v18
	s_wait_alu 0xf1ff
	v_subrev_co_ci_u32_e64 v12, null, 0, v12, s0
	s_mov_b32 s0, 0x3e9b6dac
	v_sub_nc_u32_e32 v16, 0, v12
	v_cvt_f32_i32_e32 v12, v12
	s_delay_alu instid0(VALU_DEP_2) | instskip(SKIP_1) | instid1(VALU_DEP_1)
	v_ldexp_f32 v15, v15, v16
	v_add_f32_e32 v13, v13, v18
	v_ldexp_f32 v13, v13, v16
	s_delay_alu instid0(VALU_DEP_3) | instskip(NEXT) | instid1(VALU_DEP_1)
	v_add_f32_e32 v16, -1.0, v15
	v_dual_add_f32 v25, 1.0, v15 :: v_dual_add_f32 v26, 1.0, v16
	s_delay_alu instid0(VALU_DEP_1) | instskip(NEXT) | instid1(VALU_DEP_1)
	v_add_f32_e32 v18, -1.0, v25
	v_sub_f32_e32 v18, v15, v18
	s_delay_alu instid0(VALU_DEP_3) | instskip(NEXT) | instid1(VALU_DEP_2)
	v_sub_f32_e32 v15, v15, v26
	v_add_f32_e32 v18, v13, v18
	s_delay_alu instid0(VALU_DEP_2) | instskip(NEXT) | instid1(VALU_DEP_1)
	v_add_f32_e32 v13, v13, v15
	v_dual_add_f32 v27, v16, v13 :: v_dual_add_f32 v26, v25, v18
	s_delay_alu instid0(VALU_DEP_1) | instskip(SKIP_1) | instid1(VALU_DEP_1)
	v_rcp_f32_e32 v15, v26
	v_sub_f32_e32 v25, v25, v26
	v_add_f32_e32 v18, v18, v25
	s_delay_alu instid0(TRANS32_DEP_1) | instskip(NEXT) | instid1(VALU_DEP_1)
	v_mul_f32_e32 v28, v27, v15
	v_mul_f32_e32 v30, v26, v28
	s_delay_alu instid0(VALU_DEP_1) | instskip(NEXT) | instid1(VALU_DEP_1)
	v_fma_f32 v25, v28, v26, -v30
	v_fmac_f32_e32 v25, v28, v18
	s_delay_alu instid0(VALU_DEP_1) | instskip(NEXT) | instid1(VALU_DEP_1)
	v_add_f32_e32 v31, v30, v25
	v_sub_f32_e32 v32, v27, v31
	s_delay_alu instid0(VALU_DEP_1) | instskip(NEXT) | instid1(VALU_DEP_1)
	v_dual_sub_f32 v16, v16, v27 :: v_dual_sub_f32 v27, v27, v32
	v_dual_add_f32 v13, v13, v16 :: v_dual_sub_f32 v16, v31, v30
	s_delay_alu instid0(VALU_DEP_1) | instskip(NEXT) | instid1(VALU_DEP_1)
	v_dual_sub_f32 v27, v27, v31 :: v_dual_sub_f32 v16, v16, v25
	v_add_f32_e32 v13, v13, v27
	s_delay_alu instid0(VALU_DEP_1) | instskip(NEXT) | instid1(VALU_DEP_1)
	v_add_f32_e32 v13, v16, v13
	v_add_f32_e32 v16, v32, v13
	s_delay_alu instid0(VALU_DEP_1) | instskip(NEXT) | instid1(VALU_DEP_1)
	v_mul_f32_e32 v25, v15, v16
	v_mul_f32_e32 v27, v26, v25
	s_delay_alu instid0(VALU_DEP_1) | instskip(NEXT) | instid1(VALU_DEP_1)
	v_fma_f32 v26, v25, v26, -v27
	v_dual_fmac_f32 v26, v25, v18 :: v_dual_sub_f32 v31, v32, v16
	s_delay_alu instid0(VALU_DEP_1) | instskip(NEXT) | instid1(VALU_DEP_1)
	v_dual_add_f32 v18, v27, v26 :: v_dual_add_f32 v13, v13, v31
	v_sub_f32_e32 v30, v16, v18
	s_delay_alu instid0(VALU_DEP_1) | instskip(NEXT) | instid1(VALU_DEP_1)
	v_dual_sub_f32 v16, v16, v30 :: v_dual_sub_f32 v27, v18, v27
	v_sub_f32_e32 v16, v16, v18
	s_delay_alu instid0(VALU_DEP_1) | instskip(SKIP_1) | instid1(VALU_DEP_1)
	v_dual_sub_f32 v18, v27, v26 :: v_dual_add_f32 v13, v13, v16
	v_add_f32_e32 v16, v28, v25
	v_dual_add_f32 v13, v18, v13 :: v_dual_sub_f32 v18, v16, v28
	s_delay_alu instid0(VALU_DEP_1) | instskip(NEXT) | instid1(VALU_DEP_1)
	v_dual_add_f32 v13, v30, v13 :: v_dual_sub_f32 v18, v25, v18
	v_mul_f32_e32 v13, v15, v13
	s_delay_alu instid0(VALU_DEP_1) | instskip(NEXT) | instid1(VALU_DEP_1)
	v_add_f32_e32 v13, v18, v13
	v_add_f32_e32 v15, v16, v13
	s_delay_alu instid0(VALU_DEP_1) | instskip(SKIP_1) | instid1(VALU_DEP_1)
	v_mul_f32_e32 v18, v15, v15
	s_wait_alu 0xfffe
	v_fmaak_f32 v25, s0, v18, 0x3ecc95a3
	v_mul_f32_e32 v26, v15, v18
	v_cmp_neq_f32_e64 s0, 0x7f800000, v14
	s_delay_alu instid0(VALU_DEP_3) | instskip(SKIP_2) | instid1(VALU_DEP_1)
	v_fmaak_f32 v18, v18, v25, 0x3f2aaada
	v_ldexp_f32 v25, v15, 1
	v_sub_f32_e32 v15, v15, v16
	v_dual_sub_f32 v13, v13, v15 :: v_dual_mul_f32 v18, v26, v18
	s_delay_alu instid0(VALU_DEP_1) | instskip(NEXT) | instid1(VALU_DEP_2)
	v_ldexp_f32 v13, v13, 1
	v_add_f32_e32 v16, v25, v18
	s_delay_alu instid0(VALU_DEP_1) | instskip(NEXT) | instid1(VALU_DEP_1)
	v_dual_mul_f32 v26, 0x3f317218, v12 :: v_dual_sub_f32 v15, v16, v25
	v_fma_f32 v25, 0x3f317218, v12, -v26
	s_delay_alu instid0(VALU_DEP_1) | instskip(NEXT) | instid1(VALU_DEP_1)
	v_dual_sub_f32 v15, v18, v15 :: v_dual_fmamk_f32 v12, v12, 0xb102e308, v25
	v_add_f32_e32 v13, v13, v15
	s_delay_alu instid0(VALU_DEP_2) | instskip(NEXT) | instid1(VALU_DEP_1)
	v_add_f32_e32 v15, v26, v12
	v_sub_f32_e32 v26, v15, v26
	s_delay_alu instid0(VALU_DEP_3) | instskip(NEXT) | instid1(VALU_DEP_2)
	v_add_f32_e32 v18, v16, v13
	v_sub_f32_e32 v12, v12, v26
	s_delay_alu instid0(VALU_DEP_2) | instskip(NEXT) | instid1(VALU_DEP_1)
	v_dual_add_f32 v25, v15, v18 :: v_dual_sub_f32 v16, v18, v16
	v_sub_f32_e32 v27, v25, v15
	s_delay_alu instid0(VALU_DEP_1) | instskip(SKIP_1) | instid1(VALU_DEP_1)
	v_dual_sub_f32 v13, v13, v16 :: v_dual_sub_f32 v16, v18, v27
	v_sub_f32_e32 v28, v25, v27
	v_dual_add_f32 v18, v12, v13 :: v_dual_sub_f32 v15, v15, v28
	s_delay_alu instid0(VALU_DEP_1) | instskip(NEXT) | instid1(VALU_DEP_1)
	v_dual_add_f32 v15, v16, v15 :: v_dual_sub_f32 v16, v18, v12
	v_add_f32_e32 v15, v18, v15
	s_delay_alu instid0(VALU_DEP_2) | instskip(NEXT) | instid1(VALU_DEP_1)
	v_sub_f32_e32 v18, v18, v16
	v_sub_f32_e32 v12, v12, v18
	s_delay_alu instid0(VALU_DEP_3) | instskip(NEXT) | instid1(VALU_DEP_1)
	v_add_f32_e32 v26, v25, v15
	v_dual_sub_f32 v13, v13, v16 :: v_dual_sub_f32 v16, v26, v25
	s_delay_alu instid0(VALU_DEP_1) | instskip(NEXT) | instid1(VALU_DEP_2)
	v_add_f32_e32 v12, v13, v12
	v_sub_f32_e32 v13, v15, v16
	s_delay_alu instid0(VALU_DEP_1) | instskip(NEXT) | instid1(VALU_DEP_1)
	v_add_f32_e32 v12, v12, v13
	v_add_f32_e32 v12, v26, v12
	s_wait_alu 0xf1ff
	s_delay_alu instid0(VALU_DEP_1) | instskip(SKIP_2) | instid1(VALU_DEP_1)
	v_cndmask_b32_e64 v12, 0x7f800000, v12, s0
	v_cmp_gt_f32_e64 s0, 0x33800000, |v14|
	s_wait_alu 0xf1ff
	v_cndmask_b32_e64 v12, v12, v14, s0
	s_delay_alu instid0(VALU_DEP_1)
	v_add_f32_e32 v12, v11, v12
.LBB517_114:
	s_wait_alu 0xfffe
	s_or_b32 exec_lo, exec_lo, s1
	s_delay_alu instid0(VALU_DEP_1) | instskip(SKIP_1) | instid1(VALU_DEP_2)
	v_bfe_u32 v11, v12, 16, 1
	v_cmp_o_f32_e64 s0, v12, v12
	v_add3_u32 v11, v12, v11, 0x7fff
	s_delay_alu instid0(VALU_DEP_1) | instskip(SKIP_1) | instid1(VALU_DEP_1)
	v_lshrrev_b32_e32 v11, 16, v11
	s_wait_alu 0xf1ff
	v_cndmask_b32_e64 v11, 0x7fc0, v11, s0
	s_delay_alu instid0(VALU_DEP_1) | instskip(NEXT) | instid1(VALU_DEP_1)
	v_lshlrev_b32_e32 v12, 16, v11
	v_max_num_f32_e32 v13, v12, v12
	v_cmp_u_f32_e64 s0, v12, v12
	s_delay_alu instid0(VALU_DEP_2) | instskip(SKIP_2) | instid1(VALU_DEP_2)
	v_min_num_f32_e32 v14, v13, v19
	v_max_num_f32_e32 v13, v13, v19
	s_wait_alu 0xf1ff
	v_cndmask_b32_e64 v14, v14, v12, s0
	s_delay_alu instid0(VALU_DEP_2) | instskip(NEXT) | instid1(VALU_DEP_2)
	v_cndmask_b32_e64 v15, v13, v12, s0
	v_cndmask_b32_e64 v13, v14, v4, s19
	s_delay_alu instid0(VALU_DEP_2) | instskip(NEXT) | instid1(VALU_DEP_2)
	v_cndmask_b32_e64 v4, v15, v4, s19
	v_cmp_class_f32_e64 s1, v13, 0x1f8
	s_delay_alu instid0(VALU_DEP_2)
	v_cmp_neq_f32_e64 s0, v13, v4
	s_or_b32 s0, s0, s1
	s_wait_alu 0xfffe
	s_and_saveexec_b32 s1, s0
	s_cbranch_execz .LBB517_116
; %bb.115:
	v_sub_f32_e32 v12, v13, v4
	s_delay_alu instid0(VALU_DEP_1) | instskip(SKIP_1) | instid1(VALU_DEP_2)
	v_mul_f32_e32 v13, 0x3fb8aa3b, v12
	v_cmp_ngt_f32_e64 s0, 0xc2ce8ed0, v12
	v_fma_f32 v14, 0x3fb8aa3b, v12, -v13
	v_rndne_f32_e32 v15, v13
	s_delay_alu instid0(VALU_DEP_1) | instskip(NEXT) | instid1(VALU_DEP_1)
	v_dual_fmamk_f32 v14, v12, 0x32a5705f, v14 :: v_dual_sub_f32 v13, v13, v15
	v_add_f32_e32 v13, v13, v14
	v_cvt_i32_f32_e32 v14, v15
	s_delay_alu instid0(VALU_DEP_2) | instskip(NEXT) | instid1(TRANS32_DEP_1)
	v_exp_f32_e32 v13, v13
	v_ldexp_f32 v13, v13, v14
	s_wait_alu 0xf1ff
	s_delay_alu instid0(VALU_DEP_1) | instskip(SKIP_2) | instid1(VALU_DEP_1)
	v_cndmask_b32_e64 v13, 0, v13, s0
	v_cmp_nlt_f32_e64 s0, 0x42b17218, v12
	s_wait_alu 0xf1ff
	v_cndmask_b32_e64 v14, 0x7f800000, v13, s0
	s_delay_alu instid0(VALU_DEP_1) | instskip(NEXT) | instid1(VALU_DEP_1)
	v_add_f32_e32 v15, 1.0, v14
	v_cvt_f64_f32_e32 v[12:13], v15
	s_delay_alu instid0(VALU_DEP_1) | instskip(SKIP_1) | instid1(VALU_DEP_1)
	v_frexp_exp_i32_f64_e32 v12, v[12:13]
	v_frexp_mant_f32_e32 v13, v15
	v_cmp_gt_f32_e64 s0, 0x3f2aaaab, v13
	v_add_f32_e32 v13, -1.0, v15
	s_delay_alu instid0(VALU_DEP_1) | instskip(NEXT) | instid1(VALU_DEP_1)
	v_dual_sub_f32 v18, v13, v15 :: v_dual_sub_f32 v13, v14, v13
	v_add_f32_e32 v18, 1.0, v18
	s_wait_alu 0xf1ff
	v_subrev_co_ci_u32_e64 v12, null, 0, v12, s0
	s_mov_b32 s0, 0x3e9b6dac
	v_sub_nc_u32_e32 v16, 0, v12
	v_cvt_f32_i32_e32 v12, v12
	s_delay_alu instid0(VALU_DEP_2) | instskip(SKIP_1) | instid1(VALU_DEP_1)
	v_ldexp_f32 v15, v15, v16
	v_add_f32_e32 v13, v13, v18
	v_ldexp_f32 v13, v13, v16
	s_delay_alu instid0(VALU_DEP_3) | instskip(SKIP_1) | instid1(VALU_DEP_1)
	v_add_f32_e32 v19, 1.0, v15
	v_add_f32_e32 v16, -1.0, v15
	v_dual_add_f32 v18, -1.0, v19 :: v_dual_add_f32 v25, 1.0, v16
	s_delay_alu instid0(VALU_DEP_1) | instskip(NEXT) | instid1(VALU_DEP_1)
	v_sub_f32_e32 v18, v15, v18
	v_dual_sub_f32 v15, v15, v25 :: v_dual_add_f32 v18, v13, v18
	s_delay_alu instid0(VALU_DEP_1) | instskip(NEXT) | instid1(VALU_DEP_1)
	v_add_f32_e32 v13, v13, v15
	v_dual_add_f32 v25, v19, v18 :: v_dual_add_f32 v26, v16, v13
	s_delay_alu instid0(VALU_DEP_1) | instskip(NEXT) | instid1(VALU_DEP_1)
	v_dual_sub_f32 v19, v19, v25 :: v_dual_sub_f32 v16, v16, v26
	v_add_f32_e32 v18, v18, v19
	v_rcp_f32_e32 v15, v25
	s_delay_alu instid0(VALU_DEP_2) | instskip(NEXT) | instid1(TRANS32_DEP_1)
	v_add_f32_e32 v13, v13, v16
	v_mul_f32_e32 v27, v26, v15
	s_delay_alu instid0(VALU_DEP_1) | instskip(NEXT) | instid1(VALU_DEP_1)
	v_mul_f32_e32 v28, v25, v27
	v_fma_f32 v19, v27, v25, -v28
	s_delay_alu instid0(VALU_DEP_1) | instskip(NEXT) | instid1(VALU_DEP_1)
	v_fmac_f32_e32 v19, v27, v18
	v_add_f32_e32 v30, v28, v19
	s_delay_alu instid0(VALU_DEP_1) | instskip(NEXT) | instid1(VALU_DEP_1)
	v_sub_f32_e32 v16, v30, v28
	v_dual_sub_f32 v31, v26, v30 :: v_dual_sub_f32 v16, v16, v19
	s_delay_alu instid0(VALU_DEP_1) | instskip(NEXT) | instid1(VALU_DEP_1)
	v_sub_f32_e32 v26, v26, v31
	v_sub_f32_e32 v26, v26, v30
	s_delay_alu instid0(VALU_DEP_1) | instskip(NEXT) | instid1(VALU_DEP_1)
	v_add_f32_e32 v13, v13, v26
	v_add_f32_e32 v13, v16, v13
	s_delay_alu instid0(VALU_DEP_1) | instskip(NEXT) | instid1(VALU_DEP_1)
	v_add_f32_e32 v16, v31, v13
	v_mul_f32_e32 v19, v15, v16
	v_sub_f32_e32 v30, v31, v16
	s_delay_alu instid0(VALU_DEP_2) | instskip(NEXT) | instid1(VALU_DEP_2)
	v_mul_f32_e32 v26, v25, v19
	v_add_f32_e32 v13, v13, v30
	s_delay_alu instid0(VALU_DEP_2) | instskip(NEXT) | instid1(VALU_DEP_1)
	v_fma_f32 v25, v19, v25, -v26
	v_fmac_f32_e32 v25, v19, v18
	s_delay_alu instid0(VALU_DEP_1) | instskip(NEXT) | instid1(VALU_DEP_1)
	v_add_f32_e32 v18, v26, v25
	v_sub_f32_e32 v28, v16, v18
	s_delay_alu instid0(VALU_DEP_1) | instskip(NEXT) | instid1(VALU_DEP_1)
	v_sub_f32_e32 v16, v16, v28
	v_sub_f32_e32 v16, v16, v18
	s_delay_alu instid0(VALU_DEP_1) | instskip(SKIP_1) | instid1(VALU_DEP_2)
	v_dual_sub_f32 v26, v18, v26 :: v_dual_add_f32 v13, v13, v16
	v_add_f32_e32 v16, v27, v19
	v_sub_f32_e32 v18, v26, v25
	s_delay_alu instid0(VALU_DEP_1) | instskip(NEXT) | instid1(VALU_DEP_1)
	v_add_f32_e32 v13, v18, v13
	v_add_f32_e32 v13, v28, v13
	s_delay_alu instid0(VALU_DEP_1) | instskip(NEXT) | instid1(VALU_DEP_1)
	v_dual_sub_f32 v18, v16, v27 :: v_dual_mul_f32 v13, v15, v13
	v_sub_f32_e32 v18, v19, v18
	s_delay_alu instid0(VALU_DEP_1) | instskip(NEXT) | instid1(VALU_DEP_1)
	v_add_f32_e32 v13, v18, v13
	v_add_f32_e32 v15, v16, v13
	s_delay_alu instid0(VALU_DEP_1) | instskip(SKIP_1) | instid1(VALU_DEP_1)
	v_mul_f32_e32 v18, v15, v15
	s_wait_alu 0xfffe
	v_fmaak_f32 v19, s0, v18, 0x3ecc95a3
	v_mul_f32_e32 v25, v15, v18
	v_cmp_neq_f32_e64 s0, 0x7f800000, v14
	s_delay_alu instid0(VALU_DEP_3) | instskip(SKIP_1) | instid1(VALU_DEP_2)
	v_fmaak_f32 v18, v18, v19, 0x3f2aaada
	v_ldexp_f32 v19, v15, 1
	v_dual_sub_f32 v15, v15, v16 :: v_dual_mul_f32 v18, v25, v18
	v_mul_f32_e32 v25, 0x3f317218, v12
	s_delay_alu instid0(VALU_DEP_2) | instskip(NEXT) | instid1(VALU_DEP_1)
	v_dual_sub_f32 v13, v13, v15 :: v_dual_add_f32 v16, v19, v18
	v_ldexp_f32 v13, v13, 1
	s_delay_alu instid0(VALU_DEP_2) | instskip(NEXT) | instid1(VALU_DEP_4)
	v_sub_f32_e32 v15, v16, v19
	v_fma_f32 v19, 0x3f317218, v12, -v25
	s_delay_alu instid0(VALU_DEP_1) | instskip(NEXT) | instid1(VALU_DEP_1)
	v_dual_sub_f32 v15, v18, v15 :: v_dual_fmamk_f32 v12, v12, 0xb102e308, v19
	v_add_f32_e32 v13, v13, v15
	s_delay_alu instid0(VALU_DEP_1) | instskip(NEXT) | instid1(VALU_DEP_1)
	v_dual_add_f32 v15, v25, v12 :: v_dual_add_f32 v18, v16, v13
	v_dual_sub_f32 v25, v15, v25 :: v_dual_sub_f32 v16, v18, v16
	s_delay_alu instid0(VALU_DEP_1) | instskip(SKIP_1) | instid1(VALU_DEP_1)
	v_dual_sub_f32 v12, v12, v25 :: v_dual_sub_f32 v13, v13, v16
	v_add_f32_e32 v19, v15, v18
	v_sub_f32_e32 v26, v19, v15
	s_delay_alu instid0(VALU_DEP_1) | instskip(NEXT) | instid1(VALU_DEP_4)
	v_sub_f32_e32 v16, v18, v26
	v_dual_add_f32 v18, v12, v13 :: v_dual_sub_f32 v27, v19, v26
	s_delay_alu instid0(VALU_DEP_1) | instskip(NEXT) | instid1(VALU_DEP_1)
	v_sub_f32_e32 v15, v15, v27
	v_dual_add_f32 v15, v16, v15 :: v_dual_sub_f32 v16, v18, v12
	s_delay_alu instid0(VALU_DEP_1) | instskip(NEXT) | instid1(VALU_DEP_1)
	v_add_f32_e32 v15, v18, v15
	v_dual_sub_f32 v18, v18, v16 :: v_dual_add_f32 v25, v19, v15
	s_delay_alu instid0(VALU_DEP_1) | instskip(NEXT) | instid1(VALU_DEP_2)
	v_dual_sub_f32 v12, v12, v18 :: v_dual_sub_f32 v13, v13, v16
	v_sub_f32_e32 v16, v25, v19
	s_delay_alu instid0(VALU_DEP_2) | instskip(NEXT) | instid1(VALU_DEP_2)
	v_add_f32_e32 v12, v13, v12
	v_sub_f32_e32 v13, v15, v16
	s_delay_alu instid0(VALU_DEP_1) | instskip(NEXT) | instid1(VALU_DEP_1)
	v_add_f32_e32 v12, v12, v13
	v_add_f32_e32 v12, v25, v12
	s_wait_alu 0xf1ff
	s_delay_alu instid0(VALU_DEP_1) | instskip(SKIP_2) | instid1(VALU_DEP_1)
	v_cndmask_b32_e64 v12, 0x7f800000, v12, s0
	v_cmp_gt_f32_e64 s0, 0x33800000, |v14|
	s_wait_alu 0xf1ff
	v_cndmask_b32_e64 v12, v12, v14, s0
	s_delay_alu instid0(VALU_DEP_1)
	v_add_f32_e32 v12, v4, v12
.LBB517_116:
	s_wait_alu 0xfffe
	s_or_b32 exec_lo, exec_lo, s1
	s_delay_alu instid0(VALU_DEP_1) | instskip(SKIP_1) | instid1(VALU_DEP_2)
	v_bfe_u32 v4, v12, 16, 1
	v_cmp_o_f32_e64 s0, v12, v12
	v_add3_u32 v4, v12, v4, 0x7fff
	s_delay_alu instid0(VALU_DEP_1) | instskip(SKIP_1) | instid1(VALU_DEP_1)
	v_lshrrev_b32_e32 v4, 16, v4
	s_wait_alu 0xf1ff
	v_cndmask_b32_e64 v4, 0x7fc0, v4, s0
	s_delay_alu instid0(VALU_DEP_1) | instskip(NEXT) | instid1(VALU_DEP_1)
	v_lshlrev_b32_e32 v13, 16, v4
	v_max_num_f32_e32 v12, v13, v13
	s_delay_alu instid0(VALU_DEP_1) | instskip(SKIP_3) | instid1(VALU_DEP_1)
	v_min_num_f32_e32 v14, v12, v21
	v_max_num_f32_e32 v12, v12, v21
	v_cmp_u_f32_e64 s0, v13, v13
	s_wait_alu 0xf1ff
	v_cndmask_b32_e64 v14, v14, v13, s0
	s_delay_alu instid0(VALU_DEP_3) | instskip(NEXT) | instid1(VALU_DEP_2)
	v_cndmask_b32_e64 v12, v12, v13, s0
	v_cndmask_b32_e64 v14, v14, v17, s20
	s_delay_alu instid0(VALU_DEP_2) | instskip(NEXT) | instid1(VALU_DEP_2)
	v_cndmask_b32_e64 v12, v12, v17, s20
	v_cmp_class_f32_e64 s1, v14, 0x1f8
	s_delay_alu instid0(VALU_DEP_2)
	v_cmp_neq_f32_e64 s0, v14, v12
	s_or_b32 s0, s0, s1
	s_wait_alu 0xfffe
	s_and_saveexec_b32 s1, s0
	s_cbranch_execz .LBB517_118
; %bb.117:
	v_sub_f32_e32 v13, v14, v12
	s_delay_alu instid0(VALU_DEP_1) | instskip(SKIP_1) | instid1(VALU_DEP_2)
	v_mul_f32_e32 v14, 0x3fb8aa3b, v13
	v_cmp_ngt_f32_e64 s0, 0xc2ce8ed0, v13
	v_fma_f32 v15, 0x3fb8aa3b, v13, -v14
	v_rndne_f32_e32 v16, v14
	s_delay_alu instid0(VALU_DEP_1) | instskip(NEXT) | instid1(VALU_DEP_1)
	v_dual_fmamk_f32 v15, v13, 0x32a5705f, v15 :: v_dual_sub_f32 v14, v14, v16
	v_add_f32_e32 v14, v14, v15
	v_cvt_i32_f32_e32 v15, v16
	s_delay_alu instid0(VALU_DEP_2) | instskip(NEXT) | instid1(TRANS32_DEP_1)
	v_exp_f32_e32 v14, v14
	v_ldexp_f32 v14, v14, v15
	s_wait_alu 0xf1ff
	s_delay_alu instid0(VALU_DEP_1) | instskip(SKIP_2) | instid1(VALU_DEP_1)
	v_cndmask_b32_e64 v14, 0, v14, s0
	v_cmp_nlt_f32_e64 s0, 0x42b17218, v13
	s_wait_alu 0xf1ff
	v_cndmask_b32_e64 v15, 0x7f800000, v14, s0
	s_delay_alu instid0(VALU_DEP_1) | instskip(NEXT) | instid1(VALU_DEP_1)
	v_add_f32_e32 v16, 1.0, v15
	v_cvt_f64_f32_e32 v[13:14], v16
	s_delay_alu instid0(VALU_DEP_1) | instskip(SKIP_1) | instid1(VALU_DEP_1)
	v_frexp_exp_i32_f64_e32 v13, v[13:14]
	v_frexp_mant_f32_e32 v14, v16
	v_cmp_gt_f32_e64 s0, 0x3f2aaaab, v14
	v_add_f32_e32 v14, -1.0, v16
	s_delay_alu instid0(VALU_DEP_1)
	v_sub_f32_e32 v18, v14, v16
	v_sub_f32_e32 v14, v15, v14
	s_wait_alu 0xf1ff
	v_subrev_co_ci_u32_e64 v13, null, 0, v13, s0
	s_mov_b32 s0, 0x3e9b6dac
	v_sub_nc_u32_e32 v17, 0, v13
	v_cvt_f32_i32_e32 v13, v13
	s_delay_alu instid0(VALU_DEP_2) | instskip(NEXT) | instid1(VALU_DEP_1)
	v_ldexp_f32 v16, v16, v17
	v_dual_add_f32 v19, 1.0, v16 :: v_dual_add_f32 v18, 1.0, v18
	s_delay_alu instid0(VALU_DEP_1) | instskip(NEXT) | instid1(VALU_DEP_2)
	v_add_f32_e32 v14, v14, v18
	v_add_f32_e32 v18, -1.0, v19
	s_delay_alu instid0(VALU_DEP_2) | instskip(NEXT) | instid1(VALU_DEP_2)
	v_ldexp_f32 v14, v14, v17
	v_dual_add_f32 v17, -1.0, v16 :: v_dual_sub_f32 v18, v16, v18
	s_delay_alu instid0(VALU_DEP_1) | instskip(NEXT) | instid1(VALU_DEP_1)
	v_dual_add_f32 v21, 1.0, v17 :: v_dual_add_f32 v18, v14, v18
	v_dual_sub_f32 v16, v16, v21 :: v_dual_add_f32 v21, v19, v18
	s_delay_alu instid0(VALU_DEP_1) | instskip(NEXT) | instid1(VALU_DEP_2)
	v_add_f32_e32 v14, v14, v16
	v_rcp_f32_e32 v16, v21
	v_sub_f32_e32 v19, v19, v21
	s_delay_alu instid0(VALU_DEP_1) | instskip(NEXT) | instid1(VALU_DEP_1)
	v_dual_add_f32 v25, v17, v14 :: v_dual_add_f32 v18, v18, v19
	v_sub_f32_e32 v17, v17, v25
	s_delay_alu instid0(TRANS32_DEP_1) | instskip(NEXT) | instid1(VALU_DEP_1)
	v_mul_f32_e32 v26, v25, v16
	v_mul_f32_e32 v27, v21, v26
	s_delay_alu instid0(VALU_DEP_1) | instskip(NEXT) | instid1(VALU_DEP_1)
	v_fma_f32 v19, v26, v21, -v27
	v_fmac_f32_e32 v19, v26, v18
	s_delay_alu instid0(VALU_DEP_1) | instskip(NEXT) | instid1(VALU_DEP_1)
	v_add_f32_e32 v28, v27, v19
	v_sub_f32_e32 v30, v25, v28
	s_delay_alu instid0(VALU_DEP_1) | instskip(SKIP_1) | instid1(VALU_DEP_2)
	v_dual_sub_f32 v25, v25, v30 :: v_dual_add_f32 v14, v14, v17
	v_sub_f32_e32 v17, v28, v27
	v_sub_f32_e32 v25, v25, v28
	s_delay_alu instid0(VALU_DEP_1) | instskip(NEXT) | instid1(VALU_DEP_1)
	v_dual_sub_f32 v17, v17, v19 :: v_dual_add_f32 v14, v14, v25
	v_add_f32_e32 v14, v17, v14
	s_delay_alu instid0(VALU_DEP_1) | instskip(NEXT) | instid1(VALU_DEP_1)
	v_add_f32_e32 v17, v30, v14
	v_mul_f32_e32 v19, v16, v17
	s_delay_alu instid0(VALU_DEP_1) | instskip(NEXT) | instid1(VALU_DEP_1)
	v_mul_f32_e32 v25, v21, v19
	v_fma_f32 v21, v19, v21, -v25
	s_delay_alu instid0(VALU_DEP_1) | instskip(NEXT) | instid1(VALU_DEP_1)
	v_fmac_f32_e32 v21, v19, v18
	v_add_f32_e32 v18, v25, v21
	s_delay_alu instid0(VALU_DEP_1) | instskip(SKIP_1) | instid1(VALU_DEP_2)
	v_dual_sub_f32 v27, v17, v18 :: v_dual_sub_f32 v28, v30, v17
	v_sub_f32_e32 v25, v18, v25
	v_dual_sub_f32 v17, v17, v27 :: v_dual_add_f32 v14, v14, v28
	s_delay_alu instid0(VALU_DEP_1) | instskip(NEXT) | instid1(VALU_DEP_3)
	v_sub_f32_e32 v17, v17, v18
	v_sub_f32_e32 v18, v25, v21
	s_delay_alu instid0(VALU_DEP_2) | instskip(SKIP_1) | instid1(VALU_DEP_2)
	v_add_f32_e32 v14, v14, v17
	v_add_f32_e32 v17, v26, v19
	;; [unrolled: 1-line block ×3, first 2 shown]
	s_delay_alu instid0(VALU_DEP_2) | instskip(NEXT) | instid1(VALU_DEP_2)
	v_sub_f32_e32 v18, v17, v26
	v_add_f32_e32 v14, v27, v14
	s_delay_alu instid0(VALU_DEP_2) | instskip(NEXT) | instid1(VALU_DEP_2)
	v_sub_f32_e32 v18, v19, v18
	v_mul_f32_e32 v14, v16, v14
	s_delay_alu instid0(VALU_DEP_1) | instskip(NEXT) | instid1(VALU_DEP_1)
	v_add_f32_e32 v14, v18, v14
	v_add_f32_e32 v16, v17, v14
	s_delay_alu instid0(VALU_DEP_1) | instskip(SKIP_1) | instid1(VALU_DEP_1)
	v_mul_f32_e32 v18, v16, v16
	s_wait_alu 0xfffe
	v_fmaak_f32 v19, s0, v18, 0x3ecc95a3
	v_mul_f32_e32 v21, v16, v18
	v_cmp_neq_f32_e64 s0, 0x7f800000, v15
	s_delay_alu instid0(VALU_DEP_3) | instskip(SKIP_1) | instid1(VALU_DEP_2)
	v_fmaak_f32 v18, v18, v19, 0x3f2aaada
	v_ldexp_f32 v19, v16, 1
	v_mul_f32_e32 v18, v21, v18
	v_sub_f32_e32 v16, v16, v17
	v_mul_f32_e32 v21, 0x3f317218, v13
	s_delay_alu instid0(VALU_DEP_2) | instskip(NEXT) | instid1(VALU_DEP_1)
	v_dual_add_f32 v17, v19, v18 :: v_dual_sub_f32 v14, v14, v16
	v_sub_f32_e32 v16, v17, v19
	s_delay_alu instid0(VALU_DEP_3) | instskip(NEXT) | instid1(VALU_DEP_3)
	v_fma_f32 v19, 0x3f317218, v13, -v21
	v_ldexp_f32 v14, v14, 1
	s_delay_alu instid0(VALU_DEP_2) | instskip(NEXT) | instid1(VALU_DEP_1)
	v_dual_sub_f32 v16, v18, v16 :: v_dual_fmamk_f32 v13, v13, 0xb102e308, v19
	v_add_f32_e32 v14, v14, v16
	s_delay_alu instid0(VALU_DEP_2) | instskip(NEXT) | instid1(VALU_DEP_1)
	v_add_f32_e32 v16, v21, v13
	v_dual_add_f32 v18, v17, v14 :: v_dual_sub_f32 v21, v16, v21
	s_delay_alu instid0(VALU_DEP_1) | instskip(SKIP_1) | instid1(VALU_DEP_3)
	v_add_f32_e32 v19, v16, v18
	v_sub_f32_e32 v17, v18, v17
	v_sub_f32_e32 v13, v13, v21
	s_delay_alu instid0(VALU_DEP_2) | instskip(NEXT) | instid1(VALU_DEP_1)
	v_dual_sub_f32 v25, v19, v16 :: v_dual_sub_f32 v14, v14, v17
	v_sub_f32_e32 v26, v19, v25
	s_delay_alu instid0(VALU_DEP_2) | instskip(NEXT) | instid1(VALU_DEP_2)
	v_dual_sub_f32 v17, v18, v25 :: v_dual_add_f32 v18, v13, v14
	v_sub_f32_e32 v16, v16, v26
	s_delay_alu instid0(VALU_DEP_1) | instskip(NEXT) | instid1(VALU_DEP_1)
	v_dual_add_f32 v16, v17, v16 :: v_dual_sub_f32 v17, v18, v13
	v_add_f32_e32 v16, v18, v16
	s_delay_alu instid0(VALU_DEP_2) | instskip(NEXT) | instid1(VALU_DEP_2)
	v_sub_f32_e32 v18, v18, v17
	v_dual_sub_f32 v14, v14, v17 :: v_dual_add_f32 v21, v19, v16
	s_delay_alu instid0(VALU_DEP_2) | instskip(NEXT) | instid1(VALU_DEP_2)
	v_sub_f32_e32 v13, v13, v18
	v_sub_f32_e32 v17, v21, v19
	s_delay_alu instid0(VALU_DEP_2) | instskip(NEXT) | instid1(VALU_DEP_2)
	v_add_f32_e32 v13, v14, v13
	v_sub_f32_e32 v14, v16, v17
	s_delay_alu instid0(VALU_DEP_1) | instskip(NEXT) | instid1(VALU_DEP_1)
	v_add_f32_e32 v13, v13, v14
	v_add_f32_e32 v13, v21, v13
	s_wait_alu 0xf1ff
	s_delay_alu instid0(VALU_DEP_1) | instskip(SKIP_2) | instid1(VALU_DEP_1)
	v_cndmask_b32_e64 v13, 0x7f800000, v13, s0
	v_cmp_gt_f32_e64 s0, 0x33800000, |v15|
	s_wait_alu 0xf1ff
	v_cndmask_b32_e64 v13, v13, v15, s0
	s_delay_alu instid0(VALU_DEP_1)
	v_add_f32_e32 v13, v12, v13
.LBB517_118:
	s_wait_alu 0xfffe
	s_or_b32 exec_lo, exec_lo, s1
	s_delay_alu instid0(VALU_DEP_1) | instskip(SKIP_1) | instid1(VALU_DEP_2)
	v_bfe_u32 v12, v13, 16, 1
	v_cmp_o_f32_e64 s0, v13, v13
	v_add3_u32 v12, v13, v12, 0x7fff
	s_delay_alu instid0(VALU_DEP_1) | instskip(SKIP_1) | instid1(VALU_DEP_1)
	v_lshrrev_b32_e32 v12, 16, v12
	s_wait_alu 0xf1ff
	v_cndmask_b32_e64 v12, 0x7fc0, v12, s0
	s_delay_alu instid0(VALU_DEP_1) | instskip(NEXT) | instid1(VALU_DEP_1)
	v_lshlrev_b32_e32 v13, 16, v12
	v_max_num_f32_e32 v14, v13, v13
	s_delay_alu instid0(VALU_DEP_1) | instskip(SKIP_3) | instid1(VALU_DEP_1)
	v_min_num_f32_e32 v15, v14, v22
	v_max_num_f32_e32 v14, v14, v22
	v_cmp_u_f32_e64 s0, v13, v13
	s_wait_alu 0xf1ff
	v_cndmask_b32_e64 v15, v15, v13, s0
	s_delay_alu instid0(VALU_DEP_3) | instskip(NEXT) | instid1(VALU_DEP_2)
	v_cndmask_b32_e64 v16, v14, v13, s0
	v_cndmask_b32_e64 v14, v15, v5, s21
	s_delay_alu instid0(VALU_DEP_2) | instskip(NEXT) | instid1(VALU_DEP_2)
	v_cndmask_b32_e64 v5, v16, v5, s21
	v_cmp_class_f32_e64 s1, v14, 0x1f8
	s_delay_alu instid0(VALU_DEP_2)
	v_cmp_neq_f32_e64 s0, v14, v5
	s_or_b32 s0, s0, s1
	s_wait_alu 0xfffe
	s_and_saveexec_b32 s1, s0
	s_cbranch_execz .LBB517_120
; %bb.119:
	v_sub_f32_e32 v13, v14, v5
	s_delay_alu instid0(VALU_DEP_1) | instskip(SKIP_1) | instid1(VALU_DEP_2)
	v_mul_f32_e32 v14, 0x3fb8aa3b, v13
	v_cmp_ngt_f32_e64 s0, 0xc2ce8ed0, v13
	v_fma_f32 v15, 0x3fb8aa3b, v13, -v14
	v_rndne_f32_e32 v16, v14
	s_delay_alu instid0(VALU_DEP_1) | instskip(NEXT) | instid1(VALU_DEP_1)
	v_dual_fmamk_f32 v15, v13, 0x32a5705f, v15 :: v_dual_sub_f32 v14, v14, v16
	v_add_f32_e32 v14, v14, v15
	v_cvt_i32_f32_e32 v15, v16
	s_delay_alu instid0(VALU_DEP_2) | instskip(NEXT) | instid1(TRANS32_DEP_1)
	v_exp_f32_e32 v14, v14
	v_ldexp_f32 v14, v14, v15
	s_wait_alu 0xf1ff
	s_delay_alu instid0(VALU_DEP_1) | instskip(SKIP_2) | instid1(VALU_DEP_1)
	v_cndmask_b32_e64 v14, 0, v14, s0
	v_cmp_nlt_f32_e64 s0, 0x42b17218, v13
	s_wait_alu 0xf1ff
	v_cndmask_b32_e64 v15, 0x7f800000, v14, s0
	s_delay_alu instid0(VALU_DEP_1) | instskip(NEXT) | instid1(VALU_DEP_1)
	v_add_f32_e32 v16, 1.0, v15
	v_cvt_f64_f32_e32 v[13:14], v16
	s_delay_alu instid0(VALU_DEP_1) | instskip(SKIP_1) | instid1(VALU_DEP_1)
	v_frexp_exp_i32_f64_e32 v13, v[13:14]
	v_frexp_mant_f32_e32 v14, v16
	v_cmp_gt_f32_e64 s0, 0x3f2aaaab, v14
	v_add_f32_e32 v14, -1.0, v16
	s_delay_alu instid0(VALU_DEP_1) | instskip(SKIP_1) | instid1(VALU_DEP_2)
	v_sub_f32_e32 v18, v14, v16
	v_sub_f32_e32 v14, v15, v14
	v_add_f32_e32 v18, 1.0, v18
	s_delay_alu instid0(VALU_DEP_1)
	v_add_f32_e32 v14, v14, v18
	s_wait_alu 0xf1ff
	v_subrev_co_ci_u32_e64 v13, null, 0, v13, s0
	s_mov_b32 s0, 0x3e9b6dac
	v_sub_nc_u32_e32 v17, 0, v13
	v_cvt_f32_i32_e32 v13, v13
	s_delay_alu instid0(VALU_DEP_2) | instskip(SKIP_1) | instid1(VALU_DEP_2)
	v_ldexp_f32 v16, v16, v17
	v_ldexp_f32 v14, v14, v17
	v_add_f32_e32 v19, 1.0, v16
	s_delay_alu instid0(VALU_DEP_1) | instskip(NEXT) | instid1(VALU_DEP_1)
	v_dual_add_f32 v17, -1.0, v16 :: v_dual_add_f32 v18, -1.0, v19
	v_dual_add_f32 v21, 1.0, v17 :: v_dual_sub_f32 v18, v16, v18
	s_delay_alu instid0(VALU_DEP_1) | instskip(NEXT) | instid1(VALU_DEP_1)
	v_add_f32_e32 v18, v14, v18
	v_dual_sub_f32 v16, v16, v21 :: v_dual_add_f32 v21, v19, v18
	s_delay_alu instid0(VALU_DEP_1) | instskip(NEXT) | instid1(VALU_DEP_1)
	v_sub_f32_e32 v19, v19, v21
	v_add_f32_e32 v18, v18, v19
	s_delay_alu instid0(VALU_DEP_3) | instskip(SKIP_1) | instid1(VALU_DEP_1)
	v_add_f32_e32 v14, v14, v16
	v_rcp_f32_e32 v16, v21
	v_add_f32_e32 v22, v17, v14
	s_delay_alu instid0(VALU_DEP_1) | instskip(NEXT) | instid1(TRANS32_DEP_1)
	v_sub_f32_e32 v17, v17, v22
	v_mul_f32_e32 v25, v22, v16
	s_delay_alu instid0(VALU_DEP_1) | instskip(NEXT) | instid1(VALU_DEP_1)
	v_mul_f32_e32 v26, v21, v25
	v_fma_f32 v19, v25, v21, -v26
	s_delay_alu instid0(VALU_DEP_1) | instskip(NEXT) | instid1(VALU_DEP_1)
	v_dual_fmac_f32 v19, v25, v18 :: v_dual_add_f32 v14, v14, v17
	v_add_f32_e32 v27, v26, v19
	s_delay_alu instid0(VALU_DEP_1) | instskip(NEXT) | instid1(VALU_DEP_1)
	v_dual_sub_f32 v17, v27, v26 :: v_dual_sub_f32 v28, v22, v27
	v_dual_sub_f32 v17, v17, v19 :: v_dual_sub_f32 v22, v22, v28
	s_delay_alu instid0(VALU_DEP_1) | instskip(NEXT) | instid1(VALU_DEP_1)
	v_sub_f32_e32 v22, v22, v27
	v_add_f32_e32 v14, v14, v22
	s_delay_alu instid0(VALU_DEP_1) | instskip(NEXT) | instid1(VALU_DEP_1)
	v_add_f32_e32 v14, v17, v14
	v_add_f32_e32 v17, v28, v14
	s_delay_alu instid0(VALU_DEP_1) | instskip(NEXT) | instid1(VALU_DEP_1)
	v_mul_f32_e32 v19, v16, v17
	v_mul_f32_e32 v22, v21, v19
	s_delay_alu instid0(VALU_DEP_1) | instskip(NEXT) | instid1(VALU_DEP_1)
	v_fma_f32 v21, v19, v21, -v22
	v_fmac_f32_e32 v21, v19, v18
	v_sub_f32_e32 v27, v28, v17
	s_delay_alu instid0(VALU_DEP_2) | instskip(NEXT) | instid1(VALU_DEP_2)
	v_add_f32_e32 v18, v22, v21
	v_add_f32_e32 v14, v14, v27
	s_delay_alu instid0(VALU_DEP_2) | instskip(SKIP_1) | instid1(VALU_DEP_2)
	v_sub_f32_e32 v26, v17, v18
	v_sub_f32_e32 v22, v18, v22
	;; [unrolled: 1-line block ×3, first 2 shown]
	s_delay_alu instid0(VALU_DEP_1) | instskip(NEXT) | instid1(VALU_DEP_1)
	v_dual_sub_f32 v17, v17, v18 :: v_dual_sub_f32 v18, v22, v21
	v_dual_add_f32 v14, v14, v17 :: v_dual_add_f32 v17, v25, v19
	s_delay_alu instid0(VALU_DEP_1) | instskip(NEXT) | instid1(VALU_DEP_2)
	v_add_f32_e32 v14, v18, v14
	v_sub_f32_e32 v18, v17, v25
	s_delay_alu instid0(VALU_DEP_2) | instskip(NEXT) | instid1(VALU_DEP_2)
	v_add_f32_e32 v14, v26, v14
	v_sub_f32_e32 v18, v19, v18
	s_delay_alu instid0(VALU_DEP_2) | instskip(NEXT) | instid1(VALU_DEP_1)
	v_mul_f32_e32 v14, v16, v14
	v_add_f32_e32 v14, v18, v14
	s_delay_alu instid0(VALU_DEP_1) | instskip(NEXT) | instid1(VALU_DEP_1)
	v_add_f32_e32 v16, v17, v14
	v_mul_f32_e32 v18, v16, v16
	s_wait_alu 0xfffe
	s_delay_alu instid0(VALU_DEP_1) | instskip(SKIP_2) | instid1(VALU_DEP_3)
	v_fmaak_f32 v19, s0, v18, 0x3ecc95a3
	v_mul_f32_e32 v21, v16, v18
	v_cmp_neq_f32_e64 s0, 0x7f800000, v15
	v_fmaak_f32 v18, v18, v19, 0x3f2aaada
	v_ldexp_f32 v19, v16, 1
	v_sub_f32_e32 v16, v16, v17
	s_delay_alu instid0(VALU_DEP_3) | instskip(NEXT) | instid1(VALU_DEP_1)
	v_dual_mul_f32 v18, v21, v18 :: v_dual_mul_f32 v21, 0x3f317218, v13
	v_dual_sub_f32 v14, v14, v16 :: v_dual_add_f32 v17, v19, v18
	s_delay_alu instid0(VALU_DEP_1) | instskip(NEXT) | instid1(VALU_DEP_2)
	v_ldexp_f32 v14, v14, 1
	v_sub_f32_e32 v16, v17, v19
	s_delay_alu instid0(VALU_DEP_4) | instskip(NEXT) | instid1(VALU_DEP_1)
	v_fma_f32 v19, 0x3f317218, v13, -v21
	v_dual_sub_f32 v16, v18, v16 :: v_dual_fmamk_f32 v13, v13, 0xb102e308, v19
	s_delay_alu instid0(VALU_DEP_1) | instskip(NEXT) | instid1(VALU_DEP_2)
	v_add_f32_e32 v14, v14, v16
	v_add_f32_e32 v16, v21, v13
	s_delay_alu instid0(VALU_DEP_1) | instskip(NEXT) | instid1(VALU_DEP_1)
	v_dual_add_f32 v18, v17, v14 :: v_dual_sub_f32 v21, v16, v21
	v_add_f32_e32 v19, v16, v18
	v_sub_f32_e32 v17, v18, v17
	s_delay_alu instid0(VALU_DEP_2) | instskip(NEXT) | instid1(VALU_DEP_1)
	v_dual_sub_f32 v13, v13, v21 :: v_dual_sub_f32 v22, v19, v16
	v_dual_sub_f32 v14, v14, v17 :: v_dual_sub_f32 v25, v19, v22
	v_sub_f32_e32 v17, v18, v22
	s_delay_alu instid0(VALU_DEP_2) | instskip(NEXT) | instid1(VALU_DEP_3)
	v_add_f32_e32 v18, v13, v14
	v_sub_f32_e32 v16, v16, v25
	s_delay_alu instid0(VALU_DEP_1) | instskip(NEXT) | instid1(VALU_DEP_1)
	v_dual_add_f32 v16, v17, v16 :: v_dual_sub_f32 v17, v18, v13
	v_add_f32_e32 v16, v18, v16
	s_delay_alu instid0(VALU_DEP_2) | instskip(NEXT) | instid1(VALU_DEP_2)
	v_sub_f32_e32 v18, v18, v17
	v_dual_sub_f32 v14, v14, v17 :: v_dual_add_f32 v21, v19, v16
	s_delay_alu instid0(VALU_DEP_2) | instskip(NEXT) | instid1(VALU_DEP_2)
	v_sub_f32_e32 v13, v13, v18
	v_sub_f32_e32 v17, v21, v19
	s_delay_alu instid0(VALU_DEP_2) | instskip(NEXT) | instid1(VALU_DEP_2)
	v_add_f32_e32 v13, v14, v13
	v_sub_f32_e32 v14, v16, v17
	s_delay_alu instid0(VALU_DEP_1) | instskip(NEXT) | instid1(VALU_DEP_1)
	v_add_f32_e32 v13, v13, v14
	v_add_f32_e32 v13, v21, v13
	s_wait_alu 0xf1ff
	s_delay_alu instid0(VALU_DEP_1) | instskip(SKIP_2) | instid1(VALU_DEP_1)
	v_cndmask_b32_e64 v13, 0x7f800000, v13, s0
	v_cmp_gt_f32_e64 s0, 0x33800000, |v15|
	s_wait_alu 0xf1ff
	v_cndmask_b32_e64 v13, v13, v15, s0
	s_delay_alu instid0(VALU_DEP_1)
	v_add_f32_e32 v13, v5, v13
.LBB517_120:
	s_wait_alu 0xfffe
	s_or_b32 exec_lo, exec_lo, s1
	s_delay_alu instid0(VALU_DEP_1) | instskip(SKIP_1) | instid1(VALU_DEP_2)
	v_bfe_u32 v5, v13, 16, 1
	v_cmp_o_f32_e64 s0, v13, v13
	v_add3_u32 v5, v13, v5, 0x7fff
	s_delay_alu instid0(VALU_DEP_1) | instskip(SKIP_1) | instid1(VALU_DEP_1)
	v_lshrrev_b32_e32 v5, 16, v5
	s_wait_alu 0xf1ff
	v_cndmask_b32_e64 v5, 0x7fc0, v5, s0
	s_delay_alu instid0(VALU_DEP_1) | instskip(NEXT) | instid1(VALU_DEP_1)
	v_lshlrev_b32_e32 v14, 16, v5
	v_max_num_f32_e32 v13, v14, v14
	s_delay_alu instid0(VALU_DEP_1) | instskip(SKIP_3) | instid1(VALU_DEP_1)
	v_min_num_f32_e32 v15, v13, v23
	v_max_num_f32_e32 v13, v13, v23
	v_cmp_u_f32_e64 s0, v14, v14
	s_wait_alu 0xf1ff
	v_cndmask_b32_e64 v15, v15, v14, s0
	s_delay_alu instid0(VALU_DEP_3) | instskip(NEXT) | instid1(VALU_DEP_2)
	v_cndmask_b32_e64 v13, v13, v14, s0
	v_cndmask_b32_e64 v15, v15, v20, s22
	s_delay_alu instid0(VALU_DEP_2) | instskip(NEXT) | instid1(VALU_DEP_2)
	v_cndmask_b32_e64 v13, v13, v20, s22
	v_cmp_class_f32_e64 s1, v15, 0x1f8
	s_delay_alu instid0(VALU_DEP_2)
	v_cmp_neq_f32_e64 s0, v15, v13
	s_or_b32 s0, s0, s1
	s_wait_alu 0xfffe
	s_and_saveexec_b32 s1, s0
	s_cbranch_execz .LBB517_122
; %bb.121:
	v_sub_f32_e32 v14, v15, v13
	s_delay_alu instid0(VALU_DEP_1) | instskip(SKIP_1) | instid1(VALU_DEP_2)
	v_mul_f32_e32 v15, 0x3fb8aa3b, v14
	v_cmp_ngt_f32_e64 s0, 0xc2ce8ed0, v14
	v_fma_f32 v16, 0x3fb8aa3b, v14, -v15
	v_rndne_f32_e32 v17, v15
	s_delay_alu instid0(VALU_DEP_1) | instskip(NEXT) | instid1(VALU_DEP_1)
	v_dual_fmamk_f32 v16, v14, 0x32a5705f, v16 :: v_dual_sub_f32 v15, v15, v17
	v_add_f32_e32 v15, v15, v16
	v_cvt_i32_f32_e32 v16, v17
	s_delay_alu instid0(VALU_DEP_2) | instskip(NEXT) | instid1(TRANS32_DEP_1)
	v_exp_f32_e32 v15, v15
	v_ldexp_f32 v15, v15, v16
	s_wait_alu 0xf1ff
	s_delay_alu instid0(VALU_DEP_1) | instskip(SKIP_2) | instid1(VALU_DEP_1)
	v_cndmask_b32_e64 v15, 0, v15, s0
	v_cmp_nlt_f32_e64 s0, 0x42b17218, v14
	s_wait_alu 0xf1ff
	v_cndmask_b32_e64 v16, 0x7f800000, v15, s0
	s_delay_alu instid0(VALU_DEP_1) | instskip(NEXT) | instid1(VALU_DEP_1)
	v_add_f32_e32 v17, 1.0, v16
	v_cvt_f64_f32_e32 v[14:15], v17
	s_delay_alu instid0(VALU_DEP_1) | instskip(SKIP_1) | instid1(VALU_DEP_1)
	v_frexp_exp_i32_f64_e32 v14, v[14:15]
	v_frexp_mant_f32_e32 v15, v17
	v_cmp_gt_f32_e64 s0, 0x3f2aaaab, v15
	v_add_f32_e32 v15, -1.0, v17
	s_delay_alu instid0(VALU_DEP_1)
	v_sub_f32_e32 v19, v15, v17
	v_sub_f32_e32 v15, v16, v15
	s_wait_alu 0xf1ff
	v_subrev_co_ci_u32_e64 v14, null, 0, v14, s0
	s_mov_b32 s0, 0x3e9b6dac
	v_sub_nc_u32_e32 v18, 0, v14
	v_cvt_f32_i32_e32 v14, v14
	s_delay_alu instid0(VALU_DEP_2) | instskip(NEXT) | instid1(VALU_DEP_1)
	v_ldexp_f32 v17, v17, v18
	v_dual_add_f32 v20, 1.0, v17 :: v_dual_add_f32 v19, 1.0, v19
	s_delay_alu instid0(VALU_DEP_1) | instskip(NEXT) | instid1(VALU_DEP_2)
	v_add_f32_e32 v15, v15, v19
	v_add_f32_e32 v19, -1.0, v20
	s_delay_alu instid0(VALU_DEP_2) | instskip(NEXT) | instid1(VALU_DEP_2)
	v_ldexp_f32 v15, v15, v18
	v_dual_add_f32 v18, -1.0, v17 :: v_dual_sub_f32 v19, v17, v19
	s_delay_alu instid0(VALU_DEP_1) | instskip(NEXT) | instid1(VALU_DEP_2)
	v_add_f32_e32 v21, 1.0, v18
	v_add_f32_e32 v19, v15, v19
	s_delay_alu instid0(VALU_DEP_2) | instskip(NEXT) | instid1(VALU_DEP_2)
	v_sub_f32_e32 v17, v17, v21
	v_add_f32_e32 v21, v20, v19
	s_delay_alu instid0(VALU_DEP_2) | instskip(NEXT) | instid1(VALU_DEP_2)
	v_add_f32_e32 v15, v15, v17
	v_rcp_f32_e32 v17, v21
	v_sub_f32_e32 v20, v20, v21
	s_delay_alu instid0(VALU_DEP_1) | instskip(NEXT) | instid1(VALU_DEP_1)
	v_dual_add_f32 v22, v18, v15 :: v_dual_add_f32 v19, v19, v20
	v_sub_f32_e32 v18, v18, v22
	s_delay_alu instid0(TRANS32_DEP_1) | instskip(NEXT) | instid1(VALU_DEP_2)
	v_mul_f32_e32 v23, v22, v17
	v_add_f32_e32 v15, v15, v18
	s_delay_alu instid0(VALU_DEP_2) | instskip(NEXT) | instid1(VALU_DEP_1)
	v_mul_f32_e32 v25, v21, v23
	v_fma_f32 v20, v23, v21, -v25
	s_delay_alu instid0(VALU_DEP_1) | instskip(NEXT) | instid1(VALU_DEP_1)
	v_fmac_f32_e32 v20, v23, v19
	v_add_f32_e32 v26, v25, v20
	s_delay_alu instid0(VALU_DEP_1) | instskip(SKIP_1) | instid1(VALU_DEP_2)
	v_sub_f32_e32 v27, v22, v26
	v_sub_f32_e32 v18, v26, v25
	;; [unrolled: 1-line block ×3, first 2 shown]
	s_delay_alu instid0(VALU_DEP_2) | instskip(NEXT) | instid1(VALU_DEP_2)
	v_sub_f32_e32 v18, v18, v20
	v_sub_f32_e32 v22, v22, v26
	s_delay_alu instid0(VALU_DEP_1) | instskip(NEXT) | instid1(VALU_DEP_1)
	v_add_f32_e32 v15, v15, v22
	v_add_f32_e32 v15, v18, v15
	s_delay_alu instid0(VALU_DEP_1) | instskip(NEXT) | instid1(VALU_DEP_1)
	v_add_f32_e32 v18, v27, v15
	v_mul_f32_e32 v20, v17, v18
	v_sub_f32_e32 v26, v27, v18
	s_delay_alu instid0(VALU_DEP_1) | instskip(NEXT) | instid1(VALU_DEP_1)
	v_dual_mul_f32 v22, v21, v20 :: v_dual_add_f32 v15, v15, v26
	v_fma_f32 v21, v20, v21, -v22
	s_delay_alu instid0(VALU_DEP_1) | instskip(NEXT) | instid1(VALU_DEP_1)
	v_fmac_f32_e32 v21, v20, v19
	v_add_f32_e32 v19, v22, v21
	s_delay_alu instid0(VALU_DEP_1) | instskip(NEXT) | instid1(VALU_DEP_1)
	v_dual_sub_f32 v25, v18, v19 :: v_dual_sub_f32 v22, v19, v22
	v_sub_f32_e32 v18, v18, v25
	s_delay_alu instid0(VALU_DEP_1) | instskip(NEXT) | instid1(VALU_DEP_3)
	v_sub_f32_e32 v18, v18, v19
	v_sub_f32_e32 v19, v22, v21
	s_delay_alu instid0(VALU_DEP_2) | instskip(SKIP_1) | instid1(VALU_DEP_2)
	v_add_f32_e32 v15, v15, v18
	v_add_f32_e32 v18, v23, v20
	;; [unrolled: 1-line block ×3, first 2 shown]
	s_delay_alu instid0(VALU_DEP_2) | instskip(NEXT) | instid1(VALU_DEP_2)
	v_sub_f32_e32 v19, v18, v23
	v_add_f32_e32 v15, v25, v15
	s_delay_alu instid0(VALU_DEP_2) | instskip(NEXT) | instid1(VALU_DEP_2)
	v_sub_f32_e32 v19, v20, v19
	v_mul_f32_e32 v15, v17, v15
	s_delay_alu instid0(VALU_DEP_1) | instskip(NEXT) | instid1(VALU_DEP_1)
	v_add_f32_e32 v15, v19, v15
	v_add_f32_e32 v17, v18, v15
	s_delay_alu instid0(VALU_DEP_1) | instskip(SKIP_1) | instid1(VALU_DEP_1)
	v_mul_f32_e32 v19, v17, v17
	s_wait_alu 0xfffe
	v_fmaak_f32 v20, s0, v19, 0x3ecc95a3
	v_mul_f32_e32 v21, v17, v19
	v_cmp_neq_f32_e64 s0, 0x7f800000, v16
	s_delay_alu instid0(VALU_DEP_3) | instskip(SKIP_2) | instid1(VALU_DEP_3)
	v_fmaak_f32 v19, v19, v20, 0x3f2aaada
	v_ldexp_f32 v20, v17, 1
	v_sub_f32_e32 v17, v17, v18
	v_mul_f32_e32 v19, v21, v19
	v_mul_f32_e32 v21, 0x3f317218, v14
	s_delay_alu instid0(VALU_DEP_2) | instskip(NEXT) | instid1(VALU_DEP_1)
	v_dual_sub_f32 v15, v15, v17 :: v_dual_add_f32 v18, v20, v19
	v_ldexp_f32 v15, v15, 1
	s_delay_alu instid0(VALU_DEP_2) | instskip(NEXT) | instid1(VALU_DEP_4)
	v_sub_f32_e32 v17, v18, v20
	v_fma_f32 v20, 0x3f317218, v14, -v21
	s_delay_alu instid0(VALU_DEP_1) | instskip(NEXT) | instid1(VALU_DEP_1)
	v_dual_sub_f32 v17, v19, v17 :: v_dual_fmamk_f32 v14, v14, 0xb102e308, v20
	v_add_f32_e32 v15, v15, v17
	s_delay_alu instid0(VALU_DEP_2) | instskip(NEXT) | instid1(VALU_DEP_2)
	v_add_f32_e32 v17, v21, v14
	v_add_f32_e32 v19, v18, v15
	s_delay_alu instid0(VALU_DEP_2) | instskip(NEXT) | instid1(VALU_DEP_2)
	v_sub_f32_e32 v21, v17, v21
	v_add_f32_e32 v20, v17, v19
	v_sub_f32_e32 v18, v19, v18
	s_delay_alu instid0(VALU_DEP_3) | instskip(NEXT) | instid1(VALU_DEP_2)
	v_sub_f32_e32 v14, v14, v21
	v_dual_sub_f32 v22, v20, v17 :: v_dual_sub_f32 v15, v15, v18
	s_delay_alu instid0(VALU_DEP_1) | instskip(NEXT) | instid1(VALU_DEP_2)
	v_sub_f32_e32 v23, v20, v22
	v_dual_sub_f32 v18, v19, v22 :: v_dual_add_f32 v19, v14, v15
	s_delay_alu instid0(VALU_DEP_2) | instskip(NEXT) | instid1(VALU_DEP_1)
	v_sub_f32_e32 v17, v17, v23
	v_dual_add_f32 v17, v18, v17 :: v_dual_sub_f32 v18, v19, v14
	s_delay_alu instid0(VALU_DEP_1) | instskip(NEXT) | instid1(VALU_DEP_2)
	v_add_f32_e32 v17, v19, v17
	v_sub_f32_e32 v19, v19, v18
	v_sub_f32_e32 v15, v15, v18
	s_delay_alu instid0(VALU_DEP_2) | instskip(NEXT) | instid1(VALU_DEP_1)
	v_dual_add_f32 v21, v20, v17 :: v_dual_sub_f32 v14, v14, v19
	v_sub_f32_e32 v18, v21, v20
	s_delay_alu instid0(VALU_DEP_2) | instskip(NEXT) | instid1(VALU_DEP_2)
	v_add_f32_e32 v14, v15, v14
	v_sub_f32_e32 v15, v17, v18
	s_delay_alu instid0(VALU_DEP_1) | instskip(NEXT) | instid1(VALU_DEP_1)
	v_add_f32_e32 v14, v14, v15
	v_add_f32_e32 v14, v21, v14
	s_wait_alu 0xf1ff
	s_delay_alu instid0(VALU_DEP_1) | instskip(SKIP_2) | instid1(VALU_DEP_1)
	v_cndmask_b32_e64 v14, 0x7f800000, v14, s0
	v_cmp_gt_f32_e64 s0, 0x33800000, |v16|
	s_wait_alu 0xf1ff
	v_cndmask_b32_e64 v14, v14, v16, s0
	s_delay_alu instid0(VALU_DEP_1)
	v_add_f32_e32 v14, v13, v14
.LBB517_122:
	s_wait_alu 0xfffe
	s_or_b32 exec_lo, exec_lo, s1
	s_delay_alu instid0(VALU_DEP_1) | instskip(SKIP_1) | instid1(VALU_DEP_2)
	v_bfe_u32 v13, v14, 16, 1
	v_cmp_o_f32_e64 s0, v14, v14
	v_add3_u32 v13, v14, v13, 0x7fff
	s_delay_alu instid0(VALU_DEP_1) | instskip(SKIP_1) | instid1(VALU_DEP_1)
	v_lshrrev_b32_e32 v13, 16, v13
	s_wait_alu 0xf1ff
	v_cndmask_b32_e64 v13, 0x7fc0, v13, s0
	s_delay_alu instid0(VALU_DEP_1) | instskip(NEXT) | instid1(VALU_DEP_1)
	v_lshlrev_b32_e32 v14, 16, v13
	v_max_num_f32_e32 v15, v14, v14
	s_delay_alu instid0(VALU_DEP_1) | instskip(SKIP_3) | instid1(VALU_DEP_1)
	v_min_num_f32_e32 v16, v15, v24
	v_max_num_f32_e32 v15, v15, v24
	v_cmp_u_f32_e64 s0, v14, v14
	s_wait_alu 0xf1ff
	v_cndmask_b32_e64 v16, v16, v14, s0
	s_delay_alu instid0(VALU_DEP_3) | instskip(NEXT) | instid1(VALU_DEP_2)
	v_cndmask_b32_e64 v17, v15, v14, s0
	v_cndmask_b32_e64 v15, v16, v6, s23
	s_delay_alu instid0(VALU_DEP_2) | instskip(NEXT) | instid1(VALU_DEP_2)
	v_cndmask_b32_e64 v6, v17, v6, s23
	v_cmp_class_f32_e64 s1, v15, 0x1f8
	s_delay_alu instid0(VALU_DEP_2)
	v_cmp_neq_f32_e64 s0, v15, v6
	s_or_b32 s0, s0, s1
	s_wait_alu 0xfffe
	s_and_saveexec_b32 s1, s0
	s_cbranch_execz .LBB517_124
; %bb.123:
	v_sub_f32_e32 v14, v15, v6
	s_delay_alu instid0(VALU_DEP_1) | instskip(SKIP_1) | instid1(VALU_DEP_2)
	v_mul_f32_e32 v15, 0x3fb8aa3b, v14
	v_cmp_ngt_f32_e64 s0, 0xc2ce8ed0, v14
	v_fma_f32 v16, 0x3fb8aa3b, v14, -v15
	v_rndne_f32_e32 v17, v15
	s_delay_alu instid0(VALU_DEP_1) | instskip(NEXT) | instid1(VALU_DEP_1)
	v_dual_fmamk_f32 v16, v14, 0x32a5705f, v16 :: v_dual_sub_f32 v15, v15, v17
	v_add_f32_e32 v15, v15, v16
	v_cvt_i32_f32_e32 v16, v17
	s_delay_alu instid0(VALU_DEP_2) | instskip(NEXT) | instid1(TRANS32_DEP_1)
	v_exp_f32_e32 v15, v15
	v_ldexp_f32 v15, v15, v16
	s_wait_alu 0xf1ff
	s_delay_alu instid0(VALU_DEP_1) | instskip(SKIP_2) | instid1(VALU_DEP_1)
	v_cndmask_b32_e64 v15, 0, v15, s0
	v_cmp_nlt_f32_e64 s0, 0x42b17218, v14
	s_wait_alu 0xf1ff
	v_cndmask_b32_e64 v16, 0x7f800000, v15, s0
	s_delay_alu instid0(VALU_DEP_1) | instskip(NEXT) | instid1(VALU_DEP_1)
	v_add_f32_e32 v17, 1.0, v16
	v_cvt_f64_f32_e32 v[14:15], v17
	s_delay_alu instid0(VALU_DEP_1) | instskip(SKIP_1) | instid1(VALU_DEP_1)
	v_frexp_exp_i32_f64_e32 v14, v[14:15]
	v_frexp_mant_f32_e32 v15, v17
	v_cmp_gt_f32_e64 s0, 0x3f2aaaab, v15
	v_add_f32_e32 v15, -1.0, v17
	s_delay_alu instid0(VALU_DEP_1)
	v_sub_f32_e32 v19, v15, v17
	v_sub_f32_e32 v15, v16, v15
	s_wait_alu 0xf1ff
	v_subrev_co_ci_u32_e64 v14, null, 0, v14, s0
	s_mov_b32 s0, 0x3e9b6dac
	v_sub_nc_u32_e32 v18, 0, v14
	v_cvt_f32_i32_e32 v14, v14
	s_delay_alu instid0(VALU_DEP_2) | instskip(NEXT) | instid1(VALU_DEP_1)
	v_ldexp_f32 v17, v17, v18
	v_dual_add_f32 v20, 1.0, v17 :: v_dual_add_f32 v19, 1.0, v19
	s_delay_alu instid0(VALU_DEP_1) | instskip(NEXT) | instid1(VALU_DEP_2)
	v_add_f32_e32 v15, v15, v19
	v_add_f32_e32 v19, -1.0, v20
	s_delay_alu instid0(VALU_DEP_2) | instskip(NEXT) | instid1(VALU_DEP_2)
	v_ldexp_f32 v15, v15, v18
	v_dual_add_f32 v18, -1.0, v17 :: v_dual_sub_f32 v19, v17, v19
	s_delay_alu instid0(VALU_DEP_1) | instskip(NEXT) | instid1(VALU_DEP_2)
	v_add_f32_e32 v21, 1.0, v18
	v_add_f32_e32 v19, v15, v19
	s_delay_alu instid0(VALU_DEP_2) | instskip(NEXT) | instid1(VALU_DEP_2)
	v_sub_f32_e32 v17, v17, v21
	v_add_f32_e32 v21, v20, v19
	s_delay_alu instid0(VALU_DEP_2) | instskip(NEXT) | instid1(VALU_DEP_2)
	v_add_f32_e32 v15, v15, v17
	v_rcp_f32_e32 v17, v21
	v_sub_f32_e32 v20, v20, v21
	s_delay_alu instid0(VALU_DEP_1) | instskip(NEXT) | instid1(VALU_DEP_1)
	v_dual_add_f32 v22, v18, v15 :: v_dual_add_f32 v19, v19, v20
	v_sub_f32_e32 v18, v18, v22
	s_delay_alu instid0(TRANS32_DEP_1) | instskip(NEXT) | instid1(VALU_DEP_1)
	v_mul_f32_e32 v23, v22, v17
	v_dual_add_f32 v15, v15, v18 :: v_dual_mul_f32 v24, v21, v23
	s_delay_alu instid0(VALU_DEP_1) | instskip(NEXT) | instid1(VALU_DEP_1)
	v_fma_f32 v20, v23, v21, -v24
	v_fmac_f32_e32 v20, v23, v19
	s_delay_alu instid0(VALU_DEP_1) | instskip(NEXT) | instid1(VALU_DEP_1)
	v_add_f32_e32 v25, v24, v20
	v_sub_f32_e32 v26, v22, v25
	v_sub_f32_e32 v18, v25, v24
	s_delay_alu instid0(VALU_DEP_2) | instskip(NEXT) | instid1(VALU_DEP_2)
	v_sub_f32_e32 v22, v22, v26
	v_sub_f32_e32 v18, v18, v20
	s_delay_alu instid0(VALU_DEP_2) | instskip(NEXT) | instid1(VALU_DEP_1)
	v_sub_f32_e32 v22, v22, v25
	v_add_f32_e32 v15, v15, v22
	s_delay_alu instid0(VALU_DEP_1) | instskip(NEXT) | instid1(VALU_DEP_1)
	v_add_f32_e32 v15, v18, v15
	v_add_f32_e32 v18, v26, v15
	s_delay_alu instid0(VALU_DEP_1) | instskip(NEXT) | instid1(VALU_DEP_1)
	v_mul_f32_e32 v20, v17, v18
	v_dual_sub_f32 v25, v26, v18 :: v_dual_mul_f32 v22, v21, v20
	s_delay_alu instid0(VALU_DEP_1) | instskip(NEXT) | instid1(VALU_DEP_2)
	v_add_f32_e32 v15, v15, v25
	v_fma_f32 v21, v20, v21, -v22
	s_delay_alu instid0(VALU_DEP_1) | instskip(NEXT) | instid1(VALU_DEP_1)
	v_fmac_f32_e32 v21, v20, v19
	v_add_f32_e32 v19, v22, v21
	s_delay_alu instid0(VALU_DEP_1) | instskip(SKIP_1) | instid1(VALU_DEP_2)
	v_sub_f32_e32 v24, v18, v19
	v_sub_f32_e32 v22, v19, v22
	;; [unrolled: 1-line block ×3, first 2 shown]
	s_delay_alu instid0(VALU_DEP_1) | instskip(NEXT) | instid1(VALU_DEP_3)
	v_sub_f32_e32 v18, v18, v19
	v_sub_f32_e32 v19, v22, v21
	s_delay_alu instid0(VALU_DEP_2) | instskip(SKIP_1) | instid1(VALU_DEP_2)
	v_add_f32_e32 v15, v15, v18
	v_add_f32_e32 v18, v23, v20
	;; [unrolled: 1-line block ×3, first 2 shown]
	s_delay_alu instid0(VALU_DEP_2) | instskip(NEXT) | instid1(VALU_DEP_2)
	v_sub_f32_e32 v19, v18, v23
	v_add_f32_e32 v15, v24, v15
	s_delay_alu instid0(VALU_DEP_2) | instskip(NEXT) | instid1(VALU_DEP_2)
	v_sub_f32_e32 v19, v20, v19
	v_mul_f32_e32 v15, v17, v15
	s_delay_alu instid0(VALU_DEP_1) | instskip(NEXT) | instid1(VALU_DEP_1)
	v_add_f32_e32 v15, v19, v15
	v_add_f32_e32 v17, v18, v15
	s_delay_alu instid0(VALU_DEP_1) | instskip(SKIP_1) | instid1(VALU_DEP_1)
	v_mul_f32_e32 v19, v17, v17
	s_wait_alu 0xfffe
	v_fmaak_f32 v20, s0, v19, 0x3ecc95a3
	v_mul_f32_e32 v21, v17, v19
	v_cmp_neq_f32_e64 s0, 0x7f800000, v16
	s_delay_alu instid0(VALU_DEP_3) | instskip(SKIP_2) | instid1(VALU_DEP_3)
	v_fmaak_f32 v19, v19, v20, 0x3f2aaada
	v_ldexp_f32 v20, v17, 1
	v_sub_f32_e32 v17, v17, v18
	v_mul_f32_e32 v19, v21, v19
	v_mul_f32_e32 v21, 0x3f317218, v14
	s_delay_alu instid0(VALU_DEP_2) | instskip(NEXT) | instid1(VALU_DEP_1)
	v_dual_sub_f32 v15, v15, v17 :: v_dual_add_f32 v18, v20, v19
	v_ldexp_f32 v15, v15, 1
	s_delay_alu instid0(VALU_DEP_2) | instskip(NEXT) | instid1(VALU_DEP_4)
	v_sub_f32_e32 v17, v18, v20
	v_fma_f32 v20, 0x3f317218, v14, -v21
	s_delay_alu instid0(VALU_DEP_1) | instskip(NEXT) | instid1(VALU_DEP_1)
	v_dual_sub_f32 v17, v19, v17 :: v_dual_fmamk_f32 v14, v14, 0xb102e308, v20
	v_add_f32_e32 v15, v15, v17
	s_delay_alu instid0(VALU_DEP_2) | instskip(NEXT) | instid1(VALU_DEP_2)
	v_add_f32_e32 v17, v21, v14
	v_add_f32_e32 v19, v18, v15
	s_delay_alu instid0(VALU_DEP_2) | instskip(NEXT) | instid1(VALU_DEP_2)
	v_sub_f32_e32 v21, v17, v21
	v_add_f32_e32 v20, v17, v19
	v_sub_f32_e32 v18, v19, v18
	s_delay_alu instid0(VALU_DEP_3) | instskip(NEXT) | instid1(VALU_DEP_2)
	v_sub_f32_e32 v14, v14, v21
	v_dual_sub_f32 v22, v20, v17 :: v_dual_sub_f32 v15, v15, v18
	s_delay_alu instid0(VALU_DEP_1) | instskip(NEXT) | instid1(VALU_DEP_2)
	v_sub_f32_e32 v23, v20, v22
	v_dual_sub_f32 v18, v19, v22 :: v_dual_add_f32 v19, v14, v15
	s_delay_alu instid0(VALU_DEP_2) | instskip(NEXT) | instid1(VALU_DEP_1)
	v_sub_f32_e32 v17, v17, v23
	v_dual_add_f32 v17, v18, v17 :: v_dual_sub_f32 v18, v19, v14
	s_delay_alu instid0(VALU_DEP_1) | instskip(NEXT) | instid1(VALU_DEP_2)
	v_add_f32_e32 v17, v19, v17
	v_sub_f32_e32 v19, v19, v18
	v_sub_f32_e32 v15, v15, v18
	s_delay_alu instid0(VALU_DEP_2) | instskip(NEXT) | instid1(VALU_DEP_1)
	v_dual_add_f32 v21, v20, v17 :: v_dual_sub_f32 v14, v14, v19
	v_sub_f32_e32 v18, v21, v20
	s_delay_alu instid0(VALU_DEP_2) | instskip(NEXT) | instid1(VALU_DEP_2)
	v_add_f32_e32 v14, v15, v14
	v_sub_f32_e32 v15, v17, v18
	s_delay_alu instid0(VALU_DEP_1) | instskip(NEXT) | instid1(VALU_DEP_1)
	v_add_f32_e32 v14, v14, v15
	v_add_f32_e32 v14, v21, v14
	s_wait_alu 0xf1ff
	s_delay_alu instid0(VALU_DEP_1) | instskip(SKIP_2) | instid1(VALU_DEP_1)
	v_cndmask_b32_e64 v14, 0x7f800000, v14, s0
	v_cmp_gt_f32_e64 s0, 0x33800000, |v16|
	s_wait_alu 0xf1ff
	v_cndmask_b32_e64 v14, v14, v16, s0
	s_delay_alu instid0(VALU_DEP_1)
	v_add_f32_e32 v14, v6, v14
.LBB517_124:
	s_wait_alu 0xfffe
	s_or_b32 exec_lo, exec_lo, s1
	s_delay_alu instid0(VALU_DEP_1)
	v_bfe_u32 v6, v14, 16, 1
	v_cmp_o_f32_e64 s0, v14, v14
	v_add_nc_u32_e32 v15, v7, v29
	v_perm_b32 v4, v4, v11, 0x5040100
	v_perm_b32 v3, v3, v10, 0x5040100
	v_add3_u32 v6, v14, v6, 0x7fff
	v_perm_b32 v2, v2, v9, 0x5040100
	v_perm_b32 v1, v8, v1, 0x5040100
	;; [unrolled: 1-line block ×3, first 2 shown]
	s_wait_loadcnt 0x0
	v_lshrrev_b32_e32 v6, 16, v6
	s_barrier_signal -1
	s_barrier_wait -1
	global_inv scope:SCOPE_SE
	v_lshlrev_b32_e32 v0, 1, v0
	s_wait_alu 0xf1ff
	v_cndmask_b32_e64 v6, 0x7fc0, v6, s0
	s_wait_kmcnt 0x0
	s_delay_alu instid0(VALU_DEP_2) | instskip(NEXT) | instid1(VALU_DEP_2)
	v_add_co_u32 v0, s0, s26, v0
	v_perm_b32 v6, v6, v13, 0x5040100
	ds_store_2addr_b64 v15, v[1:2], v[3:4] offset1:1
	ds_store_b64 v15, v[5:6] offset:16
	s_wait_loadcnt_dscnt 0x0
	s_barrier_signal -1
	s_barrier_wait -1
	global_inv scope:SCOPE_SE
	ds_load_u16 v13, v7 offset:512
	ds_load_u16 v12, v7 offset:1024
	;; [unrolled: 1-line block ×11, first 2 shown]
	s_wait_alu 0xf1ff
	v_add_co_ci_u32_e64 v1, null, s27, 0, s0
	s_and_saveexec_b32 s0, vcc_lo
	s_cbranch_execnz .LBB517_137
; %bb.125:
	s_wait_alu 0xfffe
	s_or_b32 exec_lo, exec_lo, s0
	s_and_saveexec_b32 s0, s2
	s_cbranch_execnz .LBB517_138
.LBB517_126:
	s_wait_alu 0xfffe
	s_or_b32 exec_lo, exec_lo, s0
	s_and_saveexec_b32 s0, s3
	s_cbranch_execnz .LBB517_139
.LBB517_127:
	s_wait_alu 0xfffe
	s_or_b32 exec_lo, exec_lo, s0
	s_and_saveexec_b32 s0, s4
	s_cbranch_execnz .LBB517_140
.LBB517_128:
	s_wait_alu 0xfffe
	s_or_b32 exec_lo, exec_lo, s0
	s_and_saveexec_b32 s0, s5
	s_cbranch_execnz .LBB517_141
.LBB517_129:
	s_wait_alu 0xfffe
	s_or_b32 exec_lo, exec_lo, s0
	s_and_saveexec_b32 s0, s6
	s_cbranch_execnz .LBB517_142
.LBB517_130:
	s_wait_alu 0xfffe
	s_or_b32 exec_lo, exec_lo, s0
	s_and_saveexec_b32 s0, s7
	s_cbranch_execnz .LBB517_143
.LBB517_131:
	s_wait_alu 0xfffe
	s_or_b32 exec_lo, exec_lo, s0
	s_and_saveexec_b32 s0, s8
	s_cbranch_execnz .LBB517_144
.LBB517_132:
	s_wait_alu 0xfffe
	s_or_b32 exec_lo, exec_lo, s0
	s_and_saveexec_b32 s0, s9
	s_cbranch_execnz .LBB517_145
.LBB517_133:
	s_wait_alu 0xfffe
	s_or_b32 exec_lo, exec_lo, s0
	s_and_saveexec_b32 s0, s10
	s_cbranch_execnz .LBB517_146
.LBB517_134:
	s_wait_alu 0xfffe
	s_or_b32 exec_lo, exec_lo, s0
	s_and_saveexec_b32 s0, s11
	s_cbranch_execnz .LBB517_147
.LBB517_135:
	s_wait_alu 0xfffe
	s_or_b32 exec_lo, exec_lo, s0
	s_and_saveexec_b32 s0, s12
	s_cbranch_execnz .LBB517_148
.LBB517_136:
	s_endpgm
.LBB517_137:
	ds_load_u16 v7, v7
	s_wait_dscnt 0x0
	global_store_b16 v[0:1], v7, off
	s_wait_alu 0xfffe
	s_or_b32 exec_lo, exec_lo, s0
	s_and_saveexec_b32 s0, s2
	s_cbranch_execz .LBB517_126
.LBB517_138:
	s_wait_dscnt 0xa
	global_store_b16 v[0:1], v13, off offset:512
	s_wait_alu 0xfffe
	s_or_b32 exec_lo, exec_lo, s0
	s_and_saveexec_b32 s0, s3
	s_cbranch_execz .LBB517_127
.LBB517_139:
	s_wait_dscnt 0x9
	global_store_b16 v[0:1], v12, off offset:1024
	s_wait_alu 0xfffe
	s_or_b32 exec_lo, exec_lo, s0
	s_and_saveexec_b32 s0, s4
	s_cbranch_execz .LBB517_128
.LBB517_140:
	s_wait_dscnt 0x8
	global_store_b16 v[0:1], v11, off offset:1536
	s_wait_alu 0xfffe
	s_or_b32 exec_lo, exec_lo, s0
	s_and_saveexec_b32 s0, s5
	s_cbranch_execz .LBB517_129
.LBB517_141:
	s_wait_dscnt 0x7
	global_store_b16 v[0:1], v10, off offset:2048
	s_wait_alu 0xfffe
	s_or_b32 exec_lo, exec_lo, s0
	s_and_saveexec_b32 s0, s6
	s_cbranch_execz .LBB517_130
.LBB517_142:
	s_wait_dscnt 0x6
	global_store_b16 v[0:1], v9, off offset:2560
	s_wait_alu 0xfffe
	s_or_b32 exec_lo, exec_lo, s0
	s_and_saveexec_b32 s0, s7
	s_cbranch_execz .LBB517_131
.LBB517_143:
	s_wait_dscnt 0x5
	global_store_b16 v[0:1], v8, off offset:3072
	s_wait_alu 0xfffe
	s_or_b32 exec_lo, exec_lo, s0
	s_and_saveexec_b32 s0, s8
	s_cbranch_execz .LBB517_132
.LBB517_144:
	s_wait_dscnt 0x4
	global_store_b16 v[0:1], v6, off offset:3584
	s_wait_alu 0xfffe
	s_or_b32 exec_lo, exec_lo, s0
	s_and_saveexec_b32 s0, s9
	s_cbranch_execz .LBB517_133
.LBB517_145:
	s_wait_dscnt 0x3
	global_store_b16 v[0:1], v5, off offset:4096
	s_wait_alu 0xfffe
	s_or_b32 exec_lo, exec_lo, s0
	s_and_saveexec_b32 s0, s10
	s_cbranch_execz .LBB517_134
.LBB517_146:
	s_wait_dscnt 0x2
	global_store_b16 v[0:1], v4, off offset:4608
	s_wait_alu 0xfffe
	s_or_b32 exec_lo, exec_lo, s0
	s_and_saveexec_b32 s0, s11
	s_cbranch_execz .LBB517_135
.LBB517_147:
	s_wait_dscnt 0x1
	global_store_b16 v[0:1], v3, off offset:5120
	s_wait_alu 0xfffe
	s_or_b32 exec_lo, exec_lo, s0
	s_and_saveexec_b32 s0, s12
	s_cbranch_execz .LBB517_136
.LBB517_148:
	s_wait_dscnt 0x0
	global_store_b16 v[0:1], v2, off offset:5632
	s_endpgm
	.section	.rodata,"a",@progbits
	.p2align	6, 0x0
	.amdhsa_kernel _ZN7rocprim17ROCPRIM_400000_NS6detail17trampoline_kernelINS0_14default_configENS1_20scan_config_selectorIN3c108BFloat16EEEZZNS1_9scan_implILNS1_25lookback_scan_determinismE0ELb0ELb0ES3_PKS6_PS6_S6_ZZZN2at6native31launch_logcumsumexp_cuda_kernelERKNSD_10TensorBaseESH_lENKUlvE_clEvENKUlvE4_clEvEUlS6_S6_E_S6_EEDaPvRmT3_T4_T5_mT6_P12ihipStream_tbENKUlT_T0_E_clISt17integral_constantIbLb0EESX_IbLb1EEEEDaST_SU_EUlST_E0_NS1_11comp_targetILNS1_3genE10ELNS1_11target_archE1201ELNS1_3gpuE5ELNS1_3repE0EEENS1_30default_config_static_selectorELNS0_4arch9wavefront6targetE0EEEvT1_
		.amdhsa_group_segment_fixed_size 6144
		.amdhsa_private_segment_fixed_size 0
		.amdhsa_kernarg_size 32
		.amdhsa_user_sgpr_count 2
		.amdhsa_user_sgpr_dispatch_ptr 0
		.amdhsa_user_sgpr_queue_ptr 0
		.amdhsa_user_sgpr_kernarg_segment_ptr 1
		.amdhsa_user_sgpr_dispatch_id 0
		.amdhsa_user_sgpr_private_segment_size 0
		.amdhsa_wavefront_size32 1
		.amdhsa_uses_dynamic_stack 0
		.amdhsa_enable_private_segment 0
		.amdhsa_system_sgpr_workgroup_id_x 1
		.amdhsa_system_sgpr_workgroup_id_y 0
		.amdhsa_system_sgpr_workgroup_id_z 0
		.amdhsa_system_sgpr_workgroup_info 0
		.amdhsa_system_vgpr_workitem_id 0
		.amdhsa_next_free_vgpr 49
		.amdhsa_next_free_sgpr 30
		.amdhsa_reserve_vcc 1
		.amdhsa_float_round_mode_32 0
		.amdhsa_float_round_mode_16_64 0
		.amdhsa_float_denorm_mode_32 3
		.amdhsa_float_denorm_mode_16_64 3
		.amdhsa_fp16_overflow 0
		.amdhsa_workgroup_processor_mode 1
		.amdhsa_memory_ordered 1
		.amdhsa_forward_progress 1
		.amdhsa_inst_pref_size 255
		.amdhsa_round_robin_scheduling 0
		.amdhsa_exception_fp_ieee_invalid_op 0
		.amdhsa_exception_fp_denorm_src 0
		.amdhsa_exception_fp_ieee_div_zero 0
		.amdhsa_exception_fp_ieee_overflow 0
		.amdhsa_exception_fp_ieee_underflow 0
		.amdhsa_exception_fp_ieee_inexact 0
		.amdhsa_exception_int_div_zero 0
	.end_amdhsa_kernel
	.section	.text._ZN7rocprim17ROCPRIM_400000_NS6detail17trampoline_kernelINS0_14default_configENS1_20scan_config_selectorIN3c108BFloat16EEEZZNS1_9scan_implILNS1_25lookback_scan_determinismE0ELb0ELb0ES3_PKS6_PS6_S6_ZZZN2at6native31launch_logcumsumexp_cuda_kernelERKNSD_10TensorBaseESH_lENKUlvE_clEvENKUlvE4_clEvEUlS6_S6_E_S6_EEDaPvRmT3_T4_T5_mT6_P12ihipStream_tbENKUlT_T0_E_clISt17integral_constantIbLb0EESX_IbLb1EEEEDaST_SU_EUlST_E0_NS1_11comp_targetILNS1_3genE10ELNS1_11target_archE1201ELNS1_3gpuE5ELNS1_3repE0EEENS1_30default_config_static_selectorELNS0_4arch9wavefront6targetE0EEEvT1_,"axG",@progbits,_ZN7rocprim17ROCPRIM_400000_NS6detail17trampoline_kernelINS0_14default_configENS1_20scan_config_selectorIN3c108BFloat16EEEZZNS1_9scan_implILNS1_25lookback_scan_determinismE0ELb0ELb0ES3_PKS6_PS6_S6_ZZZN2at6native31launch_logcumsumexp_cuda_kernelERKNSD_10TensorBaseESH_lENKUlvE_clEvENKUlvE4_clEvEUlS6_S6_E_S6_EEDaPvRmT3_T4_T5_mT6_P12ihipStream_tbENKUlT_T0_E_clISt17integral_constantIbLb0EESX_IbLb1EEEEDaST_SU_EUlST_E0_NS1_11comp_targetILNS1_3genE10ELNS1_11target_archE1201ELNS1_3gpuE5ELNS1_3repE0EEENS1_30default_config_static_selectorELNS0_4arch9wavefront6targetE0EEEvT1_,comdat
.Lfunc_end517:
	.size	_ZN7rocprim17ROCPRIM_400000_NS6detail17trampoline_kernelINS0_14default_configENS1_20scan_config_selectorIN3c108BFloat16EEEZZNS1_9scan_implILNS1_25lookback_scan_determinismE0ELb0ELb0ES3_PKS6_PS6_S6_ZZZN2at6native31launch_logcumsumexp_cuda_kernelERKNSD_10TensorBaseESH_lENKUlvE_clEvENKUlvE4_clEvEUlS6_S6_E_S6_EEDaPvRmT3_T4_T5_mT6_P12ihipStream_tbENKUlT_T0_E_clISt17integral_constantIbLb0EESX_IbLb1EEEEDaST_SU_EUlST_E0_NS1_11comp_targetILNS1_3genE10ELNS1_11target_archE1201ELNS1_3gpuE5ELNS1_3repE0EEENS1_30default_config_static_selectorELNS0_4arch9wavefront6targetE0EEEvT1_, .Lfunc_end517-_ZN7rocprim17ROCPRIM_400000_NS6detail17trampoline_kernelINS0_14default_configENS1_20scan_config_selectorIN3c108BFloat16EEEZZNS1_9scan_implILNS1_25lookback_scan_determinismE0ELb0ELb0ES3_PKS6_PS6_S6_ZZZN2at6native31launch_logcumsumexp_cuda_kernelERKNSD_10TensorBaseESH_lENKUlvE_clEvENKUlvE4_clEvEUlS6_S6_E_S6_EEDaPvRmT3_T4_T5_mT6_P12ihipStream_tbENKUlT_T0_E_clISt17integral_constantIbLb0EESX_IbLb1EEEEDaST_SU_EUlST_E0_NS1_11comp_targetILNS1_3genE10ELNS1_11target_archE1201ELNS1_3gpuE5ELNS1_3repE0EEENS1_30default_config_static_selectorELNS0_4arch9wavefront6targetE0EEEvT1_
                                        ; -- End function
	.set _ZN7rocprim17ROCPRIM_400000_NS6detail17trampoline_kernelINS0_14default_configENS1_20scan_config_selectorIN3c108BFloat16EEEZZNS1_9scan_implILNS1_25lookback_scan_determinismE0ELb0ELb0ES3_PKS6_PS6_S6_ZZZN2at6native31launch_logcumsumexp_cuda_kernelERKNSD_10TensorBaseESH_lENKUlvE_clEvENKUlvE4_clEvEUlS6_S6_E_S6_EEDaPvRmT3_T4_T5_mT6_P12ihipStream_tbENKUlT_T0_E_clISt17integral_constantIbLb0EESX_IbLb1EEEEDaST_SU_EUlST_E0_NS1_11comp_targetILNS1_3genE10ELNS1_11target_archE1201ELNS1_3gpuE5ELNS1_3repE0EEENS1_30default_config_static_selectorELNS0_4arch9wavefront6targetE0EEEvT1_.num_vgpr, 49
	.set _ZN7rocprim17ROCPRIM_400000_NS6detail17trampoline_kernelINS0_14default_configENS1_20scan_config_selectorIN3c108BFloat16EEEZZNS1_9scan_implILNS1_25lookback_scan_determinismE0ELb0ELb0ES3_PKS6_PS6_S6_ZZZN2at6native31launch_logcumsumexp_cuda_kernelERKNSD_10TensorBaseESH_lENKUlvE_clEvENKUlvE4_clEvEUlS6_S6_E_S6_EEDaPvRmT3_T4_T5_mT6_P12ihipStream_tbENKUlT_T0_E_clISt17integral_constantIbLb0EESX_IbLb1EEEEDaST_SU_EUlST_E0_NS1_11comp_targetILNS1_3genE10ELNS1_11target_archE1201ELNS1_3gpuE5ELNS1_3repE0EEENS1_30default_config_static_selectorELNS0_4arch9wavefront6targetE0EEEvT1_.num_agpr, 0
	.set _ZN7rocprim17ROCPRIM_400000_NS6detail17trampoline_kernelINS0_14default_configENS1_20scan_config_selectorIN3c108BFloat16EEEZZNS1_9scan_implILNS1_25lookback_scan_determinismE0ELb0ELb0ES3_PKS6_PS6_S6_ZZZN2at6native31launch_logcumsumexp_cuda_kernelERKNSD_10TensorBaseESH_lENKUlvE_clEvENKUlvE4_clEvEUlS6_S6_E_S6_EEDaPvRmT3_T4_T5_mT6_P12ihipStream_tbENKUlT_T0_E_clISt17integral_constantIbLb0EESX_IbLb1EEEEDaST_SU_EUlST_E0_NS1_11comp_targetILNS1_3genE10ELNS1_11target_archE1201ELNS1_3gpuE5ELNS1_3repE0EEENS1_30default_config_static_selectorELNS0_4arch9wavefront6targetE0EEEvT1_.numbered_sgpr, 30
	.set _ZN7rocprim17ROCPRIM_400000_NS6detail17trampoline_kernelINS0_14default_configENS1_20scan_config_selectorIN3c108BFloat16EEEZZNS1_9scan_implILNS1_25lookback_scan_determinismE0ELb0ELb0ES3_PKS6_PS6_S6_ZZZN2at6native31launch_logcumsumexp_cuda_kernelERKNSD_10TensorBaseESH_lENKUlvE_clEvENKUlvE4_clEvEUlS6_S6_E_S6_EEDaPvRmT3_T4_T5_mT6_P12ihipStream_tbENKUlT_T0_E_clISt17integral_constantIbLb0EESX_IbLb1EEEEDaST_SU_EUlST_E0_NS1_11comp_targetILNS1_3genE10ELNS1_11target_archE1201ELNS1_3gpuE5ELNS1_3repE0EEENS1_30default_config_static_selectorELNS0_4arch9wavefront6targetE0EEEvT1_.num_named_barrier, 0
	.set _ZN7rocprim17ROCPRIM_400000_NS6detail17trampoline_kernelINS0_14default_configENS1_20scan_config_selectorIN3c108BFloat16EEEZZNS1_9scan_implILNS1_25lookback_scan_determinismE0ELb0ELb0ES3_PKS6_PS6_S6_ZZZN2at6native31launch_logcumsumexp_cuda_kernelERKNSD_10TensorBaseESH_lENKUlvE_clEvENKUlvE4_clEvEUlS6_S6_E_S6_EEDaPvRmT3_T4_T5_mT6_P12ihipStream_tbENKUlT_T0_E_clISt17integral_constantIbLb0EESX_IbLb1EEEEDaST_SU_EUlST_E0_NS1_11comp_targetILNS1_3genE10ELNS1_11target_archE1201ELNS1_3gpuE5ELNS1_3repE0EEENS1_30default_config_static_selectorELNS0_4arch9wavefront6targetE0EEEvT1_.private_seg_size, 0
	.set _ZN7rocprim17ROCPRIM_400000_NS6detail17trampoline_kernelINS0_14default_configENS1_20scan_config_selectorIN3c108BFloat16EEEZZNS1_9scan_implILNS1_25lookback_scan_determinismE0ELb0ELb0ES3_PKS6_PS6_S6_ZZZN2at6native31launch_logcumsumexp_cuda_kernelERKNSD_10TensorBaseESH_lENKUlvE_clEvENKUlvE4_clEvEUlS6_S6_E_S6_EEDaPvRmT3_T4_T5_mT6_P12ihipStream_tbENKUlT_T0_E_clISt17integral_constantIbLb0EESX_IbLb1EEEEDaST_SU_EUlST_E0_NS1_11comp_targetILNS1_3genE10ELNS1_11target_archE1201ELNS1_3gpuE5ELNS1_3repE0EEENS1_30default_config_static_selectorELNS0_4arch9wavefront6targetE0EEEvT1_.uses_vcc, 1
	.set _ZN7rocprim17ROCPRIM_400000_NS6detail17trampoline_kernelINS0_14default_configENS1_20scan_config_selectorIN3c108BFloat16EEEZZNS1_9scan_implILNS1_25lookback_scan_determinismE0ELb0ELb0ES3_PKS6_PS6_S6_ZZZN2at6native31launch_logcumsumexp_cuda_kernelERKNSD_10TensorBaseESH_lENKUlvE_clEvENKUlvE4_clEvEUlS6_S6_E_S6_EEDaPvRmT3_T4_T5_mT6_P12ihipStream_tbENKUlT_T0_E_clISt17integral_constantIbLb0EESX_IbLb1EEEEDaST_SU_EUlST_E0_NS1_11comp_targetILNS1_3genE10ELNS1_11target_archE1201ELNS1_3gpuE5ELNS1_3repE0EEENS1_30default_config_static_selectorELNS0_4arch9wavefront6targetE0EEEvT1_.uses_flat_scratch, 0
	.set _ZN7rocprim17ROCPRIM_400000_NS6detail17trampoline_kernelINS0_14default_configENS1_20scan_config_selectorIN3c108BFloat16EEEZZNS1_9scan_implILNS1_25lookback_scan_determinismE0ELb0ELb0ES3_PKS6_PS6_S6_ZZZN2at6native31launch_logcumsumexp_cuda_kernelERKNSD_10TensorBaseESH_lENKUlvE_clEvENKUlvE4_clEvEUlS6_S6_E_S6_EEDaPvRmT3_T4_T5_mT6_P12ihipStream_tbENKUlT_T0_E_clISt17integral_constantIbLb0EESX_IbLb1EEEEDaST_SU_EUlST_E0_NS1_11comp_targetILNS1_3genE10ELNS1_11target_archE1201ELNS1_3gpuE5ELNS1_3repE0EEENS1_30default_config_static_selectorELNS0_4arch9wavefront6targetE0EEEvT1_.has_dyn_sized_stack, 0
	.set _ZN7rocprim17ROCPRIM_400000_NS6detail17trampoline_kernelINS0_14default_configENS1_20scan_config_selectorIN3c108BFloat16EEEZZNS1_9scan_implILNS1_25lookback_scan_determinismE0ELb0ELb0ES3_PKS6_PS6_S6_ZZZN2at6native31launch_logcumsumexp_cuda_kernelERKNSD_10TensorBaseESH_lENKUlvE_clEvENKUlvE4_clEvEUlS6_S6_E_S6_EEDaPvRmT3_T4_T5_mT6_P12ihipStream_tbENKUlT_T0_E_clISt17integral_constantIbLb0EESX_IbLb1EEEEDaST_SU_EUlST_E0_NS1_11comp_targetILNS1_3genE10ELNS1_11target_archE1201ELNS1_3gpuE5ELNS1_3repE0EEENS1_30default_config_static_selectorELNS0_4arch9wavefront6targetE0EEEvT1_.has_recursion, 0
	.set _ZN7rocprim17ROCPRIM_400000_NS6detail17trampoline_kernelINS0_14default_configENS1_20scan_config_selectorIN3c108BFloat16EEEZZNS1_9scan_implILNS1_25lookback_scan_determinismE0ELb0ELb0ES3_PKS6_PS6_S6_ZZZN2at6native31launch_logcumsumexp_cuda_kernelERKNSD_10TensorBaseESH_lENKUlvE_clEvENKUlvE4_clEvEUlS6_S6_E_S6_EEDaPvRmT3_T4_T5_mT6_P12ihipStream_tbENKUlT_T0_E_clISt17integral_constantIbLb0EESX_IbLb1EEEEDaST_SU_EUlST_E0_NS1_11comp_targetILNS1_3genE10ELNS1_11target_archE1201ELNS1_3gpuE5ELNS1_3repE0EEENS1_30default_config_static_selectorELNS0_4arch9wavefront6targetE0EEEvT1_.has_indirect_call, 0
	.section	.AMDGPU.csdata,"",@progbits
; Kernel info:
; codeLenInByte = 46580
; TotalNumSgprs: 32
; NumVgprs: 49
; ScratchSize: 0
; MemoryBound: 0
; FloatMode: 240
; IeeeMode: 1
; LDSByteSize: 6144 bytes/workgroup (compile time only)
; SGPRBlocks: 0
; VGPRBlocks: 6
; NumSGPRsForWavesPerEU: 32
; NumVGPRsForWavesPerEU: 49
; Occupancy: 16
; WaveLimiterHint : 0
; COMPUTE_PGM_RSRC2:SCRATCH_EN: 0
; COMPUTE_PGM_RSRC2:USER_SGPR: 2
; COMPUTE_PGM_RSRC2:TRAP_HANDLER: 0
; COMPUTE_PGM_RSRC2:TGID_X_EN: 1
; COMPUTE_PGM_RSRC2:TGID_Y_EN: 0
; COMPUTE_PGM_RSRC2:TGID_Z_EN: 0
; COMPUTE_PGM_RSRC2:TIDIG_COMP_CNT: 0
	.section	.text._ZN7rocprim17ROCPRIM_400000_NS6detail17trampoline_kernelINS0_14default_configENS1_20scan_config_selectorIN3c108BFloat16EEEZZNS1_9scan_implILNS1_25lookback_scan_determinismE0ELb0ELb0ES3_PKS6_PS6_S6_ZZZN2at6native31launch_logcumsumexp_cuda_kernelERKNSD_10TensorBaseESH_lENKUlvE_clEvENKUlvE4_clEvEUlS6_S6_E_S6_EEDaPvRmT3_T4_T5_mT6_P12ihipStream_tbENKUlT_T0_E_clISt17integral_constantIbLb0EESX_IbLb1EEEEDaST_SU_EUlST_E0_NS1_11comp_targetILNS1_3genE10ELNS1_11target_archE1200ELNS1_3gpuE4ELNS1_3repE0EEENS1_30default_config_static_selectorELNS0_4arch9wavefront6targetE0EEEvT1_,"axG",@progbits,_ZN7rocprim17ROCPRIM_400000_NS6detail17trampoline_kernelINS0_14default_configENS1_20scan_config_selectorIN3c108BFloat16EEEZZNS1_9scan_implILNS1_25lookback_scan_determinismE0ELb0ELb0ES3_PKS6_PS6_S6_ZZZN2at6native31launch_logcumsumexp_cuda_kernelERKNSD_10TensorBaseESH_lENKUlvE_clEvENKUlvE4_clEvEUlS6_S6_E_S6_EEDaPvRmT3_T4_T5_mT6_P12ihipStream_tbENKUlT_T0_E_clISt17integral_constantIbLb0EESX_IbLb1EEEEDaST_SU_EUlST_E0_NS1_11comp_targetILNS1_3genE10ELNS1_11target_archE1200ELNS1_3gpuE4ELNS1_3repE0EEENS1_30default_config_static_selectorELNS0_4arch9wavefront6targetE0EEEvT1_,comdat
	.globl	_ZN7rocprim17ROCPRIM_400000_NS6detail17trampoline_kernelINS0_14default_configENS1_20scan_config_selectorIN3c108BFloat16EEEZZNS1_9scan_implILNS1_25lookback_scan_determinismE0ELb0ELb0ES3_PKS6_PS6_S6_ZZZN2at6native31launch_logcumsumexp_cuda_kernelERKNSD_10TensorBaseESH_lENKUlvE_clEvENKUlvE4_clEvEUlS6_S6_E_S6_EEDaPvRmT3_T4_T5_mT6_P12ihipStream_tbENKUlT_T0_E_clISt17integral_constantIbLb0EESX_IbLb1EEEEDaST_SU_EUlST_E0_NS1_11comp_targetILNS1_3genE10ELNS1_11target_archE1200ELNS1_3gpuE4ELNS1_3repE0EEENS1_30default_config_static_selectorELNS0_4arch9wavefront6targetE0EEEvT1_ ; -- Begin function _ZN7rocprim17ROCPRIM_400000_NS6detail17trampoline_kernelINS0_14default_configENS1_20scan_config_selectorIN3c108BFloat16EEEZZNS1_9scan_implILNS1_25lookback_scan_determinismE0ELb0ELb0ES3_PKS6_PS6_S6_ZZZN2at6native31launch_logcumsumexp_cuda_kernelERKNSD_10TensorBaseESH_lENKUlvE_clEvENKUlvE4_clEvEUlS6_S6_E_S6_EEDaPvRmT3_T4_T5_mT6_P12ihipStream_tbENKUlT_T0_E_clISt17integral_constantIbLb0EESX_IbLb1EEEEDaST_SU_EUlST_E0_NS1_11comp_targetILNS1_3genE10ELNS1_11target_archE1200ELNS1_3gpuE4ELNS1_3repE0EEENS1_30default_config_static_selectorELNS0_4arch9wavefront6targetE0EEEvT1_
	.p2align	8
	.type	_ZN7rocprim17ROCPRIM_400000_NS6detail17trampoline_kernelINS0_14default_configENS1_20scan_config_selectorIN3c108BFloat16EEEZZNS1_9scan_implILNS1_25lookback_scan_determinismE0ELb0ELb0ES3_PKS6_PS6_S6_ZZZN2at6native31launch_logcumsumexp_cuda_kernelERKNSD_10TensorBaseESH_lENKUlvE_clEvENKUlvE4_clEvEUlS6_S6_E_S6_EEDaPvRmT3_T4_T5_mT6_P12ihipStream_tbENKUlT_T0_E_clISt17integral_constantIbLb0EESX_IbLb1EEEEDaST_SU_EUlST_E0_NS1_11comp_targetILNS1_3genE10ELNS1_11target_archE1200ELNS1_3gpuE4ELNS1_3repE0EEENS1_30default_config_static_selectorELNS0_4arch9wavefront6targetE0EEEvT1_,@function
_ZN7rocprim17ROCPRIM_400000_NS6detail17trampoline_kernelINS0_14default_configENS1_20scan_config_selectorIN3c108BFloat16EEEZZNS1_9scan_implILNS1_25lookback_scan_determinismE0ELb0ELb0ES3_PKS6_PS6_S6_ZZZN2at6native31launch_logcumsumexp_cuda_kernelERKNSD_10TensorBaseESH_lENKUlvE_clEvENKUlvE4_clEvEUlS6_S6_E_S6_EEDaPvRmT3_T4_T5_mT6_P12ihipStream_tbENKUlT_T0_E_clISt17integral_constantIbLb0EESX_IbLb1EEEEDaST_SU_EUlST_E0_NS1_11comp_targetILNS1_3genE10ELNS1_11target_archE1200ELNS1_3gpuE4ELNS1_3repE0EEENS1_30default_config_static_selectorELNS0_4arch9wavefront6targetE0EEEvT1_: ; @_ZN7rocprim17ROCPRIM_400000_NS6detail17trampoline_kernelINS0_14default_configENS1_20scan_config_selectorIN3c108BFloat16EEEZZNS1_9scan_implILNS1_25lookback_scan_determinismE0ELb0ELb0ES3_PKS6_PS6_S6_ZZZN2at6native31launch_logcumsumexp_cuda_kernelERKNSD_10TensorBaseESH_lENKUlvE_clEvENKUlvE4_clEvEUlS6_S6_E_S6_EEDaPvRmT3_T4_T5_mT6_P12ihipStream_tbENKUlT_T0_E_clISt17integral_constantIbLb0EESX_IbLb1EEEEDaST_SU_EUlST_E0_NS1_11comp_targetILNS1_3genE10ELNS1_11target_archE1200ELNS1_3gpuE4ELNS1_3repE0EEENS1_30default_config_static_selectorELNS0_4arch9wavefront6targetE0EEEvT1_
; %bb.0:
	.section	.rodata,"a",@progbits
	.p2align	6, 0x0
	.amdhsa_kernel _ZN7rocprim17ROCPRIM_400000_NS6detail17trampoline_kernelINS0_14default_configENS1_20scan_config_selectorIN3c108BFloat16EEEZZNS1_9scan_implILNS1_25lookback_scan_determinismE0ELb0ELb0ES3_PKS6_PS6_S6_ZZZN2at6native31launch_logcumsumexp_cuda_kernelERKNSD_10TensorBaseESH_lENKUlvE_clEvENKUlvE4_clEvEUlS6_S6_E_S6_EEDaPvRmT3_T4_T5_mT6_P12ihipStream_tbENKUlT_T0_E_clISt17integral_constantIbLb0EESX_IbLb1EEEEDaST_SU_EUlST_E0_NS1_11comp_targetILNS1_3genE10ELNS1_11target_archE1200ELNS1_3gpuE4ELNS1_3repE0EEENS1_30default_config_static_selectorELNS0_4arch9wavefront6targetE0EEEvT1_
		.amdhsa_group_segment_fixed_size 0
		.amdhsa_private_segment_fixed_size 0
		.amdhsa_kernarg_size 32
		.amdhsa_user_sgpr_count 2
		.amdhsa_user_sgpr_dispatch_ptr 0
		.amdhsa_user_sgpr_queue_ptr 0
		.amdhsa_user_sgpr_kernarg_segment_ptr 1
		.amdhsa_user_sgpr_dispatch_id 0
		.amdhsa_user_sgpr_private_segment_size 0
		.amdhsa_wavefront_size32 1
		.amdhsa_uses_dynamic_stack 0
		.amdhsa_enable_private_segment 0
		.amdhsa_system_sgpr_workgroup_id_x 1
		.amdhsa_system_sgpr_workgroup_id_y 0
		.amdhsa_system_sgpr_workgroup_id_z 0
		.amdhsa_system_sgpr_workgroup_info 0
		.amdhsa_system_vgpr_workitem_id 0
		.amdhsa_next_free_vgpr 1
		.amdhsa_next_free_sgpr 1
		.amdhsa_reserve_vcc 0
		.amdhsa_float_round_mode_32 0
		.amdhsa_float_round_mode_16_64 0
		.amdhsa_float_denorm_mode_32 3
		.amdhsa_float_denorm_mode_16_64 3
		.amdhsa_fp16_overflow 0
		.amdhsa_workgroup_processor_mode 1
		.amdhsa_memory_ordered 1
		.amdhsa_forward_progress 1
		.amdhsa_inst_pref_size 0
		.amdhsa_round_robin_scheduling 0
		.amdhsa_exception_fp_ieee_invalid_op 0
		.amdhsa_exception_fp_denorm_src 0
		.amdhsa_exception_fp_ieee_div_zero 0
		.amdhsa_exception_fp_ieee_overflow 0
		.amdhsa_exception_fp_ieee_underflow 0
		.amdhsa_exception_fp_ieee_inexact 0
		.amdhsa_exception_int_div_zero 0
	.end_amdhsa_kernel
	.section	.text._ZN7rocprim17ROCPRIM_400000_NS6detail17trampoline_kernelINS0_14default_configENS1_20scan_config_selectorIN3c108BFloat16EEEZZNS1_9scan_implILNS1_25lookback_scan_determinismE0ELb0ELb0ES3_PKS6_PS6_S6_ZZZN2at6native31launch_logcumsumexp_cuda_kernelERKNSD_10TensorBaseESH_lENKUlvE_clEvENKUlvE4_clEvEUlS6_S6_E_S6_EEDaPvRmT3_T4_T5_mT6_P12ihipStream_tbENKUlT_T0_E_clISt17integral_constantIbLb0EESX_IbLb1EEEEDaST_SU_EUlST_E0_NS1_11comp_targetILNS1_3genE10ELNS1_11target_archE1200ELNS1_3gpuE4ELNS1_3repE0EEENS1_30default_config_static_selectorELNS0_4arch9wavefront6targetE0EEEvT1_,"axG",@progbits,_ZN7rocprim17ROCPRIM_400000_NS6detail17trampoline_kernelINS0_14default_configENS1_20scan_config_selectorIN3c108BFloat16EEEZZNS1_9scan_implILNS1_25lookback_scan_determinismE0ELb0ELb0ES3_PKS6_PS6_S6_ZZZN2at6native31launch_logcumsumexp_cuda_kernelERKNSD_10TensorBaseESH_lENKUlvE_clEvENKUlvE4_clEvEUlS6_S6_E_S6_EEDaPvRmT3_T4_T5_mT6_P12ihipStream_tbENKUlT_T0_E_clISt17integral_constantIbLb0EESX_IbLb1EEEEDaST_SU_EUlST_E0_NS1_11comp_targetILNS1_3genE10ELNS1_11target_archE1200ELNS1_3gpuE4ELNS1_3repE0EEENS1_30default_config_static_selectorELNS0_4arch9wavefront6targetE0EEEvT1_,comdat
.Lfunc_end518:
	.size	_ZN7rocprim17ROCPRIM_400000_NS6detail17trampoline_kernelINS0_14default_configENS1_20scan_config_selectorIN3c108BFloat16EEEZZNS1_9scan_implILNS1_25lookback_scan_determinismE0ELb0ELb0ES3_PKS6_PS6_S6_ZZZN2at6native31launch_logcumsumexp_cuda_kernelERKNSD_10TensorBaseESH_lENKUlvE_clEvENKUlvE4_clEvEUlS6_S6_E_S6_EEDaPvRmT3_T4_T5_mT6_P12ihipStream_tbENKUlT_T0_E_clISt17integral_constantIbLb0EESX_IbLb1EEEEDaST_SU_EUlST_E0_NS1_11comp_targetILNS1_3genE10ELNS1_11target_archE1200ELNS1_3gpuE4ELNS1_3repE0EEENS1_30default_config_static_selectorELNS0_4arch9wavefront6targetE0EEEvT1_, .Lfunc_end518-_ZN7rocprim17ROCPRIM_400000_NS6detail17trampoline_kernelINS0_14default_configENS1_20scan_config_selectorIN3c108BFloat16EEEZZNS1_9scan_implILNS1_25lookback_scan_determinismE0ELb0ELb0ES3_PKS6_PS6_S6_ZZZN2at6native31launch_logcumsumexp_cuda_kernelERKNSD_10TensorBaseESH_lENKUlvE_clEvENKUlvE4_clEvEUlS6_S6_E_S6_EEDaPvRmT3_T4_T5_mT6_P12ihipStream_tbENKUlT_T0_E_clISt17integral_constantIbLb0EESX_IbLb1EEEEDaST_SU_EUlST_E0_NS1_11comp_targetILNS1_3genE10ELNS1_11target_archE1200ELNS1_3gpuE4ELNS1_3repE0EEENS1_30default_config_static_selectorELNS0_4arch9wavefront6targetE0EEEvT1_
                                        ; -- End function
	.set _ZN7rocprim17ROCPRIM_400000_NS6detail17trampoline_kernelINS0_14default_configENS1_20scan_config_selectorIN3c108BFloat16EEEZZNS1_9scan_implILNS1_25lookback_scan_determinismE0ELb0ELb0ES3_PKS6_PS6_S6_ZZZN2at6native31launch_logcumsumexp_cuda_kernelERKNSD_10TensorBaseESH_lENKUlvE_clEvENKUlvE4_clEvEUlS6_S6_E_S6_EEDaPvRmT3_T4_T5_mT6_P12ihipStream_tbENKUlT_T0_E_clISt17integral_constantIbLb0EESX_IbLb1EEEEDaST_SU_EUlST_E0_NS1_11comp_targetILNS1_3genE10ELNS1_11target_archE1200ELNS1_3gpuE4ELNS1_3repE0EEENS1_30default_config_static_selectorELNS0_4arch9wavefront6targetE0EEEvT1_.num_vgpr, 0
	.set _ZN7rocprim17ROCPRIM_400000_NS6detail17trampoline_kernelINS0_14default_configENS1_20scan_config_selectorIN3c108BFloat16EEEZZNS1_9scan_implILNS1_25lookback_scan_determinismE0ELb0ELb0ES3_PKS6_PS6_S6_ZZZN2at6native31launch_logcumsumexp_cuda_kernelERKNSD_10TensorBaseESH_lENKUlvE_clEvENKUlvE4_clEvEUlS6_S6_E_S6_EEDaPvRmT3_T4_T5_mT6_P12ihipStream_tbENKUlT_T0_E_clISt17integral_constantIbLb0EESX_IbLb1EEEEDaST_SU_EUlST_E0_NS1_11comp_targetILNS1_3genE10ELNS1_11target_archE1200ELNS1_3gpuE4ELNS1_3repE0EEENS1_30default_config_static_selectorELNS0_4arch9wavefront6targetE0EEEvT1_.num_agpr, 0
	.set _ZN7rocprim17ROCPRIM_400000_NS6detail17trampoline_kernelINS0_14default_configENS1_20scan_config_selectorIN3c108BFloat16EEEZZNS1_9scan_implILNS1_25lookback_scan_determinismE0ELb0ELb0ES3_PKS6_PS6_S6_ZZZN2at6native31launch_logcumsumexp_cuda_kernelERKNSD_10TensorBaseESH_lENKUlvE_clEvENKUlvE4_clEvEUlS6_S6_E_S6_EEDaPvRmT3_T4_T5_mT6_P12ihipStream_tbENKUlT_T0_E_clISt17integral_constantIbLb0EESX_IbLb1EEEEDaST_SU_EUlST_E0_NS1_11comp_targetILNS1_3genE10ELNS1_11target_archE1200ELNS1_3gpuE4ELNS1_3repE0EEENS1_30default_config_static_selectorELNS0_4arch9wavefront6targetE0EEEvT1_.numbered_sgpr, 0
	.set _ZN7rocprim17ROCPRIM_400000_NS6detail17trampoline_kernelINS0_14default_configENS1_20scan_config_selectorIN3c108BFloat16EEEZZNS1_9scan_implILNS1_25lookback_scan_determinismE0ELb0ELb0ES3_PKS6_PS6_S6_ZZZN2at6native31launch_logcumsumexp_cuda_kernelERKNSD_10TensorBaseESH_lENKUlvE_clEvENKUlvE4_clEvEUlS6_S6_E_S6_EEDaPvRmT3_T4_T5_mT6_P12ihipStream_tbENKUlT_T0_E_clISt17integral_constantIbLb0EESX_IbLb1EEEEDaST_SU_EUlST_E0_NS1_11comp_targetILNS1_3genE10ELNS1_11target_archE1200ELNS1_3gpuE4ELNS1_3repE0EEENS1_30default_config_static_selectorELNS0_4arch9wavefront6targetE0EEEvT1_.num_named_barrier, 0
	.set _ZN7rocprim17ROCPRIM_400000_NS6detail17trampoline_kernelINS0_14default_configENS1_20scan_config_selectorIN3c108BFloat16EEEZZNS1_9scan_implILNS1_25lookback_scan_determinismE0ELb0ELb0ES3_PKS6_PS6_S6_ZZZN2at6native31launch_logcumsumexp_cuda_kernelERKNSD_10TensorBaseESH_lENKUlvE_clEvENKUlvE4_clEvEUlS6_S6_E_S6_EEDaPvRmT3_T4_T5_mT6_P12ihipStream_tbENKUlT_T0_E_clISt17integral_constantIbLb0EESX_IbLb1EEEEDaST_SU_EUlST_E0_NS1_11comp_targetILNS1_3genE10ELNS1_11target_archE1200ELNS1_3gpuE4ELNS1_3repE0EEENS1_30default_config_static_selectorELNS0_4arch9wavefront6targetE0EEEvT1_.private_seg_size, 0
	.set _ZN7rocprim17ROCPRIM_400000_NS6detail17trampoline_kernelINS0_14default_configENS1_20scan_config_selectorIN3c108BFloat16EEEZZNS1_9scan_implILNS1_25lookback_scan_determinismE0ELb0ELb0ES3_PKS6_PS6_S6_ZZZN2at6native31launch_logcumsumexp_cuda_kernelERKNSD_10TensorBaseESH_lENKUlvE_clEvENKUlvE4_clEvEUlS6_S6_E_S6_EEDaPvRmT3_T4_T5_mT6_P12ihipStream_tbENKUlT_T0_E_clISt17integral_constantIbLb0EESX_IbLb1EEEEDaST_SU_EUlST_E0_NS1_11comp_targetILNS1_3genE10ELNS1_11target_archE1200ELNS1_3gpuE4ELNS1_3repE0EEENS1_30default_config_static_selectorELNS0_4arch9wavefront6targetE0EEEvT1_.uses_vcc, 0
	.set _ZN7rocprim17ROCPRIM_400000_NS6detail17trampoline_kernelINS0_14default_configENS1_20scan_config_selectorIN3c108BFloat16EEEZZNS1_9scan_implILNS1_25lookback_scan_determinismE0ELb0ELb0ES3_PKS6_PS6_S6_ZZZN2at6native31launch_logcumsumexp_cuda_kernelERKNSD_10TensorBaseESH_lENKUlvE_clEvENKUlvE4_clEvEUlS6_S6_E_S6_EEDaPvRmT3_T4_T5_mT6_P12ihipStream_tbENKUlT_T0_E_clISt17integral_constantIbLb0EESX_IbLb1EEEEDaST_SU_EUlST_E0_NS1_11comp_targetILNS1_3genE10ELNS1_11target_archE1200ELNS1_3gpuE4ELNS1_3repE0EEENS1_30default_config_static_selectorELNS0_4arch9wavefront6targetE0EEEvT1_.uses_flat_scratch, 0
	.set _ZN7rocprim17ROCPRIM_400000_NS6detail17trampoline_kernelINS0_14default_configENS1_20scan_config_selectorIN3c108BFloat16EEEZZNS1_9scan_implILNS1_25lookback_scan_determinismE0ELb0ELb0ES3_PKS6_PS6_S6_ZZZN2at6native31launch_logcumsumexp_cuda_kernelERKNSD_10TensorBaseESH_lENKUlvE_clEvENKUlvE4_clEvEUlS6_S6_E_S6_EEDaPvRmT3_T4_T5_mT6_P12ihipStream_tbENKUlT_T0_E_clISt17integral_constantIbLb0EESX_IbLb1EEEEDaST_SU_EUlST_E0_NS1_11comp_targetILNS1_3genE10ELNS1_11target_archE1200ELNS1_3gpuE4ELNS1_3repE0EEENS1_30default_config_static_selectorELNS0_4arch9wavefront6targetE0EEEvT1_.has_dyn_sized_stack, 0
	.set _ZN7rocprim17ROCPRIM_400000_NS6detail17trampoline_kernelINS0_14default_configENS1_20scan_config_selectorIN3c108BFloat16EEEZZNS1_9scan_implILNS1_25lookback_scan_determinismE0ELb0ELb0ES3_PKS6_PS6_S6_ZZZN2at6native31launch_logcumsumexp_cuda_kernelERKNSD_10TensorBaseESH_lENKUlvE_clEvENKUlvE4_clEvEUlS6_S6_E_S6_EEDaPvRmT3_T4_T5_mT6_P12ihipStream_tbENKUlT_T0_E_clISt17integral_constantIbLb0EESX_IbLb1EEEEDaST_SU_EUlST_E0_NS1_11comp_targetILNS1_3genE10ELNS1_11target_archE1200ELNS1_3gpuE4ELNS1_3repE0EEENS1_30default_config_static_selectorELNS0_4arch9wavefront6targetE0EEEvT1_.has_recursion, 0
	.set _ZN7rocprim17ROCPRIM_400000_NS6detail17trampoline_kernelINS0_14default_configENS1_20scan_config_selectorIN3c108BFloat16EEEZZNS1_9scan_implILNS1_25lookback_scan_determinismE0ELb0ELb0ES3_PKS6_PS6_S6_ZZZN2at6native31launch_logcumsumexp_cuda_kernelERKNSD_10TensorBaseESH_lENKUlvE_clEvENKUlvE4_clEvEUlS6_S6_E_S6_EEDaPvRmT3_T4_T5_mT6_P12ihipStream_tbENKUlT_T0_E_clISt17integral_constantIbLb0EESX_IbLb1EEEEDaST_SU_EUlST_E0_NS1_11comp_targetILNS1_3genE10ELNS1_11target_archE1200ELNS1_3gpuE4ELNS1_3repE0EEENS1_30default_config_static_selectorELNS0_4arch9wavefront6targetE0EEEvT1_.has_indirect_call, 0
	.section	.AMDGPU.csdata,"",@progbits
; Kernel info:
; codeLenInByte = 0
; TotalNumSgprs: 0
; NumVgprs: 0
; ScratchSize: 0
; MemoryBound: 0
; FloatMode: 240
; IeeeMode: 1
; LDSByteSize: 0 bytes/workgroup (compile time only)
; SGPRBlocks: 0
; VGPRBlocks: 0
; NumSGPRsForWavesPerEU: 1
; NumVGPRsForWavesPerEU: 1
; Occupancy: 16
; WaveLimiterHint : 0
; COMPUTE_PGM_RSRC2:SCRATCH_EN: 0
; COMPUTE_PGM_RSRC2:USER_SGPR: 2
; COMPUTE_PGM_RSRC2:TRAP_HANDLER: 0
; COMPUTE_PGM_RSRC2:TGID_X_EN: 1
; COMPUTE_PGM_RSRC2:TGID_Y_EN: 0
; COMPUTE_PGM_RSRC2:TGID_Z_EN: 0
; COMPUTE_PGM_RSRC2:TIDIG_COMP_CNT: 0
	.section	.text._ZN7rocprim17ROCPRIM_400000_NS6detail17trampoline_kernelINS0_14default_configENS1_20scan_config_selectorIN3c108BFloat16EEEZZNS1_9scan_implILNS1_25lookback_scan_determinismE0ELb0ELb0ES3_PKS6_PS6_S6_ZZZN2at6native31launch_logcumsumexp_cuda_kernelERKNSD_10TensorBaseESH_lENKUlvE_clEvENKUlvE4_clEvEUlS6_S6_E_S6_EEDaPvRmT3_T4_T5_mT6_P12ihipStream_tbENKUlT_T0_E_clISt17integral_constantIbLb0EESX_IbLb1EEEEDaST_SU_EUlST_E0_NS1_11comp_targetILNS1_3genE9ELNS1_11target_archE1100ELNS1_3gpuE3ELNS1_3repE0EEENS1_30default_config_static_selectorELNS0_4arch9wavefront6targetE0EEEvT1_,"axG",@progbits,_ZN7rocprim17ROCPRIM_400000_NS6detail17trampoline_kernelINS0_14default_configENS1_20scan_config_selectorIN3c108BFloat16EEEZZNS1_9scan_implILNS1_25lookback_scan_determinismE0ELb0ELb0ES3_PKS6_PS6_S6_ZZZN2at6native31launch_logcumsumexp_cuda_kernelERKNSD_10TensorBaseESH_lENKUlvE_clEvENKUlvE4_clEvEUlS6_S6_E_S6_EEDaPvRmT3_T4_T5_mT6_P12ihipStream_tbENKUlT_T0_E_clISt17integral_constantIbLb0EESX_IbLb1EEEEDaST_SU_EUlST_E0_NS1_11comp_targetILNS1_3genE9ELNS1_11target_archE1100ELNS1_3gpuE3ELNS1_3repE0EEENS1_30default_config_static_selectorELNS0_4arch9wavefront6targetE0EEEvT1_,comdat
	.globl	_ZN7rocprim17ROCPRIM_400000_NS6detail17trampoline_kernelINS0_14default_configENS1_20scan_config_selectorIN3c108BFloat16EEEZZNS1_9scan_implILNS1_25lookback_scan_determinismE0ELb0ELb0ES3_PKS6_PS6_S6_ZZZN2at6native31launch_logcumsumexp_cuda_kernelERKNSD_10TensorBaseESH_lENKUlvE_clEvENKUlvE4_clEvEUlS6_S6_E_S6_EEDaPvRmT3_T4_T5_mT6_P12ihipStream_tbENKUlT_T0_E_clISt17integral_constantIbLb0EESX_IbLb1EEEEDaST_SU_EUlST_E0_NS1_11comp_targetILNS1_3genE9ELNS1_11target_archE1100ELNS1_3gpuE3ELNS1_3repE0EEENS1_30default_config_static_selectorELNS0_4arch9wavefront6targetE0EEEvT1_ ; -- Begin function _ZN7rocprim17ROCPRIM_400000_NS6detail17trampoline_kernelINS0_14default_configENS1_20scan_config_selectorIN3c108BFloat16EEEZZNS1_9scan_implILNS1_25lookback_scan_determinismE0ELb0ELb0ES3_PKS6_PS6_S6_ZZZN2at6native31launch_logcumsumexp_cuda_kernelERKNSD_10TensorBaseESH_lENKUlvE_clEvENKUlvE4_clEvEUlS6_S6_E_S6_EEDaPvRmT3_T4_T5_mT6_P12ihipStream_tbENKUlT_T0_E_clISt17integral_constantIbLb0EESX_IbLb1EEEEDaST_SU_EUlST_E0_NS1_11comp_targetILNS1_3genE9ELNS1_11target_archE1100ELNS1_3gpuE3ELNS1_3repE0EEENS1_30default_config_static_selectorELNS0_4arch9wavefront6targetE0EEEvT1_
	.p2align	8
	.type	_ZN7rocprim17ROCPRIM_400000_NS6detail17trampoline_kernelINS0_14default_configENS1_20scan_config_selectorIN3c108BFloat16EEEZZNS1_9scan_implILNS1_25lookback_scan_determinismE0ELb0ELb0ES3_PKS6_PS6_S6_ZZZN2at6native31launch_logcumsumexp_cuda_kernelERKNSD_10TensorBaseESH_lENKUlvE_clEvENKUlvE4_clEvEUlS6_S6_E_S6_EEDaPvRmT3_T4_T5_mT6_P12ihipStream_tbENKUlT_T0_E_clISt17integral_constantIbLb0EESX_IbLb1EEEEDaST_SU_EUlST_E0_NS1_11comp_targetILNS1_3genE9ELNS1_11target_archE1100ELNS1_3gpuE3ELNS1_3repE0EEENS1_30default_config_static_selectorELNS0_4arch9wavefront6targetE0EEEvT1_,@function
_ZN7rocprim17ROCPRIM_400000_NS6detail17trampoline_kernelINS0_14default_configENS1_20scan_config_selectorIN3c108BFloat16EEEZZNS1_9scan_implILNS1_25lookback_scan_determinismE0ELb0ELb0ES3_PKS6_PS6_S6_ZZZN2at6native31launch_logcumsumexp_cuda_kernelERKNSD_10TensorBaseESH_lENKUlvE_clEvENKUlvE4_clEvEUlS6_S6_E_S6_EEDaPvRmT3_T4_T5_mT6_P12ihipStream_tbENKUlT_T0_E_clISt17integral_constantIbLb0EESX_IbLb1EEEEDaST_SU_EUlST_E0_NS1_11comp_targetILNS1_3genE9ELNS1_11target_archE1100ELNS1_3gpuE3ELNS1_3repE0EEENS1_30default_config_static_selectorELNS0_4arch9wavefront6targetE0EEEvT1_: ; @_ZN7rocprim17ROCPRIM_400000_NS6detail17trampoline_kernelINS0_14default_configENS1_20scan_config_selectorIN3c108BFloat16EEEZZNS1_9scan_implILNS1_25lookback_scan_determinismE0ELb0ELb0ES3_PKS6_PS6_S6_ZZZN2at6native31launch_logcumsumexp_cuda_kernelERKNSD_10TensorBaseESH_lENKUlvE_clEvENKUlvE4_clEvEUlS6_S6_E_S6_EEDaPvRmT3_T4_T5_mT6_P12ihipStream_tbENKUlT_T0_E_clISt17integral_constantIbLb0EESX_IbLb1EEEEDaST_SU_EUlST_E0_NS1_11comp_targetILNS1_3genE9ELNS1_11target_archE1100ELNS1_3gpuE3ELNS1_3repE0EEENS1_30default_config_static_selectorELNS0_4arch9wavefront6targetE0EEEvT1_
; %bb.0:
	.section	.rodata,"a",@progbits
	.p2align	6, 0x0
	.amdhsa_kernel _ZN7rocprim17ROCPRIM_400000_NS6detail17trampoline_kernelINS0_14default_configENS1_20scan_config_selectorIN3c108BFloat16EEEZZNS1_9scan_implILNS1_25lookback_scan_determinismE0ELb0ELb0ES3_PKS6_PS6_S6_ZZZN2at6native31launch_logcumsumexp_cuda_kernelERKNSD_10TensorBaseESH_lENKUlvE_clEvENKUlvE4_clEvEUlS6_S6_E_S6_EEDaPvRmT3_T4_T5_mT6_P12ihipStream_tbENKUlT_T0_E_clISt17integral_constantIbLb0EESX_IbLb1EEEEDaST_SU_EUlST_E0_NS1_11comp_targetILNS1_3genE9ELNS1_11target_archE1100ELNS1_3gpuE3ELNS1_3repE0EEENS1_30default_config_static_selectorELNS0_4arch9wavefront6targetE0EEEvT1_
		.amdhsa_group_segment_fixed_size 0
		.amdhsa_private_segment_fixed_size 0
		.amdhsa_kernarg_size 32
		.amdhsa_user_sgpr_count 2
		.amdhsa_user_sgpr_dispatch_ptr 0
		.amdhsa_user_sgpr_queue_ptr 0
		.amdhsa_user_sgpr_kernarg_segment_ptr 1
		.amdhsa_user_sgpr_dispatch_id 0
		.amdhsa_user_sgpr_private_segment_size 0
		.amdhsa_wavefront_size32 1
		.amdhsa_uses_dynamic_stack 0
		.amdhsa_enable_private_segment 0
		.amdhsa_system_sgpr_workgroup_id_x 1
		.amdhsa_system_sgpr_workgroup_id_y 0
		.amdhsa_system_sgpr_workgroup_id_z 0
		.amdhsa_system_sgpr_workgroup_info 0
		.amdhsa_system_vgpr_workitem_id 0
		.amdhsa_next_free_vgpr 1
		.amdhsa_next_free_sgpr 1
		.amdhsa_reserve_vcc 0
		.amdhsa_float_round_mode_32 0
		.amdhsa_float_round_mode_16_64 0
		.amdhsa_float_denorm_mode_32 3
		.amdhsa_float_denorm_mode_16_64 3
		.amdhsa_fp16_overflow 0
		.amdhsa_workgroup_processor_mode 1
		.amdhsa_memory_ordered 1
		.amdhsa_forward_progress 1
		.amdhsa_inst_pref_size 0
		.amdhsa_round_robin_scheduling 0
		.amdhsa_exception_fp_ieee_invalid_op 0
		.amdhsa_exception_fp_denorm_src 0
		.amdhsa_exception_fp_ieee_div_zero 0
		.amdhsa_exception_fp_ieee_overflow 0
		.amdhsa_exception_fp_ieee_underflow 0
		.amdhsa_exception_fp_ieee_inexact 0
		.amdhsa_exception_int_div_zero 0
	.end_amdhsa_kernel
	.section	.text._ZN7rocprim17ROCPRIM_400000_NS6detail17trampoline_kernelINS0_14default_configENS1_20scan_config_selectorIN3c108BFloat16EEEZZNS1_9scan_implILNS1_25lookback_scan_determinismE0ELb0ELb0ES3_PKS6_PS6_S6_ZZZN2at6native31launch_logcumsumexp_cuda_kernelERKNSD_10TensorBaseESH_lENKUlvE_clEvENKUlvE4_clEvEUlS6_S6_E_S6_EEDaPvRmT3_T4_T5_mT6_P12ihipStream_tbENKUlT_T0_E_clISt17integral_constantIbLb0EESX_IbLb1EEEEDaST_SU_EUlST_E0_NS1_11comp_targetILNS1_3genE9ELNS1_11target_archE1100ELNS1_3gpuE3ELNS1_3repE0EEENS1_30default_config_static_selectorELNS0_4arch9wavefront6targetE0EEEvT1_,"axG",@progbits,_ZN7rocprim17ROCPRIM_400000_NS6detail17trampoline_kernelINS0_14default_configENS1_20scan_config_selectorIN3c108BFloat16EEEZZNS1_9scan_implILNS1_25lookback_scan_determinismE0ELb0ELb0ES3_PKS6_PS6_S6_ZZZN2at6native31launch_logcumsumexp_cuda_kernelERKNSD_10TensorBaseESH_lENKUlvE_clEvENKUlvE4_clEvEUlS6_S6_E_S6_EEDaPvRmT3_T4_T5_mT6_P12ihipStream_tbENKUlT_T0_E_clISt17integral_constantIbLb0EESX_IbLb1EEEEDaST_SU_EUlST_E0_NS1_11comp_targetILNS1_3genE9ELNS1_11target_archE1100ELNS1_3gpuE3ELNS1_3repE0EEENS1_30default_config_static_selectorELNS0_4arch9wavefront6targetE0EEEvT1_,comdat
.Lfunc_end519:
	.size	_ZN7rocprim17ROCPRIM_400000_NS6detail17trampoline_kernelINS0_14default_configENS1_20scan_config_selectorIN3c108BFloat16EEEZZNS1_9scan_implILNS1_25lookback_scan_determinismE0ELb0ELb0ES3_PKS6_PS6_S6_ZZZN2at6native31launch_logcumsumexp_cuda_kernelERKNSD_10TensorBaseESH_lENKUlvE_clEvENKUlvE4_clEvEUlS6_S6_E_S6_EEDaPvRmT3_T4_T5_mT6_P12ihipStream_tbENKUlT_T0_E_clISt17integral_constantIbLb0EESX_IbLb1EEEEDaST_SU_EUlST_E0_NS1_11comp_targetILNS1_3genE9ELNS1_11target_archE1100ELNS1_3gpuE3ELNS1_3repE0EEENS1_30default_config_static_selectorELNS0_4arch9wavefront6targetE0EEEvT1_, .Lfunc_end519-_ZN7rocprim17ROCPRIM_400000_NS6detail17trampoline_kernelINS0_14default_configENS1_20scan_config_selectorIN3c108BFloat16EEEZZNS1_9scan_implILNS1_25lookback_scan_determinismE0ELb0ELb0ES3_PKS6_PS6_S6_ZZZN2at6native31launch_logcumsumexp_cuda_kernelERKNSD_10TensorBaseESH_lENKUlvE_clEvENKUlvE4_clEvEUlS6_S6_E_S6_EEDaPvRmT3_T4_T5_mT6_P12ihipStream_tbENKUlT_T0_E_clISt17integral_constantIbLb0EESX_IbLb1EEEEDaST_SU_EUlST_E0_NS1_11comp_targetILNS1_3genE9ELNS1_11target_archE1100ELNS1_3gpuE3ELNS1_3repE0EEENS1_30default_config_static_selectorELNS0_4arch9wavefront6targetE0EEEvT1_
                                        ; -- End function
	.set _ZN7rocprim17ROCPRIM_400000_NS6detail17trampoline_kernelINS0_14default_configENS1_20scan_config_selectorIN3c108BFloat16EEEZZNS1_9scan_implILNS1_25lookback_scan_determinismE0ELb0ELb0ES3_PKS6_PS6_S6_ZZZN2at6native31launch_logcumsumexp_cuda_kernelERKNSD_10TensorBaseESH_lENKUlvE_clEvENKUlvE4_clEvEUlS6_S6_E_S6_EEDaPvRmT3_T4_T5_mT6_P12ihipStream_tbENKUlT_T0_E_clISt17integral_constantIbLb0EESX_IbLb1EEEEDaST_SU_EUlST_E0_NS1_11comp_targetILNS1_3genE9ELNS1_11target_archE1100ELNS1_3gpuE3ELNS1_3repE0EEENS1_30default_config_static_selectorELNS0_4arch9wavefront6targetE0EEEvT1_.num_vgpr, 0
	.set _ZN7rocprim17ROCPRIM_400000_NS6detail17trampoline_kernelINS0_14default_configENS1_20scan_config_selectorIN3c108BFloat16EEEZZNS1_9scan_implILNS1_25lookback_scan_determinismE0ELb0ELb0ES3_PKS6_PS6_S6_ZZZN2at6native31launch_logcumsumexp_cuda_kernelERKNSD_10TensorBaseESH_lENKUlvE_clEvENKUlvE4_clEvEUlS6_S6_E_S6_EEDaPvRmT3_T4_T5_mT6_P12ihipStream_tbENKUlT_T0_E_clISt17integral_constantIbLb0EESX_IbLb1EEEEDaST_SU_EUlST_E0_NS1_11comp_targetILNS1_3genE9ELNS1_11target_archE1100ELNS1_3gpuE3ELNS1_3repE0EEENS1_30default_config_static_selectorELNS0_4arch9wavefront6targetE0EEEvT1_.num_agpr, 0
	.set _ZN7rocprim17ROCPRIM_400000_NS6detail17trampoline_kernelINS0_14default_configENS1_20scan_config_selectorIN3c108BFloat16EEEZZNS1_9scan_implILNS1_25lookback_scan_determinismE0ELb0ELb0ES3_PKS6_PS6_S6_ZZZN2at6native31launch_logcumsumexp_cuda_kernelERKNSD_10TensorBaseESH_lENKUlvE_clEvENKUlvE4_clEvEUlS6_S6_E_S6_EEDaPvRmT3_T4_T5_mT6_P12ihipStream_tbENKUlT_T0_E_clISt17integral_constantIbLb0EESX_IbLb1EEEEDaST_SU_EUlST_E0_NS1_11comp_targetILNS1_3genE9ELNS1_11target_archE1100ELNS1_3gpuE3ELNS1_3repE0EEENS1_30default_config_static_selectorELNS0_4arch9wavefront6targetE0EEEvT1_.numbered_sgpr, 0
	.set _ZN7rocprim17ROCPRIM_400000_NS6detail17trampoline_kernelINS0_14default_configENS1_20scan_config_selectorIN3c108BFloat16EEEZZNS1_9scan_implILNS1_25lookback_scan_determinismE0ELb0ELb0ES3_PKS6_PS6_S6_ZZZN2at6native31launch_logcumsumexp_cuda_kernelERKNSD_10TensorBaseESH_lENKUlvE_clEvENKUlvE4_clEvEUlS6_S6_E_S6_EEDaPvRmT3_T4_T5_mT6_P12ihipStream_tbENKUlT_T0_E_clISt17integral_constantIbLb0EESX_IbLb1EEEEDaST_SU_EUlST_E0_NS1_11comp_targetILNS1_3genE9ELNS1_11target_archE1100ELNS1_3gpuE3ELNS1_3repE0EEENS1_30default_config_static_selectorELNS0_4arch9wavefront6targetE0EEEvT1_.num_named_barrier, 0
	.set _ZN7rocprim17ROCPRIM_400000_NS6detail17trampoline_kernelINS0_14default_configENS1_20scan_config_selectorIN3c108BFloat16EEEZZNS1_9scan_implILNS1_25lookback_scan_determinismE0ELb0ELb0ES3_PKS6_PS6_S6_ZZZN2at6native31launch_logcumsumexp_cuda_kernelERKNSD_10TensorBaseESH_lENKUlvE_clEvENKUlvE4_clEvEUlS6_S6_E_S6_EEDaPvRmT3_T4_T5_mT6_P12ihipStream_tbENKUlT_T0_E_clISt17integral_constantIbLb0EESX_IbLb1EEEEDaST_SU_EUlST_E0_NS1_11comp_targetILNS1_3genE9ELNS1_11target_archE1100ELNS1_3gpuE3ELNS1_3repE0EEENS1_30default_config_static_selectorELNS0_4arch9wavefront6targetE0EEEvT1_.private_seg_size, 0
	.set _ZN7rocprim17ROCPRIM_400000_NS6detail17trampoline_kernelINS0_14default_configENS1_20scan_config_selectorIN3c108BFloat16EEEZZNS1_9scan_implILNS1_25lookback_scan_determinismE0ELb0ELb0ES3_PKS6_PS6_S6_ZZZN2at6native31launch_logcumsumexp_cuda_kernelERKNSD_10TensorBaseESH_lENKUlvE_clEvENKUlvE4_clEvEUlS6_S6_E_S6_EEDaPvRmT3_T4_T5_mT6_P12ihipStream_tbENKUlT_T0_E_clISt17integral_constantIbLb0EESX_IbLb1EEEEDaST_SU_EUlST_E0_NS1_11comp_targetILNS1_3genE9ELNS1_11target_archE1100ELNS1_3gpuE3ELNS1_3repE0EEENS1_30default_config_static_selectorELNS0_4arch9wavefront6targetE0EEEvT1_.uses_vcc, 0
	.set _ZN7rocprim17ROCPRIM_400000_NS6detail17trampoline_kernelINS0_14default_configENS1_20scan_config_selectorIN3c108BFloat16EEEZZNS1_9scan_implILNS1_25lookback_scan_determinismE0ELb0ELb0ES3_PKS6_PS6_S6_ZZZN2at6native31launch_logcumsumexp_cuda_kernelERKNSD_10TensorBaseESH_lENKUlvE_clEvENKUlvE4_clEvEUlS6_S6_E_S6_EEDaPvRmT3_T4_T5_mT6_P12ihipStream_tbENKUlT_T0_E_clISt17integral_constantIbLb0EESX_IbLb1EEEEDaST_SU_EUlST_E0_NS1_11comp_targetILNS1_3genE9ELNS1_11target_archE1100ELNS1_3gpuE3ELNS1_3repE0EEENS1_30default_config_static_selectorELNS0_4arch9wavefront6targetE0EEEvT1_.uses_flat_scratch, 0
	.set _ZN7rocprim17ROCPRIM_400000_NS6detail17trampoline_kernelINS0_14default_configENS1_20scan_config_selectorIN3c108BFloat16EEEZZNS1_9scan_implILNS1_25lookback_scan_determinismE0ELb0ELb0ES3_PKS6_PS6_S6_ZZZN2at6native31launch_logcumsumexp_cuda_kernelERKNSD_10TensorBaseESH_lENKUlvE_clEvENKUlvE4_clEvEUlS6_S6_E_S6_EEDaPvRmT3_T4_T5_mT6_P12ihipStream_tbENKUlT_T0_E_clISt17integral_constantIbLb0EESX_IbLb1EEEEDaST_SU_EUlST_E0_NS1_11comp_targetILNS1_3genE9ELNS1_11target_archE1100ELNS1_3gpuE3ELNS1_3repE0EEENS1_30default_config_static_selectorELNS0_4arch9wavefront6targetE0EEEvT1_.has_dyn_sized_stack, 0
	.set _ZN7rocprim17ROCPRIM_400000_NS6detail17trampoline_kernelINS0_14default_configENS1_20scan_config_selectorIN3c108BFloat16EEEZZNS1_9scan_implILNS1_25lookback_scan_determinismE0ELb0ELb0ES3_PKS6_PS6_S6_ZZZN2at6native31launch_logcumsumexp_cuda_kernelERKNSD_10TensorBaseESH_lENKUlvE_clEvENKUlvE4_clEvEUlS6_S6_E_S6_EEDaPvRmT3_T4_T5_mT6_P12ihipStream_tbENKUlT_T0_E_clISt17integral_constantIbLb0EESX_IbLb1EEEEDaST_SU_EUlST_E0_NS1_11comp_targetILNS1_3genE9ELNS1_11target_archE1100ELNS1_3gpuE3ELNS1_3repE0EEENS1_30default_config_static_selectorELNS0_4arch9wavefront6targetE0EEEvT1_.has_recursion, 0
	.set _ZN7rocprim17ROCPRIM_400000_NS6detail17trampoline_kernelINS0_14default_configENS1_20scan_config_selectorIN3c108BFloat16EEEZZNS1_9scan_implILNS1_25lookback_scan_determinismE0ELb0ELb0ES3_PKS6_PS6_S6_ZZZN2at6native31launch_logcumsumexp_cuda_kernelERKNSD_10TensorBaseESH_lENKUlvE_clEvENKUlvE4_clEvEUlS6_S6_E_S6_EEDaPvRmT3_T4_T5_mT6_P12ihipStream_tbENKUlT_T0_E_clISt17integral_constantIbLb0EESX_IbLb1EEEEDaST_SU_EUlST_E0_NS1_11comp_targetILNS1_3genE9ELNS1_11target_archE1100ELNS1_3gpuE3ELNS1_3repE0EEENS1_30default_config_static_selectorELNS0_4arch9wavefront6targetE0EEEvT1_.has_indirect_call, 0
	.section	.AMDGPU.csdata,"",@progbits
; Kernel info:
; codeLenInByte = 0
; TotalNumSgprs: 0
; NumVgprs: 0
; ScratchSize: 0
; MemoryBound: 0
; FloatMode: 240
; IeeeMode: 1
; LDSByteSize: 0 bytes/workgroup (compile time only)
; SGPRBlocks: 0
; VGPRBlocks: 0
; NumSGPRsForWavesPerEU: 1
; NumVGPRsForWavesPerEU: 1
; Occupancy: 16
; WaveLimiterHint : 0
; COMPUTE_PGM_RSRC2:SCRATCH_EN: 0
; COMPUTE_PGM_RSRC2:USER_SGPR: 2
; COMPUTE_PGM_RSRC2:TRAP_HANDLER: 0
; COMPUTE_PGM_RSRC2:TGID_X_EN: 1
; COMPUTE_PGM_RSRC2:TGID_Y_EN: 0
; COMPUTE_PGM_RSRC2:TGID_Z_EN: 0
; COMPUTE_PGM_RSRC2:TIDIG_COMP_CNT: 0
	.section	.text._ZN7rocprim17ROCPRIM_400000_NS6detail17trampoline_kernelINS0_14default_configENS1_20scan_config_selectorIN3c108BFloat16EEEZZNS1_9scan_implILNS1_25lookback_scan_determinismE0ELb0ELb0ES3_PKS6_PS6_S6_ZZZN2at6native31launch_logcumsumexp_cuda_kernelERKNSD_10TensorBaseESH_lENKUlvE_clEvENKUlvE4_clEvEUlS6_S6_E_S6_EEDaPvRmT3_T4_T5_mT6_P12ihipStream_tbENKUlT_T0_E_clISt17integral_constantIbLb0EESX_IbLb1EEEEDaST_SU_EUlST_E0_NS1_11comp_targetILNS1_3genE8ELNS1_11target_archE1030ELNS1_3gpuE2ELNS1_3repE0EEENS1_30default_config_static_selectorELNS0_4arch9wavefront6targetE0EEEvT1_,"axG",@progbits,_ZN7rocprim17ROCPRIM_400000_NS6detail17trampoline_kernelINS0_14default_configENS1_20scan_config_selectorIN3c108BFloat16EEEZZNS1_9scan_implILNS1_25lookback_scan_determinismE0ELb0ELb0ES3_PKS6_PS6_S6_ZZZN2at6native31launch_logcumsumexp_cuda_kernelERKNSD_10TensorBaseESH_lENKUlvE_clEvENKUlvE4_clEvEUlS6_S6_E_S6_EEDaPvRmT3_T4_T5_mT6_P12ihipStream_tbENKUlT_T0_E_clISt17integral_constantIbLb0EESX_IbLb1EEEEDaST_SU_EUlST_E0_NS1_11comp_targetILNS1_3genE8ELNS1_11target_archE1030ELNS1_3gpuE2ELNS1_3repE0EEENS1_30default_config_static_selectorELNS0_4arch9wavefront6targetE0EEEvT1_,comdat
	.globl	_ZN7rocprim17ROCPRIM_400000_NS6detail17trampoline_kernelINS0_14default_configENS1_20scan_config_selectorIN3c108BFloat16EEEZZNS1_9scan_implILNS1_25lookback_scan_determinismE0ELb0ELb0ES3_PKS6_PS6_S6_ZZZN2at6native31launch_logcumsumexp_cuda_kernelERKNSD_10TensorBaseESH_lENKUlvE_clEvENKUlvE4_clEvEUlS6_S6_E_S6_EEDaPvRmT3_T4_T5_mT6_P12ihipStream_tbENKUlT_T0_E_clISt17integral_constantIbLb0EESX_IbLb1EEEEDaST_SU_EUlST_E0_NS1_11comp_targetILNS1_3genE8ELNS1_11target_archE1030ELNS1_3gpuE2ELNS1_3repE0EEENS1_30default_config_static_selectorELNS0_4arch9wavefront6targetE0EEEvT1_ ; -- Begin function _ZN7rocprim17ROCPRIM_400000_NS6detail17trampoline_kernelINS0_14default_configENS1_20scan_config_selectorIN3c108BFloat16EEEZZNS1_9scan_implILNS1_25lookback_scan_determinismE0ELb0ELb0ES3_PKS6_PS6_S6_ZZZN2at6native31launch_logcumsumexp_cuda_kernelERKNSD_10TensorBaseESH_lENKUlvE_clEvENKUlvE4_clEvEUlS6_S6_E_S6_EEDaPvRmT3_T4_T5_mT6_P12ihipStream_tbENKUlT_T0_E_clISt17integral_constantIbLb0EESX_IbLb1EEEEDaST_SU_EUlST_E0_NS1_11comp_targetILNS1_3genE8ELNS1_11target_archE1030ELNS1_3gpuE2ELNS1_3repE0EEENS1_30default_config_static_selectorELNS0_4arch9wavefront6targetE0EEEvT1_
	.p2align	8
	.type	_ZN7rocprim17ROCPRIM_400000_NS6detail17trampoline_kernelINS0_14default_configENS1_20scan_config_selectorIN3c108BFloat16EEEZZNS1_9scan_implILNS1_25lookback_scan_determinismE0ELb0ELb0ES3_PKS6_PS6_S6_ZZZN2at6native31launch_logcumsumexp_cuda_kernelERKNSD_10TensorBaseESH_lENKUlvE_clEvENKUlvE4_clEvEUlS6_S6_E_S6_EEDaPvRmT3_T4_T5_mT6_P12ihipStream_tbENKUlT_T0_E_clISt17integral_constantIbLb0EESX_IbLb1EEEEDaST_SU_EUlST_E0_NS1_11comp_targetILNS1_3genE8ELNS1_11target_archE1030ELNS1_3gpuE2ELNS1_3repE0EEENS1_30default_config_static_selectorELNS0_4arch9wavefront6targetE0EEEvT1_,@function
_ZN7rocprim17ROCPRIM_400000_NS6detail17trampoline_kernelINS0_14default_configENS1_20scan_config_selectorIN3c108BFloat16EEEZZNS1_9scan_implILNS1_25lookback_scan_determinismE0ELb0ELb0ES3_PKS6_PS6_S6_ZZZN2at6native31launch_logcumsumexp_cuda_kernelERKNSD_10TensorBaseESH_lENKUlvE_clEvENKUlvE4_clEvEUlS6_S6_E_S6_EEDaPvRmT3_T4_T5_mT6_P12ihipStream_tbENKUlT_T0_E_clISt17integral_constantIbLb0EESX_IbLb1EEEEDaST_SU_EUlST_E0_NS1_11comp_targetILNS1_3genE8ELNS1_11target_archE1030ELNS1_3gpuE2ELNS1_3repE0EEENS1_30default_config_static_selectorELNS0_4arch9wavefront6targetE0EEEvT1_: ; @_ZN7rocprim17ROCPRIM_400000_NS6detail17trampoline_kernelINS0_14default_configENS1_20scan_config_selectorIN3c108BFloat16EEEZZNS1_9scan_implILNS1_25lookback_scan_determinismE0ELb0ELb0ES3_PKS6_PS6_S6_ZZZN2at6native31launch_logcumsumexp_cuda_kernelERKNSD_10TensorBaseESH_lENKUlvE_clEvENKUlvE4_clEvEUlS6_S6_E_S6_EEDaPvRmT3_T4_T5_mT6_P12ihipStream_tbENKUlT_T0_E_clISt17integral_constantIbLb0EESX_IbLb1EEEEDaST_SU_EUlST_E0_NS1_11comp_targetILNS1_3genE8ELNS1_11target_archE1030ELNS1_3gpuE2ELNS1_3repE0EEENS1_30default_config_static_selectorELNS0_4arch9wavefront6targetE0EEEvT1_
; %bb.0:
	.section	.rodata,"a",@progbits
	.p2align	6, 0x0
	.amdhsa_kernel _ZN7rocprim17ROCPRIM_400000_NS6detail17trampoline_kernelINS0_14default_configENS1_20scan_config_selectorIN3c108BFloat16EEEZZNS1_9scan_implILNS1_25lookback_scan_determinismE0ELb0ELb0ES3_PKS6_PS6_S6_ZZZN2at6native31launch_logcumsumexp_cuda_kernelERKNSD_10TensorBaseESH_lENKUlvE_clEvENKUlvE4_clEvEUlS6_S6_E_S6_EEDaPvRmT3_T4_T5_mT6_P12ihipStream_tbENKUlT_T0_E_clISt17integral_constantIbLb0EESX_IbLb1EEEEDaST_SU_EUlST_E0_NS1_11comp_targetILNS1_3genE8ELNS1_11target_archE1030ELNS1_3gpuE2ELNS1_3repE0EEENS1_30default_config_static_selectorELNS0_4arch9wavefront6targetE0EEEvT1_
		.amdhsa_group_segment_fixed_size 0
		.amdhsa_private_segment_fixed_size 0
		.amdhsa_kernarg_size 32
		.amdhsa_user_sgpr_count 2
		.amdhsa_user_sgpr_dispatch_ptr 0
		.amdhsa_user_sgpr_queue_ptr 0
		.amdhsa_user_sgpr_kernarg_segment_ptr 1
		.amdhsa_user_sgpr_dispatch_id 0
		.amdhsa_user_sgpr_private_segment_size 0
		.amdhsa_wavefront_size32 1
		.amdhsa_uses_dynamic_stack 0
		.amdhsa_enable_private_segment 0
		.amdhsa_system_sgpr_workgroup_id_x 1
		.amdhsa_system_sgpr_workgroup_id_y 0
		.amdhsa_system_sgpr_workgroup_id_z 0
		.amdhsa_system_sgpr_workgroup_info 0
		.amdhsa_system_vgpr_workitem_id 0
		.amdhsa_next_free_vgpr 1
		.amdhsa_next_free_sgpr 1
		.amdhsa_reserve_vcc 0
		.amdhsa_float_round_mode_32 0
		.amdhsa_float_round_mode_16_64 0
		.amdhsa_float_denorm_mode_32 3
		.amdhsa_float_denorm_mode_16_64 3
		.amdhsa_fp16_overflow 0
		.amdhsa_workgroup_processor_mode 1
		.amdhsa_memory_ordered 1
		.amdhsa_forward_progress 1
		.amdhsa_inst_pref_size 0
		.amdhsa_round_robin_scheduling 0
		.amdhsa_exception_fp_ieee_invalid_op 0
		.amdhsa_exception_fp_denorm_src 0
		.amdhsa_exception_fp_ieee_div_zero 0
		.amdhsa_exception_fp_ieee_overflow 0
		.amdhsa_exception_fp_ieee_underflow 0
		.amdhsa_exception_fp_ieee_inexact 0
		.amdhsa_exception_int_div_zero 0
	.end_amdhsa_kernel
	.section	.text._ZN7rocprim17ROCPRIM_400000_NS6detail17trampoline_kernelINS0_14default_configENS1_20scan_config_selectorIN3c108BFloat16EEEZZNS1_9scan_implILNS1_25lookback_scan_determinismE0ELb0ELb0ES3_PKS6_PS6_S6_ZZZN2at6native31launch_logcumsumexp_cuda_kernelERKNSD_10TensorBaseESH_lENKUlvE_clEvENKUlvE4_clEvEUlS6_S6_E_S6_EEDaPvRmT3_T4_T5_mT6_P12ihipStream_tbENKUlT_T0_E_clISt17integral_constantIbLb0EESX_IbLb1EEEEDaST_SU_EUlST_E0_NS1_11comp_targetILNS1_3genE8ELNS1_11target_archE1030ELNS1_3gpuE2ELNS1_3repE0EEENS1_30default_config_static_selectorELNS0_4arch9wavefront6targetE0EEEvT1_,"axG",@progbits,_ZN7rocprim17ROCPRIM_400000_NS6detail17trampoline_kernelINS0_14default_configENS1_20scan_config_selectorIN3c108BFloat16EEEZZNS1_9scan_implILNS1_25lookback_scan_determinismE0ELb0ELb0ES3_PKS6_PS6_S6_ZZZN2at6native31launch_logcumsumexp_cuda_kernelERKNSD_10TensorBaseESH_lENKUlvE_clEvENKUlvE4_clEvEUlS6_S6_E_S6_EEDaPvRmT3_T4_T5_mT6_P12ihipStream_tbENKUlT_T0_E_clISt17integral_constantIbLb0EESX_IbLb1EEEEDaST_SU_EUlST_E0_NS1_11comp_targetILNS1_3genE8ELNS1_11target_archE1030ELNS1_3gpuE2ELNS1_3repE0EEENS1_30default_config_static_selectorELNS0_4arch9wavefront6targetE0EEEvT1_,comdat
.Lfunc_end520:
	.size	_ZN7rocprim17ROCPRIM_400000_NS6detail17trampoline_kernelINS0_14default_configENS1_20scan_config_selectorIN3c108BFloat16EEEZZNS1_9scan_implILNS1_25lookback_scan_determinismE0ELb0ELb0ES3_PKS6_PS6_S6_ZZZN2at6native31launch_logcumsumexp_cuda_kernelERKNSD_10TensorBaseESH_lENKUlvE_clEvENKUlvE4_clEvEUlS6_S6_E_S6_EEDaPvRmT3_T4_T5_mT6_P12ihipStream_tbENKUlT_T0_E_clISt17integral_constantIbLb0EESX_IbLb1EEEEDaST_SU_EUlST_E0_NS1_11comp_targetILNS1_3genE8ELNS1_11target_archE1030ELNS1_3gpuE2ELNS1_3repE0EEENS1_30default_config_static_selectorELNS0_4arch9wavefront6targetE0EEEvT1_, .Lfunc_end520-_ZN7rocprim17ROCPRIM_400000_NS6detail17trampoline_kernelINS0_14default_configENS1_20scan_config_selectorIN3c108BFloat16EEEZZNS1_9scan_implILNS1_25lookback_scan_determinismE0ELb0ELb0ES3_PKS6_PS6_S6_ZZZN2at6native31launch_logcumsumexp_cuda_kernelERKNSD_10TensorBaseESH_lENKUlvE_clEvENKUlvE4_clEvEUlS6_S6_E_S6_EEDaPvRmT3_T4_T5_mT6_P12ihipStream_tbENKUlT_T0_E_clISt17integral_constantIbLb0EESX_IbLb1EEEEDaST_SU_EUlST_E0_NS1_11comp_targetILNS1_3genE8ELNS1_11target_archE1030ELNS1_3gpuE2ELNS1_3repE0EEENS1_30default_config_static_selectorELNS0_4arch9wavefront6targetE0EEEvT1_
                                        ; -- End function
	.set _ZN7rocprim17ROCPRIM_400000_NS6detail17trampoline_kernelINS0_14default_configENS1_20scan_config_selectorIN3c108BFloat16EEEZZNS1_9scan_implILNS1_25lookback_scan_determinismE0ELb0ELb0ES3_PKS6_PS6_S6_ZZZN2at6native31launch_logcumsumexp_cuda_kernelERKNSD_10TensorBaseESH_lENKUlvE_clEvENKUlvE4_clEvEUlS6_S6_E_S6_EEDaPvRmT3_T4_T5_mT6_P12ihipStream_tbENKUlT_T0_E_clISt17integral_constantIbLb0EESX_IbLb1EEEEDaST_SU_EUlST_E0_NS1_11comp_targetILNS1_3genE8ELNS1_11target_archE1030ELNS1_3gpuE2ELNS1_3repE0EEENS1_30default_config_static_selectorELNS0_4arch9wavefront6targetE0EEEvT1_.num_vgpr, 0
	.set _ZN7rocprim17ROCPRIM_400000_NS6detail17trampoline_kernelINS0_14default_configENS1_20scan_config_selectorIN3c108BFloat16EEEZZNS1_9scan_implILNS1_25lookback_scan_determinismE0ELb0ELb0ES3_PKS6_PS6_S6_ZZZN2at6native31launch_logcumsumexp_cuda_kernelERKNSD_10TensorBaseESH_lENKUlvE_clEvENKUlvE4_clEvEUlS6_S6_E_S6_EEDaPvRmT3_T4_T5_mT6_P12ihipStream_tbENKUlT_T0_E_clISt17integral_constantIbLb0EESX_IbLb1EEEEDaST_SU_EUlST_E0_NS1_11comp_targetILNS1_3genE8ELNS1_11target_archE1030ELNS1_3gpuE2ELNS1_3repE0EEENS1_30default_config_static_selectorELNS0_4arch9wavefront6targetE0EEEvT1_.num_agpr, 0
	.set _ZN7rocprim17ROCPRIM_400000_NS6detail17trampoline_kernelINS0_14default_configENS1_20scan_config_selectorIN3c108BFloat16EEEZZNS1_9scan_implILNS1_25lookback_scan_determinismE0ELb0ELb0ES3_PKS6_PS6_S6_ZZZN2at6native31launch_logcumsumexp_cuda_kernelERKNSD_10TensorBaseESH_lENKUlvE_clEvENKUlvE4_clEvEUlS6_S6_E_S6_EEDaPvRmT3_T4_T5_mT6_P12ihipStream_tbENKUlT_T0_E_clISt17integral_constantIbLb0EESX_IbLb1EEEEDaST_SU_EUlST_E0_NS1_11comp_targetILNS1_3genE8ELNS1_11target_archE1030ELNS1_3gpuE2ELNS1_3repE0EEENS1_30default_config_static_selectorELNS0_4arch9wavefront6targetE0EEEvT1_.numbered_sgpr, 0
	.set _ZN7rocprim17ROCPRIM_400000_NS6detail17trampoline_kernelINS0_14default_configENS1_20scan_config_selectorIN3c108BFloat16EEEZZNS1_9scan_implILNS1_25lookback_scan_determinismE0ELb0ELb0ES3_PKS6_PS6_S6_ZZZN2at6native31launch_logcumsumexp_cuda_kernelERKNSD_10TensorBaseESH_lENKUlvE_clEvENKUlvE4_clEvEUlS6_S6_E_S6_EEDaPvRmT3_T4_T5_mT6_P12ihipStream_tbENKUlT_T0_E_clISt17integral_constantIbLb0EESX_IbLb1EEEEDaST_SU_EUlST_E0_NS1_11comp_targetILNS1_3genE8ELNS1_11target_archE1030ELNS1_3gpuE2ELNS1_3repE0EEENS1_30default_config_static_selectorELNS0_4arch9wavefront6targetE0EEEvT1_.num_named_barrier, 0
	.set _ZN7rocprim17ROCPRIM_400000_NS6detail17trampoline_kernelINS0_14default_configENS1_20scan_config_selectorIN3c108BFloat16EEEZZNS1_9scan_implILNS1_25lookback_scan_determinismE0ELb0ELb0ES3_PKS6_PS6_S6_ZZZN2at6native31launch_logcumsumexp_cuda_kernelERKNSD_10TensorBaseESH_lENKUlvE_clEvENKUlvE4_clEvEUlS6_S6_E_S6_EEDaPvRmT3_T4_T5_mT6_P12ihipStream_tbENKUlT_T0_E_clISt17integral_constantIbLb0EESX_IbLb1EEEEDaST_SU_EUlST_E0_NS1_11comp_targetILNS1_3genE8ELNS1_11target_archE1030ELNS1_3gpuE2ELNS1_3repE0EEENS1_30default_config_static_selectorELNS0_4arch9wavefront6targetE0EEEvT1_.private_seg_size, 0
	.set _ZN7rocprim17ROCPRIM_400000_NS6detail17trampoline_kernelINS0_14default_configENS1_20scan_config_selectorIN3c108BFloat16EEEZZNS1_9scan_implILNS1_25lookback_scan_determinismE0ELb0ELb0ES3_PKS6_PS6_S6_ZZZN2at6native31launch_logcumsumexp_cuda_kernelERKNSD_10TensorBaseESH_lENKUlvE_clEvENKUlvE4_clEvEUlS6_S6_E_S6_EEDaPvRmT3_T4_T5_mT6_P12ihipStream_tbENKUlT_T0_E_clISt17integral_constantIbLb0EESX_IbLb1EEEEDaST_SU_EUlST_E0_NS1_11comp_targetILNS1_3genE8ELNS1_11target_archE1030ELNS1_3gpuE2ELNS1_3repE0EEENS1_30default_config_static_selectorELNS0_4arch9wavefront6targetE0EEEvT1_.uses_vcc, 0
	.set _ZN7rocprim17ROCPRIM_400000_NS6detail17trampoline_kernelINS0_14default_configENS1_20scan_config_selectorIN3c108BFloat16EEEZZNS1_9scan_implILNS1_25lookback_scan_determinismE0ELb0ELb0ES3_PKS6_PS6_S6_ZZZN2at6native31launch_logcumsumexp_cuda_kernelERKNSD_10TensorBaseESH_lENKUlvE_clEvENKUlvE4_clEvEUlS6_S6_E_S6_EEDaPvRmT3_T4_T5_mT6_P12ihipStream_tbENKUlT_T0_E_clISt17integral_constantIbLb0EESX_IbLb1EEEEDaST_SU_EUlST_E0_NS1_11comp_targetILNS1_3genE8ELNS1_11target_archE1030ELNS1_3gpuE2ELNS1_3repE0EEENS1_30default_config_static_selectorELNS0_4arch9wavefront6targetE0EEEvT1_.uses_flat_scratch, 0
	.set _ZN7rocprim17ROCPRIM_400000_NS6detail17trampoline_kernelINS0_14default_configENS1_20scan_config_selectorIN3c108BFloat16EEEZZNS1_9scan_implILNS1_25lookback_scan_determinismE0ELb0ELb0ES3_PKS6_PS6_S6_ZZZN2at6native31launch_logcumsumexp_cuda_kernelERKNSD_10TensorBaseESH_lENKUlvE_clEvENKUlvE4_clEvEUlS6_S6_E_S6_EEDaPvRmT3_T4_T5_mT6_P12ihipStream_tbENKUlT_T0_E_clISt17integral_constantIbLb0EESX_IbLb1EEEEDaST_SU_EUlST_E0_NS1_11comp_targetILNS1_3genE8ELNS1_11target_archE1030ELNS1_3gpuE2ELNS1_3repE0EEENS1_30default_config_static_selectorELNS0_4arch9wavefront6targetE0EEEvT1_.has_dyn_sized_stack, 0
	.set _ZN7rocprim17ROCPRIM_400000_NS6detail17trampoline_kernelINS0_14default_configENS1_20scan_config_selectorIN3c108BFloat16EEEZZNS1_9scan_implILNS1_25lookback_scan_determinismE0ELb0ELb0ES3_PKS6_PS6_S6_ZZZN2at6native31launch_logcumsumexp_cuda_kernelERKNSD_10TensorBaseESH_lENKUlvE_clEvENKUlvE4_clEvEUlS6_S6_E_S6_EEDaPvRmT3_T4_T5_mT6_P12ihipStream_tbENKUlT_T0_E_clISt17integral_constantIbLb0EESX_IbLb1EEEEDaST_SU_EUlST_E0_NS1_11comp_targetILNS1_3genE8ELNS1_11target_archE1030ELNS1_3gpuE2ELNS1_3repE0EEENS1_30default_config_static_selectorELNS0_4arch9wavefront6targetE0EEEvT1_.has_recursion, 0
	.set _ZN7rocprim17ROCPRIM_400000_NS6detail17trampoline_kernelINS0_14default_configENS1_20scan_config_selectorIN3c108BFloat16EEEZZNS1_9scan_implILNS1_25lookback_scan_determinismE0ELb0ELb0ES3_PKS6_PS6_S6_ZZZN2at6native31launch_logcumsumexp_cuda_kernelERKNSD_10TensorBaseESH_lENKUlvE_clEvENKUlvE4_clEvEUlS6_S6_E_S6_EEDaPvRmT3_T4_T5_mT6_P12ihipStream_tbENKUlT_T0_E_clISt17integral_constantIbLb0EESX_IbLb1EEEEDaST_SU_EUlST_E0_NS1_11comp_targetILNS1_3genE8ELNS1_11target_archE1030ELNS1_3gpuE2ELNS1_3repE0EEENS1_30default_config_static_selectorELNS0_4arch9wavefront6targetE0EEEvT1_.has_indirect_call, 0
	.section	.AMDGPU.csdata,"",@progbits
; Kernel info:
; codeLenInByte = 0
; TotalNumSgprs: 0
; NumVgprs: 0
; ScratchSize: 0
; MemoryBound: 0
; FloatMode: 240
; IeeeMode: 1
; LDSByteSize: 0 bytes/workgroup (compile time only)
; SGPRBlocks: 0
; VGPRBlocks: 0
; NumSGPRsForWavesPerEU: 1
; NumVGPRsForWavesPerEU: 1
; Occupancy: 16
; WaveLimiterHint : 0
; COMPUTE_PGM_RSRC2:SCRATCH_EN: 0
; COMPUTE_PGM_RSRC2:USER_SGPR: 2
; COMPUTE_PGM_RSRC2:TRAP_HANDLER: 0
; COMPUTE_PGM_RSRC2:TGID_X_EN: 1
; COMPUTE_PGM_RSRC2:TGID_Y_EN: 0
; COMPUTE_PGM_RSRC2:TGID_Z_EN: 0
; COMPUTE_PGM_RSRC2:TIDIG_COMP_CNT: 0
	.section	.text._ZN2at6native32tensor_kernel_scan_innermost_dimIN3c108BFloat16EZZZNS0_31launch_logcumsumexp_cuda_kernelERKNS_10TensorBaseES6_lENKUlvE_clEvENKUlvE4_clEvEUlS3_S3_E_EEvPT_PKSA_jjjSA_T0_,"axG",@progbits,_ZN2at6native32tensor_kernel_scan_innermost_dimIN3c108BFloat16EZZZNS0_31launch_logcumsumexp_cuda_kernelERKNS_10TensorBaseES6_lENKUlvE_clEvENKUlvE4_clEvEUlS3_S3_E_EEvPT_PKSA_jjjSA_T0_,comdat
	.globl	_ZN2at6native32tensor_kernel_scan_innermost_dimIN3c108BFloat16EZZZNS0_31launch_logcumsumexp_cuda_kernelERKNS_10TensorBaseES6_lENKUlvE_clEvENKUlvE4_clEvEUlS3_S3_E_EEvPT_PKSA_jjjSA_T0_ ; -- Begin function _ZN2at6native32tensor_kernel_scan_innermost_dimIN3c108BFloat16EZZZNS0_31launch_logcumsumexp_cuda_kernelERKNS_10TensorBaseES6_lENKUlvE_clEvENKUlvE4_clEvEUlS3_S3_E_EEvPT_PKSA_jjjSA_T0_
	.p2align	8
	.type	_ZN2at6native32tensor_kernel_scan_innermost_dimIN3c108BFloat16EZZZNS0_31launch_logcumsumexp_cuda_kernelERKNS_10TensorBaseES6_lENKUlvE_clEvENKUlvE4_clEvEUlS3_S3_E_EEvPT_PKSA_jjjSA_T0_,@function
_ZN2at6native32tensor_kernel_scan_innermost_dimIN3c108BFloat16EZZZNS0_31launch_logcumsumexp_cuda_kernelERKNS_10TensorBaseES6_lENKUlvE_clEvENKUlvE4_clEvEUlS3_S3_E_EEvPT_PKSA_jjjSA_T0_: ; @_ZN2at6native32tensor_kernel_scan_innermost_dimIN3c108BFloat16EZZZNS0_31launch_logcumsumexp_cuda_kernelERKNS_10TensorBaseES6_lENKUlvE_clEvENKUlvE4_clEvEUlS3_S3_E_EEvPT_PKSA_jjjSA_T0_
; %bb.0:
	s_load_b256 s[8:15], s[0:1], 0x0
	v_bfe_u32 v11, v0, 10, 10
	s_wait_kmcnt 0x0
	s_lshl_b32 s5, 2, s14
	s_mul_hi_u32 s2, s12, s13
	s_delay_alu instid0(VALU_DEP_1) | instskip(SKIP_2) | instid1(VALU_DEP_1)
	v_mul_lo_u32 v1, s5, v11
	s_cmp_lg_u32 s2, 0
	s_mov_b32 s2, -1
	v_lshl_add_u32 v12, v1, 1, 0
	s_cbranch_scc1 .LBB521_30
; %bb.1:
	s_load_u16 s3, s[0:1], 0x2e
	s_wait_kmcnt 0x0
	s_mul_i32 s6, ttmp9, s3
	s_delay_alu instid0(SALU_CYCLE_1)
	s_cmp_ge_u32 s6, s12
	s_cbranch_scc1 .LBB521_29
; %bb.2:
	s_add_nc_u64 s[16:17], s[0:1], 32
	v_dual_mov_b32 v2, 0 :: v_dual_and_b32 v5, 0x3ff, v0
	s_load_b32 s18, s[16:17], 0x0
	s_lshl_b32 s7, 1, s14
	s_cmp_lg_u32 s13, 0
	s_delay_alu instid0(VALU_DEP_1)
	v_lshl_add_u32 v6, v5, 1, v12
	s_cselect_b32 s16, -1, 0
	s_lshl_b32 s4, s5, 1
	v_cmp_eq_u32_e64 s2, 0, v5
	s_wait_alu 0xfffe
	v_add3_u32 v7, v12, s4, -2
	v_lshl_add_u32 v8, s7, 1, v6
	s_add_co_i32 s17, s14, 1
	s_mov_b32 s19, 0x3e9b6dac
	s_wait_kmcnt 0x0
	s_mul_i32 s18, s18, s3
	s_branch .LBB521_4
.LBB521_3:                              ;   in Loop: Header=BB521_4 Depth=1
	s_add_co_i32 s6, s6, s18
	s_wait_alu 0xfffe
	s_cmp_ge_u32 s6, s12
	s_cbranch_scc1 .LBB521_29
.LBB521_4:                              ; =>This Loop Header: Depth=1
                                        ;     Child Loop BB521_7 Depth 2
                                        ;       Child Loop BB521_19 Depth 3
	s_and_not1_b32 vcc_lo, exec_lo, s16
	s_cbranch_vccnz .LBB521_3
; %bb.5:                                ;   in Loop: Header=BB521_4 Depth=1
	v_add_nc_u32_e32 v9, s6, v11
	v_mov_b32_e32 v15, s15
	s_mov_b32 s20, 0
	s_delay_alu instid0(VALU_DEP_2) | instskip(SKIP_2) | instid1(VALU_DEP_3)
	v_mul_lo_u32 v1, v9, s13
	v_cmp_gt_u32_e32 vcc_lo, s12, v9
	v_cmp_le_u32_e64 s3, s12, v9
	v_lshlrev_b64_e32 v[3:4], 1, v[1:2]
	s_delay_alu instid0(VALU_DEP_1) | instskip(SKIP_1) | instid1(VALU_DEP_2)
	v_add_co_u32 v9, s4, s10, v3
	s_wait_alu 0xf1ff
	v_add_co_ci_u32_e64 v10, null, s11, v4, s4
	v_add_co_u32 v13, s4, s8, v3
	s_wait_alu 0xf1ff
	v_add_co_ci_u32_e64 v14, null, s9, v4, s4
	s_branch .LBB521_7
.LBB521_6:                              ;   in Loop: Header=BB521_7 Depth=2
	s_wait_alu 0xfffe
	s_or_b32 exec_lo, exec_lo, s21
	ds_load_u16 v15, v7
	s_add_co_i32 s20, s20, s5
	s_wait_storecnt 0x0
	s_wait_loadcnt_dscnt 0x0
	s_wait_alu 0xfffe
	s_cmp_ge_u32 s20, s13
	s_barrier_signal -1
	s_barrier_wait -1
	global_inv scope:SCOPE_SE
	s_cbranch_scc1 .LBB521_3
.LBB521_7:                              ;   Parent Loop BB521_4 Depth=1
                                        ; =>  This Loop Header: Depth=2
                                        ;       Child Loop BB521_19 Depth 3
	s_wait_alu 0xfffe
	v_add_nc_u32_e32 v1, s20, v5
	s_delay_alu instid0(VALU_DEP_1)
	v_add_nc_u32_e32 v3, s7, v1
	s_and_saveexec_b32 s21, vcc_lo
	s_cbranch_execz .LBB521_16
; %bb.8:                                ;   in Loop: Header=BB521_7 Depth=2
	v_mov_b32_e32 v4, s15
	s_mov_b32 s22, exec_lo
	v_cmpx_gt_u32_e64 s13, v1
	s_cbranch_execz .LBB521_10
; %bb.9:                                ;   in Loop: Header=BB521_7 Depth=2
	v_lshlrev_b64_e32 v[16:17], 1, v[1:2]
	s_delay_alu instid0(VALU_DEP_1) | instskip(SKIP_1) | instid1(VALU_DEP_2)
	v_add_co_u32 v16, s4, v9, v16
	s_wait_alu 0xf1ff
	v_add_co_ci_u32_e64 v17, null, v10, v17, s4
	global_load_u16 v4, v[16:17], off
.LBB521_10:                             ;   in Loop: Header=BB521_7 Depth=2
	s_or_b32 exec_lo, exec_lo, s22
	v_mov_b32_e32 v16, s15
	s_mov_b32 s22, exec_lo
	s_wait_loadcnt 0x0
	ds_store_b16 v6, v4
	v_cmpx_gt_u32_e64 s13, v3
	s_cbranch_execz .LBB521_12
; %bb.11:                               ;   in Loop: Header=BB521_7 Depth=2
	v_mov_b32_e32 v4, v2
	s_delay_alu instid0(VALU_DEP_1) | instskip(NEXT) | instid1(VALU_DEP_1)
	v_lshlrev_b64_e32 v[16:17], 1, v[3:4]
	v_add_co_u32 v16, s4, v9, v16
	s_wait_alu 0xf1ff
	s_delay_alu instid0(VALU_DEP_2)
	v_add_co_ci_u32_e64 v17, null, v10, v17, s4
	global_load_u16 v16, v[16:17], off
.LBB521_12:                             ;   in Loop: Header=BB521_7 Depth=2
	s_or_b32 exec_lo, exec_lo, s22
	s_wait_loadcnt 0x0
	ds_store_b16 v8, v16
	s_and_b32 exec_lo, exec_lo, s2
	s_cbranch_execz .LBB521_16
; %bb.13:                               ;   in Loop: Header=BB521_7 Depth=2
	ds_load_u16 v4, v12
	v_lshlrev_b32_e32 v17, 16, v15
	s_wait_dscnt 0x0
	s_delay_alu instid0(VALU_DEP_1) | instskip(NEXT) | instid1(VALU_DEP_1)
	v_dual_max_num_f32 v4, v17, v17 :: v_dual_lshlrev_b32 v15, 16, v4
	v_max_num_f32_e32 v16, v15, v15
	v_cmp_u_f32_e64 s4, v15, v15
	s_delay_alu instid0(VALU_DEP_2) | instskip(SKIP_2) | instid1(VALU_DEP_2)
	v_min_num_f32_e32 v18, v16, v4
	v_max_num_f32_e32 v4, v16, v4
	s_wait_alu 0xf1ff
	v_cndmask_b32_e64 v16, v18, v15, s4
	s_delay_alu instid0(VALU_DEP_2) | instskip(SKIP_2) | instid1(VALU_DEP_1)
	v_cndmask_b32_e64 v4, v4, v15, s4
	v_cmp_u_f32_e64 s4, v17, v17
	s_wait_alu 0xf1ff
	v_cndmask_b32_e64 v16, v16, v17, s4
	s_delay_alu instid0(VALU_DEP_3) | instskip(NEXT) | instid1(VALU_DEP_2)
	v_cndmask_b32_e64 v4, v4, v17, s4
	v_cmp_class_f32_e64 s22, v16, 0x1f8
	s_delay_alu instid0(VALU_DEP_2)
	v_cmp_neq_f32_e64 s4, v16, v4
	s_or_b32 s4, s4, s22
	s_wait_alu 0xfffe
	s_and_saveexec_b32 s22, s4
	s_cbranch_execz .LBB521_15
; %bb.14:                               ;   in Loop: Header=BB521_7 Depth=2
	v_sub_f32_e32 v15, v16, v4
	s_delay_alu instid0(VALU_DEP_1) | instskip(SKIP_1) | instid1(VALU_DEP_2)
	v_mul_f32_e32 v16, 0x3fb8aa3b, v15
	v_cmp_ngt_f32_e64 s4, 0xc2ce8ed0, v15
	v_fma_f32 v17, 0x3fb8aa3b, v15, -v16
	v_rndne_f32_e32 v18, v16
	s_delay_alu instid0(VALU_DEP_1) | instskip(NEXT) | instid1(VALU_DEP_1)
	v_dual_fmac_f32 v17, 0x32a5705f, v15 :: v_dual_sub_f32 v16, v16, v18
	v_add_f32_e32 v16, v16, v17
	v_cvt_i32_f32_e32 v17, v18
	s_delay_alu instid0(VALU_DEP_2) | instskip(NEXT) | instid1(TRANS32_DEP_1)
	v_exp_f32_e32 v16, v16
	v_ldexp_f32 v16, v16, v17
	s_wait_alu 0xf1ff
	s_delay_alu instid0(VALU_DEP_1) | instskip(SKIP_2) | instid1(VALU_DEP_1)
	v_cndmask_b32_e64 v16, 0, v16, s4
	v_cmp_nlt_f32_e64 s4, 0x42b17218, v15
	s_wait_alu 0xf1ff
	v_cndmask_b32_e64 v17, 0x7f800000, v16, s4
	s_delay_alu instid0(VALU_DEP_1) | instskip(NEXT) | instid1(VALU_DEP_1)
	v_add_f32_e32 v18, 1.0, v17
	v_cvt_f64_f32_e32 v[15:16], v18
	s_delay_alu instid0(VALU_DEP_1) | instskip(SKIP_1) | instid1(VALU_DEP_1)
	v_frexp_exp_i32_f64_e32 v15, v[15:16]
	v_frexp_mant_f32_e32 v16, v18
	v_cmp_gt_f32_e64 s4, 0x3f2aaaab, v16
	v_add_f32_e32 v16, -1.0, v18
	s_delay_alu instid0(VALU_DEP_1) | instskip(SKIP_4) | instid1(VALU_DEP_2)
	v_sub_f32_e32 v20, v16, v18
	v_sub_f32_e32 v16, v17, v16
	s_wait_alu 0xf1ff
	v_subrev_co_ci_u32_e64 v15, null, 0, v15, s4
	v_cmp_neq_f32_e64 s4, 0x7f800000, v17
	v_sub_nc_u32_e32 v19, 0, v15
	v_cvt_f32_i32_e32 v15, v15
	s_delay_alu instid0(VALU_DEP_2) | instskip(NEXT) | instid1(VALU_DEP_1)
	v_ldexp_f32 v18, v18, v19
	v_dual_add_f32 v21, 1.0, v18 :: v_dual_add_f32 v20, 1.0, v20
	s_delay_alu instid0(VALU_DEP_1) | instskip(NEXT) | instid1(VALU_DEP_2)
	v_add_f32_e32 v16, v16, v20
	v_add_f32_e32 v20, -1.0, v21
	s_delay_alu instid0(VALU_DEP_2) | instskip(NEXT) | instid1(VALU_DEP_2)
	v_ldexp_f32 v16, v16, v19
	v_dual_add_f32 v19, -1.0, v18 :: v_dual_sub_f32 v20, v18, v20
	s_delay_alu instid0(VALU_DEP_1) | instskip(NEXT) | instid1(VALU_DEP_2)
	v_add_f32_e32 v22, 1.0, v19
	v_add_f32_e32 v20, v16, v20
	s_delay_alu instid0(VALU_DEP_2) | instskip(NEXT) | instid1(VALU_DEP_2)
	v_sub_f32_e32 v18, v18, v22
	v_add_f32_e32 v22, v21, v20
	s_delay_alu instid0(VALU_DEP_2) | instskip(NEXT) | instid1(VALU_DEP_2)
	v_add_f32_e32 v16, v16, v18
	v_rcp_f32_e32 v18, v22
	v_sub_f32_e32 v21, v21, v22
	s_delay_alu instid0(VALU_DEP_1) | instskip(NEXT) | instid1(VALU_DEP_1)
	v_dual_add_f32 v23, v19, v16 :: v_dual_add_f32 v20, v20, v21
	v_sub_f32_e32 v19, v19, v23
	s_delay_alu instid0(TRANS32_DEP_1) | instskip(NEXT) | instid1(VALU_DEP_1)
	v_mul_f32_e32 v24, v23, v18
	v_dual_add_f32 v16, v16, v19 :: v_dual_mul_f32 v25, v22, v24
	s_delay_alu instid0(VALU_DEP_1) | instskip(NEXT) | instid1(VALU_DEP_1)
	v_fma_f32 v21, v24, v22, -v25
	v_fmac_f32_e32 v21, v24, v20
	s_delay_alu instid0(VALU_DEP_1) | instskip(NEXT) | instid1(VALU_DEP_1)
	v_add_f32_e32 v26, v25, v21
	v_sub_f32_e32 v27, v23, v26
	v_sub_f32_e32 v19, v26, v25
	s_delay_alu instid0(VALU_DEP_2) | instskip(NEXT) | instid1(VALU_DEP_2)
	v_sub_f32_e32 v23, v23, v27
	v_sub_f32_e32 v19, v19, v21
	s_delay_alu instid0(VALU_DEP_2) | instskip(NEXT) | instid1(VALU_DEP_1)
	v_sub_f32_e32 v23, v23, v26
	v_add_f32_e32 v16, v16, v23
	s_delay_alu instid0(VALU_DEP_1) | instskip(NEXT) | instid1(VALU_DEP_1)
	v_add_f32_e32 v16, v19, v16
	v_add_f32_e32 v19, v27, v16
	s_delay_alu instid0(VALU_DEP_1) | instskip(NEXT) | instid1(VALU_DEP_1)
	v_mul_f32_e32 v21, v18, v19
	v_dual_sub_f32 v26, v27, v19 :: v_dual_mul_f32 v23, v22, v21
	s_delay_alu instid0(VALU_DEP_1) | instskip(NEXT) | instid1(VALU_DEP_2)
	v_add_f32_e32 v16, v16, v26
	v_fma_f32 v22, v21, v22, -v23
	s_delay_alu instid0(VALU_DEP_1) | instskip(NEXT) | instid1(VALU_DEP_1)
	v_fmac_f32_e32 v22, v21, v20
	v_add_f32_e32 v20, v23, v22
	s_delay_alu instid0(VALU_DEP_1) | instskip(SKIP_1) | instid1(VALU_DEP_2)
	v_sub_f32_e32 v25, v19, v20
	v_sub_f32_e32 v23, v20, v23
	;; [unrolled: 1-line block ×3, first 2 shown]
	s_delay_alu instid0(VALU_DEP_1) | instskip(NEXT) | instid1(VALU_DEP_3)
	v_sub_f32_e32 v19, v19, v20
	v_sub_f32_e32 v20, v23, v22
	s_delay_alu instid0(VALU_DEP_2) | instskip(SKIP_1) | instid1(VALU_DEP_2)
	v_add_f32_e32 v16, v16, v19
	v_add_f32_e32 v19, v24, v21
	v_add_f32_e32 v16, v20, v16
	s_delay_alu instid0(VALU_DEP_2) | instskip(NEXT) | instid1(VALU_DEP_2)
	v_sub_f32_e32 v20, v19, v24
	v_add_f32_e32 v16, v25, v16
	s_delay_alu instid0(VALU_DEP_2) | instskip(NEXT) | instid1(VALU_DEP_2)
	v_sub_f32_e32 v20, v21, v20
	v_mul_f32_e32 v16, v18, v16
	s_delay_alu instid0(VALU_DEP_1) | instskip(NEXT) | instid1(VALU_DEP_1)
	v_add_f32_e32 v16, v20, v16
	v_add_f32_e32 v18, v19, v16
	s_delay_alu instid0(VALU_DEP_1) | instskip(NEXT) | instid1(VALU_DEP_1)
	v_mul_f32_e32 v20, v18, v18
	v_fmaak_f32 v21, s19, v20, 0x3ecc95a3
	v_mul_f32_e32 v22, v18, v20
	s_delay_alu instid0(VALU_DEP_2) | instskip(SKIP_2) | instid1(VALU_DEP_3)
	v_fmaak_f32 v20, v20, v21, 0x3f2aaada
	v_ldexp_f32 v21, v18, 1
	v_sub_f32_e32 v18, v18, v19
	v_mul_f32_e32 v20, v22, v20
	v_mul_f32_e32 v22, 0x3f317218, v15
	s_delay_alu instid0(VALU_DEP_2) | instskip(NEXT) | instid1(VALU_DEP_1)
	v_dual_sub_f32 v16, v16, v18 :: v_dual_add_f32 v19, v21, v20
	v_ldexp_f32 v16, v16, 1
	s_delay_alu instid0(VALU_DEP_2) | instskip(NEXT) | instid1(VALU_DEP_4)
	v_sub_f32_e32 v18, v19, v21
	v_fma_f32 v21, 0x3f317218, v15, -v22
	s_delay_alu instid0(VALU_DEP_1) | instskip(NEXT) | instid1(VALU_DEP_1)
	v_dual_sub_f32 v18, v20, v18 :: v_dual_fmac_f32 v21, 0xb102e308, v15
	v_dual_add_f32 v15, v16, v18 :: v_dual_add_f32 v16, v22, v21
	s_delay_alu instid0(VALU_DEP_1) | instskip(NEXT) | instid1(VALU_DEP_2)
	v_add_f32_e32 v18, v19, v15
	v_sub_f32_e32 v22, v16, v22
	s_delay_alu instid0(VALU_DEP_2) | instskip(NEXT) | instid1(VALU_DEP_2)
	v_dual_add_f32 v20, v16, v18 :: v_dual_sub_f32 v19, v18, v19
	v_sub_f32_e32 v21, v21, v22
	s_delay_alu instid0(VALU_DEP_2) | instskip(NEXT) | instid1(VALU_DEP_3)
	v_sub_f32_e32 v23, v20, v16
	v_sub_f32_e32 v15, v15, v19
	s_delay_alu instid0(VALU_DEP_2) | instskip(SKIP_1) | instid1(VALU_DEP_2)
	v_sub_f32_e32 v24, v20, v23
	v_sub_f32_e32 v18, v18, v23
	v_dual_add_f32 v19, v21, v15 :: v_dual_sub_f32 v16, v16, v24
	s_delay_alu instid0(VALU_DEP_1) | instskip(NEXT) | instid1(VALU_DEP_2)
	v_add_f32_e32 v16, v18, v16
	v_sub_f32_e32 v18, v19, v21
	s_delay_alu instid0(VALU_DEP_2) | instskip(NEXT) | instid1(VALU_DEP_2)
	v_add_f32_e32 v16, v19, v16
	v_sub_f32_e32 v19, v19, v18
	s_delay_alu instid0(VALU_DEP_2) | instskip(NEXT) | instid1(VALU_DEP_1)
	v_dual_sub_f32 v15, v15, v18 :: v_dual_add_f32 v22, v20, v16
	v_dual_sub_f32 v19, v21, v19 :: v_dual_sub_f32 v18, v22, v20
	s_delay_alu instid0(VALU_DEP_1) | instskip(NEXT) | instid1(VALU_DEP_1)
	v_dual_add_f32 v15, v15, v19 :: v_dual_sub_f32 v16, v16, v18
	v_add_f32_e32 v15, v15, v16
	s_delay_alu instid0(VALU_DEP_1) | instskip(SKIP_1) | instid1(VALU_DEP_1)
	v_add_f32_e32 v15, v22, v15
	s_wait_alu 0xf1ff
	v_cndmask_b32_e64 v15, 0x7f800000, v15, s4
	v_cmp_gt_f32_e64 s4, 0x33800000, |v17|
	s_wait_alu 0xf1ff
	s_delay_alu instid0(VALU_DEP_1) | instskip(NEXT) | instid1(VALU_DEP_1)
	v_cndmask_b32_e64 v15, v15, v17, s4
	v_add_f32_e32 v15, v4, v15
.LBB521_15:                             ;   in Loop: Header=BB521_7 Depth=2
	s_or_b32 exec_lo, exec_lo, s22
	s_delay_alu instid0(VALU_DEP_1) | instskip(SKIP_1) | instid1(VALU_DEP_2)
	v_bfe_u32 v4, v15, 16, 1
	v_cmp_o_f32_e64 s4, v15, v15
	v_add3_u32 v4, v15, v4, 0x7fff
	s_delay_alu instid0(VALU_DEP_1) | instskip(SKIP_1) | instid1(VALU_DEP_1)
	v_lshrrev_b32_e32 v4, 16, v4
	s_wait_alu 0xf1ff
	v_cndmask_b32_e64 v4, 0x7fc0, v4, s4
	ds_store_b16 v12, v4
.LBB521_16:                             ;   in Loop: Header=BB521_7 Depth=2
	s_wait_alu 0xfffe
	s_or_b32 exec_lo, exec_lo, s21
	v_mov_b32_e32 v15, 0
	s_mov_b32 s21, 0
	s_wait_dscnt 0x0
	s_barrier_signal -1
	s_barrier_wait -1
	global_inv scope:SCOPE_SE
	s_branch .LBB521_19
.LBB521_17:                             ;   in Loop: Header=BB521_19 Depth=3
	s_or_b32 exec_lo, exec_lo, s23
	s_delay_alu instid0(VALU_DEP_1) | instskip(SKIP_1) | instid1(VALU_DEP_2)
	v_bfe_u32 v16, v17, 16, 1
	v_cmp_o_f32_e64 s4, v17, v17
	v_add3_u32 v16, v17, v16, 0x7fff
	s_delay_alu instid0(VALU_DEP_1) | instskip(SKIP_1) | instid1(VALU_DEP_1)
	v_lshrrev_b32_e32 v16, 16, v16
	s_wait_alu 0xf1ff
	v_cndmask_b32_e64 v16, 0x7fc0, v16, s4
	ds_store_b16 v15, v16
.LBB521_18:                             ;   in Loop: Header=BB521_19 Depth=3
	s_or_b32 exec_lo, exec_lo, s22
	v_cmp_eq_u32_e64 s4, s17, v4
	v_mov_b32_e32 v15, v4
	s_wait_loadcnt_dscnt 0x0
	s_barrier_signal -1
	s_barrier_wait -1
	s_or_b32 s21, s4, s21
	global_inv scope:SCOPE_SE
	s_wait_alu 0xfffe
	s_and_not1_b32 exec_lo, exec_lo, s21
	s_cbranch_execz .LBB521_24
.LBB521_19:                             ;   Parent Loop BB521_4 Depth=1
                                        ;     Parent Loop BB521_7 Depth=2
                                        ; =>    This Inner Loop Header: Depth=3
	v_add_nc_u32_e32 v4, 1, v15
	s_and_saveexec_b32 s4, s3
	s_wait_alu 0xfffe
	s_xor_b32 s4, exec_lo, s4
; %bb.20:                               ;   in Loop: Header=BB521_19 Depth=3
	v_add_nc_u32_e32 v4, 1, v15
                                        ; implicit-def: $vgpr15
; %bb.21:                               ;   in Loop: Header=BB521_19 Depth=3
	s_wait_alu 0xfffe
	s_and_not1_saveexec_b32 s22, s4
	s_cbranch_execz .LBB521_18
; %bb.22:                               ;   in Loop: Header=BB521_19 Depth=3
	v_lshlrev_b32_e64 v16, v15, 1
	v_lshrrev_b32_e32 v17, v15, v5
	v_bfm_b32 v15, v15, 0
	s_delay_alu instid0(VALU_DEP_2) | instskip(NEXT) | instid1(VALU_DEP_2)
	v_lshl_or_b32 v16, v17, v4, v16
	v_and_b32_e32 v15, v15, v5
	s_delay_alu instid0(VALU_DEP_2) | instskip(NEXT) | instid1(VALU_DEP_1)
	v_lshl_add_u32 v16, v16, 1, v12
	v_add_nc_u32_e32 v17, -2, v16
	s_delay_alu instid0(VALU_DEP_3) | instskip(SKIP_4) | instid1(VALU_DEP_1)
	v_lshl_add_u32 v15, v15, 1, v16
	ds_load_u16 v16, v17
	ds_load_u16 v17, v15
	s_wait_dscnt 0x0
	v_lshlrev_b32_e32 v17, 16, v17
	v_dual_max_num_f32 v19, v17, v17 :: v_dual_lshlrev_b32 v16, 16, v16
	s_delay_alu instid0(VALU_DEP_1) | instskip(NEXT) | instid1(VALU_DEP_1)
	v_max_num_f32_e32 v18, v16, v16
	v_min_num_f32_e32 v20, v19, v18
	v_max_num_f32_e32 v18, v19, v18
	v_cmp_u_f32_e64 s4, v17, v17
	s_wait_alu 0xf1ff
	s_delay_alu instid0(VALU_DEP_1) | instskip(NEXT) | instid1(VALU_DEP_3)
	v_cndmask_b32_e64 v19, v20, v17, s4
	v_cndmask_b32_e64 v20, v18, v17, s4
	v_cmp_u_f32_e64 s4, v16, v16
	s_wait_alu 0xf1ff
	s_delay_alu instid0(VALU_DEP_1) | instskip(NEXT) | instid1(VALU_DEP_3)
	v_cndmask_b32_e64 v18, v19, v16, s4
	v_cndmask_b32_e64 v16, v20, v16, s4
	s_delay_alu instid0(VALU_DEP_2) | instskip(NEXT) | instid1(VALU_DEP_2)
	v_cmp_class_f32_e64 s23, v18, 0x1f8
	v_cmp_neq_f32_e64 s4, v18, v16
	s_or_b32 s4, s4, s23
	s_wait_alu 0xfffe
	s_and_saveexec_b32 s23, s4
	s_cbranch_execz .LBB521_17
; %bb.23:                               ;   in Loop: Header=BB521_19 Depth=3
	v_sub_f32_e32 v17, v18, v16
	s_delay_alu instid0(VALU_DEP_1) | instskip(SKIP_1) | instid1(VALU_DEP_2)
	v_mul_f32_e32 v18, 0x3fb8aa3b, v17
	v_cmp_ngt_f32_e64 s4, 0xc2ce8ed0, v17
	v_fma_f32 v19, 0x3fb8aa3b, v17, -v18
	v_rndne_f32_e32 v20, v18
	s_delay_alu instid0(VALU_DEP_1) | instskip(NEXT) | instid1(VALU_DEP_1)
	v_dual_fmac_f32 v19, 0x32a5705f, v17 :: v_dual_sub_f32 v18, v18, v20
	v_add_f32_e32 v18, v18, v19
	v_cvt_i32_f32_e32 v19, v20
	s_delay_alu instid0(VALU_DEP_2) | instskip(NEXT) | instid1(TRANS32_DEP_1)
	v_exp_f32_e32 v18, v18
	v_ldexp_f32 v18, v18, v19
	s_wait_alu 0xf1ff
	s_delay_alu instid0(VALU_DEP_1) | instskip(SKIP_2) | instid1(VALU_DEP_1)
	v_cndmask_b32_e64 v18, 0, v18, s4
	v_cmp_nlt_f32_e64 s4, 0x42b17218, v17
	s_wait_alu 0xf1ff
	v_cndmask_b32_e64 v19, 0x7f800000, v18, s4
	s_delay_alu instid0(VALU_DEP_1) | instskip(NEXT) | instid1(VALU_DEP_1)
	v_add_f32_e32 v20, 1.0, v19
	v_cvt_f64_f32_e32 v[17:18], v20
	s_delay_alu instid0(VALU_DEP_1) | instskip(SKIP_1) | instid1(VALU_DEP_1)
	v_frexp_exp_i32_f64_e32 v17, v[17:18]
	v_frexp_mant_f32_e32 v18, v20
	v_cmp_gt_f32_e64 s4, 0x3f2aaaab, v18
	v_add_f32_e32 v18, -1.0, v20
	s_delay_alu instid0(VALU_DEP_1) | instskip(SKIP_4) | instid1(VALU_DEP_2)
	v_sub_f32_e32 v22, v18, v20
	v_sub_f32_e32 v18, v19, v18
	s_wait_alu 0xf1ff
	v_subrev_co_ci_u32_e64 v17, null, 0, v17, s4
	v_cmp_neq_f32_e64 s4, 0x7f800000, v19
	v_sub_nc_u32_e32 v21, 0, v17
	v_cvt_f32_i32_e32 v17, v17
	s_delay_alu instid0(VALU_DEP_2) | instskip(NEXT) | instid1(VALU_DEP_1)
	v_ldexp_f32 v20, v20, v21
	v_dual_add_f32 v23, 1.0, v20 :: v_dual_add_f32 v22, 1.0, v22
	s_delay_alu instid0(VALU_DEP_1) | instskip(NEXT) | instid1(VALU_DEP_2)
	v_add_f32_e32 v18, v18, v22
	v_add_f32_e32 v22, -1.0, v23
	s_delay_alu instid0(VALU_DEP_2) | instskip(NEXT) | instid1(VALU_DEP_2)
	v_ldexp_f32 v18, v18, v21
	v_dual_add_f32 v21, -1.0, v20 :: v_dual_sub_f32 v22, v20, v22
	s_delay_alu instid0(VALU_DEP_1) | instskip(NEXT) | instid1(VALU_DEP_2)
	v_add_f32_e32 v24, 1.0, v21
	v_add_f32_e32 v22, v18, v22
	s_delay_alu instid0(VALU_DEP_2) | instskip(NEXT) | instid1(VALU_DEP_2)
	v_sub_f32_e32 v20, v20, v24
	v_add_f32_e32 v24, v23, v22
	s_delay_alu instid0(VALU_DEP_2) | instskip(NEXT) | instid1(VALU_DEP_2)
	v_add_f32_e32 v18, v18, v20
	v_rcp_f32_e32 v20, v24
	v_sub_f32_e32 v23, v23, v24
	s_delay_alu instid0(VALU_DEP_1) | instskip(NEXT) | instid1(VALU_DEP_1)
	v_dual_add_f32 v25, v21, v18 :: v_dual_add_f32 v22, v22, v23
	v_sub_f32_e32 v21, v21, v25
	s_delay_alu instid0(TRANS32_DEP_1) | instskip(NEXT) | instid1(VALU_DEP_1)
	v_mul_f32_e32 v26, v25, v20
	v_dual_add_f32 v18, v18, v21 :: v_dual_mul_f32 v27, v24, v26
	s_delay_alu instid0(VALU_DEP_1) | instskip(NEXT) | instid1(VALU_DEP_1)
	v_fma_f32 v23, v26, v24, -v27
	v_fmac_f32_e32 v23, v26, v22
	s_delay_alu instid0(VALU_DEP_1) | instskip(NEXT) | instid1(VALU_DEP_1)
	v_add_f32_e32 v28, v27, v23
	v_sub_f32_e32 v29, v25, v28
	v_sub_f32_e32 v21, v28, v27
	s_delay_alu instid0(VALU_DEP_2) | instskip(NEXT) | instid1(VALU_DEP_2)
	v_sub_f32_e32 v25, v25, v29
	v_sub_f32_e32 v21, v21, v23
	s_delay_alu instid0(VALU_DEP_2) | instskip(NEXT) | instid1(VALU_DEP_1)
	v_sub_f32_e32 v25, v25, v28
	v_add_f32_e32 v18, v18, v25
	s_delay_alu instid0(VALU_DEP_1) | instskip(NEXT) | instid1(VALU_DEP_1)
	v_add_f32_e32 v18, v21, v18
	v_add_f32_e32 v21, v29, v18
	s_delay_alu instid0(VALU_DEP_1) | instskip(NEXT) | instid1(VALU_DEP_1)
	v_mul_f32_e32 v23, v20, v21
	v_dual_sub_f32 v28, v29, v21 :: v_dual_mul_f32 v25, v24, v23
	s_delay_alu instid0(VALU_DEP_1) | instskip(NEXT) | instid1(VALU_DEP_2)
	v_add_f32_e32 v18, v18, v28
	v_fma_f32 v24, v23, v24, -v25
	s_delay_alu instid0(VALU_DEP_1) | instskip(NEXT) | instid1(VALU_DEP_1)
	v_fmac_f32_e32 v24, v23, v22
	v_add_f32_e32 v22, v25, v24
	s_delay_alu instid0(VALU_DEP_1) | instskip(SKIP_1) | instid1(VALU_DEP_2)
	v_sub_f32_e32 v27, v21, v22
	v_sub_f32_e32 v25, v22, v25
	;; [unrolled: 1-line block ×3, first 2 shown]
	s_delay_alu instid0(VALU_DEP_1) | instskip(NEXT) | instid1(VALU_DEP_3)
	v_sub_f32_e32 v21, v21, v22
	v_sub_f32_e32 v22, v25, v24
	s_delay_alu instid0(VALU_DEP_2) | instskip(SKIP_1) | instid1(VALU_DEP_2)
	v_add_f32_e32 v18, v18, v21
	v_add_f32_e32 v21, v26, v23
	;; [unrolled: 1-line block ×3, first 2 shown]
	s_delay_alu instid0(VALU_DEP_2) | instskip(NEXT) | instid1(VALU_DEP_2)
	v_sub_f32_e32 v22, v21, v26
	v_add_f32_e32 v18, v27, v18
	s_delay_alu instid0(VALU_DEP_2) | instskip(NEXT) | instid1(VALU_DEP_2)
	v_sub_f32_e32 v22, v23, v22
	v_mul_f32_e32 v18, v20, v18
	s_delay_alu instid0(VALU_DEP_1) | instskip(NEXT) | instid1(VALU_DEP_1)
	v_add_f32_e32 v18, v22, v18
	v_add_f32_e32 v20, v21, v18
	s_delay_alu instid0(VALU_DEP_1) | instskip(NEXT) | instid1(VALU_DEP_1)
	v_mul_f32_e32 v22, v20, v20
	v_fmaak_f32 v23, s19, v22, 0x3ecc95a3
	v_mul_f32_e32 v24, v20, v22
	s_delay_alu instid0(VALU_DEP_2) | instskip(SKIP_2) | instid1(VALU_DEP_3)
	v_fmaak_f32 v22, v22, v23, 0x3f2aaada
	v_ldexp_f32 v23, v20, 1
	v_sub_f32_e32 v20, v20, v21
	v_mul_f32_e32 v22, v24, v22
	v_mul_f32_e32 v24, 0x3f317218, v17
	s_delay_alu instid0(VALU_DEP_2) | instskip(NEXT) | instid1(VALU_DEP_1)
	v_dual_sub_f32 v18, v18, v20 :: v_dual_add_f32 v21, v23, v22
	v_ldexp_f32 v18, v18, 1
	s_delay_alu instid0(VALU_DEP_2) | instskip(NEXT) | instid1(VALU_DEP_4)
	v_sub_f32_e32 v20, v21, v23
	v_fma_f32 v23, 0x3f317218, v17, -v24
	s_delay_alu instid0(VALU_DEP_1) | instskip(NEXT) | instid1(VALU_DEP_1)
	v_dual_sub_f32 v20, v22, v20 :: v_dual_fmac_f32 v23, 0xb102e308, v17
	v_dual_add_f32 v17, v18, v20 :: v_dual_add_f32 v18, v24, v23
	s_delay_alu instid0(VALU_DEP_1) | instskip(NEXT) | instid1(VALU_DEP_2)
	v_add_f32_e32 v20, v21, v17
	v_sub_f32_e32 v24, v18, v24
	s_delay_alu instid0(VALU_DEP_2) | instskip(NEXT) | instid1(VALU_DEP_2)
	v_dual_add_f32 v22, v18, v20 :: v_dual_sub_f32 v21, v20, v21
	v_sub_f32_e32 v23, v23, v24
	s_delay_alu instid0(VALU_DEP_2) | instskip(NEXT) | instid1(VALU_DEP_3)
	v_sub_f32_e32 v25, v22, v18
	v_sub_f32_e32 v17, v17, v21
	s_delay_alu instid0(VALU_DEP_2) | instskip(SKIP_1) | instid1(VALU_DEP_2)
	v_sub_f32_e32 v26, v22, v25
	v_sub_f32_e32 v20, v20, v25
	v_dual_add_f32 v21, v23, v17 :: v_dual_sub_f32 v18, v18, v26
	s_delay_alu instid0(VALU_DEP_1) | instskip(NEXT) | instid1(VALU_DEP_2)
	v_add_f32_e32 v18, v20, v18
	v_sub_f32_e32 v20, v21, v23
	s_delay_alu instid0(VALU_DEP_2) | instskip(NEXT) | instid1(VALU_DEP_2)
	v_add_f32_e32 v18, v21, v18
	v_sub_f32_e32 v21, v21, v20
	s_delay_alu instid0(VALU_DEP_2) | instskip(NEXT) | instid1(VALU_DEP_1)
	v_dual_sub_f32 v17, v17, v20 :: v_dual_add_f32 v24, v22, v18
	v_dual_sub_f32 v21, v23, v21 :: v_dual_sub_f32 v20, v24, v22
	s_delay_alu instid0(VALU_DEP_1) | instskip(NEXT) | instid1(VALU_DEP_1)
	v_dual_add_f32 v17, v17, v21 :: v_dual_sub_f32 v18, v18, v20
	v_add_f32_e32 v17, v17, v18
	s_delay_alu instid0(VALU_DEP_1) | instskip(SKIP_1) | instid1(VALU_DEP_1)
	v_add_f32_e32 v17, v24, v17
	s_wait_alu 0xf1ff
	v_cndmask_b32_e64 v17, 0x7f800000, v17, s4
	v_cmp_gt_f32_e64 s4, 0x33800000, |v19|
	s_wait_alu 0xf1ff
	s_delay_alu instid0(VALU_DEP_1) | instskip(NEXT) | instid1(VALU_DEP_1)
	v_cndmask_b32_e64 v17, v17, v19, s4
	v_add_f32_e32 v17, v16, v17
	s_branch .LBB521_17
.LBB521_24:                             ;   in Loop: Header=BB521_7 Depth=2
	s_or_b32 exec_lo, exec_lo, s21
	s_and_saveexec_b32 s21, vcc_lo
	s_cbranch_execz .LBB521_6
; %bb.25:                               ;   in Loop: Header=BB521_7 Depth=2
	s_mov_b32 s22, exec_lo
	v_cmpx_gt_u32_e64 s13, v1
	s_cbranch_execz .LBB521_27
; %bb.26:                               ;   in Loop: Header=BB521_7 Depth=2
	ds_load_u16 v4, v6
	v_lshlrev_b64_e32 v[15:16], 1, v[1:2]
	s_delay_alu instid0(VALU_DEP_1) | instskip(SKIP_1) | instid1(VALU_DEP_2)
	v_add_co_u32 v15, s4, v13, v15
	s_wait_alu 0xf1ff
	v_add_co_ci_u32_e64 v16, null, v14, v16, s4
	s_wait_dscnt 0x0
	global_store_b16 v[15:16], v4, off
.LBB521_27:                             ;   in Loop: Header=BB521_7 Depth=2
	s_or_b32 exec_lo, exec_lo, s22
	v_cmp_gt_u32_e64 s4, s13, v3
	s_and_b32 exec_lo, exec_lo, s4
	s_cbranch_execz .LBB521_6
; %bb.28:                               ;   in Loop: Header=BB521_7 Depth=2
	ds_load_u16 v1, v8
	v_mov_b32_e32 v4, v2
	s_delay_alu instid0(VALU_DEP_1) | instskip(NEXT) | instid1(VALU_DEP_1)
	v_lshlrev_b64_e32 v[3:4], 1, v[3:4]
	v_add_co_u32 v3, s4, v13, v3
	s_wait_alu 0xf1ff
	s_delay_alu instid0(VALU_DEP_2)
	v_add_co_ci_u32_e64 v4, null, v14, v4, s4
	s_wait_dscnt 0x0
	global_store_b16 v[3:4], v1, off
	s_branch .LBB521_6
.LBB521_29:
	s_mov_b32 s2, 0
.LBB521_30:
	s_delay_alu instid0(SALU_CYCLE_1)
	s_and_not1_b32 vcc_lo, exec_lo, s2
	s_cbranch_vccnz .LBB521_61
; %bb.31:
	v_mov_b32_e32 v1, 0
	s_mov_b32 s5, 0
	s_mov_b32 s4, s12
	global_load_u16 v2, v1, s[0:1] offset:46
	s_wait_loadcnt 0x0
	v_and_b32_e32 v4, 0xffff, v2
	s_delay_alu instid0(VALU_DEP_1) | instskip(SKIP_2) | instid1(VALU_DEP_1)
	v_mul_hi_u32 v3, ttmp9, v4
	v_mul_lo_u32 v2, ttmp9, v4
	s_wait_alu 0xfffe
	v_cmp_le_u64_e32 vcc_lo, s[4:5], v[2:3]
	s_cbranch_vccnz .LBB521_61
; %bb.32:
	s_add_nc_u64 s[0:1], s[0:1], 32
	v_and_b32_e32 v0, 0x3ff, v0
	s_load_b32 s0, s[0:1], 0x0
	s_lshl_b32 s6, 1, s14
	s_mov_b32 s12, s13
	s_wait_alu 0xfffe
	s_ashr_i32 s7, s6, 31
	s_cmp_lg_u32 s13, 0
	v_lshl_add_u32 v13, v0, 1, v12
	s_cselect_b32 s3, -1, 0
	s_wait_alu 0xfffe
	s_lshl_b64 s[16:17], s[6:7], 1
	s_mov_b32 s13, s5
	s_wait_alu 0xfffe
	s_lshl_b32 s1, s16, 1
	v_lshl_add_u32 v14, s6, 1, v13
	s_wait_alu 0xfffe
	v_add3_u32 v16, v12, s1, -2
	s_add_co_i32 s14, s14, 1
	s_mov_b32 s20, 0x3e9b6dac
	s_wait_kmcnt 0x0
	v_mul_lo_u32 v15, s0, v4
	v_cmp_eq_u32_e64 s0, 0, v0
	s_branch .LBB521_34
.LBB521_33:                             ;   in Loop: Header=BB521_34 Depth=1
	s_delay_alu instid0(VALU_DEP_2) | instskip(SKIP_2) | instid1(VALU_DEP_1)
	v_add_co_u32 v2, vcc_lo, v2, v15
	s_wait_alu 0xfffd
	v_add_co_ci_u32_e64 v3, null, 0, v3, vcc_lo
	v_cmp_le_u64_e32 vcc_lo, s[4:5], v[2:3]
	s_cbranch_vccnz .LBB521_61
.LBB521_34:                             ; =>This Loop Header: Depth=1
                                        ;     Child Loop BB521_37 Depth 2
                                        ;       Child Loop BB521_49 Depth 3
	s_and_not1_b32 vcc_lo, exec_lo, s3
	s_wait_alu 0xfffe
	s_cbranch_vccnz .LBB521_33
; %bb.35:                               ;   in Loop: Header=BB521_34 Depth=1
	v_add_co_u32 v4, vcc_lo, v2, v11
	s_wait_alu 0xfffd
	v_add_co_ci_u32_e64 v5, null, 0, v3, vcc_lo
	s_mov_b64 s[18:19], 0
	v_mad_co_u64_u32 v[6:7], null, v4, s12, 0
	v_cmp_gt_u64_e64 s1, s[4:5], v[4:5]
	v_cmp_le_u64_e64 s2, s[4:5], v[4:5]
	s_delay_alu instid0(VALU_DEP_3) | instskip(SKIP_1) | instid1(VALU_DEP_2)
	v_mad_co_u64_u32 v[7:8], null, v5, s12, v[7:8]
	v_mov_b32_e32 v8, s15
	v_lshlrev_b64_e32 v[6:7], 1, v[6:7]
	s_delay_alu instid0(VALU_DEP_1) | instskip(SKIP_1) | instid1(VALU_DEP_2)
	v_add_co_u32 v17, vcc_lo, s10, v6
	s_wait_alu 0xfffd
	v_add_co_ci_u32_e64 v18, null, s11, v7, vcc_lo
	v_add_co_u32 v19, vcc_lo, s8, v6
	s_wait_alu 0xfffd
	v_add_co_ci_u32_e64 v20, null, s9, v7, vcc_lo
	s_branch .LBB521_37
.LBB521_36:                             ;   in Loop: Header=BB521_37 Depth=2
	s_wait_alu 0xfffe
	s_or_b32 exec_lo, exec_lo, s21
	ds_load_u16 v8, v16
	s_add_nc_u64 s[18:19], s[18:19], s[16:17]
	s_wait_storecnt 0x0
	s_wait_loadcnt_dscnt 0x0
	s_wait_alu 0xfffe
	v_cmp_ge_u64_e64 s21, s[18:19], s[12:13]
	s_barrier_signal -1
	s_barrier_wait -1
	global_inv scope:SCOPE_SE
	s_and_b32 vcc_lo, exec_lo, s21
	s_wait_alu 0xfffe
	s_cbranch_vccnz .LBB521_33
.LBB521_37:                             ;   Parent Loop BB521_34 Depth=1
                                        ; =>  This Loop Header: Depth=2
                                        ;       Child Loop BB521_49 Depth 3
	s_wait_alu 0xfffe
	v_add_co_u32 v6, s21, s18, v0
	s_wait_alu 0xf1ff
	v_add_co_ci_u32_e64 v7, null, s19, 0, s21
	s_delay_alu instid0(VALU_DEP_2) | instskip(SKIP_1) | instid1(VALU_DEP_2)
	v_add_co_u32 v4, vcc_lo, v6, s6
	s_wait_alu 0xfffd
	v_add_co_ci_u32_e64 v5, null, s7, v7, vcc_lo
	s_and_saveexec_b32 s21, s1
	s_cbranch_execz .LBB521_46
; %bb.38:                               ;   in Loop: Header=BB521_37 Depth=2
	v_mov_b32_e32 v9, s15
	s_mov_b32 s22, exec_lo
	v_cmpx_gt_u64_e64 s[12:13], v[6:7]
	s_cbranch_execz .LBB521_40
; %bb.39:                               ;   in Loop: Header=BB521_37 Depth=2
	v_lshlrev_b64_e32 v[9:10], 1, v[6:7]
	s_delay_alu instid0(VALU_DEP_1) | instskip(SKIP_1) | instid1(VALU_DEP_2)
	v_add_co_u32 v9, vcc_lo, v17, v9
	s_wait_alu 0xfffd
	v_add_co_ci_u32_e64 v10, null, v18, v10, vcc_lo
	global_load_u16 v9, v[9:10], off
.LBB521_40:                             ;   in Loop: Header=BB521_37 Depth=2
	s_or_b32 exec_lo, exec_lo, s22
	v_mov_b32_e32 v10, s15
	s_mov_b32 s22, exec_lo
	s_wait_loadcnt 0x0
	ds_store_b16 v13, v9
	v_cmpx_gt_u64_e64 s[12:13], v[4:5]
	s_cbranch_execz .LBB521_42
; %bb.41:                               ;   in Loop: Header=BB521_37 Depth=2
	v_lshlrev_b64_e32 v[9:10], 1, v[4:5]
	s_delay_alu instid0(VALU_DEP_1) | instskip(SKIP_1) | instid1(VALU_DEP_2)
	v_add_co_u32 v9, vcc_lo, v17, v9
	s_wait_alu 0xfffd
	v_add_co_ci_u32_e64 v10, null, v18, v10, vcc_lo
	global_load_u16 v10, v[9:10], off
.LBB521_42:                             ;   in Loop: Header=BB521_37 Depth=2
	s_or_b32 exec_lo, exec_lo, s22
	s_wait_loadcnt 0x0
	ds_store_b16 v14, v10
	s_and_b32 exec_lo, exec_lo, s0
	s_cbranch_execz .LBB521_46
; %bb.43:                               ;   in Loop: Header=BB521_37 Depth=2
	ds_load_u16 v9, v12
	s_wait_dscnt 0x0
	v_lshlrev_b32_e32 v9, 16, v9
	s_delay_alu instid0(VALU_DEP_1) | instskip(NEXT) | instid1(VALU_DEP_1)
	v_dual_max_num_f32 v21, v9, v9 :: v_dual_lshlrev_b32 v8, 16, v8
	v_max_num_f32_e32 v10, v8, v8
	v_cmp_u_f32_e32 vcc_lo, v9, v9
	s_delay_alu instid0(VALU_DEP_2) | instskip(SKIP_1) | instid1(VALU_DEP_1)
	v_min_num_f32_e32 v22, v21, v10
	s_wait_alu 0xfffd
	v_dual_max_num_f32 v10, v21, v10 :: v_dual_cndmask_b32 v21, v22, v9
	s_delay_alu instid0(VALU_DEP_1) | instskip(SKIP_2) | instid1(VALU_DEP_3)
	v_cndmask_b32_e32 v22, v10, v9, vcc_lo
	v_cmp_u_f32_e32 vcc_lo, v8, v8
	s_wait_alu 0xfffd
	v_cndmask_b32_e32 v10, v21, v8, vcc_lo
	s_delay_alu instid0(VALU_DEP_3) | instskip(NEXT) | instid1(VALU_DEP_2)
	v_cndmask_b32_e32 v8, v22, v8, vcc_lo
	v_cmp_class_f32_e64 s22, v10, 0x1f8
	s_delay_alu instid0(VALU_DEP_2) | instskip(SKIP_1) | instid1(SALU_CYCLE_1)
	v_cmp_neq_f32_e32 vcc_lo, v10, v8
	s_or_b32 s23, vcc_lo, s22
	s_and_saveexec_b32 s22, s23
	s_cbranch_execz .LBB521_45
; %bb.44:                               ;   in Loop: Header=BB521_37 Depth=2
	v_sub_f32_e32 v9, v10, v8
	s_delay_alu instid0(VALU_DEP_1) | instskip(SKIP_1) | instid1(VALU_DEP_2)
	v_mul_f32_e32 v10, 0x3fb8aa3b, v9
	v_cmp_ngt_f32_e32 vcc_lo, 0xc2ce8ed0, v9
	v_fma_f32 v21, 0x3fb8aa3b, v9, -v10
	v_rndne_f32_e32 v22, v10
	s_delay_alu instid0(VALU_DEP_1) | instskip(NEXT) | instid1(VALU_DEP_1)
	v_dual_fmac_f32 v21, 0x32a5705f, v9 :: v_dual_sub_f32 v10, v10, v22
	v_add_f32_e32 v10, v10, v21
	v_cvt_i32_f32_e32 v21, v22
	s_delay_alu instid0(VALU_DEP_2) | instskip(NEXT) | instid1(TRANS32_DEP_1)
	v_exp_f32_e32 v10, v10
	v_ldexp_f32 v10, v10, v21
	s_wait_alu 0xfffd
	s_delay_alu instid0(VALU_DEP_1) | instskip(SKIP_2) | instid1(VALU_DEP_2)
	v_cndmask_b32_e32 v10, 0, v10, vcc_lo
	v_cmp_nlt_f32_e32 vcc_lo, 0x42b17218, v9
	s_wait_alu 0xfffd
	v_cndmask_b32_e32 v21, 0x7f800000, v10, vcc_lo
	s_delay_alu instid0(VALU_DEP_1) | instskip(NEXT) | instid1(VALU_DEP_1)
	v_add_f32_e32 v22, 1.0, v21
	v_cvt_f64_f32_e32 v[9:10], v22
	s_delay_alu instid0(VALU_DEP_1) | instskip(SKIP_1) | instid1(VALU_DEP_1)
	v_frexp_exp_i32_f64_e32 v9, v[9:10]
	v_frexp_mant_f32_e32 v10, v22
	v_cmp_gt_f32_e32 vcc_lo, 0x3f2aaaab, v10
	v_add_f32_e32 v10, -1.0, v22
	s_delay_alu instid0(VALU_DEP_1) | instskip(NEXT) | instid1(VALU_DEP_1)
	v_sub_f32_e32 v24, v10, v22
	v_add_f32_e32 v24, 1.0, v24
	v_sub_f32_e32 v10, v21, v10
	s_wait_alu 0xfffd
	v_subrev_co_ci_u32_e64 v9, null, 0, v9, vcc_lo
	v_cmp_neq_f32_e32 vcc_lo, 0x7f800000, v21
	s_delay_alu instid0(VALU_DEP_2) | instskip(SKIP_1) | instid1(VALU_DEP_2)
	v_sub_nc_u32_e32 v23, 0, v9
	v_cvt_f32_i32_e32 v9, v9
	v_ldexp_f32 v22, v22, v23
	s_delay_alu instid0(VALU_DEP_1) | instskip(NEXT) | instid1(VALU_DEP_1)
	v_dual_add_f32 v25, 1.0, v22 :: v_dual_add_f32 v10, v10, v24
	v_add_f32_e32 v24, -1.0, v25
	s_delay_alu instid0(VALU_DEP_2) | instskip(NEXT) | instid1(VALU_DEP_2)
	v_ldexp_f32 v10, v10, v23
	v_dual_add_f32 v23, -1.0, v22 :: v_dual_sub_f32 v24, v22, v24
	s_delay_alu instid0(VALU_DEP_1) | instskip(NEXT) | instid1(VALU_DEP_2)
	v_add_f32_e32 v26, 1.0, v23
	v_add_f32_e32 v24, v10, v24
	s_delay_alu instid0(VALU_DEP_2) | instskip(NEXT) | instid1(VALU_DEP_2)
	v_sub_f32_e32 v22, v22, v26
	v_add_f32_e32 v26, v25, v24
	s_delay_alu instid0(VALU_DEP_2) | instskip(NEXT) | instid1(VALU_DEP_2)
	v_add_f32_e32 v10, v10, v22
	v_rcp_f32_e32 v22, v26
	v_sub_f32_e32 v25, v25, v26
	s_delay_alu instid0(VALU_DEP_1) | instskip(NEXT) | instid1(VALU_DEP_1)
	v_dual_add_f32 v27, v23, v10 :: v_dual_add_f32 v24, v24, v25
	v_sub_f32_e32 v23, v23, v27
	s_delay_alu instid0(TRANS32_DEP_1) | instskip(NEXT) | instid1(VALU_DEP_2)
	v_mul_f32_e32 v28, v27, v22
	v_add_f32_e32 v10, v10, v23
	s_delay_alu instid0(VALU_DEP_2) | instskip(NEXT) | instid1(VALU_DEP_1)
	v_mul_f32_e32 v29, v26, v28
	v_fma_f32 v25, v28, v26, -v29
	s_delay_alu instid0(VALU_DEP_1) | instskip(NEXT) | instid1(VALU_DEP_1)
	v_fmac_f32_e32 v25, v28, v24
	v_add_f32_e32 v30, v29, v25
	s_delay_alu instid0(VALU_DEP_1) | instskip(SKIP_1) | instid1(VALU_DEP_2)
	v_sub_f32_e32 v31, v27, v30
	v_sub_f32_e32 v23, v30, v29
	;; [unrolled: 1-line block ×3, first 2 shown]
	s_delay_alu instid0(VALU_DEP_2) | instskip(NEXT) | instid1(VALU_DEP_2)
	v_sub_f32_e32 v23, v23, v25
	v_sub_f32_e32 v27, v27, v30
	s_delay_alu instid0(VALU_DEP_1) | instskip(NEXT) | instid1(VALU_DEP_1)
	v_add_f32_e32 v10, v10, v27
	v_add_f32_e32 v10, v23, v10
	s_delay_alu instid0(VALU_DEP_1) | instskip(NEXT) | instid1(VALU_DEP_1)
	v_add_f32_e32 v23, v31, v10
	v_mul_f32_e32 v25, v22, v23
	s_delay_alu instid0(VALU_DEP_1) | instskip(NEXT) | instid1(VALU_DEP_1)
	v_dual_sub_f32 v30, v31, v23 :: v_dual_mul_f32 v27, v26, v25
	v_add_f32_e32 v10, v10, v30
	s_delay_alu instid0(VALU_DEP_2) | instskip(NEXT) | instid1(VALU_DEP_1)
	v_fma_f32 v26, v25, v26, -v27
	v_fmac_f32_e32 v26, v25, v24
	s_delay_alu instid0(VALU_DEP_1) | instskip(NEXT) | instid1(VALU_DEP_1)
	v_add_f32_e32 v24, v27, v26
	v_sub_f32_e32 v29, v23, v24
	v_sub_f32_e32 v27, v24, v27
	s_delay_alu instid0(VALU_DEP_2) | instskip(NEXT) | instid1(VALU_DEP_1)
	v_sub_f32_e32 v23, v23, v29
	v_sub_f32_e32 v23, v23, v24
	s_delay_alu instid0(VALU_DEP_1) | instskip(NEXT) | instid1(VALU_DEP_4)
	v_dual_add_f32 v10, v10, v23 :: v_dual_add_f32 v23, v28, v25
	v_sub_f32_e32 v24, v27, v26
	s_delay_alu instid0(VALU_DEP_1) | instskip(NEXT) | instid1(VALU_DEP_3)
	v_add_f32_e32 v10, v24, v10
	v_sub_f32_e32 v24, v23, v28
	s_delay_alu instid0(VALU_DEP_2) | instskip(NEXT) | instid1(VALU_DEP_2)
	v_add_f32_e32 v10, v29, v10
	v_sub_f32_e32 v24, v25, v24
	s_delay_alu instid0(VALU_DEP_2) | instskip(NEXT) | instid1(VALU_DEP_1)
	v_mul_f32_e32 v10, v22, v10
	v_add_f32_e32 v10, v24, v10
	s_delay_alu instid0(VALU_DEP_1) | instskip(NEXT) | instid1(VALU_DEP_1)
	v_add_f32_e32 v22, v23, v10
	v_mul_f32_e32 v24, v22, v22
	s_delay_alu instid0(VALU_DEP_1) | instskip(SKIP_1) | instid1(VALU_DEP_2)
	v_fmaak_f32 v25, s20, v24, 0x3ecc95a3
	v_mul_f32_e32 v26, v22, v24
	v_fmaak_f32 v24, v24, v25, 0x3f2aaada
	v_ldexp_f32 v25, v22, 1
	v_sub_f32_e32 v22, v22, v23
	s_delay_alu instid0(VALU_DEP_3) | instskip(SKIP_1) | instid1(VALU_DEP_2)
	v_mul_f32_e32 v24, v26, v24
	v_mul_f32_e32 v26, 0x3f317218, v9
	v_dual_sub_f32 v10, v10, v22 :: v_dual_add_f32 v23, v25, v24
	s_delay_alu instid0(VALU_DEP_1) | instskip(NEXT) | instid1(VALU_DEP_2)
	v_ldexp_f32 v10, v10, 1
	v_sub_f32_e32 v22, v23, v25
	s_delay_alu instid0(VALU_DEP_4) | instskip(NEXT) | instid1(VALU_DEP_1)
	v_fma_f32 v25, 0x3f317218, v9, -v26
	v_dual_sub_f32 v22, v24, v22 :: v_dual_fmac_f32 v25, 0xb102e308, v9
	s_delay_alu instid0(VALU_DEP_1) | instskip(NEXT) | instid1(VALU_DEP_2)
	v_add_f32_e32 v9, v10, v22
	v_add_f32_e32 v10, v26, v25
	s_delay_alu instid0(VALU_DEP_2) | instskip(NEXT) | instid1(VALU_DEP_2)
	v_add_f32_e32 v22, v23, v9
	v_sub_f32_e32 v26, v10, v26
	s_delay_alu instid0(VALU_DEP_2) | instskip(SKIP_1) | instid1(VALU_DEP_3)
	v_add_f32_e32 v24, v10, v22
	v_sub_f32_e32 v23, v22, v23
	v_sub_f32_e32 v25, v25, v26
	s_delay_alu instid0(VALU_DEP_3) | instskip(NEXT) | instid1(VALU_DEP_3)
	v_sub_f32_e32 v27, v24, v10
	v_sub_f32_e32 v9, v9, v23
	s_delay_alu instid0(VALU_DEP_2) | instskip(NEXT) | instid1(VALU_DEP_2)
	v_sub_f32_e32 v28, v24, v27
	v_dual_sub_f32 v22, v22, v27 :: v_dual_add_f32 v23, v25, v9
	s_delay_alu instid0(VALU_DEP_2) | instskip(NEXT) | instid1(VALU_DEP_1)
	v_sub_f32_e32 v10, v10, v28
	v_add_f32_e32 v10, v22, v10
	s_delay_alu instid0(VALU_DEP_3) | instskip(NEXT) | instid1(VALU_DEP_2)
	v_sub_f32_e32 v22, v23, v25
	v_add_f32_e32 v10, v23, v10
	s_delay_alu instid0(VALU_DEP_2) | instskip(SKIP_1) | instid1(VALU_DEP_2)
	v_sub_f32_e32 v23, v23, v22
	v_sub_f32_e32 v9, v9, v22
	v_dual_add_f32 v26, v24, v10 :: v_dual_sub_f32 v23, v25, v23
	s_delay_alu instid0(VALU_DEP_1) | instskip(NEXT) | instid1(VALU_DEP_1)
	v_dual_sub_f32 v22, v26, v24 :: v_dual_add_f32 v9, v9, v23
	v_sub_f32_e32 v10, v10, v22
	s_delay_alu instid0(VALU_DEP_1) | instskip(NEXT) | instid1(VALU_DEP_1)
	v_add_f32_e32 v9, v9, v10
	v_add_f32_e32 v9, v26, v9
	s_wait_alu 0xfffd
	s_delay_alu instid0(VALU_DEP_1) | instskip(SKIP_2) | instid1(VALU_DEP_2)
	v_cndmask_b32_e32 v9, 0x7f800000, v9, vcc_lo
	v_cmp_gt_f32_e64 vcc_lo, 0x33800000, |v21|
	s_wait_alu 0xfffd
	v_cndmask_b32_e32 v9, v9, v21, vcc_lo
	s_delay_alu instid0(VALU_DEP_1)
	v_add_f32_e32 v9, v8, v9
.LBB521_45:                             ;   in Loop: Header=BB521_37 Depth=2
	s_or_b32 exec_lo, exec_lo, s22
	s_delay_alu instid0(VALU_DEP_1) | instskip(SKIP_1) | instid1(VALU_DEP_2)
	v_bfe_u32 v8, v9, 16, 1
	v_cmp_o_f32_e32 vcc_lo, v9, v9
	v_add3_u32 v8, v9, v8, 0x7fff
	s_delay_alu instid0(VALU_DEP_1) | instskip(SKIP_1) | instid1(VALU_DEP_1)
	v_lshrrev_b32_e32 v8, 16, v8
	s_wait_alu 0xfffd
	v_cndmask_b32_e32 v8, 0x7fc0, v8, vcc_lo
	ds_store_b16 v12, v8
.LBB521_46:                             ;   in Loop: Header=BB521_37 Depth=2
	s_wait_alu 0xfffe
	s_or_b32 exec_lo, exec_lo, s21
	v_mov_b32_e32 v22, 0
	s_mov_b32 s21, 0
	s_wait_dscnt 0x0
	s_barrier_signal -1
	s_barrier_wait -1
	global_inv scope:SCOPE_SE
	s_branch .LBB521_49
.LBB521_47:                             ;   in Loop: Header=BB521_49 Depth=3
	s_or_b32 exec_lo, exec_lo, s23
	s_delay_alu instid0(VALU_DEP_1) | instskip(SKIP_1) | instid1(VALU_DEP_2)
	v_bfe_u32 v9, v10, 16, 1
	v_cmp_o_f32_e32 vcc_lo, v10, v10
	v_add3_u32 v9, v10, v9, 0x7fff
	s_delay_alu instid0(VALU_DEP_1) | instskip(SKIP_1) | instid1(VALU_DEP_1)
	v_lshrrev_b32_e32 v9, 16, v9
	s_wait_alu 0xfffd
	v_cndmask_b32_e32 v9, 0x7fc0, v9, vcc_lo
	ds_store_b16 v8, v9
.LBB521_48:                             ;   in Loop: Header=BB521_49 Depth=3
	s_or_b32 exec_lo, exec_lo, s22
	s_delay_alu instid0(VALU_DEP_1)
	v_cmp_eq_u32_e32 vcc_lo, s14, v21
	v_mov_b32_e32 v22, v21
	s_wait_loadcnt_dscnt 0x0
	s_barrier_signal -1
	s_barrier_wait -1
	s_wait_alu 0xfffe
	s_or_b32 s21, vcc_lo, s21
	global_inv scope:SCOPE_SE
	s_wait_alu 0xfffe
	s_and_not1_b32 exec_lo, exec_lo, s21
	s_cbranch_execz .LBB521_56
.LBB521_49:                             ;   Parent Loop BB521_34 Depth=1
                                        ;     Parent Loop BB521_37 Depth=2
                                        ; =>    This Inner Loop Header: Depth=3
	v_add_nc_u32_e32 v21, 1, v22
	s_and_saveexec_b32 s22, s2
	s_delay_alu instid0(SALU_CYCLE_1)
	s_xor_b32 s22, exec_lo, s22
; %bb.50:                               ;   in Loop: Header=BB521_49 Depth=3
	v_add_nc_u32_e32 v21, 1, v22
                                        ; implicit-def: $vgpr22
; %bb.51:                               ;   in Loop: Header=BB521_49 Depth=3
	s_and_not1_saveexec_b32 s22, s22
	s_cbranch_execz .LBB521_48
; %bb.52:                               ;   in Loop: Header=BB521_49 Depth=3
	v_lshlrev_b32_e64 v8, v22, 1
	s_delay_alu instid0(VALU_DEP_1) | instskip(NEXT) | instid1(VALU_DEP_1)
	v_ashrrev_i32_e32 v9, 31, v8
	v_cmp_ge_u64_e32 vcc_lo, v[0:1], v[8:9]
	v_dual_mov_b32 v10, v1 :: v_dual_mov_b32 v9, v0
	s_and_saveexec_b32 s23, vcc_lo
	s_cbranch_execz .LBB521_54
; %bb.53:                               ;   in Loop: Header=BB521_49 Depth=3
	v_cvt_f32_u32_e32 v9, v8
	v_sub_nc_u32_e32 v10, 0, v8
	s_delay_alu instid0(VALU_DEP_2) | instskip(NEXT) | instid1(TRANS32_DEP_1)
	v_rcp_iflag_f32_e32 v9, v9
	v_mul_f32_e32 v9, 0x4f7ffffe, v9
	s_delay_alu instid0(VALU_DEP_1) | instskip(NEXT) | instid1(VALU_DEP_1)
	v_cvt_u32_f32_e32 v9, v9
	v_mul_lo_u32 v10, v10, v9
	s_delay_alu instid0(VALU_DEP_1) | instskip(NEXT) | instid1(VALU_DEP_1)
	v_mul_hi_u32 v10, v9, v10
	v_add_nc_u32_e32 v9, v9, v10
	s_delay_alu instid0(VALU_DEP_1) | instskip(NEXT) | instid1(VALU_DEP_1)
	v_mul_hi_u32 v9, v0, v9
	v_mul_lo_u32 v9, v9, v8
	s_delay_alu instid0(VALU_DEP_1) | instskip(NEXT) | instid1(VALU_DEP_1)
	v_sub_nc_u32_e32 v9, v0, v9
	v_sub_nc_u32_e32 v10, v9, v8
	v_cmp_ge_u32_e32 vcc_lo, v9, v8
	s_wait_alu 0xfffd
	s_delay_alu instid0(VALU_DEP_2) | instskip(NEXT) | instid1(VALU_DEP_1)
	v_cndmask_b32_e32 v9, v9, v10, vcc_lo
	v_sub_nc_u32_e32 v10, v9, v8
	v_cmp_ge_u32_e32 vcc_lo, v9, v8
	s_wait_alu 0xfffd
	s_delay_alu instid0(VALU_DEP_2)
	v_cndmask_b32_e32 v9, v9, v10, vcc_lo
.LBB521_54:                             ;   in Loop: Header=BB521_49 Depth=3
	s_or_b32 exec_lo, exec_lo, s23
	v_lshrrev_b32_e32 v10, v22, v0
	s_delay_alu instid0(VALU_DEP_1) | instskip(NEXT) | instid1(VALU_DEP_1)
	v_lshl_or_b32 v8, v10, v21, v8
	v_lshl_add_u32 v8, v8, 1, v12
	s_delay_alu instid0(VALU_DEP_1)
	v_add_nc_u32_e32 v10, -2, v8
	v_lshl_add_u32 v8, v9, 1, v8
	ds_load_u16 v9, v10
	ds_load_u16 v10, v8
	s_wait_dscnt 0x0
	v_lshlrev_b32_e32 v10, 16, v10
	s_delay_alu instid0(VALU_DEP_1) | instskip(SKIP_2) | instid1(VALU_DEP_2)
	v_max_num_f32_e32 v23, v10, v10
	v_lshlrev_b32_e32 v9, 16, v9
	v_cmp_u_f32_e32 vcc_lo, v10, v10
	v_max_num_f32_e32 v22, v9, v9
	s_delay_alu instid0(VALU_DEP_1) | instskip(SKIP_2) | instid1(VALU_DEP_2)
	v_min_num_f32_e32 v24, v23, v22
	v_max_num_f32_e32 v22, v23, v22
	s_wait_alu 0xfffd
	v_cndmask_b32_e32 v23, v24, v10, vcc_lo
	s_delay_alu instid0(VALU_DEP_2) | instskip(SKIP_2) | instid1(VALU_DEP_3)
	v_cndmask_b32_e32 v24, v22, v10, vcc_lo
	v_cmp_u_f32_e32 vcc_lo, v9, v9
	s_wait_alu 0xfffd
	v_cndmask_b32_e32 v22, v23, v9, vcc_lo
	s_delay_alu instid0(VALU_DEP_3) | instskip(NEXT) | instid1(VALU_DEP_2)
	v_cndmask_b32_e32 v9, v24, v9, vcc_lo
	v_cmp_class_f32_e64 s23, v22, 0x1f8
	s_delay_alu instid0(VALU_DEP_2) | instskip(SKIP_1) | instid1(SALU_CYCLE_1)
	v_cmp_neq_f32_e32 vcc_lo, v22, v9
	s_or_b32 s24, vcc_lo, s23
	s_and_saveexec_b32 s23, s24
	s_cbranch_execz .LBB521_47
; %bb.55:                               ;   in Loop: Header=BB521_49 Depth=3
	v_sub_f32_e32 v10, v22, v9
	s_delay_alu instid0(VALU_DEP_1) | instskip(SKIP_1) | instid1(VALU_DEP_2)
	v_mul_f32_e32 v22, 0x3fb8aa3b, v10
	v_cmp_ngt_f32_e32 vcc_lo, 0xc2ce8ed0, v10
	v_fma_f32 v23, 0x3fb8aa3b, v10, -v22
	v_rndne_f32_e32 v24, v22
	s_delay_alu instid0(VALU_DEP_1) | instskip(NEXT) | instid1(VALU_DEP_1)
	v_dual_fmac_f32 v23, 0x32a5705f, v10 :: v_dual_sub_f32 v22, v22, v24
	v_add_f32_e32 v22, v22, v23
	v_cvt_i32_f32_e32 v23, v24
	s_delay_alu instid0(VALU_DEP_2) | instskip(NEXT) | instid1(TRANS32_DEP_1)
	v_exp_f32_e32 v22, v22
	v_ldexp_f32 v22, v22, v23
	s_wait_alu 0xfffd
	s_delay_alu instid0(VALU_DEP_1) | instskip(SKIP_2) | instid1(VALU_DEP_2)
	v_cndmask_b32_e32 v22, 0, v22, vcc_lo
	v_cmp_nlt_f32_e32 vcc_lo, 0x42b17218, v10
	s_wait_alu 0xfffd
	v_cndmask_b32_e32 v10, 0x7f800000, v22, vcc_lo
	s_delay_alu instid0(VALU_DEP_1) | instskip(NEXT) | instid1(VALU_DEP_1)
	v_add_f32_e32 v24, 1.0, v10
	v_cvt_f64_f32_e32 v[22:23], v24
	s_delay_alu instid0(VALU_DEP_1) | instskip(SKIP_1) | instid1(VALU_DEP_1)
	v_frexp_exp_i32_f64_e32 v22, v[22:23]
	v_frexp_mant_f32_e32 v23, v24
	v_cmp_gt_f32_e32 vcc_lo, 0x3f2aaaab, v23
	v_add_f32_e32 v23, -1.0, v24
	s_delay_alu instid0(VALU_DEP_1) | instskip(SKIP_2) | instid1(VALU_DEP_1)
	v_dual_sub_f32 v26, v23, v24 :: v_dual_sub_f32 v23, v10, v23
	s_wait_alu 0xfffd
	v_subrev_co_ci_u32_e64 v22, null, 0, v22, vcc_lo
	v_sub_nc_u32_e32 v25, 0, v22
	v_cvt_f32_i32_e32 v22, v22
	s_delay_alu instid0(VALU_DEP_2) | instskip(NEXT) | instid1(VALU_DEP_1)
	v_ldexp_f32 v24, v24, v25
	v_dual_add_f32 v27, 1.0, v24 :: v_dual_add_f32 v26, 1.0, v26
	s_delay_alu instid0(VALU_DEP_1) | instskip(NEXT) | instid1(VALU_DEP_1)
	v_dual_add_f32 v23, v23, v26 :: v_dual_add_f32 v26, -1.0, v27
	v_ldexp_f32 v23, v23, v25
	s_delay_alu instid0(VALU_DEP_2) | instskip(NEXT) | instid1(VALU_DEP_1)
	v_dual_add_f32 v25, -1.0, v24 :: v_dual_sub_f32 v26, v24, v26
	v_add_f32_e32 v28, 1.0, v25
	s_delay_alu instid0(VALU_DEP_2) | instskip(NEXT) | instid1(VALU_DEP_2)
	v_add_f32_e32 v26, v23, v26
	v_sub_f32_e32 v24, v24, v28
	s_delay_alu instid0(VALU_DEP_1) | instskip(SKIP_1) | instid1(VALU_DEP_2)
	v_add_f32_e32 v23, v23, v24
	v_cmp_neq_f32_e32 vcc_lo, 0x7f800000, v10
	v_add_f32_e32 v29, v25, v23
	s_delay_alu instid0(VALU_DEP_1) | instskip(NEXT) | instid1(VALU_DEP_1)
	v_dual_sub_f32 v25, v25, v29 :: v_dual_add_f32 v28, v27, v26
	v_add_f32_e32 v23, v23, v25
	s_delay_alu instid0(VALU_DEP_2) | instskip(SKIP_1) | instid1(VALU_DEP_1)
	v_rcp_f32_e32 v24, v28
	v_sub_f32_e32 v27, v27, v28
	v_add_f32_e32 v26, v26, v27
	s_delay_alu instid0(TRANS32_DEP_1) | instskip(NEXT) | instid1(VALU_DEP_1)
	v_mul_f32_e32 v30, v29, v24
	v_mul_f32_e32 v31, v28, v30
	s_delay_alu instid0(VALU_DEP_1) | instskip(NEXT) | instid1(VALU_DEP_1)
	v_fma_f32 v27, v30, v28, -v31
	v_fmac_f32_e32 v27, v30, v26
	s_delay_alu instid0(VALU_DEP_1) | instskip(NEXT) | instid1(VALU_DEP_1)
	v_add_f32_e32 v32, v31, v27
	v_sub_f32_e32 v33, v29, v32
	v_sub_f32_e32 v25, v32, v31
	s_delay_alu instid0(VALU_DEP_2) | instskip(NEXT) | instid1(VALU_DEP_1)
	v_sub_f32_e32 v29, v29, v33
	v_sub_f32_e32 v29, v29, v32
	s_delay_alu instid0(VALU_DEP_3) | instskip(NEXT) | instid1(VALU_DEP_2)
	v_sub_f32_e32 v25, v25, v27
	v_add_f32_e32 v23, v23, v29
	s_delay_alu instid0(VALU_DEP_1) | instskip(NEXT) | instid1(VALU_DEP_1)
	v_add_f32_e32 v23, v25, v23
	v_add_f32_e32 v25, v33, v23
	s_delay_alu instid0(VALU_DEP_1) | instskip(NEXT) | instid1(VALU_DEP_1)
	v_mul_f32_e32 v27, v24, v25
	v_dual_sub_f32 v32, v33, v25 :: v_dual_mul_f32 v29, v28, v27
	s_delay_alu instid0(VALU_DEP_1) | instskip(NEXT) | instid1(VALU_DEP_2)
	v_add_f32_e32 v23, v23, v32
	v_fma_f32 v28, v27, v28, -v29
	s_delay_alu instid0(VALU_DEP_1) | instskip(NEXT) | instid1(VALU_DEP_1)
	v_fmac_f32_e32 v28, v27, v26
	v_add_f32_e32 v26, v29, v28
	s_delay_alu instid0(VALU_DEP_1) | instskip(NEXT) | instid1(VALU_DEP_1)
	v_sub_f32_e32 v31, v25, v26
	v_sub_f32_e32 v25, v25, v31
	s_delay_alu instid0(VALU_DEP_1) | instskip(NEXT) | instid1(VALU_DEP_1)
	v_sub_f32_e32 v25, v25, v26
	v_add_f32_e32 v23, v23, v25
	v_add_f32_e32 v25, v30, v27
	v_sub_f32_e32 v29, v26, v29
	s_delay_alu instid0(VALU_DEP_1) | instskip(NEXT) | instid1(VALU_DEP_1)
	v_sub_f32_e32 v26, v29, v28
	v_dual_add_f32 v23, v26, v23 :: v_dual_sub_f32 v26, v25, v30
	s_delay_alu instid0(VALU_DEP_1) | instskip(NEXT) | instid1(VALU_DEP_1)
	v_add_f32_e32 v23, v31, v23
	v_dual_sub_f32 v26, v27, v26 :: v_dual_mul_f32 v23, v24, v23
	s_delay_alu instid0(VALU_DEP_1) | instskip(NEXT) | instid1(VALU_DEP_1)
	v_add_f32_e32 v23, v26, v23
	v_add_f32_e32 v24, v25, v23
	s_delay_alu instid0(VALU_DEP_1) | instskip(NEXT) | instid1(VALU_DEP_1)
	v_mul_f32_e32 v26, v24, v24
	v_fmaak_f32 v27, s20, v26, 0x3ecc95a3
	v_mul_f32_e32 v28, v24, v26
	s_delay_alu instid0(VALU_DEP_2) | instskip(SKIP_1) | instid1(VALU_DEP_2)
	v_fmaak_f32 v26, v26, v27, 0x3f2aaada
	v_ldexp_f32 v27, v24, 1
	v_mul_f32_e32 v26, v28, v26
	v_mul_f32_e32 v28, 0x3f317218, v22
	s_delay_alu instid0(VALU_DEP_2) | instskip(NEXT) | instid1(VALU_DEP_1)
	v_dual_sub_f32 v24, v24, v25 :: v_dual_add_f32 v25, v27, v26
	v_dual_sub_f32 v23, v23, v24 :: v_dual_sub_f32 v24, v25, v27
	s_delay_alu instid0(VALU_DEP_3) | instskip(NEXT) | instid1(VALU_DEP_2)
	v_fma_f32 v27, 0x3f317218, v22, -v28
	v_ldexp_f32 v23, v23, 1
	s_delay_alu instid0(VALU_DEP_2) | instskip(NEXT) | instid1(VALU_DEP_1)
	v_dual_sub_f32 v24, v26, v24 :: v_dual_fmac_f32 v27, 0xb102e308, v22
	v_dual_add_f32 v22, v23, v24 :: v_dual_add_f32 v23, v28, v27
	s_delay_alu instid0(VALU_DEP_1) | instskip(NEXT) | instid1(VALU_DEP_1)
	v_add_f32_e32 v24, v25, v22
	v_add_f32_e32 v26, v23, v24
	s_delay_alu instid0(VALU_DEP_1) | instskip(NEXT) | instid1(VALU_DEP_1)
	v_sub_f32_e32 v29, v26, v23
	v_sub_f32_e32 v30, v26, v29
	;; [unrolled: 1-line block ×3, first 2 shown]
	s_delay_alu instid0(VALU_DEP_1) | instskip(SKIP_1) | instid1(VALU_DEP_1)
	v_sub_f32_e32 v22, v22, v25
	v_sub_f32_e32 v28, v23, v28
	v_dual_sub_f32 v24, v24, v29 :: v_dual_sub_f32 v27, v27, v28
	s_delay_alu instid0(VALU_DEP_1) | instskip(SKIP_1) | instid1(VALU_DEP_1)
	v_add_f32_e32 v25, v27, v22
	v_sub_f32_e32 v23, v23, v30
	v_add_f32_e32 v23, v24, v23
	s_delay_alu instid0(VALU_DEP_3) | instskip(NEXT) | instid1(VALU_DEP_1)
	v_sub_f32_e32 v24, v25, v27
	v_dual_sub_f32 v22, v22, v24 :: v_dual_add_f32 v23, v25, v23
	s_delay_alu instid0(VALU_DEP_1) | instskip(NEXT) | instid1(VALU_DEP_1)
	v_dual_sub_f32 v25, v25, v24 :: v_dual_add_f32 v28, v26, v23
	v_dual_sub_f32 v24, v28, v26 :: v_dual_sub_f32 v25, v27, v25
	s_delay_alu instid0(VALU_DEP_1) | instskip(NEXT) | instid1(VALU_DEP_1)
	v_dual_sub_f32 v23, v23, v24 :: v_dual_add_f32 v22, v22, v25
	v_add_f32_e32 v22, v22, v23
	s_delay_alu instid0(VALU_DEP_1) | instskip(SKIP_1) | instid1(VALU_DEP_1)
	v_add_f32_e32 v22, v28, v22
	s_wait_alu 0xfffd
	v_cndmask_b32_e32 v22, 0x7f800000, v22, vcc_lo
	v_cmp_gt_f32_e64 vcc_lo, 0x33800000, |v10|
	s_wait_alu 0xfffd
	s_delay_alu instid0(VALU_DEP_2) | instskip(NEXT) | instid1(VALU_DEP_1)
	v_cndmask_b32_e32 v10, v22, v10, vcc_lo
	v_add_f32_e32 v10, v9, v10
	s_branch .LBB521_47
.LBB521_56:                             ;   in Loop: Header=BB521_37 Depth=2
	s_or_b32 exec_lo, exec_lo, s21
	s_and_saveexec_b32 s21, s1
	s_cbranch_execz .LBB521_36
; %bb.57:                               ;   in Loop: Header=BB521_37 Depth=2
	s_mov_b32 s22, exec_lo
	v_cmpx_gt_u64_e64 s[12:13], v[6:7]
	s_cbranch_execz .LBB521_59
; %bb.58:                               ;   in Loop: Header=BB521_37 Depth=2
	ds_load_u16 v8, v13
	v_lshlrev_b64_e32 v[6:7], 1, v[6:7]
	s_delay_alu instid0(VALU_DEP_1) | instskip(SKIP_1) | instid1(VALU_DEP_2)
	v_add_co_u32 v6, vcc_lo, v19, v6
	s_wait_alu 0xfffd
	v_add_co_ci_u32_e64 v7, null, v20, v7, vcc_lo
	s_wait_dscnt 0x0
	global_store_b16 v[6:7], v8, off
.LBB521_59:                             ;   in Loop: Header=BB521_37 Depth=2
	s_or_b32 exec_lo, exec_lo, s22
	v_cmp_gt_u64_e32 vcc_lo, s[12:13], v[4:5]
	s_and_b32 exec_lo, exec_lo, vcc_lo
	s_cbranch_execz .LBB521_36
; %bb.60:                               ;   in Loop: Header=BB521_37 Depth=2
	ds_load_u16 v6, v14
	v_lshlrev_b64_e32 v[4:5], 1, v[4:5]
	s_delay_alu instid0(VALU_DEP_1) | instskip(SKIP_1) | instid1(VALU_DEP_2)
	v_add_co_u32 v4, vcc_lo, v19, v4
	s_wait_alu 0xfffd
	v_add_co_ci_u32_e64 v5, null, v20, v5, vcc_lo
	s_wait_dscnt 0x0
	global_store_b16 v[4:5], v6, off
	s_branch .LBB521_36
.LBB521_61:
	s_endpgm
	.section	.rodata,"a",@progbits
	.p2align	6, 0x0
	.amdhsa_kernel _ZN2at6native32tensor_kernel_scan_innermost_dimIN3c108BFloat16EZZZNS0_31launch_logcumsumexp_cuda_kernelERKNS_10TensorBaseES6_lENKUlvE_clEvENKUlvE4_clEvEUlS3_S3_E_EEvPT_PKSA_jjjSA_T0_
		.amdhsa_group_segment_fixed_size 0
		.amdhsa_private_segment_fixed_size 0
		.amdhsa_kernarg_size 288
		.amdhsa_user_sgpr_count 2
		.amdhsa_user_sgpr_dispatch_ptr 0
		.amdhsa_user_sgpr_queue_ptr 0
		.amdhsa_user_sgpr_kernarg_segment_ptr 1
		.amdhsa_user_sgpr_dispatch_id 0
		.amdhsa_user_sgpr_private_segment_size 0
		.amdhsa_wavefront_size32 1
		.amdhsa_uses_dynamic_stack 0
		.amdhsa_enable_private_segment 0
		.amdhsa_system_sgpr_workgroup_id_x 1
		.amdhsa_system_sgpr_workgroup_id_y 0
		.amdhsa_system_sgpr_workgroup_id_z 0
		.amdhsa_system_sgpr_workgroup_info 0
		.amdhsa_system_vgpr_workitem_id 1
		.amdhsa_next_free_vgpr 34
		.amdhsa_next_free_sgpr 25
		.amdhsa_reserve_vcc 1
		.amdhsa_float_round_mode_32 0
		.amdhsa_float_round_mode_16_64 0
		.amdhsa_float_denorm_mode_32 3
		.amdhsa_float_denorm_mode_16_64 3
		.amdhsa_fp16_overflow 0
		.amdhsa_workgroup_processor_mode 1
		.amdhsa_memory_ordered 1
		.amdhsa_forward_progress 1
		.amdhsa_inst_pref_size 48
		.amdhsa_round_robin_scheduling 0
		.amdhsa_exception_fp_ieee_invalid_op 0
		.amdhsa_exception_fp_denorm_src 0
		.amdhsa_exception_fp_ieee_div_zero 0
		.amdhsa_exception_fp_ieee_overflow 0
		.amdhsa_exception_fp_ieee_underflow 0
		.amdhsa_exception_fp_ieee_inexact 0
		.amdhsa_exception_int_div_zero 0
	.end_amdhsa_kernel
	.section	.text._ZN2at6native32tensor_kernel_scan_innermost_dimIN3c108BFloat16EZZZNS0_31launch_logcumsumexp_cuda_kernelERKNS_10TensorBaseES6_lENKUlvE_clEvENKUlvE4_clEvEUlS3_S3_E_EEvPT_PKSA_jjjSA_T0_,"axG",@progbits,_ZN2at6native32tensor_kernel_scan_innermost_dimIN3c108BFloat16EZZZNS0_31launch_logcumsumexp_cuda_kernelERKNS_10TensorBaseES6_lENKUlvE_clEvENKUlvE4_clEvEUlS3_S3_E_EEvPT_PKSA_jjjSA_T0_,comdat
.Lfunc_end521:
	.size	_ZN2at6native32tensor_kernel_scan_innermost_dimIN3c108BFloat16EZZZNS0_31launch_logcumsumexp_cuda_kernelERKNS_10TensorBaseES6_lENKUlvE_clEvENKUlvE4_clEvEUlS3_S3_E_EEvPT_PKSA_jjjSA_T0_, .Lfunc_end521-_ZN2at6native32tensor_kernel_scan_innermost_dimIN3c108BFloat16EZZZNS0_31launch_logcumsumexp_cuda_kernelERKNS_10TensorBaseES6_lENKUlvE_clEvENKUlvE4_clEvEUlS3_S3_E_EEvPT_PKSA_jjjSA_T0_
                                        ; -- End function
	.set _ZN2at6native32tensor_kernel_scan_innermost_dimIN3c108BFloat16EZZZNS0_31launch_logcumsumexp_cuda_kernelERKNS_10TensorBaseES6_lENKUlvE_clEvENKUlvE4_clEvEUlS3_S3_E_EEvPT_PKSA_jjjSA_T0_.num_vgpr, 34
	.set _ZN2at6native32tensor_kernel_scan_innermost_dimIN3c108BFloat16EZZZNS0_31launch_logcumsumexp_cuda_kernelERKNS_10TensorBaseES6_lENKUlvE_clEvENKUlvE4_clEvEUlS3_S3_E_EEvPT_PKSA_jjjSA_T0_.num_agpr, 0
	.set _ZN2at6native32tensor_kernel_scan_innermost_dimIN3c108BFloat16EZZZNS0_31launch_logcumsumexp_cuda_kernelERKNS_10TensorBaseES6_lENKUlvE_clEvENKUlvE4_clEvEUlS3_S3_E_EEvPT_PKSA_jjjSA_T0_.numbered_sgpr, 25
	.set _ZN2at6native32tensor_kernel_scan_innermost_dimIN3c108BFloat16EZZZNS0_31launch_logcumsumexp_cuda_kernelERKNS_10TensorBaseES6_lENKUlvE_clEvENKUlvE4_clEvEUlS3_S3_E_EEvPT_PKSA_jjjSA_T0_.num_named_barrier, 0
	.set _ZN2at6native32tensor_kernel_scan_innermost_dimIN3c108BFloat16EZZZNS0_31launch_logcumsumexp_cuda_kernelERKNS_10TensorBaseES6_lENKUlvE_clEvENKUlvE4_clEvEUlS3_S3_E_EEvPT_PKSA_jjjSA_T0_.private_seg_size, 0
	.set _ZN2at6native32tensor_kernel_scan_innermost_dimIN3c108BFloat16EZZZNS0_31launch_logcumsumexp_cuda_kernelERKNS_10TensorBaseES6_lENKUlvE_clEvENKUlvE4_clEvEUlS3_S3_E_EEvPT_PKSA_jjjSA_T0_.uses_vcc, 1
	.set _ZN2at6native32tensor_kernel_scan_innermost_dimIN3c108BFloat16EZZZNS0_31launch_logcumsumexp_cuda_kernelERKNS_10TensorBaseES6_lENKUlvE_clEvENKUlvE4_clEvEUlS3_S3_E_EEvPT_PKSA_jjjSA_T0_.uses_flat_scratch, 0
	.set _ZN2at6native32tensor_kernel_scan_innermost_dimIN3c108BFloat16EZZZNS0_31launch_logcumsumexp_cuda_kernelERKNS_10TensorBaseES6_lENKUlvE_clEvENKUlvE4_clEvEUlS3_S3_E_EEvPT_PKSA_jjjSA_T0_.has_dyn_sized_stack, 0
	.set _ZN2at6native32tensor_kernel_scan_innermost_dimIN3c108BFloat16EZZZNS0_31launch_logcumsumexp_cuda_kernelERKNS_10TensorBaseES6_lENKUlvE_clEvENKUlvE4_clEvEUlS3_S3_E_EEvPT_PKSA_jjjSA_T0_.has_recursion, 0
	.set _ZN2at6native32tensor_kernel_scan_innermost_dimIN3c108BFloat16EZZZNS0_31launch_logcumsumexp_cuda_kernelERKNS_10TensorBaseES6_lENKUlvE_clEvENKUlvE4_clEvEUlS3_S3_E_EEvPT_PKSA_jjjSA_T0_.has_indirect_call, 0
	.section	.AMDGPU.csdata,"",@progbits
; Kernel info:
; codeLenInByte = 6104
; TotalNumSgprs: 27
; NumVgprs: 34
; ScratchSize: 0
; MemoryBound: 0
; FloatMode: 240
; IeeeMode: 1
; LDSByteSize: 0 bytes/workgroup (compile time only)
; SGPRBlocks: 0
; VGPRBlocks: 4
; NumSGPRsForWavesPerEU: 27
; NumVGPRsForWavesPerEU: 34
; Occupancy: 16
; WaveLimiterHint : 0
; COMPUTE_PGM_RSRC2:SCRATCH_EN: 0
; COMPUTE_PGM_RSRC2:USER_SGPR: 2
; COMPUTE_PGM_RSRC2:TRAP_HANDLER: 0
; COMPUTE_PGM_RSRC2:TGID_X_EN: 1
; COMPUTE_PGM_RSRC2:TGID_Y_EN: 0
; COMPUTE_PGM_RSRC2:TGID_Z_EN: 0
; COMPUTE_PGM_RSRC2:TIDIG_COMP_CNT: 1
	.section	.text._ZN2at6native28tensor_kernel_scan_outer_dimIN3c108BFloat16EjZZZNS0_31launch_logcumsumexp_cuda_kernelERKNS_10TensorBaseES6_lENKUlvE_clEvENKUlvE4_clEvEUlS3_S3_E_EEvPT_PKSA_jjjSA_T1_,"axG",@progbits,_ZN2at6native28tensor_kernel_scan_outer_dimIN3c108BFloat16EjZZZNS0_31launch_logcumsumexp_cuda_kernelERKNS_10TensorBaseES6_lENKUlvE_clEvENKUlvE4_clEvEUlS3_S3_E_EEvPT_PKSA_jjjSA_T1_,comdat
	.globl	_ZN2at6native28tensor_kernel_scan_outer_dimIN3c108BFloat16EjZZZNS0_31launch_logcumsumexp_cuda_kernelERKNS_10TensorBaseES6_lENKUlvE_clEvENKUlvE4_clEvEUlS3_S3_E_EEvPT_PKSA_jjjSA_T1_ ; -- Begin function _ZN2at6native28tensor_kernel_scan_outer_dimIN3c108BFloat16EjZZZNS0_31launch_logcumsumexp_cuda_kernelERKNS_10TensorBaseES6_lENKUlvE_clEvENKUlvE4_clEvEUlS3_S3_E_EEvPT_PKSA_jjjSA_T1_
	.p2align	8
	.type	_ZN2at6native28tensor_kernel_scan_outer_dimIN3c108BFloat16EjZZZNS0_31launch_logcumsumexp_cuda_kernelERKNS_10TensorBaseES6_lENKUlvE_clEvENKUlvE4_clEvEUlS3_S3_E_EEvPT_PKSA_jjjSA_T1_,@function
_ZN2at6native28tensor_kernel_scan_outer_dimIN3c108BFloat16EjZZZNS0_31launch_logcumsumexp_cuda_kernelERKNS_10TensorBaseES6_lENKUlvE_clEvENKUlvE4_clEvEUlS3_S3_E_EEvPT_PKSA_jjjSA_T1_: ; @_ZN2at6native28tensor_kernel_scan_outer_dimIN3c108BFloat16EjZZZNS0_31launch_logcumsumexp_cuda_kernelERKNS_10TensorBaseES6_lENKUlvE_clEvENKUlvE4_clEvEUlS3_S3_E_EEvPT_PKSA_jjjSA_T1_
; %bb.0:
	s_load_b128 s[4:7], s[0:1], 0x10
	s_wait_kmcnt 0x0
	s_cmp_ge_u32 ttmp9, s4
	s_cbranch_scc1 .LBB522_11
; %bb.1:
	s_clause 0x2
	s_load_b32 s12, s[0:1], 0x2c
	s_load_b32 s19, s[0:1], 0x20
	s_load_b128 s[8:11], s[0:1], 0x0
	s_add_nc_u64 s[2:3], s[0:1], 32
	s_mul_i32 s0, ttmp9, s6
	v_mov_b32_e32 v2, 0
	s_mul_i32 s16, s0, s5
	s_mov_b32 s13, 0
	s_mov_b32 s18, ttmp9
	s_mov_b32 s22, 0x3e9b6dac
	s_wait_kmcnt 0x0
	s_and_b32 s1, s12, 0xffff
	s_mov_b32 s12, s5
	v_mad_co_u64_u32 v[0:1], null, ttmp7, s1, v[0:1]
	s_mul_i32 s20, s19, s6
	s_cmp_lg_u32 s6, 0
	s_mul_i32 s20, s20, s5
	s_cselect_b32 s21, -1, 0
	s_lshl_b64 s[14:15], s[12:13], 1
	s_mov_b32 s12, s16
	v_cmp_gt_u32_e64 s0, s5, v0
	s_branch .LBB522_3
.LBB522_2:                              ;   in Loop: Header=BB522_3 Depth=1
	s_wait_alu 0xfffe
	s_or_b32 exec_lo, exec_lo, s23
	s_add_co_i32 s18, s19, s18
	s_add_co_i32 s12, s12, s20
	s_cmp_ge_u32 s18, s4
	s_cbranch_scc1 .LBB522_11
.LBB522_3:                              ; =>This Loop Header: Depth=1
                                        ;     Child Loop BB522_6 Depth 2
                                        ;       Child Loop BB522_9 Depth 3
	s_delay_alu instid0(VALU_DEP_1)
	s_and_saveexec_b32 s23, s0
	s_cbranch_execz .LBB522_2
; %bb.4:                                ;   in Loop: Header=BB522_3 Depth=1
	s_load_b32 s24, s[2:3], 0x4
	v_mov_b32_e32 v1, v0
	s_lshl_b64 s[16:17], s[12:13], 1
	s_mov_b32 s25, 0
	s_wait_kmcnt 0x0
	s_mul_i32 s24, s24, s1
	s_branch .LBB522_6
.LBB522_5:                              ;   in Loop: Header=BB522_6 Depth=2
	s_wait_alu 0xfffe
	v_add_nc_u32_e32 v1, s24, v1
	s_delay_alu instid0(VALU_DEP_1)
	v_cmp_le_u32_e32 vcc_lo, s5, v1
	s_or_b32 s25, vcc_lo, s25
	s_wait_alu 0xfffe
	s_and_not1_b32 exec_lo, exec_lo, s25
	s_cbranch_execz .LBB522_2
.LBB522_6:                              ;   Parent Loop BB522_3 Depth=1
                                        ; =>  This Loop Header: Depth=2
                                        ;       Child Loop BB522_9 Depth 3
	s_and_not1_b32 vcc_lo, exec_lo, s21
	s_wait_alu 0xfffe
	s_cbranch_vccnz .LBB522_5
; %bb.7:                                ;   in Loop: Header=BB522_6 Depth=2
	v_lshlrev_b64_e32 v[3:4], 1, v[1:2]
	v_mov_b32_e32 v5, s7
	s_mov_b32 s26, s6
	s_delay_alu instid0(VALU_DEP_2) | instskip(SKIP_1) | instid1(VALU_DEP_3)
	v_add_co_u32 v3, vcc_lo, s16, v3
	s_wait_alu 0xfffd
	v_add_co_ci_u32_e64 v4, null, s17, v4, vcc_lo
	s_branch .LBB522_9
.LBB522_8:                              ;   in Loop: Header=BB522_9 Depth=3
	s_or_b32 exec_lo, exec_lo, s27
	s_delay_alu instid0(VALU_DEP_1) | instskip(SKIP_3) | instid1(VALU_DEP_3)
	v_bfe_u32 v5, v6, 16, 1
	v_add_co_u32 v7, vcc_lo, s8, v3
	s_wait_alu 0xfffd
	v_add_co_ci_u32_e64 v8, null, s9, v4, vcc_lo
	v_add3_u32 v5, v6, v5, 0x7fff
	v_cmp_o_f32_e32 vcc_lo, v6, v6
	s_add_co_i32 s26, s26, -1
	s_delay_alu instid0(SALU_CYCLE_1) | instskip(NEXT) | instid1(VALU_DEP_2)
	s_cmp_eq_u32 s26, 0
	v_lshrrev_b32_e32 v5, 16, v5
	s_wait_alu 0xfffd
	s_delay_alu instid0(VALU_DEP_1)
	v_cndmask_b32_e32 v5, 0x7fc0, v5, vcc_lo
	v_add_co_u32 v3, vcc_lo, v3, s14
	s_wait_alu 0xfffd
	v_add_co_ci_u32_e64 v4, null, s15, v4, vcc_lo
	global_store_b16 v[7:8], v5, off
	s_cbranch_scc1 .LBB522_5
.LBB522_9:                              ;   Parent Loop BB522_3 Depth=1
                                        ;     Parent Loop BB522_6 Depth=2
                                        ; =>    This Inner Loop Header: Depth=3
	s_delay_alu instid0(VALU_DEP_2) | instskip(SKIP_1) | instid1(VALU_DEP_2)
	v_add_co_u32 v6, vcc_lo, s10, v3
	s_wait_alu 0xfffd
	v_add_co_ci_u32_e64 v7, null, s11, v4, vcc_lo
	global_load_u16 v7, v[6:7], off
	v_lshlrev_b32_e32 v6, 16, v5
	s_wait_loadcnt 0x0
	v_lshlrev_b32_e32 v5, 16, v7
	s_delay_alu instid0(VALU_DEP_1) | instskip(NEXT) | instid1(VALU_DEP_1)
	v_dual_max_num_f32 v7, v6, v6 :: v_dual_max_num_f32 v8, v5, v5
	v_min_num_f32_e32 v9, v7, v8
	v_max_num_f32_e32 v7, v7, v8
	v_cmp_u_f32_e32 vcc_lo, v6, v6
	s_wait_alu 0xfffd
	s_delay_alu instid0(VALU_DEP_3) | instskip(NEXT) | instid1(VALU_DEP_3)
	v_cndmask_b32_e32 v8, v9, v6, vcc_lo
	v_cndmask_b32_e32 v9, v7, v6, vcc_lo
	v_cmp_u_f32_e32 vcc_lo, v5, v5
	s_wait_alu 0xfffd
	s_delay_alu instid0(VALU_DEP_3) | instskip(NEXT) | instid1(VALU_DEP_3)
	v_cndmask_b32_e32 v7, v8, v5, vcc_lo
	v_cndmask_b32_e32 v5, v9, v5, vcc_lo
	s_delay_alu instid0(VALU_DEP_2) | instskip(NEXT) | instid1(VALU_DEP_2)
	v_cmp_class_f32_e64 s27, v7, 0x1f8
	v_cmp_neq_f32_e32 vcc_lo, v7, v5
	s_or_b32 s28, vcc_lo, s27
	s_delay_alu instid0(SALU_CYCLE_1)
	s_and_saveexec_b32 s27, s28
	s_cbranch_execz .LBB522_8
; %bb.10:                               ;   in Loop: Header=BB522_9 Depth=3
	v_sub_f32_e32 v6, v7, v5
	s_delay_alu instid0(VALU_DEP_1) | instskip(SKIP_1) | instid1(VALU_DEP_2)
	v_mul_f32_e32 v7, 0x3fb8aa3b, v6
	v_cmp_ngt_f32_e32 vcc_lo, 0xc2ce8ed0, v6
	v_fma_f32 v8, 0x3fb8aa3b, v6, -v7
	v_rndne_f32_e32 v9, v7
	s_delay_alu instid0(VALU_DEP_1) | instskip(NEXT) | instid1(VALU_DEP_1)
	v_dual_fmac_f32 v8, 0x32a5705f, v6 :: v_dual_sub_f32 v7, v7, v9
	v_add_f32_e32 v7, v7, v8
	v_cvt_i32_f32_e32 v8, v9
	s_delay_alu instid0(VALU_DEP_2) | instskip(NEXT) | instid1(TRANS32_DEP_1)
	v_exp_f32_e32 v7, v7
	v_ldexp_f32 v7, v7, v8
	s_wait_alu 0xfffd
	s_delay_alu instid0(VALU_DEP_1) | instskip(SKIP_2) | instid1(VALU_DEP_2)
	v_cndmask_b32_e32 v7, 0, v7, vcc_lo
	v_cmp_nlt_f32_e32 vcc_lo, 0x42b17218, v6
	s_wait_alu 0xfffd
	v_cndmask_b32_e32 v8, 0x7f800000, v7, vcc_lo
	s_delay_alu instid0(VALU_DEP_1) | instskip(NEXT) | instid1(VALU_DEP_1)
	v_add_f32_e32 v9, 1.0, v8
	v_cvt_f64_f32_e32 v[6:7], v9
	s_delay_alu instid0(VALU_DEP_1) | instskip(SKIP_1) | instid1(VALU_DEP_1)
	v_frexp_exp_i32_f64_e32 v6, v[6:7]
	v_frexp_mant_f32_e32 v7, v9
	v_cmp_gt_f32_e32 vcc_lo, 0x3f2aaaab, v7
	v_add_f32_e32 v7, -1.0, v9
	s_delay_alu instid0(VALU_DEP_1) | instskip(SKIP_4) | instid1(VALU_DEP_2)
	v_sub_f32_e32 v11, v7, v9
	v_sub_f32_e32 v7, v8, v7
	s_wait_alu 0xfffd
	v_subrev_co_ci_u32_e64 v6, null, 0, v6, vcc_lo
	v_cmp_neq_f32_e32 vcc_lo, 0x7f800000, v8
	v_sub_nc_u32_e32 v10, 0, v6
	v_cvt_f32_i32_e32 v6, v6
	s_delay_alu instid0(VALU_DEP_2) | instskip(NEXT) | instid1(VALU_DEP_1)
	v_ldexp_f32 v9, v9, v10
	v_dual_add_f32 v12, 1.0, v9 :: v_dual_add_f32 v11, 1.0, v11
	s_delay_alu instid0(VALU_DEP_1) | instskip(NEXT) | instid1(VALU_DEP_2)
	v_add_f32_e32 v7, v7, v11
	v_add_f32_e32 v11, -1.0, v12
	s_delay_alu instid0(VALU_DEP_2) | instskip(NEXT) | instid1(VALU_DEP_2)
	v_ldexp_f32 v7, v7, v10
	v_dual_add_f32 v10, -1.0, v9 :: v_dual_sub_f32 v11, v9, v11
	s_delay_alu instid0(VALU_DEP_1) | instskip(NEXT) | instid1(VALU_DEP_2)
	v_add_f32_e32 v13, 1.0, v10
	v_add_f32_e32 v11, v7, v11
	s_delay_alu instid0(VALU_DEP_2) | instskip(NEXT) | instid1(VALU_DEP_2)
	v_sub_f32_e32 v9, v9, v13
	v_add_f32_e32 v13, v12, v11
	s_delay_alu instid0(VALU_DEP_2) | instskip(NEXT) | instid1(VALU_DEP_2)
	v_add_f32_e32 v7, v7, v9
	v_rcp_f32_e32 v9, v13
	v_sub_f32_e32 v12, v12, v13
	s_delay_alu instid0(VALU_DEP_1) | instskip(NEXT) | instid1(VALU_DEP_1)
	v_dual_add_f32 v14, v10, v7 :: v_dual_add_f32 v11, v11, v12
	v_sub_f32_e32 v10, v10, v14
	s_delay_alu instid0(TRANS32_DEP_1) | instskip(NEXT) | instid1(VALU_DEP_1)
	v_mul_f32_e32 v15, v14, v9
	v_dual_add_f32 v7, v7, v10 :: v_dual_mul_f32 v16, v13, v15
	s_delay_alu instid0(VALU_DEP_1) | instskip(NEXT) | instid1(VALU_DEP_1)
	v_fma_f32 v12, v15, v13, -v16
	v_fmac_f32_e32 v12, v15, v11
	s_delay_alu instid0(VALU_DEP_1) | instskip(NEXT) | instid1(VALU_DEP_1)
	v_add_f32_e32 v17, v16, v12
	v_sub_f32_e32 v18, v14, v17
	v_sub_f32_e32 v10, v17, v16
	s_delay_alu instid0(VALU_DEP_2) | instskip(NEXT) | instid1(VALU_DEP_2)
	v_sub_f32_e32 v14, v14, v18
	v_sub_f32_e32 v10, v10, v12
	s_delay_alu instid0(VALU_DEP_2) | instskip(NEXT) | instid1(VALU_DEP_1)
	v_sub_f32_e32 v14, v14, v17
	v_add_f32_e32 v7, v7, v14
	s_delay_alu instid0(VALU_DEP_1) | instskip(NEXT) | instid1(VALU_DEP_1)
	v_add_f32_e32 v7, v10, v7
	v_add_f32_e32 v10, v18, v7
	s_delay_alu instid0(VALU_DEP_1) | instskip(NEXT) | instid1(VALU_DEP_1)
	v_mul_f32_e32 v12, v9, v10
	v_dual_sub_f32 v17, v18, v10 :: v_dual_mul_f32 v14, v13, v12
	s_delay_alu instid0(VALU_DEP_1) | instskip(NEXT) | instid1(VALU_DEP_2)
	v_add_f32_e32 v7, v7, v17
	v_fma_f32 v13, v12, v13, -v14
	s_delay_alu instid0(VALU_DEP_1) | instskip(NEXT) | instid1(VALU_DEP_1)
	v_fmac_f32_e32 v13, v12, v11
	v_add_f32_e32 v11, v14, v13
	s_delay_alu instid0(VALU_DEP_1) | instskip(SKIP_1) | instid1(VALU_DEP_2)
	v_sub_f32_e32 v16, v10, v11
	v_sub_f32_e32 v14, v11, v14
	;; [unrolled: 1-line block ×3, first 2 shown]
	s_delay_alu instid0(VALU_DEP_1) | instskip(NEXT) | instid1(VALU_DEP_3)
	v_sub_f32_e32 v10, v10, v11
	v_sub_f32_e32 v11, v14, v13
	s_delay_alu instid0(VALU_DEP_2) | instskip(SKIP_1) | instid1(VALU_DEP_2)
	v_add_f32_e32 v7, v7, v10
	v_add_f32_e32 v10, v15, v12
	;; [unrolled: 1-line block ×3, first 2 shown]
	s_delay_alu instid0(VALU_DEP_2) | instskip(NEXT) | instid1(VALU_DEP_2)
	v_sub_f32_e32 v11, v10, v15
	v_add_f32_e32 v7, v16, v7
	s_delay_alu instid0(VALU_DEP_2) | instskip(NEXT) | instid1(VALU_DEP_2)
	v_sub_f32_e32 v11, v12, v11
	v_mul_f32_e32 v7, v9, v7
	s_delay_alu instid0(VALU_DEP_1) | instskip(NEXT) | instid1(VALU_DEP_1)
	v_add_f32_e32 v7, v11, v7
	v_add_f32_e32 v9, v10, v7
	s_delay_alu instid0(VALU_DEP_1) | instskip(NEXT) | instid1(VALU_DEP_1)
	v_mul_f32_e32 v11, v9, v9
	v_fmaak_f32 v12, s22, v11, 0x3ecc95a3
	v_mul_f32_e32 v13, v9, v11
	s_delay_alu instid0(VALU_DEP_2) | instskip(SKIP_2) | instid1(VALU_DEP_3)
	v_fmaak_f32 v11, v11, v12, 0x3f2aaada
	v_ldexp_f32 v12, v9, 1
	v_sub_f32_e32 v9, v9, v10
	v_mul_f32_e32 v11, v13, v11
	v_mul_f32_e32 v13, 0x3f317218, v6
	s_delay_alu instid0(VALU_DEP_2) | instskip(NEXT) | instid1(VALU_DEP_1)
	v_dual_sub_f32 v7, v7, v9 :: v_dual_add_f32 v10, v12, v11
	v_ldexp_f32 v7, v7, 1
	s_delay_alu instid0(VALU_DEP_2) | instskip(NEXT) | instid1(VALU_DEP_4)
	v_sub_f32_e32 v9, v10, v12
	v_fma_f32 v12, 0x3f317218, v6, -v13
	s_delay_alu instid0(VALU_DEP_1) | instskip(NEXT) | instid1(VALU_DEP_1)
	v_dual_sub_f32 v9, v11, v9 :: v_dual_fmac_f32 v12, 0xb102e308, v6
	v_dual_add_f32 v6, v7, v9 :: v_dual_add_f32 v7, v13, v12
	s_delay_alu instid0(VALU_DEP_1) | instskip(NEXT) | instid1(VALU_DEP_2)
	v_add_f32_e32 v9, v10, v6
	v_sub_f32_e32 v13, v7, v13
	s_delay_alu instid0(VALU_DEP_2) | instskip(NEXT) | instid1(VALU_DEP_2)
	v_dual_add_f32 v11, v7, v9 :: v_dual_sub_f32 v10, v9, v10
	v_sub_f32_e32 v12, v12, v13
	s_delay_alu instid0(VALU_DEP_2) | instskip(NEXT) | instid1(VALU_DEP_3)
	v_sub_f32_e32 v14, v11, v7
	v_sub_f32_e32 v6, v6, v10
	s_delay_alu instid0(VALU_DEP_2) | instskip(SKIP_1) | instid1(VALU_DEP_2)
	v_sub_f32_e32 v15, v11, v14
	v_sub_f32_e32 v9, v9, v14
	v_dual_add_f32 v10, v12, v6 :: v_dual_sub_f32 v7, v7, v15
	s_delay_alu instid0(VALU_DEP_1) | instskip(NEXT) | instid1(VALU_DEP_2)
	v_add_f32_e32 v7, v9, v7
	v_sub_f32_e32 v9, v10, v12
	s_delay_alu instid0(VALU_DEP_2) | instskip(NEXT) | instid1(VALU_DEP_2)
	v_add_f32_e32 v7, v10, v7
	v_sub_f32_e32 v10, v10, v9
	s_delay_alu instid0(VALU_DEP_2) | instskip(NEXT) | instid1(VALU_DEP_1)
	v_dual_sub_f32 v6, v6, v9 :: v_dual_add_f32 v13, v11, v7
	v_dual_sub_f32 v10, v12, v10 :: v_dual_sub_f32 v9, v13, v11
	s_delay_alu instid0(VALU_DEP_1) | instskip(NEXT) | instid1(VALU_DEP_1)
	v_dual_add_f32 v6, v6, v10 :: v_dual_sub_f32 v7, v7, v9
	v_add_f32_e32 v6, v6, v7
	s_delay_alu instid0(VALU_DEP_1) | instskip(SKIP_1) | instid1(VALU_DEP_1)
	v_add_f32_e32 v6, v13, v6
	s_wait_alu 0xfffd
	v_cndmask_b32_e32 v6, 0x7f800000, v6, vcc_lo
	v_cmp_gt_f32_e64 vcc_lo, 0x33800000, |v8|
	s_wait_alu 0xfffd
	s_delay_alu instid0(VALU_DEP_2) | instskip(NEXT) | instid1(VALU_DEP_1)
	v_cndmask_b32_e32 v6, v6, v8, vcc_lo
	v_add_f32_e32 v6, v5, v6
	s_branch .LBB522_8
.LBB522_11:
	s_endpgm
	.section	.rodata,"a",@progbits
	.p2align	6, 0x0
	.amdhsa_kernel _ZN2at6native28tensor_kernel_scan_outer_dimIN3c108BFloat16EjZZZNS0_31launch_logcumsumexp_cuda_kernelERKNS_10TensorBaseES6_lENKUlvE_clEvENKUlvE4_clEvEUlS3_S3_E_EEvPT_PKSA_jjjSA_T1_
		.amdhsa_group_segment_fixed_size 0
		.amdhsa_private_segment_fixed_size 0
		.amdhsa_kernarg_size 288
		.amdhsa_user_sgpr_count 2
		.amdhsa_user_sgpr_dispatch_ptr 0
		.amdhsa_user_sgpr_queue_ptr 0
		.amdhsa_user_sgpr_kernarg_segment_ptr 1
		.amdhsa_user_sgpr_dispatch_id 0
		.amdhsa_user_sgpr_private_segment_size 0
		.amdhsa_wavefront_size32 1
		.amdhsa_uses_dynamic_stack 0
		.amdhsa_enable_private_segment 0
		.amdhsa_system_sgpr_workgroup_id_x 1
		.amdhsa_system_sgpr_workgroup_id_y 1
		.amdhsa_system_sgpr_workgroup_id_z 0
		.amdhsa_system_sgpr_workgroup_info 0
		.amdhsa_system_vgpr_workitem_id 0
		.amdhsa_next_free_vgpr 19
		.amdhsa_next_free_sgpr 29
		.amdhsa_reserve_vcc 1
		.amdhsa_float_round_mode_32 0
		.amdhsa_float_round_mode_16_64 0
		.amdhsa_float_denorm_mode_32 3
		.amdhsa_float_denorm_mode_16_64 3
		.amdhsa_fp16_overflow 0
		.amdhsa_workgroup_processor_mode 1
		.amdhsa_memory_ordered 1
		.amdhsa_forward_progress 1
		.amdhsa_inst_pref_size 11
		.amdhsa_round_robin_scheduling 0
		.amdhsa_exception_fp_ieee_invalid_op 0
		.amdhsa_exception_fp_denorm_src 0
		.amdhsa_exception_fp_ieee_div_zero 0
		.amdhsa_exception_fp_ieee_overflow 0
		.amdhsa_exception_fp_ieee_underflow 0
		.amdhsa_exception_fp_ieee_inexact 0
		.amdhsa_exception_int_div_zero 0
	.end_amdhsa_kernel
	.section	.text._ZN2at6native28tensor_kernel_scan_outer_dimIN3c108BFloat16EjZZZNS0_31launch_logcumsumexp_cuda_kernelERKNS_10TensorBaseES6_lENKUlvE_clEvENKUlvE4_clEvEUlS3_S3_E_EEvPT_PKSA_jjjSA_T1_,"axG",@progbits,_ZN2at6native28tensor_kernel_scan_outer_dimIN3c108BFloat16EjZZZNS0_31launch_logcumsumexp_cuda_kernelERKNS_10TensorBaseES6_lENKUlvE_clEvENKUlvE4_clEvEUlS3_S3_E_EEvPT_PKSA_jjjSA_T1_,comdat
.Lfunc_end522:
	.size	_ZN2at6native28tensor_kernel_scan_outer_dimIN3c108BFloat16EjZZZNS0_31launch_logcumsumexp_cuda_kernelERKNS_10TensorBaseES6_lENKUlvE_clEvENKUlvE4_clEvEUlS3_S3_E_EEvPT_PKSA_jjjSA_T1_, .Lfunc_end522-_ZN2at6native28tensor_kernel_scan_outer_dimIN3c108BFloat16EjZZZNS0_31launch_logcumsumexp_cuda_kernelERKNS_10TensorBaseES6_lENKUlvE_clEvENKUlvE4_clEvEUlS3_S3_E_EEvPT_PKSA_jjjSA_T1_
                                        ; -- End function
	.set _ZN2at6native28tensor_kernel_scan_outer_dimIN3c108BFloat16EjZZZNS0_31launch_logcumsumexp_cuda_kernelERKNS_10TensorBaseES6_lENKUlvE_clEvENKUlvE4_clEvEUlS3_S3_E_EEvPT_PKSA_jjjSA_T1_.num_vgpr, 19
	.set _ZN2at6native28tensor_kernel_scan_outer_dimIN3c108BFloat16EjZZZNS0_31launch_logcumsumexp_cuda_kernelERKNS_10TensorBaseES6_lENKUlvE_clEvENKUlvE4_clEvEUlS3_S3_E_EEvPT_PKSA_jjjSA_T1_.num_agpr, 0
	.set _ZN2at6native28tensor_kernel_scan_outer_dimIN3c108BFloat16EjZZZNS0_31launch_logcumsumexp_cuda_kernelERKNS_10TensorBaseES6_lENKUlvE_clEvENKUlvE4_clEvEUlS3_S3_E_EEvPT_PKSA_jjjSA_T1_.numbered_sgpr, 29
	.set _ZN2at6native28tensor_kernel_scan_outer_dimIN3c108BFloat16EjZZZNS0_31launch_logcumsumexp_cuda_kernelERKNS_10TensorBaseES6_lENKUlvE_clEvENKUlvE4_clEvEUlS3_S3_E_EEvPT_PKSA_jjjSA_T1_.num_named_barrier, 0
	.set _ZN2at6native28tensor_kernel_scan_outer_dimIN3c108BFloat16EjZZZNS0_31launch_logcumsumexp_cuda_kernelERKNS_10TensorBaseES6_lENKUlvE_clEvENKUlvE4_clEvEUlS3_S3_E_EEvPT_PKSA_jjjSA_T1_.private_seg_size, 0
	.set _ZN2at6native28tensor_kernel_scan_outer_dimIN3c108BFloat16EjZZZNS0_31launch_logcumsumexp_cuda_kernelERKNS_10TensorBaseES6_lENKUlvE_clEvENKUlvE4_clEvEUlS3_S3_E_EEvPT_PKSA_jjjSA_T1_.uses_vcc, 1
	.set _ZN2at6native28tensor_kernel_scan_outer_dimIN3c108BFloat16EjZZZNS0_31launch_logcumsumexp_cuda_kernelERKNS_10TensorBaseES6_lENKUlvE_clEvENKUlvE4_clEvEUlS3_S3_E_EEvPT_PKSA_jjjSA_T1_.uses_flat_scratch, 0
	.set _ZN2at6native28tensor_kernel_scan_outer_dimIN3c108BFloat16EjZZZNS0_31launch_logcumsumexp_cuda_kernelERKNS_10TensorBaseES6_lENKUlvE_clEvENKUlvE4_clEvEUlS3_S3_E_EEvPT_PKSA_jjjSA_T1_.has_dyn_sized_stack, 0
	.set _ZN2at6native28tensor_kernel_scan_outer_dimIN3c108BFloat16EjZZZNS0_31launch_logcumsumexp_cuda_kernelERKNS_10TensorBaseES6_lENKUlvE_clEvENKUlvE4_clEvEUlS3_S3_E_EEvPT_PKSA_jjjSA_T1_.has_recursion, 0
	.set _ZN2at6native28tensor_kernel_scan_outer_dimIN3c108BFloat16EjZZZNS0_31launch_logcumsumexp_cuda_kernelERKNS_10TensorBaseES6_lENKUlvE_clEvENKUlvE4_clEvEUlS3_S3_E_EEvPT_PKSA_jjjSA_T1_.has_indirect_call, 0
	.section	.AMDGPU.csdata,"",@progbits
; Kernel info:
; codeLenInByte = 1356
; TotalNumSgprs: 31
; NumVgprs: 19
; ScratchSize: 0
; MemoryBound: 0
; FloatMode: 240
; IeeeMode: 1
; LDSByteSize: 0 bytes/workgroup (compile time only)
; SGPRBlocks: 0
; VGPRBlocks: 2
; NumSGPRsForWavesPerEU: 31
; NumVGPRsForWavesPerEU: 19
; Occupancy: 16
; WaveLimiterHint : 0
; COMPUTE_PGM_RSRC2:SCRATCH_EN: 0
; COMPUTE_PGM_RSRC2:USER_SGPR: 2
; COMPUTE_PGM_RSRC2:TRAP_HANDLER: 0
; COMPUTE_PGM_RSRC2:TGID_X_EN: 1
; COMPUTE_PGM_RSRC2:TGID_Y_EN: 1
; COMPUTE_PGM_RSRC2:TGID_Z_EN: 0
; COMPUTE_PGM_RSRC2:TIDIG_COMP_CNT: 0
	.section	.text._ZN2at6native28tensor_kernel_scan_outer_dimIN3c108BFloat16EmZZZNS0_31launch_logcumsumexp_cuda_kernelERKNS_10TensorBaseES6_lENKUlvE_clEvENKUlvE4_clEvEUlS3_S3_E_EEvPT_PKSA_jjjSA_T1_,"axG",@progbits,_ZN2at6native28tensor_kernel_scan_outer_dimIN3c108BFloat16EmZZZNS0_31launch_logcumsumexp_cuda_kernelERKNS_10TensorBaseES6_lENKUlvE_clEvENKUlvE4_clEvEUlS3_S3_E_EEvPT_PKSA_jjjSA_T1_,comdat
	.globl	_ZN2at6native28tensor_kernel_scan_outer_dimIN3c108BFloat16EmZZZNS0_31launch_logcumsumexp_cuda_kernelERKNS_10TensorBaseES6_lENKUlvE_clEvENKUlvE4_clEvEUlS3_S3_E_EEvPT_PKSA_jjjSA_T1_ ; -- Begin function _ZN2at6native28tensor_kernel_scan_outer_dimIN3c108BFloat16EmZZZNS0_31launch_logcumsumexp_cuda_kernelERKNS_10TensorBaseES6_lENKUlvE_clEvENKUlvE4_clEvEUlS3_S3_E_EEvPT_PKSA_jjjSA_T1_
	.p2align	8
	.type	_ZN2at6native28tensor_kernel_scan_outer_dimIN3c108BFloat16EmZZZNS0_31launch_logcumsumexp_cuda_kernelERKNS_10TensorBaseES6_lENKUlvE_clEvENKUlvE4_clEvEUlS3_S3_E_EEvPT_PKSA_jjjSA_T1_,@function
_ZN2at6native28tensor_kernel_scan_outer_dimIN3c108BFloat16EmZZZNS0_31launch_logcumsumexp_cuda_kernelERKNS_10TensorBaseES6_lENKUlvE_clEvENKUlvE4_clEvEUlS3_S3_E_EEvPT_PKSA_jjjSA_T1_: ; @_ZN2at6native28tensor_kernel_scan_outer_dimIN3c108BFloat16EmZZZNS0_31launch_logcumsumexp_cuda_kernelERKNS_10TensorBaseES6_lENKUlvE_clEvENKUlvE4_clEvEUlS3_S3_E_EEvPT_PKSA_jjjSA_T1_
; %bb.0:
	s_load_b128 s[4:7], s[0:1], 0x10
	s_wait_kmcnt 0x0
	s_cmp_ge_u32 ttmp9, s4
	s_cbranch_scc1 .LBB523_11
; %bb.1:
	s_clause 0x2
	s_load_b32 s12, s[0:1], 0x2c
	s_load_b128 s[8:11], s[0:1], 0x0
	s_load_b32 s20, s[0:1], 0x20
	s_mov_b32 s3, 0
	s_mov_b32 s2, s6
	;; [unrolled: 1-line block ×4, first 2 shown]
	v_mov_b32_e32 v2, 0
	s_mul_u64 s[14:15], s[2:3], s[16:17]
	s_mov_b32 s22, 0x3e9b6dac
	s_mov_b32 s2, ttmp9
	s_wait_kmcnt 0x0
	s_and_b32 s21, s12, 0xffff
	s_add_nc_u64 s[12:13], s[0:1], 32
	v_mad_co_u64_u32 v[0:1], null, ttmp7, s21, v[0:1]
	s_cmp_lg_u32 s6, 0
	s_cselect_b32 s1, -1, 0
	s_lshl_b64 s[14:15], s[14:15], 1
	s_lshl_b64 s[16:17], s[16:17], 1
	v_cmp_gt_u32_e64 s0, s5, v0
	s_branch .LBB523_3
.LBB523_2:                              ;   in Loop: Header=BB523_3 Depth=1
	s_wait_alu 0xfffe
	s_or_b32 exec_lo, exec_lo, s23
	s_add_co_i32 s2, s2, s20
	s_delay_alu instid0(SALU_CYCLE_1)
	s_cmp_ge_u32 s2, s4
	s_cbranch_scc1 .LBB523_11
.LBB523_3:                              ; =>This Loop Header: Depth=1
                                        ;     Child Loop BB523_6 Depth 2
                                        ;       Child Loop BB523_9 Depth 3
	s_delay_alu instid0(VALU_DEP_1)
	s_and_saveexec_b32 s23, s0
	s_cbranch_execz .LBB523_2
; %bb.4:                                ;   in Loop: Header=BB523_3 Depth=1
	s_load_b32 s24, s[12:13], 0x4
	v_mov_b32_e32 v1, v0
	s_mul_u64 s[18:19], s[14:15], s[2:3]
	s_mov_b32 s25, 0
	s_wait_kmcnt 0x0
	s_mul_i32 s24, s24, s21
	s_branch .LBB523_6
.LBB523_5:                              ;   in Loop: Header=BB523_6 Depth=2
	s_wait_alu 0xfffe
	v_add_nc_u32_e32 v1, s24, v1
	s_delay_alu instid0(VALU_DEP_1)
	v_cmp_le_u32_e32 vcc_lo, s5, v1
	s_or_b32 s25, vcc_lo, s25
	s_wait_alu 0xfffe
	s_and_not1_b32 exec_lo, exec_lo, s25
	s_cbranch_execz .LBB523_2
.LBB523_6:                              ;   Parent Loop BB523_3 Depth=1
                                        ; =>  This Loop Header: Depth=2
                                        ;       Child Loop BB523_9 Depth 3
	s_and_not1_b32 vcc_lo, exec_lo, s1
	s_wait_alu 0xfffe
	s_cbranch_vccnz .LBB523_5
; %bb.7:                                ;   in Loop: Header=BB523_6 Depth=2
	v_lshlrev_b64_e32 v[3:4], 1, v[1:2]
	v_mov_b32_e32 v5, s7
	s_mov_b32 s26, s6
	s_delay_alu instid0(VALU_DEP_2) | instskip(SKIP_1) | instid1(VALU_DEP_3)
	v_add_co_u32 v3, vcc_lo, s18, v3
	s_wait_alu 0xfffd
	v_add_co_ci_u32_e64 v4, null, s19, v4, vcc_lo
	s_branch .LBB523_9
.LBB523_8:                              ;   in Loop: Header=BB523_9 Depth=3
	s_or_b32 exec_lo, exec_lo, s27
	s_delay_alu instid0(VALU_DEP_1) | instskip(SKIP_3) | instid1(VALU_DEP_3)
	v_bfe_u32 v5, v6, 16, 1
	v_add_co_u32 v7, vcc_lo, s8, v3
	s_wait_alu 0xfffd
	v_add_co_ci_u32_e64 v8, null, s9, v4, vcc_lo
	v_add3_u32 v5, v6, v5, 0x7fff
	v_cmp_o_f32_e32 vcc_lo, v6, v6
	s_add_co_i32 s26, s26, -1
	s_delay_alu instid0(SALU_CYCLE_1) | instskip(NEXT) | instid1(VALU_DEP_2)
	s_cmp_eq_u32 s26, 0
	v_lshrrev_b32_e32 v5, 16, v5
	s_wait_alu 0xfffd
	s_delay_alu instid0(VALU_DEP_1)
	v_cndmask_b32_e32 v5, 0x7fc0, v5, vcc_lo
	v_add_co_u32 v3, vcc_lo, v3, s16
	s_wait_alu 0xfffd
	v_add_co_ci_u32_e64 v4, null, s17, v4, vcc_lo
	global_store_b16 v[7:8], v5, off
	s_cbranch_scc1 .LBB523_5
.LBB523_9:                              ;   Parent Loop BB523_3 Depth=1
                                        ;     Parent Loop BB523_6 Depth=2
                                        ; =>    This Inner Loop Header: Depth=3
	s_delay_alu instid0(VALU_DEP_2) | instskip(SKIP_1) | instid1(VALU_DEP_2)
	v_add_co_u32 v6, vcc_lo, s10, v3
	s_wait_alu 0xfffd
	v_add_co_ci_u32_e64 v7, null, s11, v4, vcc_lo
	global_load_u16 v7, v[6:7], off
	v_lshlrev_b32_e32 v6, 16, v5
	s_wait_loadcnt 0x0
	v_lshlrev_b32_e32 v5, 16, v7
	s_delay_alu instid0(VALU_DEP_1) | instskip(NEXT) | instid1(VALU_DEP_1)
	v_dual_max_num_f32 v7, v6, v6 :: v_dual_max_num_f32 v8, v5, v5
	v_min_num_f32_e32 v9, v7, v8
	v_max_num_f32_e32 v7, v7, v8
	v_cmp_u_f32_e32 vcc_lo, v6, v6
	s_wait_alu 0xfffd
	s_delay_alu instid0(VALU_DEP_3) | instskip(NEXT) | instid1(VALU_DEP_3)
	v_cndmask_b32_e32 v8, v9, v6, vcc_lo
	v_cndmask_b32_e32 v9, v7, v6, vcc_lo
	v_cmp_u_f32_e32 vcc_lo, v5, v5
	s_wait_alu 0xfffd
	s_delay_alu instid0(VALU_DEP_3) | instskip(NEXT) | instid1(VALU_DEP_3)
	v_cndmask_b32_e32 v7, v8, v5, vcc_lo
	v_cndmask_b32_e32 v5, v9, v5, vcc_lo
	s_delay_alu instid0(VALU_DEP_2) | instskip(NEXT) | instid1(VALU_DEP_2)
	v_cmp_class_f32_e64 s27, v7, 0x1f8
	v_cmp_neq_f32_e32 vcc_lo, v7, v5
	s_or_b32 s28, vcc_lo, s27
	s_delay_alu instid0(SALU_CYCLE_1)
	s_and_saveexec_b32 s27, s28
	s_cbranch_execz .LBB523_8
; %bb.10:                               ;   in Loop: Header=BB523_9 Depth=3
	v_sub_f32_e32 v6, v7, v5
	s_delay_alu instid0(VALU_DEP_1) | instskip(SKIP_1) | instid1(VALU_DEP_2)
	v_mul_f32_e32 v7, 0x3fb8aa3b, v6
	v_cmp_ngt_f32_e32 vcc_lo, 0xc2ce8ed0, v6
	v_fma_f32 v8, 0x3fb8aa3b, v6, -v7
	v_rndne_f32_e32 v9, v7
	s_delay_alu instid0(VALU_DEP_1) | instskip(NEXT) | instid1(VALU_DEP_1)
	v_dual_fmac_f32 v8, 0x32a5705f, v6 :: v_dual_sub_f32 v7, v7, v9
	v_add_f32_e32 v7, v7, v8
	v_cvt_i32_f32_e32 v8, v9
	s_delay_alu instid0(VALU_DEP_2) | instskip(NEXT) | instid1(TRANS32_DEP_1)
	v_exp_f32_e32 v7, v7
	v_ldexp_f32 v7, v7, v8
	s_wait_alu 0xfffd
	s_delay_alu instid0(VALU_DEP_1) | instskip(SKIP_2) | instid1(VALU_DEP_2)
	v_cndmask_b32_e32 v7, 0, v7, vcc_lo
	v_cmp_nlt_f32_e32 vcc_lo, 0x42b17218, v6
	s_wait_alu 0xfffd
	v_cndmask_b32_e32 v8, 0x7f800000, v7, vcc_lo
	s_delay_alu instid0(VALU_DEP_1) | instskip(NEXT) | instid1(VALU_DEP_1)
	v_add_f32_e32 v9, 1.0, v8
	v_cvt_f64_f32_e32 v[6:7], v9
	s_delay_alu instid0(VALU_DEP_1) | instskip(SKIP_1) | instid1(VALU_DEP_1)
	v_frexp_exp_i32_f64_e32 v6, v[6:7]
	v_frexp_mant_f32_e32 v7, v9
	v_cmp_gt_f32_e32 vcc_lo, 0x3f2aaaab, v7
	v_add_f32_e32 v7, -1.0, v9
	s_delay_alu instid0(VALU_DEP_1) | instskip(SKIP_4) | instid1(VALU_DEP_2)
	v_sub_f32_e32 v11, v7, v9
	v_sub_f32_e32 v7, v8, v7
	s_wait_alu 0xfffd
	v_subrev_co_ci_u32_e64 v6, null, 0, v6, vcc_lo
	v_cmp_neq_f32_e32 vcc_lo, 0x7f800000, v8
	v_sub_nc_u32_e32 v10, 0, v6
	v_cvt_f32_i32_e32 v6, v6
	s_delay_alu instid0(VALU_DEP_2) | instskip(NEXT) | instid1(VALU_DEP_1)
	v_ldexp_f32 v9, v9, v10
	v_dual_add_f32 v12, 1.0, v9 :: v_dual_add_f32 v11, 1.0, v11
	s_delay_alu instid0(VALU_DEP_1) | instskip(NEXT) | instid1(VALU_DEP_2)
	v_add_f32_e32 v7, v7, v11
	v_add_f32_e32 v11, -1.0, v12
	s_delay_alu instid0(VALU_DEP_2) | instskip(NEXT) | instid1(VALU_DEP_2)
	v_ldexp_f32 v7, v7, v10
	v_dual_add_f32 v10, -1.0, v9 :: v_dual_sub_f32 v11, v9, v11
	s_delay_alu instid0(VALU_DEP_1) | instskip(NEXT) | instid1(VALU_DEP_2)
	v_add_f32_e32 v13, 1.0, v10
	v_add_f32_e32 v11, v7, v11
	s_delay_alu instid0(VALU_DEP_2) | instskip(NEXT) | instid1(VALU_DEP_2)
	v_sub_f32_e32 v9, v9, v13
	v_add_f32_e32 v13, v12, v11
	s_delay_alu instid0(VALU_DEP_2) | instskip(NEXT) | instid1(VALU_DEP_2)
	v_add_f32_e32 v7, v7, v9
	v_rcp_f32_e32 v9, v13
	v_sub_f32_e32 v12, v12, v13
	s_delay_alu instid0(VALU_DEP_1) | instskip(NEXT) | instid1(VALU_DEP_1)
	v_dual_add_f32 v14, v10, v7 :: v_dual_add_f32 v11, v11, v12
	v_sub_f32_e32 v10, v10, v14
	s_delay_alu instid0(TRANS32_DEP_1) | instskip(NEXT) | instid1(VALU_DEP_1)
	v_mul_f32_e32 v15, v14, v9
	v_dual_add_f32 v7, v7, v10 :: v_dual_mul_f32 v16, v13, v15
	s_delay_alu instid0(VALU_DEP_1) | instskip(NEXT) | instid1(VALU_DEP_1)
	v_fma_f32 v12, v15, v13, -v16
	v_fmac_f32_e32 v12, v15, v11
	s_delay_alu instid0(VALU_DEP_1) | instskip(NEXT) | instid1(VALU_DEP_1)
	v_add_f32_e32 v17, v16, v12
	v_sub_f32_e32 v18, v14, v17
	v_sub_f32_e32 v10, v17, v16
	s_delay_alu instid0(VALU_DEP_2) | instskip(NEXT) | instid1(VALU_DEP_2)
	v_sub_f32_e32 v14, v14, v18
	v_sub_f32_e32 v10, v10, v12
	s_delay_alu instid0(VALU_DEP_2) | instskip(NEXT) | instid1(VALU_DEP_1)
	v_sub_f32_e32 v14, v14, v17
	v_add_f32_e32 v7, v7, v14
	s_delay_alu instid0(VALU_DEP_1) | instskip(NEXT) | instid1(VALU_DEP_1)
	v_add_f32_e32 v7, v10, v7
	v_add_f32_e32 v10, v18, v7
	s_delay_alu instid0(VALU_DEP_1) | instskip(NEXT) | instid1(VALU_DEP_1)
	v_mul_f32_e32 v12, v9, v10
	v_dual_sub_f32 v17, v18, v10 :: v_dual_mul_f32 v14, v13, v12
	s_delay_alu instid0(VALU_DEP_1) | instskip(NEXT) | instid1(VALU_DEP_2)
	v_add_f32_e32 v7, v7, v17
	v_fma_f32 v13, v12, v13, -v14
	s_delay_alu instid0(VALU_DEP_1) | instskip(NEXT) | instid1(VALU_DEP_1)
	v_fmac_f32_e32 v13, v12, v11
	v_add_f32_e32 v11, v14, v13
	s_delay_alu instid0(VALU_DEP_1) | instskip(SKIP_1) | instid1(VALU_DEP_2)
	v_sub_f32_e32 v16, v10, v11
	v_sub_f32_e32 v14, v11, v14
	;; [unrolled: 1-line block ×3, first 2 shown]
	s_delay_alu instid0(VALU_DEP_1) | instskip(NEXT) | instid1(VALU_DEP_3)
	v_sub_f32_e32 v10, v10, v11
	v_sub_f32_e32 v11, v14, v13
	s_delay_alu instid0(VALU_DEP_2) | instskip(SKIP_1) | instid1(VALU_DEP_2)
	v_add_f32_e32 v7, v7, v10
	v_add_f32_e32 v10, v15, v12
	;; [unrolled: 1-line block ×3, first 2 shown]
	s_delay_alu instid0(VALU_DEP_2) | instskip(NEXT) | instid1(VALU_DEP_2)
	v_sub_f32_e32 v11, v10, v15
	v_add_f32_e32 v7, v16, v7
	s_delay_alu instid0(VALU_DEP_2) | instskip(NEXT) | instid1(VALU_DEP_2)
	v_sub_f32_e32 v11, v12, v11
	v_mul_f32_e32 v7, v9, v7
	s_delay_alu instid0(VALU_DEP_1) | instskip(NEXT) | instid1(VALU_DEP_1)
	v_add_f32_e32 v7, v11, v7
	v_add_f32_e32 v9, v10, v7
	s_delay_alu instid0(VALU_DEP_1) | instskip(NEXT) | instid1(VALU_DEP_1)
	v_mul_f32_e32 v11, v9, v9
	v_fmaak_f32 v12, s22, v11, 0x3ecc95a3
	v_mul_f32_e32 v13, v9, v11
	s_delay_alu instid0(VALU_DEP_2) | instskip(SKIP_2) | instid1(VALU_DEP_3)
	v_fmaak_f32 v11, v11, v12, 0x3f2aaada
	v_ldexp_f32 v12, v9, 1
	v_sub_f32_e32 v9, v9, v10
	v_mul_f32_e32 v11, v13, v11
	v_mul_f32_e32 v13, 0x3f317218, v6
	s_delay_alu instid0(VALU_DEP_2) | instskip(NEXT) | instid1(VALU_DEP_1)
	v_dual_sub_f32 v7, v7, v9 :: v_dual_add_f32 v10, v12, v11
	v_ldexp_f32 v7, v7, 1
	s_delay_alu instid0(VALU_DEP_2) | instskip(NEXT) | instid1(VALU_DEP_4)
	v_sub_f32_e32 v9, v10, v12
	v_fma_f32 v12, 0x3f317218, v6, -v13
	s_delay_alu instid0(VALU_DEP_1) | instskip(NEXT) | instid1(VALU_DEP_1)
	v_dual_sub_f32 v9, v11, v9 :: v_dual_fmac_f32 v12, 0xb102e308, v6
	v_dual_add_f32 v6, v7, v9 :: v_dual_add_f32 v7, v13, v12
	s_delay_alu instid0(VALU_DEP_1) | instskip(NEXT) | instid1(VALU_DEP_2)
	v_add_f32_e32 v9, v10, v6
	v_sub_f32_e32 v13, v7, v13
	s_delay_alu instid0(VALU_DEP_2) | instskip(NEXT) | instid1(VALU_DEP_2)
	v_dual_add_f32 v11, v7, v9 :: v_dual_sub_f32 v10, v9, v10
	v_sub_f32_e32 v12, v12, v13
	s_delay_alu instid0(VALU_DEP_2) | instskip(NEXT) | instid1(VALU_DEP_3)
	v_sub_f32_e32 v14, v11, v7
	v_sub_f32_e32 v6, v6, v10
	s_delay_alu instid0(VALU_DEP_2) | instskip(SKIP_1) | instid1(VALU_DEP_2)
	v_sub_f32_e32 v15, v11, v14
	v_sub_f32_e32 v9, v9, v14
	v_dual_add_f32 v10, v12, v6 :: v_dual_sub_f32 v7, v7, v15
	s_delay_alu instid0(VALU_DEP_1) | instskip(NEXT) | instid1(VALU_DEP_2)
	v_add_f32_e32 v7, v9, v7
	v_sub_f32_e32 v9, v10, v12
	s_delay_alu instid0(VALU_DEP_2) | instskip(NEXT) | instid1(VALU_DEP_2)
	v_add_f32_e32 v7, v10, v7
	v_sub_f32_e32 v10, v10, v9
	s_delay_alu instid0(VALU_DEP_2) | instskip(NEXT) | instid1(VALU_DEP_1)
	v_dual_sub_f32 v6, v6, v9 :: v_dual_add_f32 v13, v11, v7
	v_dual_sub_f32 v10, v12, v10 :: v_dual_sub_f32 v9, v13, v11
	s_delay_alu instid0(VALU_DEP_1) | instskip(NEXT) | instid1(VALU_DEP_1)
	v_dual_add_f32 v6, v6, v10 :: v_dual_sub_f32 v7, v7, v9
	v_add_f32_e32 v6, v6, v7
	s_delay_alu instid0(VALU_DEP_1) | instskip(SKIP_1) | instid1(VALU_DEP_1)
	v_add_f32_e32 v6, v13, v6
	s_wait_alu 0xfffd
	v_cndmask_b32_e32 v6, 0x7f800000, v6, vcc_lo
	v_cmp_gt_f32_e64 vcc_lo, 0x33800000, |v8|
	s_wait_alu 0xfffd
	s_delay_alu instid0(VALU_DEP_2) | instskip(NEXT) | instid1(VALU_DEP_1)
	v_cndmask_b32_e32 v6, v6, v8, vcc_lo
	v_add_f32_e32 v6, v5, v6
	s_branch .LBB523_8
.LBB523_11:
	s_endpgm
	.section	.rodata,"a",@progbits
	.p2align	6, 0x0
	.amdhsa_kernel _ZN2at6native28tensor_kernel_scan_outer_dimIN3c108BFloat16EmZZZNS0_31launch_logcumsumexp_cuda_kernelERKNS_10TensorBaseES6_lENKUlvE_clEvENKUlvE4_clEvEUlS3_S3_E_EEvPT_PKSA_jjjSA_T1_
		.amdhsa_group_segment_fixed_size 0
		.amdhsa_private_segment_fixed_size 0
		.amdhsa_kernarg_size 288
		.amdhsa_user_sgpr_count 2
		.amdhsa_user_sgpr_dispatch_ptr 0
		.amdhsa_user_sgpr_queue_ptr 0
		.amdhsa_user_sgpr_kernarg_segment_ptr 1
		.amdhsa_user_sgpr_dispatch_id 0
		.amdhsa_user_sgpr_private_segment_size 0
		.amdhsa_wavefront_size32 1
		.amdhsa_uses_dynamic_stack 0
		.amdhsa_enable_private_segment 0
		.amdhsa_system_sgpr_workgroup_id_x 1
		.amdhsa_system_sgpr_workgroup_id_y 1
		.amdhsa_system_sgpr_workgroup_id_z 0
		.amdhsa_system_sgpr_workgroup_info 0
		.amdhsa_system_vgpr_workitem_id 0
		.amdhsa_next_free_vgpr 19
		.amdhsa_next_free_sgpr 29
		.amdhsa_reserve_vcc 1
		.amdhsa_float_round_mode_32 0
		.amdhsa_float_round_mode_16_64 0
		.amdhsa_float_denorm_mode_32 3
		.amdhsa_float_denorm_mode_16_64 3
		.amdhsa_fp16_overflow 0
		.amdhsa_workgroup_processor_mode 1
		.amdhsa_memory_ordered 1
		.amdhsa_forward_progress 1
		.amdhsa_inst_pref_size 11
		.amdhsa_round_robin_scheduling 0
		.amdhsa_exception_fp_ieee_invalid_op 0
		.amdhsa_exception_fp_denorm_src 0
		.amdhsa_exception_fp_ieee_div_zero 0
		.amdhsa_exception_fp_ieee_overflow 0
		.amdhsa_exception_fp_ieee_underflow 0
		.amdhsa_exception_fp_ieee_inexact 0
		.amdhsa_exception_int_div_zero 0
	.end_amdhsa_kernel
	.section	.text._ZN2at6native28tensor_kernel_scan_outer_dimIN3c108BFloat16EmZZZNS0_31launch_logcumsumexp_cuda_kernelERKNS_10TensorBaseES6_lENKUlvE_clEvENKUlvE4_clEvEUlS3_S3_E_EEvPT_PKSA_jjjSA_T1_,"axG",@progbits,_ZN2at6native28tensor_kernel_scan_outer_dimIN3c108BFloat16EmZZZNS0_31launch_logcumsumexp_cuda_kernelERKNS_10TensorBaseES6_lENKUlvE_clEvENKUlvE4_clEvEUlS3_S3_E_EEvPT_PKSA_jjjSA_T1_,comdat
.Lfunc_end523:
	.size	_ZN2at6native28tensor_kernel_scan_outer_dimIN3c108BFloat16EmZZZNS0_31launch_logcumsumexp_cuda_kernelERKNS_10TensorBaseES6_lENKUlvE_clEvENKUlvE4_clEvEUlS3_S3_E_EEvPT_PKSA_jjjSA_T1_, .Lfunc_end523-_ZN2at6native28tensor_kernel_scan_outer_dimIN3c108BFloat16EmZZZNS0_31launch_logcumsumexp_cuda_kernelERKNS_10TensorBaseES6_lENKUlvE_clEvENKUlvE4_clEvEUlS3_S3_E_EEvPT_PKSA_jjjSA_T1_
                                        ; -- End function
	.set _ZN2at6native28tensor_kernel_scan_outer_dimIN3c108BFloat16EmZZZNS0_31launch_logcumsumexp_cuda_kernelERKNS_10TensorBaseES6_lENKUlvE_clEvENKUlvE4_clEvEUlS3_S3_E_EEvPT_PKSA_jjjSA_T1_.num_vgpr, 19
	.set _ZN2at6native28tensor_kernel_scan_outer_dimIN3c108BFloat16EmZZZNS0_31launch_logcumsumexp_cuda_kernelERKNS_10TensorBaseES6_lENKUlvE_clEvENKUlvE4_clEvEUlS3_S3_E_EEvPT_PKSA_jjjSA_T1_.num_agpr, 0
	.set _ZN2at6native28tensor_kernel_scan_outer_dimIN3c108BFloat16EmZZZNS0_31launch_logcumsumexp_cuda_kernelERKNS_10TensorBaseES6_lENKUlvE_clEvENKUlvE4_clEvEUlS3_S3_E_EEvPT_PKSA_jjjSA_T1_.numbered_sgpr, 29
	.set _ZN2at6native28tensor_kernel_scan_outer_dimIN3c108BFloat16EmZZZNS0_31launch_logcumsumexp_cuda_kernelERKNS_10TensorBaseES6_lENKUlvE_clEvENKUlvE4_clEvEUlS3_S3_E_EEvPT_PKSA_jjjSA_T1_.num_named_barrier, 0
	.set _ZN2at6native28tensor_kernel_scan_outer_dimIN3c108BFloat16EmZZZNS0_31launch_logcumsumexp_cuda_kernelERKNS_10TensorBaseES6_lENKUlvE_clEvENKUlvE4_clEvEUlS3_S3_E_EEvPT_PKSA_jjjSA_T1_.private_seg_size, 0
	.set _ZN2at6native28tensor_kernel_scan_outer_dimIN3c108BFloat16EmZZZNS0_31launch_logcumsumexp_cuda_kernelERKNS_10TensorBaseES6_lENKUlvE_clEvENKUlvE4_clEvEUlS3_S3_E_EEvPT_PKSA_jjjSA_T1_.uses_vcc, 1
	.set _ZN2at6native28tensor_kernel_scan_outer_dimIN3c108BFloat16EmZZZNS0_31launch_logcumsumexp_cuda_kernelERKNS_10TensorBaseES6_lENKUlvE_clEvENKUlvE4_clEvEUlS3_S3_E_EEvPT_PKSA_jjjSA_T1_.uses_flat_scratch, 0
	.set _ZN2at6native28tensor_kernel_scan_outer_dimIN3c108BFloat16EmZZZNS0_31launch_logcumsumexp_cuda_kernelERKNS_10TensorBaseES6_lENKUlvE_clEvENKUlvE4_clEvEUlS3_S3_E_EEvPT_PKSA_jjjSA_T1_.has_dyn_sized_stack, 0
	.set _ZN2at6native28tensor_kernel_scan_outer_dimIN3c108BFloat16EmZZZNS0_31launch_logcumsumexp_cuda_kernelERKNS_10TensorBaseES6_lENKUlvE_clEvENKUlvE4_clEvEUlS3_S3_E_EEvPT_PKSA_jjjSA_T1_.has_recursion, 0
	.set _ZN2at6native28tensor_kernel_scan_outer_dimIN3c108BFloat16EmZZZNS0_31launch_logcumsumexp_cuda_kernelERKNS_10TensorBaseES6_lENKUlvE_clEvENKUlvE4_clEvEUlS3_S3_E_EEvPT_PKSA_jjjSA_T1_.has_indirect_call, 0
	.section	.AMDGPU.csdata,"",@progbits
; Kernel info:
; codeLenInByte = 1352
; TotalNumSgprs: 31
; NumVgprs: 19
; ScratchSize: 0
; MemoryBound: 0
; FloatMode: 240
; IeeeMode: 1
; LDSByteSize: 0 bytes/workgroup (compile time only)
; SGPRBlocks: 0
; VGPRBlocks: 2
; NumSGPRsForWavesPerEU: 31
; NumVGPRsForWavesPerEU: 19
; Occupancy: 16
; WaveLimiterHint : 0
; COMPUTE_PGM_RSRC2:SCRATCH_EN: 0
; COMPUTE_PGM_RSRC2:USER_SGPR: 2
; COMPUTE_PGM_RSRC2:TRAP_HANDLER: 0
; COMPUTE_PGM_RSRC2:TGID_X_EN: 1
; COMPUTE_PGM_RSRC2:TGID_Y_EN: 1
; COMPUTE_PGM_RSRC2:TGID_Z_EN: 0
; COMPUTE_PGM_RSRC2:TIDIG_COMP_CNT: 0
	.text
	.p2alignl 7, 3214868480
	.fill 96, 4, 3214868480
	.section	.AMDGPU.gpr_maximums,"",@progbits
	.set amdgpu.max_num_vgpr, 136
	.set amdgpu.max_num_agpr, 0
	.set amdgpu.max_num_sgpr, 32
	.text
	.type	__hip_cuid_f898bc74c234ad11,@object ; @__hip_cuid_f898bc74c234ad11
	.section	.bss,"aw",@nobits
	.globl	__hip_cuid_f898bc74c234ad11
__hip_cuid_f898bc74c234ad11:
	.byte	0                               ; 0x0
	.size	__hip_cuid_f898bc74c234ad11, 1

	.ident	"AMD clang version 22.0.0git (https://github.com/RadeonOpenCompute/llvm-project roc-7.2.4 26084 f58b06dce1f9c15707c5f808fd002e18c2accf7e)"
	.section	".note.GNU-stack","",@progbits
	.addrsig
	.addrsig_sym __hip_cuid_f898bc74c234ad11
	.amdgpu_metadata
---
amdhsa.kernels:
  - .args:
      - .address_space:  global
        .offset:         0
        .size:           8
        .value_kind:     global_buffer
      - .offset:         8
        .size:           4
        .value_kind:     by_value
      - .offset:         12
        .size:           1
        .value_kind:     by_value
      - .offset:         16
        .size:           4
        .value_kind:     by_value
      - .address_space:  global
        .offset:         24
        .size:           8
        .value_kind:     global_buffer
      - .offset:         32
        .size:           4
        .value_kind:     hidden_block_count_x
      - .offset:         36
        .size:           4
        .value_kind:     hidden_block_count_y
      - .offset:         40
        .size:           4
        .value_kind:     hidden_block_count_z
      - .offset:         44
        .size:           2
        .value_kind:     hidden_group_size_x
      - .offset:         46
        .size:           2
        .value_kind:     hidden_group_size_y
      - .offset:         48
        .size:           2
        .value_kind:     hidden_group_size_z
      - .offset:         50
        .size:           2
        .value_kind:     hidden_remainder_x
      - .offset:         52
        .size:           2
        .value_kind:     hidden_remainder_y
      - .offset:         54
        .size:           2
        .value_kind:     hidden_remainder_z
      - .offset:         72
        .size:           8
        .value_kind:     hidden_global_offset_x
      - .offset:         80
        .size:           8
        .value_kind:     hidden_global_offset_y
      - .offset:         88
        .size:           8
        .value_kind:     hidden_global_offset_z
      - .offset:         96
        .size:           2
        .value_kind:     hidden_grid_dims
    .group_segment_fixed_size: 0
    .kernarg_segment_align: 8
    .kernarg_segment_size: 288
    .language:       OpenCL C
    .language_version:
      - 2
      - 0
    .max_flat_workgroup_size: 256
    .name:           _ZN7rocprim17ROCPRIM_400000_NS6detail31init_lookback_scan_state_kernelINS1_19lookback_scan_stateIdLb0ELb1EEENS1_16block_id_wrapperIjLb0EEEEEvT_jT0_jPNS7_10value_typeE
    .private_segment_fixed_size: 0
    .sgpr_count:     11
    .sgpr_spill_count: 0
    .symbol:         _ZN7rocprim17ROCPRIM_400000_NS6detail31init_lookback_scan_state_kernelINS1_19lookback_scan_stateIdLb0ELb1EEENS1_16block_id_wrapperIjLb0EEEEEvT_jT0_jPNS7_10value_typeE.kd
    .uniform_work_group_size: 1
    .uses_dynamic_stack: false
    .vgpr_count:     8
    .vgpr_spill_count: 0
    .wavefront_size: 32
    .workgroup_processor_mode: 1
  - .args:
      - .offset:         0
        .size:           104
        .value_kind:     by_value
    .group_segment_fixed_size: 0
    .kernarg_segment_align: 8
    .kernarg_segment_size: 104
    .language:       OpenCL C
    .language_version:
      - 2
      - 0
    .max_flat_workgroup_size: 256
    .name:           _ZN7rocprim17ROCPRIM_400000_NS6detail17trampoline_kernelINS0_14default_configENS1_20scan_config_selectorIdEEZZNS1_9scan_implILNS1_25lookback_scan_determinismE0ELb0ELb0ES3_PKdPddZZZN2at6native31launch_logcumsumexp_cuda_kernelERKNSB_10TensorBaseESF_lENKUlvE_clEvENKUlvE_clEvEUlddE_dEEDaPvRmT3_T4_T5_mT6_P12ihipStream_tbENKUlT_T0_E_clISt17integral_constantIbLb0EESW_EEDaSR_SS_EUlSR_E_NS1_11comp_targetILNS1_3genE0ELNS1_11target_archE4294967295ELNS1_3gpuE0ELNS1_3repE0EEENS1_30default_config_static_selectorELNS0_4arch9wavefront6targetE0EEEvT1_
    .private_segment_fixed_size: 0
    .sgpr_count:     0
    .sgpr_spill_count: 0
    .symbol:         _ZN7rocprim17ROCPRIM_400000_NS6detail17trampoline_kernelINS0_14default_configENS1_20scan_config_selectorIdEEZZNS1_9scan_implILNS1_25lookback_scan_determinismE0ELb0ELb0ES3_PKdPddZZZN2at6native31launch_logcumsumexp_cuda_kernelERKNSB_10TensorBaseESF_lENKUlvE_clEvENKUlvE_clEvEUlddE_dEEDaPvRmT3_T4_T5_mT6_P12ihipStream_tbENKUlT_T0_E_clISt17integral_constantIbLb0EESW_EEDaSR_SS_EUlSR_E_NS1_11comp_targetILNS1_3genE0ELNS1_11target_archE4294967295ELNS1_3gpuE0ELNS1_3repE0EEENS1_30default_config_static_selectorELNS0_4arch9wavefront6targetE0EEEvT1_.kd
    .uniform_work_group_size: 1
    .uses_dynamic_stack: false
    .vgpr_count:     0
    .vgpr_spill_count: 0
    .wavefront_size: 32
    .workgroup_processor_mode: 1
  - .args:
      - .offset:         0
        .size:           104
        .value_kind:     by_value
    .group_segment_fixed_size: 0
    .kernarg_segment_align: 8
    .kernarg_segment_size: 104
    .language:       OpenCL C
    .language_version:
      - 2
      - 0
    .max_flat_workgroup_size: 256
    .name:           _ZN7rocprim17ROCPRIM_400000_NS6detail17trampoline_kernelINS0_14default_configENS1_20scan_config_selectorIdEEZZNS1_9scan_implILNS1_25lookback_scan_determinismE0ELb0ELb0ES3_PKdPddZZZN2at6native31launch_logcumsumexp_cuda_kernelERKNSB_10TensorBaseESF_lENKUlvE_clEvENKUlvE_clEvEUlddE_dEEDaPvRmT3_T4_T5_mT6_P12ihipStream_tbENKUlT_T0_E_clISt17integral_constantIbLb0EESW_EEDaSR_SS_EUlSR_E_NS1_11comp_targetILNS1_3genE5ELNS1_11target_archE942ELNS1_3gpuE9ELNS1_3repE0EEENS1_30default_config_static_selectorELNS0_4arch9wavefront6targetE0EEEvT1_
    .private_segment_fixed_size: 0
    .sgpr_count:     0
    .sgpr_spill_count: 0
    .symbol:         _ZN7rocprim17ROCPRIM_400000_NS6detail17trampoline_kernelINS0_14default_configENS1_20scan_config_selectorIdEEZZNS1_9scan_implILNS1_25lookback_scan_determinismE0ELb0ELb0ES3_PKdPddZZZN2at6native31launch_logcumsumexp_cuda_kernelERKNSB_10TensorBaseESF_lENKUlvE_clEvENKUlvE_clEvEUlddE_dEEDaPvRmT3_T4_T5_mT6_P12ihipStream_tbENKUlT_T0_E_clISt17integral_constantIbLb0EESW_EEDaSR_SS_EUlSR_E_NS1_11comp_targetILNS1_3genE5ELNS1_11target_archE942ELNS1_3gpuE9ELNS1_3repE0EEENS1_30default_config_static_selectorELNS0_4arch9wavefront6targetE0EEEvT1_.kd
    .uniform_work_group_size: 1
    .uses_dynamic_stack: false
    .vgpr_count:     0
    .vgpr_spill_count: 0
    .wavefront_size: 32
    .workgroup_processor_mode: 1
  - .args:
      - .offset:         0
        .size:           104
        .value_kind:     by_value
    .group_segment_fixed_size: 0
    .kernarg_segment_align: 8
    .kernarg_segment_size: 104
    .language:       OpenCL C
    .language_version:
      - 2
      - 0
    .max_flat_workgroup_size: 128
    .name:           _ZN7rocprim17ROCPRIM_400000_NS6detail17trampoline_kernelINS0_14default_configENS1_20scan_config_selectorIdEEZZNS1_9scan_implILNS1_25lookback_scan_determinismE0ELb0ELb0ES3_PKdPddZZZN2at6native31launch_logcumsumexp_cuda_kernelERKNSB_10TensorBaseESF_lENKUlvE_clEvENKUlvE_clEvEUlddE_dEEDaPvRmT3_T4_T5_mT6_P12ihipStream_tbENKUlT_T0_E_clISt17integral_constantIbLb0EESW_EEDaSR_SS_EUlSR_E_NS1_11comp_targetILNS1_3genE4ELNS1_11target_archE910ELNS1_3gpuE8ELNS1_3repE0EEENS1_30default_config_static_selectorELNS0_4arch9wavefront6targetE0EEEvT1_
    .private_segment_fixed_size: 0
    .sgpr_count:     0
    .sgpr_spill_count: 0
    .symbol:         _ZN7rocprim17ROCPRIM_400000_NS6detail17trampoline_kernelINS0_14default_configENS1_20scan_config_selectorIdEEZZNS1_9scan_implILNS1_25lookback_scan_determinismE0ELb0ELb0ES3_PKdPddZZZN2at6native31launch_logcumsumexp_cuda_kernelERKNSB_10TensorBaseESF_lENKUlvE_clEvENKUlvE_clEvEUlddE_dEEDaPvRmT3_T4_T5_mT6_P12ihipStream_tbENKUlT_T0_E_clISt17integral_constantIbLb0EESW_EEDaSR_SS_EUlSR_E_NS1_11comp_targetILNS1_3genE4ELNS1_11target_archE910ELNS1_3gpuE8ELNS1_3repE0EEENS1_30default_config_static_selectorELNS0_4arch9wavefront6targetE0EEEvT1_.kd
    .uniform_work_group_size: 1
    .uses_dynamic_stack: false
    .vgpr_count:     0
    .vgpr_spill_count: 0
    .wavefront_size: 32
    .workgroup_processor_mode: 1
  - .args:
      - .offset:         0
        .size:           104
        .value_kind:     by_value
    .group_segment_fixed_size: 0
    .kernarg_segment_align: 8
    .kernarg_segment_size: 104
    .language:       OpenCL C
    .language_version:
      - 2
      - 0
    .max_flat_workgroup_size: 256
    .name:           _ZN7rocprim17ROCPRIM_400000_NS6detail17trampoline_kernelINS0_14default_configENS1_20scan_config_selectorIdEEZZNS1_9scan_implILNS1_25lookback_scan_determinismE0ELb0ELb0ES3_PKdPddZZZN2at6native31launch_logcumsumexp_cuda_kernelERKNSB_10TensorBaseESF_lENKUlvE_clEvENKUlvE_clEvEUlddE_dEEDaPvRmT3_T4_T5_mT6_P12ihipStream_tbENKUlT_T0_E_clISt17integral_constantIbLb0EESW_EEDaSR_SS_EUlSR_E_NS1_11comp_targetILNS1_3genE3ELNS1_11target_archE908ELNS1_3gpuE7ELNS1_3repE0EEENS1_30default_config_static_selectorELNS0_4arch9wavefront6targetE0EEEvT1_
    .private_segment_fixed_size: 0
    .sgpr_count:     0
    .sgpr_spill_count: 0
    .symbol:         _ZN7rocprim17ROCPRIM_400000_NS6detail17trampoline_kernelINS0_14default_configENS1_20scan_config_selectorIdEEZZNS1_9scan_implILNS1_25lookback_scan_determinismE0ELb0ELb0ES3_PKdPddZZZN2at6native31launch_logcumsumexp_cuda_kernelERKNSB_10TensorBaseESF_lENKUlvE_clEvENKUlvE_clEvEUlddE_dEEDaPvRmT3_T4_T5_mT6_P12ihipStream_tbENKUlT_T0_E_clISt17integral_constantIbLb0EESW_EEDaSR_SS_EUlSR_E_NS1_11comp_targetILNS1_3genE3ELNS1_11target_archE908ELNS1_3gpuE7ELNS1_3repE0EEENS1_30default_config_static_selectorELNS0_4arch9wavefront6targetE0EEEvT1_.kd
    .uniform_work_group_size: 1
    .uses_dynamic_stack: false
    .vgpr_count:     0
    .vgpr_spill_count: 0
    .wavefront_size: 32
    .workgroup_processor_mode: 1
  - .args:
      - .offset:         0
        .size:           104
        .value_kind:     by_value
    .group_segment_fixed_size: 0
    .kernarg_segment_align: 8
    .kernarg_segment_size: 104
    .language:       OpenCL C
    .language_version:
      - 2
      - 0
    .max_flat_workgroup_size: 128
    .name:           _ZN7rocprim17ROCPRIM_400000_NS6detail17trampoline_kernelINS0_14default_configENS1_20scan_config_selectorIdEEZZNS1_9scan_implILNS1_25lookback_scan_determinismE0ELb0ELb0ES3_PKdPddZZZN2at6native31launch_logcumsumexp_cuda_kernelERKNSB_10TensorBaseESF_lENKUlvE_clEvENKUlvE_clEvEUlddE_dEEDaPvRmT3_T4_T5_mT6_P12ihipStream_tbENKUlT_T0_E_clISt17integral_constantIbLb0EESW_EEDaSR_SS_EUlSR_E_NS1_11comp_targetILNS1_3genE2ELNS1_11target_archE906ELNS1_3gpuE6ELNS1_3repE0EEENS1_30default_config_static_selectorELNS0_4arch9wavefront6targetE0EEEvT1_
    .private_segment_fixed_size: 0
    .sgpr_count:     0
    .sgpr_spill_count: 0
    .symbol:         _ZN7rocprim17ROCPRIM_400000_NS6detail17trampoline_kernelINS0_14default_configENS1_20scan_config_selectorIdEEZZNS1_9scan_implILNS1_25lookback_scan_determinismE0ELb0ELb0ES3_PKdPddZZZN2at6native31launch_logcumsumexp_cuda_kernelERKNSB_10TensorBaseESF_lENKUlvE_clEvENKUlvE_clEvEUlddE_dEEDaPvRmT3_T4_T5_mT6_P12ihipStream_tbENKUlT_T0_E_clISt17integral_constantIbLb0EESW_EEDaSR_SS_EUlSR_E_NS1_11comp_targetILNS1_3genE2ELNS1_11target_archE906ELNS1_3gpuE6ELNS1_3repE0EEENS1_30default_config_static_selectorELNS0_4arch9wavefront6targetE0EEEvT1_.kd
    .uniform_work_group_size: 1
    .uses_dynamic_stack: false
    .vgpr_count:     0
    .vgpr_spill_count: 0
    .wavefront_size: 32
    .workgroup_processor_mode: 1
  - .args:
      - .offset:         0
        .size:           104
        .value_kind:     by_value
    .group_segment_fixed_size: 33792
    .kernarg_segment_align: 8
    .kernarg_segment_size: 104
    .language:       OpenCL C
    .language_version:
      - 2
      - 0
    .max_flat_workgroup_size: 256
    .name:           _ZN7rocprim17ROCPRIM_400000_NS6detail17trampoline_kernelINS0_14default_configENS1_20scan_config_selectorIdEEZZNS1_9scan_implILNS1_25lookback_scan_determinismE0ELb0ELb0ES3_PKdPddZZZN2at6native31launch_logcumsumexp_cuda_kernelERKNSB_10TensorBaseESF_lENKUlvE_clEvENKUlvE_clEvEUlddE_dEEDaPvRmT3_T4_T5_mT6_P12ihipStream_tbENKUlT_T0_E_clISt17integral_constantIbLb0EESW_EEDaSR_SS_EUlSR_E_NS1_11comp_targetILNS1_3genE10ELNS1_11target_archE1201ELNS1_3gpuE5ELNS1_3repE0EEENS1_30default_config_static_selectorELNS0_4arch9wavefront6targetE0EEEvT1_
    .private_segment_fixed_size: 0
    .sgpr_count:     92
    .sgpr_spill_count: 0
    .symbol:         _ZN7rocprim17ROCPRIM_400000_NS6detail17trampoline_kernelINS0_14default_configENS1_20scan_config_selectorIdEEZZNS1_9scan_implILNS1_25lookback_scan_determinismE0ELb0ELb0ES3_PKdPddZZZN2at6native31launch_logcumsumexp_cuda_kernelERKNSB_10TensorBaseESF_lENKUlvE_clEvENKUlvE_clEvEUlddE_dEEDaPvRmT3_T4_T5_mT6_P12ihipStream_tbENKUlT_T0_E_clISt17integral_constantIbLb0EESW_EEDaSR_SS_EUlSR_E_NS1_11comp_targetILNS1_3genE10ELNS1_11target_archE1201ELNS1_3gpuE5ELNS1_3repE0EEENS1_30default_config_static_selectorELNS0_4arch9wavefront6targetE0EEEvT1_.kd
    .uniform_work_group_size: 1
    .uses_dynamic_stack: false
    .vgpr_count:     133
    .vgpr_spill_count: 0
    .wavefront_size: 32
    .workgroup_processor_mode: 1
  - .args:
      - .offset:         0
        .size:           104
        .value_kind:     by_value
    .group_segment_fixed_size: 0
    .kernarg_segment_align: 8
    .kernarg_segment_size: 104
    .language:       OpenCL C
    .language_version:
      - 2
      - 0
    .max_flat_workgroup_size: 256
    .name:           _ZN7rocprim17ROCPRIM_400000_NS6detail17trampoline_kernelINS0_14default_configENS1_20scan_config_selectorIdEEZZNS1_9scan_implILNS1_25lookback_scan_determinismE0ELb0ELb0ES3_PKdPddZZZN2at6native31launch_logcumsumexp_cuda_kernelERKNSB_10TensorBaseESF_lENKUlvE_clEvENKUlvE_clEvEUlddE_dEEDaPvRmT3_T4_T5_mT6_P12ihipStream_tbENKUlT_T0_E_clISt17integral_constantIbLb0EESW_EEDaSR_SS_EUlSR_E_NS1_11comp_targetILNS1_3genE10ELNS1_11target_archE1200ELNS1_3gpuE4ELNS1_3repE0EEENS1_30default_config_static_selectorELNS0_4arch9wavefront6targetE0EEEvT1_
    .private_segment_fixed_size: 0
    .sgpr_count:     0
    .sgpr_spill_count: 0
    .symbol:         _ZN7rocprim17ROCPRIM_400000_NS6detail17trampoline_kernelINS0_14default_configENS1_20scan_config_selectorIdEEZZNS1_9scan_implILNS1_25lookback_scan_determinismE0ELb0ELb0ES3_PKdPddZZZN2at6native31launch_logcumsumexp_cuda_kernelERKNSB_10TensorBaseESF_lENKUlvE_clEvENKUlvE_clEvEUlddE_dEEDaPvRmT3_T4_T5_mT6_P12ihipStream_tbENKUlT_T0_E_clISt17integral_constantIbLb0EESW_EEDaSR_SS_EUlSR_E_NS1_11comp_targetILNS1_3genE10ELNS1_11target_archE1200ELNS1_3gpuE4ELNS1_3repE0EEENS1_30default_config_static_selectorELNS0_4arch9wavefront6targetE0EEEvT1_.kd
    .uniform_work_group_size: 1
    .uses_dynamic_stack: false
    .vgpr_count:     0
    .vgpr_spill_count: 0
    .wavefront_size: 32
    .workgroup_processor_mode: 1
  - .args:
      - .offset:         0
        .size:           104
        .value_kind:     by_value
    .group_segment_fixed_size: 0
    .kernarg_segment_align: 8
    .kernarg_segment_size: 104
    .language:       OpenCL C
    .language_version:
      - 2
      - 0
    .max_flat_workgroup_size: 256
    .name:           _ZN7rocprim17ROCPRIM_400000_NS6detail17trampoline_kernelINS0_14default_configENS1_20scan_config_selectorIdEEZZNS1_9scan_implILNS1_25lookback_scan_determinismE0ELb0ELb0ES3_PKdPddZZZN2at6native31launch_logcumsumexp_cuda_kernelERKNSB_10TensorBaseESF_lENKUlvE_clEvENKUlvE_clEvEUlddE_dEEDaPvRmT3_T4_T5_mT6_P12ihipStream_tbENKUlT_T0_E_clISt17integral_constantIbLb0EESW_EEDaSR_SS_EUlSR_E_NS1_11comp_targetILNS1_3genE9ELNS1_11target_archE1100ELNS1_3gpuE3ELNS1_3repE0EEENS1_30default_config_static_selectorELNS0_4arch9wavefront6targetE0EEEvT1_
    .private_segment_fixed_size: 0
    .sgpr_count:     0
    .sgpr_spill_count: 0
    .symbol:         _ZN7rocprim17ROCPRIM_400000_NS6detail17trampoline_kernelINS0_14default_configENS1_20scan_config_selectorIdEEZZNS1_9scan_implILNS1_25lookback_scan_determinismE0ELb0ELb0ES3_PKdPddZZZN2at6native31launch_logcumsumexp_cuda_kernelERKNSB_10TensorBaseESF_lENKUlvE_clEvENKUlvE_clEvEUlddE_dEEDaPvRmT3_T4_T5_mT6_P12ihipStream_tbENKUlT_T0_E_clISt17integral_constantIbLb0EESW_EEDaSR_SS_EUlSR_E_NS1_11comp_targetILNS1_3genE9ELNS1_11target_archE1100ELNS1_3gpuE3ELNS1_3repE0EEENS1_30default_config_static_selectorELNS0_4arch9wavefront6targetE0EEEvT1_.kd
    .uniform_work_group_size: 1
    .uses_dynamic_stack: false
    .vgpr_count:     0
    .vgpr_spill_count: 0
    .wavefront_size: 32
    .workgroup_processor_mode: 1
  - .args:
      - .offset:         0
        .size:           104
        .value_kind:     by_value
    .group_segment_fixed_size: 0
    .kernarg_segment_align: 8
    .kernarg_segment_size: 104
    .language:       OpenCL C
    .language_version:
      - 2
      - 0
    .max_flat_workgroup_size: 128
    .name:           _ZN7rocprim17ROCPRIM_400000_NS6detail17trampoline_kernelINS0_14default_configENS1_20scan_config_selectorIdEEZZNS1_9scan_implILNS1_25lookback_scan_determinismE0ELb0ELb0ES3_PKdPddZZZN2at6native31launch_logcumsumexp_cuda_kernelERKNSB_10TensorBaseESF_lENKUlvE_clEvENKUlvE_clEvEUlddE_dEEDaPvRmT3_T4_T5_mT6_P12ihipStream_tbENKUlT_T0_E_clISt17integral_constantIbLb0EESW_EEDaSR_SS_EUlSR_E_NS1_11comp_targetILNS1_3genE8ELNS1_11target_archE1030ELNS1_3gpuE2ELNS1_3repE0EEENS1_30default_config_static_selectorELNS0_4arch9wavefront6targetE0EEEvT1_
    .private_segment_fixed_size: 0
    .sgpr_count:     0
    .sgpr_spill_count: 0
    .symbol:         _ZN7rocprim17ROCPRIM_400000_NS6detail17trampoline_kernelINS0_14default_configENS1_20scan_config_selectorIdEEZZNS1_9scan_implILNS1_25lookback_scan_determinismE0ELb0ELb0ES3_PKdPddZZZN2at6native31launch_logcumsumexp_cuda_kernelERKNSB_10TensorBaseESF_lENKUlvE_clEvENKUlvE_clEvEUlddE_dEEDaPvRmT3_T4_T5_mT6_P12ihipStream_tbENKUlT_T0_E_clISt17integral_constantIbLb0EESW_EEDaSR_SS_EUlSR_E_NS1_11comp_targetILNS1_3genE8ELNS1_11target_archE1030ELNS1_3gpuE2ELNS1_3repE0EEENS1_30default_config_static_selectorELNS0_4arch9wavefront6targetE0EEEvT1_.kd
    .uniform_work_group_size: 1
    .uses_dynamic_stack: false
    .vgpr_count:     0
    .vgpr_spill_count: 0
    .wavefront_size: 32
    .workgroup_processor_mode: 1
  - .args:
      - .offset:         0
        .size:           40
        .value_kind:     by_value
    .group_segment_fixed_size: 0
    .kernarg_segment_align: 8
    .kernarg_segment_size: 40
    .language:       OpenCL C
    .language_version:
      - 2
      - 0
    .max_flat_workgroup_size: 128
    .name:           _ZN7rocprim17ROCPRIM_400000_NS6detail17trampoline_kernelINS0_14default_configENS1_25transform_config_selectorIdLb1EEEZNS1_14transform_implILb1ES3_S5_PdS7_NS0_8identityIdEEEE10hipError_tT2_T3_mT4_P12ihipStream_tbEUlT_E_NS1_11comp_targetILNS1_3genE0ELNS1_11target_archE4294967295ELNS1_3gpuE0ELNS1_3repE0EEENS1_30default_config_static_selectorELNS0_4arch9wavefront6targetE0EEEvT1_
    .private_segment_fixed_size: 0
    .sgpr_count:     0
    .sgpr_spill_count: 0
    .symbol:         _ZN7rocprim17ROCPRIM_400000_NS6detail17trampoline_kernelINS0_14default_configENS1_25transform_config_selectorIdLb1EEEZNS1_14transform_implILb1ES3_S5_PdS7_NS0_8identityIdEEEE10hipError_tT2_T3_mT4_P12ihipStream_tbEUlT_E_NS1_11comp_targetILNS1_3genE0ELNS1_11target_archE4294967295ELNS1_3gpuE0ELNS1_3repE0EEENS1_30default_config_static_selectorELNS0_4arch9wavefront6targetE0EEEvT1_.kd
    .uniform_work_group_size: 1
    .uses_dynamic_stack: false
    .vgpr_count:     0
    .vgpr_spill_count: 0
    .wavefront_size: 32
    .workgroup_processor_mode: 1
  - .args:
      - .offset:         0
        .size:           40
        .value_kind:     by_value
      - .offset:         40
        .size:           4
        .value_kind:     hidden_block_count_x
      - .offset:         44
        .size:           4
        .value_kind:     hidden_block_count_y
      - .offset:         48
        .size:           4
        .value_kind:     hidden_block_count_z
      - .offset:         52
        .size:           2
        .value_kind:     hidden_group_size_x
      - .offset:         54
        .size:           2
        .value_kind:     hidden_group_size_y
      - .offset:         56
        .size:           2
        .value_kind:     hidden_group_size_z
      - .offset:         58
        .size:           2
        .value_kind:     hidden_remainder_x
      - .offset:         60
        .size:           2
        .value_kind:     hidden_remainder_y
      - .offset:         62
        .size:           2
        .value_kind:     hidden_remainder_z
      - .offset:         80
        .size:           8
        .value_kind:     hidden_global_offset_x
      - .offset:         88
        .size:           8
        .value_kind:     hidden_global_offset_y
      - .offset:         96
        .size:           8
        .value_kind:     hidden_global_offset_z
      - .offset:         104
        .size:           2
        .value_kind:     hidden_grid_dims
    .group_segment_fixed_size: 0
    .kernarg_segment_align: 8
    .kernarg_segment_size: 296
    .language:       OpenCL C
    .language_version:
      - 2
      - 0
    .max_flat_workgroup_size: 1024
    .name:           _ZN7rocprim17ROCPRIM_400000_NS6detail17trampoline_kernelINS0_14default_configENS1_25transform_config_selectorIdLb1EEEZNS1_14transform_implILb1ES3_S5_PdS7_NS0_8identityIdEEEE10hipError_tT2_T3_mT4_P12ihipStream_tbEUlT_E_NS1_11comp_targetILNS1_3genE10ELNS1_11target_archE1201ELNS1_3gpuE5ELNS1_3repE0EEENS1_30default_config_static_selectorELNS0_4arch9wavefront6targetE0EEEvT1_
    .private_segment_fixed_size: 0
    .sgpr_count:     15
    .sgpr_spill_count: 0
    .symbol:         _ZN7rocprim17ROCPRIM_400000_NS6detail17trampoline_kernelINS0_14default_configENS1_25transform_config_selectorIdLb1EEEZNS1_14transform_implILb1ES3_S5_PdS7_NS0_8identityIdEEEE10hipError_tT2_T3_mT4_P12ihipStream_tbEUlT_E_NS1_11comp_targetILNS1_3genE10ELNS1_11target_archE1201ELNS1_3gpuE5ELNS1_3repE0EEENS1_30default_config_static_selectorELNS0_4arch9wavefront6targetE0EEEvT1_.kd
    .uniform_work_group_size: 1
    .uses_dynamic_stack: false
    .vgpr_count:     7
    .vgpr_spill_count: 0
    .wavefront_size: 32
    .workgroup_processor_mode: 1
  - .args:
      - .offset:         0
        .size:           40
        .value_kind:     by_value
    .group_segment_fixed_size: 0
    .kernarg_segment_align: 8
    .kernarg_segment_size: 40
    .language:       OpenCL C
    .language_version:
      - 2
      - 0
    .max_flat_workgroup_size: 1024
    .name:           _ZN7rocprim17ROCPRIM_400000_NS6detail17trampoline_kernelINS0_14default_configENS1_25transform_config_selectorIdLb1EEEZNS1_14transform_implILb1ES3_S5_PdS7_NS0_8identityIdEEEE10hipError_tT2_T3_mT4_P12ihipStream_tbEUlT_E_NS1_11comp_targetILNS1_3genE5ELNS1_11target_archE942ELNS1_3gpuE9ELNS1_3repE0EEENS1_30default_config_static_selectorELNS0_4arch9wavefront6targetE0EEEvT1_
    .private_segment_fixed_size: 0
    .sgpr_count:     0
    .sgpr_spill_count: 0
    .symbol:         _ZN7rocprim17ROCPRIM_400000_NS6detail17trampoline_kernelINS0_14default_configENS1_25transform_config_selectorIdLb1EEEZNS1_14transform_implILb1ES3_S5_PdS7_NS0_8identityIdEEEE10hipError_tT2_T3_mT4_P12ihipStream_tbEUlT_E_NS1_11comp_targetILNS1_3genE5ELNS1_11target_archE942ELNS1_3gpuE9ELNS1_3repE0EEENS1_30default_config_static_selectorELNS0_4arch9wavefront6targetE0EEEvT1_.kd
    .uniform_work_group_size: 1
    .uses_dynamic_stack: false
    .vgpr_count:     0
    .vgpr_spill_count: 0
    .wavefront_size: 32
    .workgroup_processor_mode: 1
  - .args:
      - .offset:         0
        .size:           40
        .value_kind:     by_value
    .group_segment_fixed_size: 0
    .kernarg_segment_align: 8
    .kernarg_segment_size: 40
    .language:       OpenCL C
    .language_version:
      - 2
      - 0
    .max_flat_workgroup_size: 1024
    .name:           _ZN7rocprim17ROCPRIM_400000_NS6detail17trampoline_kernelINS0_14default_configENS1_25transform_config_selectorIdLb1EEEZNS1_14transform_implILb1ES3_S5_PdS7_NS0_8identityIdEEEE10hipError_tT2_T3_mT4_P12ihipStream_tbEUlT_E_NS1_11comp_targetILNS1_3genE4ELNS1_11target_archE910ELNS1_3gpuE8ELNS1_3repE0EEENS1_30default_config_static_selectorELNS0_4arch9wavefront6targetE0EEEvT1_
    .private_segment_fixed_size: 0
    .sgpr_count:     0
    .sgpr_spill_count: 0
    .symbol:         _ZN7rocprim17ROCPRIM_400000_NS6detail17trampoline_kernelINS0_14default_configENS1_25transform_config_selectorIdLb1EEEZNS1_14transform_implILb1ES3_S5_PdS7_NS0_8identityIdEEEE10hipError_tT2_T3_mT4_P12ihipStream_tbEUlT_E_NS1_11comp_targetILNS1_3genE4ELNS1_11target_archE910ELNS1_3gpuE8ELNS1_3repE0EEENS1_30default_config_static_selectorELNS0_4arch9wavefront6targetE0EEEvT1_.kd
    .uniform_work_group_size: 1
    .uses_dynamic_stack: false
    .vgpr_count:     0
    .vgpr_spill_count: 0
    .wavefront_size: 32
    .workgroup_processor_mode: 1
  - .args:
      - .offset:         0
        .size:           40
        .value_kind:     by_value
    .group_segment_fixed_size: 0
    .kernarg_segment_align: 8
    .kernarg_segment_size: 40
    .language:       OpenCL C
    .language_version:
      - 2
      - 0
    .max_flat_workgroup_size: 128
    .name:           _ZN7rocprim17ROCPRIM_400000_NS6detail17trampoline_kernelINS0_14default_configENS1_25transform_config_selectorIdLb1EEEZNS1_14transform_implILb1ES3_S5_PdS7_NS0_8identityIdEEEE10hipError_tT2_T3_mT4_P12ihipStream_tbEUlT_E_NS1_11comp_targetILNS1_3genE3ELNS1_11target_archE908ELNS1_3gpuE7ELNS1_3repE0EEENS1_30default_config_static_selectorELNS0_4arch9wavefront6targetE0EEEvT1_
    .private_segment_fixed_size: 0
    .sgpr_count:     0
    .sgpr_spill_count: 0
    .symbol:         _ZN7rocprim17ROCPRIM_400000_NS6detail17trampoline_kernelINS0_14default_configENS1_25transform_config_selectorIdLb1EEEZNS1_14transform_implILb1ES3_S5_PdS7_NS0_8identityIdEEEE10hipError_tT2_T3_mT4_P12ihipStream_tbEUlT_E_NS1_11comp_targetILNS1_3genE3ELNS1_11target_archE908ELNS1_3gpuE7ELNS1_3repE0EEENS1_30default_config_static_selectorELNS0_4arch9wavefront6targetE0EEEvT1_.kd
    .uniform_work_group_size: 1
    .uses_dynamic_stack: false
    .vgpr_count:     0
    .vgpr_spill_count: 0
    .wavefront_size: 32
    .workgroup_processor_mode: 1
  - .args:
      - .offset:         0
        .size:           40
        .value_kind:     by_value
    .group_segment_fixed_size: 0
    .kernarg_segment_align: 8
    .kernarg_segment_size: 40
    .language:       OpenCL C
    .language_version:
      - 2
      - 0
    .max_flat_workgroup_size: 1024
    .name:           _ZN7rocprim17ROCPRIM_400000_NS6detail17trampoline_kernelINS0_14default_configENS1_25transform_config_selectorIdLb1EEEZNS1_14transform_implILb1ES3_S5_PdS7_NS0_8identityIdEEEE10hipError_tT2_T3_mT4_P12ihipStream_tbEUlT_E_NS1_11comp_targetILNS1_3genE2ELNS1_11target_archE906ELNS1_3gpuE6ELNS1_3repE0EEENS1_30default_config_static_selectorELNS0_4arch9wavefront6targetE0EEEvT1_
    .private_segment_fixed_size: 0
    .sgpr_count:     0
    .sgpr_spill_count: 0
    .symbol:         _ZN7rocprim17ROCPRIM_400000_NS6detail17trampoline_kernelINS0_14default_configENS1_25transform_config_selectorIdLb1EEEZNS1_14transform_implILb1ES3_S5_PdS7_NS0_8identityIdEEEE10hipError_tT2_T3_mT4_P12ihipStream_tbEUlT_E_NS1_11comp_targetILNS1_3genE2ELNS1_11target_archE906ELNS1_3gpuE6ELNS1_3repE0EEENS1_30default_config_static_selectorELNS0_4arch9wavefront6targetE0EEEvT1_.kd
    .uniform_work_group_size: 1
    .uses_dynamic_stack: false
    .vgpr_count:     0
    .vgpr_spill_count: 0
    .wavefront_size: 32
    .workgroup_processor_mode: 1
  - .args:
      - .offset:         0
        .size:           40
        .value_kind:     by_value
    .group_segment_fixed_size: 0
    .kernarg_segment_align: 8
    .kernarg_segment_size: 40
    .language:       OpenCL C
    .language_version:
      - 2
      - 0
    .max_flat_workgroup_size: 1024
    .name:           _ZN7rocprim17ROCPRIM_400000_NS6detail17trampoline_kernelINS0_14default_configENS1_25transform_config_selectorIdLb1EEEZNS1_14transform_implILb1ES3_S5_PdS7_NS0_8identityIdEEEE10hipError_tT2_T3_mT4_P12ihipStream_tbEUlT_E_NS1_11comp_targetILNS1_3genE9ELNS1_11target_archE1100ELNS1_3gpuE3ELNS1_3repE0EEENS1_30default_config_static_selectorELNS0_4arch9wavefront6targetE0EEEvT1_
    .private_segment_fixed_size: 0
    .sgpr_count:     0
    .sgpr_spill_count: 0
    .symbol:         _ZN7rocprim17ROCPRIM_400000_NS6detail17trampoline_kernelINS0_14default_configENS1_25transform_config_selectorIdLb1EEEZNS1_14transform_implILb1ES3_S5_PdS7_NS0_8identityIdEEEE10hipError_tT2_T3_mT4_P12ihipStream_tbEUlT_E_NS1_11comp_targetILNS1_3genE9ELNS1_11target_archE1100ELNS1_3gpuE3ELNS1_3repE0EEENS1_30default_config_static_selectorELNS0_4arch9wavefront6targetE0EEEvT1_.kd
    .uniform_work_group_size: 1
    .uses_dynamic_stack: false
    .vgpr_count:     0
    .vgpr_spill_count: 0
    .wavefront_size: 32
    .workgroup_processor_mode: 1
  - .args:
      - .offset:         0
        .size:           40
        .value_kind:     by_value
    .group_segment_fixed_size: 0
    .kernarg_segment_align: 8
    .kernarg_segment_size: 40
    .language:       OpenCL C
    .language_version:
      - 2
      - 0
    .max_flat_workgroup_size: 1024
    .name:           _ZN7rocprim17ROCPRIM_400000_NS6detail17trampoline_kernelINS0_14default_configENS1_25transform_config_selectorIdLb1EEEZNS1_14transform_implILb1ES3_S5_PdS7_NS0_8identityIdEEEE10hipError_tT2_T3_mT4_P12ihipStream_tbEUlT_E_NS1_11comp_targetILNS1_3genE8ELNS1_11target_archE1030ELNS1_3gpuE2ELNS1_3repE0EEENS1_30default_config_static_selectorELNS0_4arch9wavefront6targetE0EEEvT1_
    .private_segment_fixed_size: 0
    .sgpr_count:     0
    .sgpr_spill_count: 0
    .symbol:         _ZN7rocprim17ROCPRIM_400000_NS6detail17trampoline_kernelINS0_14default_configENS1_25transform_config_selectorIdLb1EEEZNS1_14transform_implILb1ES3_S5_PdS7_NS0_8identityIdEEEE10hipError_tT2_T3_mT4_P12ihipStream_tbEUlT_E_NS1_11comp_targetILNS1_3genE8ELNS1_11target_archE1030ELNS1_3gpuE2ELNS1_3repE0EEENS1_30default_config_static_selectorELNS0_4arch9wavefront6targetE0EEEvT1_.kd
    .uniform_work_group_size: 1
    .uses_dynamic_stack: false
    .vgpr_count:     0
    .vgpr_spill_count: 0
    .wavefront_size: 32
    .workgroup_processor_mode: 1
  - .args:
      - .offset:         0
        .size:           40
        .value_kind:     by_value
    .group_segment_fixed_size: 0
    .kernarg_segment_align: 8
    .kernarg_segment_size: 40
    .language:       OpenCL C
    .language_version:
      - 2
      - 0
    .max_flat_workgroup_size: 256
    .name:           _ZN7rocprim17ROCPRIM_400000_NS6detail17trampoline_kernelINS0_14default_configENS1_20scan_config_selectorIdEEZZNS1_9scan_implILNS1_25lookback_scan_determinismE0ELb0ELb0ES3_PKdPddZZZN2at6native31launch_logcumsumexp_cuda_kernelERKNSB_10TensorBaseESF_lENKUlvE_clEvENKUlvE_clEvEUlddE_dEEDaPvRmT3_T4_T5_mT6_P12ihipStream_tbENKUlT_T0_E_clISt17integral_constantIbLb0EESW_EEDaSR_SS_EUlSR_E0_NS1_11comp_targetILNS1_3genE0ELNS1_11target_archE4294967295ELNS1_3gpuE0ELNS1_3repE0EEENS1_30default_config_static_selectorELNS0_4arch9wavefront6targetE0EEEvT1_
    .private_segment_fixed_size: 0
    .sgpr_count:     0
    .sgpr_spill_count: 0
    .symbol:         _ZN7rocprim17ROCPRIM_400000_NS6detail17trampoline_kernelINS0_14default_configENS1_20scan_config_selectorIdEEZZNS1_9scan_implILNS1_25lookback_scan_determinismE0ELb0ELb0ES3_PKdPddZZZN2at6native31launch_logcumsumexp_cuda_kernelERKNSB_10TensorBaseESF_lENKUlvE_clEvENKUlvE_clEvEUlddE_dEEDaPvRmT3_T4_T5_mT6_P12ihipStream_tbENKUlT_T0_E_clISt17integral_constantIbLb0EESW_EEDaSR_SS_EUlSR_E0_NS1_11comp_targetILNS1_3genE0ELNS1_11target_archE4294967295ELNS1_3gpuE0ELNS1_3repE0EEENS1_30default_config_static_selectorELNS0_4arch9wavefront6targetE0EEEvT1_.kd
    .uniform_work_group_size: 1
    .uses_dynamic_stack: false
    .vgpr_count:     0
    .vgpr_spill_count: 0
    .wavefront_size: 32
    .workgroup_processor_mode: 1
  - .args:
      - .offset:         0
        .size:           40
        .value_kind:     by_value
    .group_segment_fixed_size: 0
    .kernarg_segment_align: 8
    .kernarg_segment_size: 40
    .language:       OpenCL C
    .language_version:
      - 2
      - 0
    .max_flat_workgroup_size: 256
    .name:           _ZN7rocprim17ROCPRIM_400000_NS6detail17trampoline_kernelINS0_14default_configENS1_20scan_config_selectorIdEEZZNS1_9scan_implILNS1_25lookback_scan_determinismE0ELb0ELb0ES3_PKdPddZZZN2at6native31launch_logcumsumexp_cuda_kernelERKNSB_10TensorBaseESF_lENKUlvE_clEvENKUlvE_clEvEUlddE_dEEDaPvRmT3_T4_T5_mT6_P12ihipStream_tbENKUlT_T0_E_clISt17integral_constantIbLb0EESW_EEDaSR_SS_EUlSR_E0_NS1_11comp_targetILNS1_3genE5ELNS1_11target_archE942ELNS1_3gpuE9ELNS1_3repE0EEENS1_30default_config_static_selectorELNS0_4arch9wavefront6targetE0EEEvT1_
    .private_segment_fixed_size: 0
    .sgpr_count:     0
    .sgpr_spill_count: 0
    .symbol:         _ZN7rocprim17ROCPRIM_400000_NS6detail17trampoline_kernelINS0_14default_configENS1_20scan_config_selectorIdEEZZNS1_9scan_implILNS1_25lookback_scan_determinismE0ELb0ELb0ES3_PKdPddZZZN2at6native31launch_logcumsumexp_cuda_kernelERKNSB_10TensorBaseESF_lENKUlvE_clEvENKUlvE_clEvEUlddE_dEEDaPvRmT3_T4_T5_mT6_P12ihipStream_tbENKUlT_T0_E_clISt17integral_constantIbLb0EESW_EEDaSR_SS_EUlSR_E0_NS1_11comp_targetILNS1_3genE5ELNS1_11target_archE942ELNS1_3gpuE9ELNS1_3repE0EEENS1_30default_config_static_selectorELNS0_4arch9wavefront6targetE0EEEvT1_.kd
    .uniform_work_group_size: 1
    .uses_dynamic_stack: false
    .vgpr_count:     0
    .vgpr_spill_count: 0
    .wavefront_size: 32
    .workgroup_processor_mode: 1
  - .args:
      - .offset:         0
        .size:           40
        .value_kind:     by_value
    .group_segment_fixed_size: 0
    .kernarg_segment_align: 8
    .kernarg_segment_size: 40
    .language:       OpenCL C
    .language_version:
      - 2
      - 0
    .max_flat_workgroup_size: 128
    .name:           _ZN7rocprim17ROCPRIM_400000_NS6detail17trampoline_kernelINS0_14default_configENS1_20scan_config_selectorIdEEZZNS1_9scan_implILNS1_25lookback_scan_determinismE0ELb0ELb0ES3_PKdPddZZZN2at6native31launch_logcumsumexp_cuda_kernelERKNSB_10TensorBaseESF_lENKUlvE_clEvENKUlvE_clEvEUlddE_dEEDaPvRmT3_T4_T5_mT6_P12ihipStream_tbENKUlT_T0_E_clISt17integral_constantIbLb0EESW_EEDaSR_SS_EUlSR_E0_NS1_11comp_targetILNS1_3genE4ELNS1_11target_archE910ELNS1_3gpuE8ELNS1_3repE0EEENS1_30default_config_static_selectorELNS0_4arch9wavefront6targetE0EEEvT1_
    .private_segment_fixed_size: 0
    .sgpr_count:     0
    .sgpr_spill_count: 0
    .symbol:         _ZN7rocprim17ROCPRIM_400000_NS6detail17trampoline_kernelINS0_14default_configENS1_20scan_config_selectorIdEEZZNS1_9scan_implILNS1_25lookback_scan_determinismE0ELb0ELb0ES3_PKdPddZZZN2at6native31launch_logcumsumexp_cuda_kernelERKNSB_10TensorBaseESF_lENKUlvE_clEvENKUlvE_clEvEUlddE_dEEDaPvRmT3_T4_T5_mT6_P12ihipStream_tbENKUlT_T0_E_clISt17integral_constantIbLb0EESW_EEDaSR_SS_EUlSR_E0_NS1_11comp_targetILNS1_3genE4ELNS1_11target_archE910ELNS1_3gpuE8ELNS1_3repE0EEENS1_30default_config_static_selectorELNS0_4arch9wavefront6targetE0EEEvT1_.kd
    .uniform_work_group_size: 1
    .uses_dynamic_stack: false
    .vgpr_count:     0
    .vgpr_spill_count: 0
    .wavefront_size: 32
    .workgroup_processor_mode: 1
  - .args:
      - .offset:         0
        .size:           40
        .value_kind:     by_value
    .group_segment_fixed_size: 0
    .kernarg_segment_align: 8
    .kernarg_segment_size: 40
    .language:       OpenCL C
    .language_version:
      - 2
      - 0
    .max_flat_workgroup_size: 256
    .name:           _ZN7rocprim17ROCPRIM_400000_NS6detail17trampoline_kernelINS0_14default_configENS1_20scan_config_selectorIdEEZZNS1_9scan_implILNS1_25lookback_scan_determinismE0ELb0ELb0ES3_PKdPddZZZN2at6native31launch_logcumsumexp_cuda_kernelERKNSB_10TensorBaseESF_lENKUlvE_clEvENKUlvE_clEvEUlddE_dEEDaPvRmT3_T4_T5_mT6_P12ihipStream_tbENKUlT_T0_E_clISt17integral_constantIbLb0EESW_EEDaSR_SS_EUlSR_E0_NS1_11comp_targetILNS1_3genE3ELNS1_11target_archE908ELNS1_3gpuE7ELNS1_3repE0EEENS1_30default_config_static_selectorELNS0_4arch9wavefront6targetE0EEEvT1_
    .private_segment_fixed_size: 0
    .sgpr_count:     0
    .sgpr_spill_count: 0
    .symbol:         _ZN7rocprim17ROCPRIM_400000_NS6detail17trampoline_kernelINS0_14default_configENS1_20scan_config_selectorIdEEZZNS1_9scan_implILNS1_25lookback_scan_determinismE0ELb0ELb0ES3_PKdPddZZZN2at6native31launch_logcumsumexp_cuda_kernelERKNSB_10TensorBaseESF_lENKUlvE_clEvENKUlvE_clEvEUlddE_dEEDaPvRmT3_T4_T5_mT6_P12ihipStream_tbENKUlT_T0_E_clISt17integral_constantIbLb0EESW_EEDaSR_SS_EUlSR_E0_NS1_11comp_targetILNS1_3genE3ELNS1_11target_archE908ELNS1_3gpuE7ELNS1_3repE0EEENS1_30default_config_static_selectorELNS0_4arch9wavefront6targetE0EEEvT1_.kd
    .uniform_work_group_size: 1
    .uses_dynamic_stack: false
    .vgpr_count:     0
    .vgpr_spill_count: 0
    .wavefront_size: 32
    .workgroup_processor_mode: 1
  - .args:
      - .offset:         0
        .size:           40
        .value_kind:     by_value
    .group_segment_fixed_size: 0
    .kernarg_segment_align: 8
    .kernarg_segment_size: 40
    .language:       OpenCL C
    .language_version:
      - 2
      - 0
    .max_flat_workgroup_size: 128
    .name:           _ZN7rocprim17ROCPRIM_400000_NS6detail17trampoline_kernelINS0_14default_configENS1_20scan_config_selectorIdEEZZNS1_9scan_implILNS1_25lookback_scan_determinismE0ELb0ELb0ES3_PKdPddZZZN2at6native31launch_logcumsumexp_cuda_kernelERKNSB_10TensorBaseESF_lENKUlvE_clEvENKUlvE_clEvEUlddE_dEEDaPvRmT3_T4_T5_mT6_P12ihipStream_tbENKUlT_T0_E_clISt17integral_constantIbLb0EESW_EEDaSR_SS_EUlSR_E0_NS1_11comp_targetILNS1_3genE2ELNS1_11target_archE906ELNS1_3gpuE6ELNS1_3repE0EEENS1_30default_config_static_selectorELNS0_4arch9wavefront6targetE0EEEvT1_
    .private_segment_fixed_size: 0
    .sgpr_count:     0
    .sgpr_spill_count: 0
    .symbol:         _ZN7rocprim17ROCPRIM_400000_NS6detail17trampoline_kernelINS0_14default_configENS1_20scan_config_selectorIdEEZZNS1_9scan_implILNS1_25lookback_scan_determinismE0ELb0ELb0ES3_PKdPddZZZN2at6native31launch_logcumsumexp_cuda_kernelERKNSB_10TensorBaseESF_lENKUlvE_clEvENKUlvE_clEvEUlddE_dEEDaPvRmT3_T4_T5_mT6_P12ihipStream_tbENKUlT_T0_E_clISt17integral_constantIbLb0EESW_EEDaSR_SS_EUlSR_E0_NS1_11comp_targetILNS1_3genE2ELNS1_11target_archE906ELNS1_3gpuE6ELNS1_3repE0EEENS1_30default_config_static_selectorELNS0_4arch9wavefront6targetE0EEEvT1_.kd
    .uniform_work_group_size: 1
    .uses_dynamic_stack: false
    .vgpr_count:     0
    .vgpr_spill_count: 0
    .wavefront_size: 32
    .workgroup_processor_mode: 1
  - .args:
      - .offset:         0
        .size:           40
        .value_kind:     by_value
    .group_segment_fixed_size: 33792
    .kernarg_segment_align: 8
    .kernarg_segment_size: 40
    .language:       OpenCL C
    .language_version:
      - 2
      - 0
    .max_flat_workgroup_size: 256
    .name:           _ZN7rocprim17ROCPRIM_400000_NS6detail17trampoline_kernelINS0_14default_configENS1_20scan_config_selectorIdEEZZNS1_9scan_implILNS1_25lookback_scan_determinismE0ELb0ELb0ES3_PKdPddZZZN2at6native31launch_logcumsumexp_cuda_kernelERKNSB_10TensorBaseESF_lENKUlvE_clEvENKUlvE_clEvEUlddE_dEEDaPvRmT3_T4_T5_mT6_P12ihipStream_tbENKUlT_T0_E_clISt17integral_constantIbLb0EESW_EEDaSR_SS_EUlSR_E0_NS1_11comp_targetILNS1_3genE10ELNS1_11target_archE1201ELNS1_3gpuE5ELNS1_3repE0EEENS1_30default_config_static_selectorELNS0_4arch9wavefront6targetE0EEEvT1_
    .private_segment_fixed_size: 0
    .sgpr_count:     50
    .sgpr_spill_count: 0
    .symbol:         _ZN7rocprim17ROCPRIM_400000_NS6detail17trampoline_kernelINS0_14default_configENS1_20scan_config_selectorIdEEZZNS1_9scan_implILNS1_25lookback_scan_determinismE0ELb0ELb0ES3_PKdPddZZZN2at6native31launch_logcumsumexp_cuda_kernelERKNSB_10TensorBaseESF_lENKUlvE_clEvENKUlvE_clEvEUlddE_dEEDaPvRmT3_T4_T5_mT6_P12ihipStream_tbENKUlT_T0_E_clISt17integral_constantIbLb0EESW_EEDaSR_SS_EUlSR_E0_NS1_11comp_targetILNS1_3genE10ELNS1_11target_archE1201ELNS1_3gpuE5ELNS1_3repE0EEENS1_30default_config_static_selectorELNS0_4arch9wavefront6targetE0EEEvT1_.kd
    .uniform_work_group_size: 1
    .uses_dynamic_stack: false
    .vgpr_count:     119
    .vgpr_spill_count: 0
    .wavefront_size: 32
    .workgroup_processor_mode: 1
  - .args:
      - .offset:         0
        .size:           40
        .value_kind:     by_value
    .group_segment_fixed_size: 0
    .kernarg_segment_align: 8
    .kernarg_segment_size: 40
    .language:       OpenCL C
    .language_version:
      - 2
      - 0
    .max_flat_workgroup_size: 256
    .name:           _ZN7rocprim17ROCPRIM_400000_NS6detail17trampoline_kernelINS0_14default_configENS1_20scan_config_selectorIdEEZZNS1_9scan_implILNS1_25lookback_scan_determinismE0ELb0ELb0ES3_PKdPddZZZN2at6native31launch_logcumsumexp_cuda_kernelERKNSB_10TensorBaseESF_lENKUlvE_clEvENKUlvE_clEvEUlddE_dEEDaPvRmT3_T4_T5_mT6_P12ihipStream_tbENKUlT_T0_E_clISt17integral_constantIbLb0EESW_EEDaSR_SS_EUlSR_E0_NS1_11comp_targetILNS1_3genE10ELNS1_11target_archE1200ELNS1_3gpuE4ELNS1_3repE0EEENS1_30default_config_static_selectorELNS0_4arch9wavefront6targetE0EEEvT1_
    .private_segment_fixed_size: 0
    .sgpr_count:     0
    .sgpr_spill_count: 0
    .symbol:         _ZN7rocprim17ROCPRIM_400000_NS6detail17trampoline_kernelINS0_14default_configENS1_20scan_config_selectorIdEEZZNS1_9scan_implILNS1_25lookback_scan_determinismE0ELb0ELb0ES3_PKdPddZZZN2at6native31launch_logcumsumexp_cuda_kernelERKNSB_10TensorBaseESF_lENKUlvE_clEvENKUlvE_clEvEUlddE_dEEDaPvRmT3_T4_T5_mT6_P12ihipStream_tbENKUlT_T0_E_clISt17integral_constantIbLb0EESW_EEDaSR_SS_EUlSR_E0_NS1_11comp_targetILNS1_3genE10ELNS1_11target_archE1200ELNS1_3gpuE4ELNS1_3repE0EEENS1_30default_config_static_selectorELNS0_4arch9wavefront6targetE0EEEvT1_.kd
    .uniform_work_group_size: 1
    .uses_dynamic_stack: false
    .vgpr_count:     0
    .vgpr_spill_count: 0
    .wavefront_size: 32
    .workgroup_processor_mode: 1
  - .args:
      - .offset:         0
        .size:           40
        .value_kind:     by_value
    .group_segment_fixed_size: 0
    .kernarg_segment_align: 8
    .kernarg_segment_size: 40
    .language:       OpenCL C
    .language_version:
      - 2
      - 0
    .max_flat_workgroup_size: 256
    .name:           _ZN7rocprim17ROCPRIM_400000_NS6detail17trampoline_kernelINS0_14default_configENS1_20scan_config_selectorIdEEZZNS1_9scan_implILNS1_25lookback_scan_determinismE0ELb0ELb0ES3_PKdPddZZZN2at6native31launch_logcumsumexp_cuda_kernelERKNSB_10TensorBaseESF_lENKUlvE_clEvENKUlvE_clEvEUlddE_dEEDaPvRmT3_T4_T5_mT6_P12ihipStream_tbENKUlT_T0_E_clISt17integral_constantIbLb0EESW_EEDaSR_SS_EUlSR_E0_NS1_11comp_targetILNS1_3genE9ELNS1_11target_archE1100ELNS1_3gpuE3ELNS1_3repE0EEENS1_30default_config_static_selectorELNS0_4arch9wavefront6targetE0EEEvT1_
    .private_segment_fixed_size: 0
    .sgpr_count:     0
    .sgpr_spill_count: 0
    .symbol:         _ZN7rocprim17ROCPRIM_400000_NS6detail17trampoline_kernelINS0_14default_configENS1_20scan_config_selectorIdEEZZNS1_9scan_implILNS1_25lookback_scan_determinismE0ELb0ELb0ES3_PKdPddZZZN2at6native31launch_logcumsumexp_cuda_kernelERKNSB_10TensorBaseESF_lENKUlvE_clEvENKUlvE_clEvEUlddE_dEEDaPvRmT3_T4_T5_mT6_P12ihipStream_tbENKUlT_T0_E_clISt17integral_constantIbLb0EESW_EEDaSR_SS_EUlSR_E0_NS1_11comp_targetILNS1_3genE9ELNS1_11target_archE1100ELNS1_3gpuE3ELNS1_3repE0EEENS1_30default_config_static_selectorELNS0_4arch9wavefront6targetE0EEEvT1_.kd
    .uniform_work_group_size: 1
    .uses_dynamic_stack: false
    .vgpr_count:     0
    .vgpr_spill_count: 0
    .wavefront_size: 32
    .workgroup_processor_mode: 1
  - .args:
      - .offset:         0
        .size:           40
        .value_kind:     by_value
    .group_segment_fixed_size: 0
    .kernarg_segment_align: 8
    .kernarg_segment_size: 40
    .language:       OpenCL C
    .language_version:
      - 2
      - 0
    .max_flat_workgroup_size: 128
    .name:           _ZN7rocprim17ROCPRIM_400000_NS6detail17trampoline_kernelINS0_14default_configENS1_20scan_config_selectorIdEEZZNS1_9scan_implILNS1_25lookback_scan_determinismE0ELb0ELb0ES3_PKdPddZZZN2at6native31launch_logcumsumexp_cuda_kernelERKNSB_10TensorBaseESF_lENKUlvE_clEvENKUlvE_clEvEUlddE_dEEDaPvRmT3_T4_T5_mT6_P12ihipStream_tbENKUlT_T0_E_clISt17integral_constantIbLb0EESW_EEDaSR_SS_EUlSR_E0_NS1_11comp_targetILNS1_3genE8ELNS1_11target_archE1030ELNS1_3gpuE2ELNS1_3repE0EEENS1_30default_config_static_selectorELNS0_4arch9wavefront6targetE0EEEvT1_
    .private_segment_fixed_size: 0
    .sgpr_count:     0
    .sgpr_spill_count: 0
    .symbol:         _ZN7rocprim17ROCPRIM_400000_NS6detail17trampoline_kernelINS0_14default_configENS1_20scan_config_selectorIdEEZZNS1_9scan_implILNS1_25lookback_scan_determinismE0ELb0ELb0ES3_PKdPddZZZN2at6native31launch_logcumsumexp_cuda_kernelERKNSB_10TensorBaseESF_lENKUlvE_clEvENKUlvE_clEvEUlddE_dEEDaPvRmT3_T4_T5_mT6_P12ihipStream_tbENKUlT_T0_E_clISt17integral_constantIbLb0EESW_EEDaSR_SS_EUlSR_E0_NS1_11comp_targetILNS1_3genE8ELNS1_11target_archE1030ELNS1_3gpuE2ELNS1_3repE0EEENS1_30default_config_static_selectorELNS0_4arch9wavefront6targetE0EEEvT1_.kd
    .uniform_work_group_size: 1
    .uses_dynamic_stack: false
    .vgpr_count:     0
    .vgpr_spill_count: 0
    .wavefront_size: 32
    .workgroup_processor_mode: 1
  - .args:
      - .address_space:  global
        .offset:         0
        .size:           8
        .value_kind:     global_buffer
      - .offset:         8
        .size:           4
        .value_kind:     by_value
      - .address_space:  global
        .offset:         16
        .size:           8
        .value_kind:     global_buffer
      - .offset:         24
        .size:           4
        .value_kind:     by_value
      - .address_space:  global
        .offset:         32
        .size:           8
        .value_kind:     global_buffer
      - .offset:         40
        .size:           4
        .value_kind:     hidden_block_count_x
      - .offset:         44
        .size:           4
        .value_kind:     hidden_block_count_y
      - .offset:         48
        .size:           4
        .value_kind:     hidden_block_count_z
      - .offset:         52
        .size:           2
        .value_kind:     hidden_group_size_x
      - .offset:         54
        .size:           2
        .value_kind:     hidden_group_size_y
      - .offset:         56
        .size:           2
        .value_kind:     hidden_group_size_z
      - .offset:         58
        .size:           2
        .value_kind:     hidden_remainder_x
      - .offset:         60
        .size:           2
        .value_kind:     hidden_remainder_y
      - .offset:         62
        .size:           2
        .value_kind:     hidden_remainder_z
      - .offset:         80
        .size:           8
        .value_kind:     hidden_global_offset_x
      - .offset:         88
        .size:           8
        .value_kind:     hidden_global_offset_y
      - .offset:         96
        .size:           8
        .value_kind:     hidden_global_offset_z
      - .offset:         104
        .size:           2
        .value_kind:     hidden_grid_dims
    .group_segment_fixed_size: 0
    .kernarg_segment_align: 8
    .kernarg_segment_size: 296
    .language:       OpenCL C
    .language_version:
      - 2
      - 0
    .max_flat_workgroup_size: 256
    .name:           _ZN7rocprim17ROCPRIM_400000_NS6detail31init_lookback_scan_state_kernelINS1_19lookback_scan_stateIdLb1ELb1EEENS1_16block_id_wrapperIjLb1EEEEEvT_jT0_jPNS7_10value_typeE
    .private_segment_fixed_size: 0
    .sgpr_count:     14
    .sgpr_spill_count: 0
    .symbol:         _ZN7rocprim17ROCPRIM_400000_NS6detail31init_lookback_scan_state_kernelINS1_19lookback_scan_stateIdLb1ELb1EEENS1_16block_id_wrapperIjLb1EEEEEvT_jT0_jPNS7_10value_typeE.kd
    .uniform_work_group_size: 1
    .uses_dynamic_stack: false
    .vgpr_count:     8
    .vgpr_spill_count: 0
    .wavefront_size: 32
    .workgroup_processor_mode: 1
  - .args:
      - .offset:         0
        .size:           104
        .value_kind:     by_value
    .group_segment_fixed_size: 0
    .kernarg_segment_align: 8
    .kernarg_segment_size: 104
    .language:       OpenCL C
    .language_version:
      - 2
      - 0
    .max_flat_workgroup_size: 256
    .name:           _ZN7rocprim17ROCPRIM_400000_NS6detail17trampoline_kernelINS0_14default_configENS1_20scan_config_selectorIdEEZZNS1_9scan_implILNS1_25lookback_scan_determinismE0ELb0ELb0ES3_PKdPddZZZN2at6native31launch_logcumsumexp_cuda_kernelERKNSB_10TensorBaseESF_lENKUlvE_clEvENKUlvE_clEvEUlddE_dEEDaPvRmT3_T4_T5_mT6_P12ihipStream_tbENKUlT_T0_E_clISt17integral_constantIbLb1EESW_EEDaSR_SS_EUlSR_E_NS1_11comp_targetILNS1_3genE0ELNS1_11target_archE4294967295ELNS1_3gpuE0ELNS1_3repE0EEENS1_30default_config_static_selectorELNS0_4arch9wavefront6targetE0EEEvT1_
    .private_segment_fixed_size: 0
    .sgpr_count:     0
    .sgpr_spill_count: 0
    .symbol:         _ZN7rocprim17ROCPRIM_400000_NS6detail17trampoline_kernelINS0_14default_configENS1_20scan_config_selectorIdEEZZNS1_9scan_implILNS1_25lookback_scan_determinismE0ELb0ELb0ES3_PKdPddZZZN2at6native31launch_logcumsumexp_cuda_kernelERKNSB_10TensorBaseESF_lENKUlvE_clEvENKUlvE_clEvEUlddE_dEEDaPvRmT3_T4_T5_mT6_P12ihipStream_tbENKUlT_T0_E_clISt17integral_constantIbLb1EESW_EEDaSR_SS_EUlSR_E_NS1_11comp_targetILNS1_3genE0ELNS1_11target_archE4294967295ELNS1_3gpuE0ELNS1_3repE0EEENS1_30default_config_static_selectorELNS0_4arch9wavefront6targetE0EEEvT1_.kd
    .uniform_work_group_size: 1
    .uses_dynamic_stack: false
    .vgpr_count:     0
    .vgpr_spill_count: 0
    .wavefront_size: 32
    .workgroup_processor_mode: 1
  - .args:
      - .offset:         0
        .size:           104
        .value_kind:     by_value
    .group_segment_fixed_size: 0
    .kernarg_segment_align: 8
    .kernarg_segment_size: 104
    .language:       OpenCL C
    .language_version:
      - 2
      - 0
    .max_flat_workgroup_size: 256
    .name:           _ZN7rocprim17ROCPRIM_400000_NS6detail17trampoline_kernelINS0_14default_configENS1_20scan_config_selectorIdEEZZNS1_9scan_implILNS1_25lookback_scan_determinismE0ELb0ELb0ES3_PKdPddZZZN2at6native31launch_logcumsumexp_cuda_kernelERKNSB_10TensorBaseESF_lENKUlvE_clEvENKUlvE_clEvEUlddE_dEEDaPvRmT3_T4_T5_mT6_P12ihipStream_tbENKUlT_T0_E_clISt17integral_constantIbLb1EESW_EEDaSR_SS_EUlSR_E_NS1_11comp_targetILNS1_3genE5ELNS1_11target_archE942ELNS1_3gpuE9ELNS1_3repE0EEENS1_30default_config_static_selectorELNS0_4arch9wavefront6targetE0EEEvT1_
    .private_segment_fixed_size: 0
    .sgpr_count:     0
    .sgpr_spill_count: 0
    .symbol:         _ZN7rocprim17ROCPRIM_400000_NS6detail17trampoline_kernelINS0_14default_configENS1_20scan_config_selectorIdEEZZNS1_9scan_implILNS1_25lookback_scan_determinismE0ELb0ELb0ES3_PKdPddZZZN2at6native31launch_logcumsumexp_cuda_kernelERKNSB_10TensorBaseESF_lENKUlvE_clEvENKUlvE_clEvEUlddE_dEEDaPvRmT3_T4_T5_mT6_P12ihipStream_tbENKUlT_T0_E_clISt17integral_constantIbLb1EESW_EEDaSR_SS_EUlSR_E_NS1_11comp_targetILNS1_3genE5ELNS1_11target_archE942ELNS1_3gpuE9ELNS1_3repE0EEENS1_30default_config_static_selectorELNS0_4arch9wavefront6targetE0EEEvT1_.kd
    .uniform_work_group_size: 1
    .uses_dynamic_stack: false
    .vgpr_count:     0
    .vgpr_spill_count: 0
    .wavefront_size: 32
    .workgroup_processor_mode: 1
  - .args:
      - .offset:         0
        .size:           104
        .value_kind:     by_value
    .group_segment_fixed_size: 0
    .kernarg_segment_align: 8
    .kernarg_segment_size: 104
    .language:       OpenCL C
    .language_version:
      - 2
      - 0
    .max_flat_workgroup_size: 128
    .name:           _ZN7rocprim17ROCPRIM_400000_NS6detail17trampoline_kernelINS0_14default_configENS1_20scan_config_selectorIdEEZZNS1_9scan_implILNS1_25lookback_scan_determinismE0ELb0ELb0ES3_PKdPddZZZN2at6native31launch_logcumsumexp_cuda_kernelERKNSB_10TensorBaseESF_lENKUlvE_clEvENKUlvE_clEvEUlddE_dEEDaPvRmT3_T4_T5_mT6_P12ihipStream_tbENKUlT_T0_E_clISt17integral_constantIbLb1EESW_EEDaSR_SS_EUlSR_E_NS1_11comp_targetILNS1_3genE4ELNS1_11target_archE910ELNS1_3gpuE8ELNS1_3repE0EEENS1_30default_config_static_selectorELNS0_4arch9wavefront6targetE0EEEvT1_
    .private_segment_fixed_size: 0
    .sgpr_count:     0
    .sgpr_spill_count: 0
    .symbol:         _ZN7rocprim17ROCPRIM_400000_NS6detail17trampoline_kernelINS0_14default_configENS1_20scan_config_selectorIdEEZZNS1_9scan_implILNS1_25lookback_scan_determinismE0ELb0ELb0ES3_PKdPddZZZN2at6native31launch_logcumsumexp_cuda_kernelERKNSB_10TensorBaseESF_lENKUlvE_clEvENKUlvE_clEvEUlddE_dEEDaPvRmT3_T4_T5_mT6_P12ihipStream_tbENKUlT_T0_E_clISt17integral_constantIbLb1EESW_EEDaSR_SS_EUlSR_E_NS1_11comp_targetILNS1_3genE4ELNS1_11target_archE910ELNS1_3gpuE8ELNS1_3repE0EEENS1_30default_config_static_selectorELNS0_4arch9wavefront6targetE0EEEvT1_.kd
    .uniform_work_group_size: 1
    .uses_dynamic_stack: false
    .vgpr_count:     0
    .vgpr_spill_count: 0
    .wavefront_size: 32
    .workgroup_processor_mode: 1
  - .args:
      - .offset:         0
        .size:           104
        .value_kind:     by_value
    .group_segment_fixed_size: 0
    .kernarg_segment_align: 8
    .kernarg_segment_size: 104
    .language:       OpenCL C
    .language_version:
      - 2
      - 0
    .max_flat_workgroup_size: 256
    .name:           _ZN7rocprim17ROCPRIM_400000_NS6detail17trampoline_kernelINS0_14default_configENS1_20scan_config_selectorIdEEZZNS1_9scan_implILNS1_25lookback_scan_determinismE0ELb0ELb0ES3_PKdPddZZZN2at6native31launch_logcumsumexp_cuda_kernelERKNSB_10TensorBaseESF_lENKUlvE_clEvENKUlvE_clEvEUlddE_dEEDaPvRmT3_T4_T5_mT6_P12ihipStream_tbENKUlT_T0_E_clISt17integral_constantIbLb1EESW_EEDaSR_SS_EUlSR_E_NS1_11comp_targetILNS1_3genE3ELNS1_11target_archE908ELNS1_3gpuE7ELNS1_3repE0EEENS1_30default_config_static_selectorELNS0_4arch9wavefront6targetE0EEEvT1_
    .private_segment_fixed_size: 0
    .sgpr_count:     0
    .sgpr_spill_count: 0
    .symbol:         _ZN7rocprim17ROCPRIM_400000_NS6detail17trampoline_kernelINS0_14default_configENS1_20scan_config_selectorIdEEZZNS1_9scan_implILNS1_25lookback_scan_determinismE0ELb0ELb0ES3_PKdPddZZZN2at6native31launch_logcumsumexp_cuda_kernelERKNSB_10TensorBaseESF_lENKUlvE_clEvENKUlvE_clEvEUlddE_dEEDaPvRmT3_T4_T5_mT6_P12ihipStream_tbENKUlT_T0_E_clISt17integral_constantIbLb1EESW_EEDaSR_SS_EUlSR_E_NS1_11comp_targetILNS1_3genE3ELNS1_11target_archE908ELNS1_3gpuE7ELNS1_3repE0EEENS1_30default_config_static_selectorELNS0_4arch9wavefront6targetE0EEEvT1_.kd
    .uniform_work_group_size: 1
    .uses_dynamic_stack: false
    .vgpr_count:     0
    .vgpr_spill_count: 0
    .wavefront_size: 32
    .workgroup_processor_mode: 1
  - .args:
      - .offset:         0
        .size:           104
        .value_kind:     by_value
    .group_segment_fixed_size: 0
    .kernarg_segment_align: 8
    .kernarg_segment_size: 104
    .language:       OpenCL C
    .language_version:
      - 2
      - 0
    .max_flat_workgroup_size: 128
    .name:           _ZN7rocprim17ROCPRIM_400000_NS6detail17trampoline_kernelINS0_14default_configENS1_20scan_config_selectorIdEEZZNS1_9scan_implILNS1_25lookback_scan_determinismE0ELb0ELb0ES3_PKdPddZZZN2at6native31launch_logcumsumexp_cuda_kernelERKNSB_10TensorBaseESF_lENKUlvE_clEvENKUlvE_clEvEUlddE_dEEDaPvRmT3_T4_T5_mT6_P12ihipStream_tbENKUlT_T0_E_clISt17integral_constantIbLb1EESW_EEDaSR_SS_EUlSR_E_NS1_11comp_targetILNS1_3genE2ELNS1_11target_archE906ELNS1_3gpuE6ELNS1_3repE0EEENS1_30default_config_static_selectorELNS0_4arch9wavefront6targetE0EEEvT1_
    .private_segment_fixed_size: 0
    .sgpr_count:     0
    .sgpr_spill_count: 0
    .symbol:         _ZN7rocprim17ROCPRIM_400000_NS6detail17trampoline_kernelINS0_14default_configENS1_20scan_config_selectorIdEEZZNS1_9scan_implILNS1_25lookback_scan_determinismE0ELb0ELb0ES3_PKdPddZZZN2at6native31launch_logcumsumexp_cuda_kernelERKNSB_10TensorBaseESF_lENKUlvE_clEvENKUlvE_clEvEUlddE_dEEDaPvRmT3_T4_T5_mT6_P12ihipStream_tbENKUlT_T0_E_clISt17integral_constantIbLb1EESW_EEDaSR_SS_EUlSR_E_NS1_11comp_targetILNS1_3genE2ELNS1_11target_archE906ELNS1_3gpuE6ELNS1_3repE0EEENS1_30default_config_static_selectorELNS0_4arch9wavefront6targetE0EEEvT1_.kd
    .uniform_work_group_size: 1
    .uses_dynamic_stack: false
    .vgpr_count:     0
    .vgpr_spill_count: 0
    .wavefront_size: 32
    .workgroup_processor_mode: 1
  - .args:
      - .offset:         0
        .size:           104
        .value_kind:     by_value
    .group_segment_fixed_size: 0
    .kernarg_segment_align: 8
    .kernarg_segment_size: 104
    .language:       OpenCL C
    .language_version:
      - 2
      - 0
    .max_flat_workgroup_size: 256
    .name:           _ZN7rocprim17ROCPRIM_400000_NS6detail17trampoline_kernelINS0_14default_configENS1_20scan_config_selectorIdEEZZNS1_9scan_implILNS1_25lookback_scan_determinismE0ELb0ELb0ES3_PKdPddZZZN2at6native31launch_logcumsumexp_cuda_kernelERKNSB_10TensorBaseESF_lENKUlvE_clEvENKUlvE_clEvEUlddE_dEEDaPvRmT3_T4_T5_mT6_P12ihipStream_tbENKUlT_T0_E_clISt17integral_constantIbLb1EESW_EEDaSR_SS_EUlSR_E_NS1_11comp_targetILNS1_3genE10ELNS1_11target_archE1201ELNS1_3gpuE5ELNS1_3repE0EEENS1_30default_config_static_selectorELNS0_4arch9wavefront6targetE0EEEvT1_
    .private_segment_fixed_size: 0
    .sgpr_count:     0
    .sgpr_spill_count: 0
    .symbol:         _ZN7rocprim17ROCPRIM_400000_NS6detail17trampoline_kernelINS0_14default_configENS1_20scan_config_selectorIdEEZZNS1_9scan_implILNS1_25lookback_scan_determinismE0ELb0ELb0ES3_PKdPddZZZN2at6native31launch_logcumsumexp_cuda_kernelERKNSB_10TensorBaseESF_lENKUlvE_clEvENKUlvE_clEvEUlddE_dEEDaPvRmT3_T4_T5_mT6_P12ihipStream_tbENKUlT_T0_E_clISt17integral_constantIbLb1EESW_EEDaSR_SS_EUlSR_E_NS1_11comp_targetILNS1_3genE10ELNS1_11target_archE1201ELNS1_3gpuE5ELNS1_3repE0EEENS1_30default_config_static_selectorELNS0_4arch9wavefront6targetE0EEEvT1_.kd
    .uniform_work_group_size: 1
    .uses_dynamic_stack: false
    .vgpr_count:     0
    .vgpr_spill_count: 0
    .wavefront_size: 32
    .workgroup_processor_mode: 1
  - .args:
      - .offset:         0
        .size:           104
        .value_kind:     by_value
    .group_segment_fixed_size: 0
    .kernarg_segment_align: 8
    .kernarg_segment_size: 104
    .language:       OpenCL C
    .language_version:
      - 2
      - 0
    .max_flat_workgroup_size: 256
    .name:           _ZN7rocprim17ROCPRIM_400000_NS6detail17trampoline_kernelINS0_14default_configENS1_20scan_config_selectorIdEEZZNS1_9scan_implILNS1_25lookback_scan_determinismE0ELb0ELb0ES3_PKdPddZZZN2at6native31launch_logcumsumexp_cuda_kernelERKNSB_10TensorBaseESF_lENKUlvE_clEvENKUlvE_clEvEUlddE_dEEDaPvRmT3_T4_T5_mT6_P12ihipStream_tbENKUlT_T0_E_clISt17integral_constantIbLb1EESW_EEDaSR_SS_EUlSR_E_NS1_11comp_targetILNS1_3genE10ELNS1_11target_archE1200ELNS1_3gpuE4ELNS1_3repE0EEENS1_30default_config_static_selectorELNS0_4arch9wavefront6targetE0EEEvT1_
    .private_segment_fixed_size: 0
    .sgpr_count:     0
    .sgpr_spill_count: 0
    .symbol:         _ZN7rocprim17ROCPRIM_400000_NS6detail17trampoline_kernelINS0_14default_configENS1_20scan_config_selectorIdEEZZNS1_9scan_implILNS1_25lookback_scan_determinismE0ELb0ELb0ES3_PKdPddZZZN2at6native31launch_logcumsumexp_cuda_kernelERKNSB_10TensorBaseESF_lENKUlvE_clEvENKUlvE_clEvEUlddE_dEEDaPvRmT3_T4_T5_mT6_P12ihipStream_tbENKUlT_T0_E_clISt17integral_constantIbLb1EESW_EEDaSR_SS_EUlSR_E_NS1_11comp_targetILNS1_3genE10ELNS1_11target_archE1200ELNS1_3gpuE4ELNS1_3repE0EEENS1_30default_config_static_selectorELNS0_4arch9wavefront6targetE0EEEvT1_.kd
    .uniform_work_group_size: 1
    .uses_dynamic_stack: false
    .vgpr_count:     0
    .vgpr_spill_count: 0
    .wavefront_size: 32
    .workgroup_processor_mode: 1
  - .args:
      - .offset:         0
        .size:           104
        .value_kind:     by_value
    .group_segment_fixed_size: 0
    .kernarg_segment_align: 8
    .kernarg_segment_size: 104
    .language:       OpenCL C
    .language_version:
      - 2
      - 0
    .max_flat_workgroup_size: 256
    .name:           _ZN7rocprim17ROCPRIM_400000_NS6detail17trampoline_kernelINS0_14default_configENS1_20scan_config_selectorIdEEZZNS1_9scan_implILNS1_25lookback_scan_determinismE0ELb0ELb0ES3_PKdPddZZZN2at6native31launch_logcumsumexp_cuda_kernelERKNSB_10TensorBaseESF_lENKUlvE_clEvENKUlvE_clEvEUlddE_dEEDaPvRmT3_T4_T5_mT6_P12ihipStream_tbENKUlT_T0_E_clISt17integral_constantIbLb1EESW_EEDaSR_SS_EUlSR_E_NS1_11comp_targetILNS1_3genE9ELNS1_11target_archE1100ELNS1_3gpuE3ELNS1_3repE0EEENS1_30default_config_static_selectorELNS0_4arch9wavefront6targetE0EEEvT1_
    .private_segment_fixed_size: 0
    .sgpr_count:     0
    .sgpr_spill_count: 0
    .symbol:         _ZN7rocprim17ROCPRIM_400000_NS6detail17trampoline_kernelINS0_14default_configENS1_20scan_config_selectorIdEEZZNS1_9scan_implILNS1_25lookback_scan_determinismE0ELb0ELb0ES3_PKdPddZZZN2at6native31launch_logcumsumexp_cuda_kernelERKNSB_10TensorBaseESF_lENKUlvE_clEvENKUlvE_clEvEUlddE_dEEDaPvRmT3_T4_T5_mT6_P12ihipStream_tbENKUlT_T0_E_clISt17integral_constantIbLb1EESW_EEDaSR_SS_EUlSR_E_NS1_11comp_targetILNS1_3genE9ELNS1_11target_archE1100ELNS1_3gpuE3ELNS1_3repE0EEENS1_30default_config_static_selectorELNS0_4arch9wavefront6targetE0EEEvT1_.kd
    .uniform_work_group_size: 1
    .uses_dynamic_stack: false
    .vgpr_count:     0
    .vgpr_spill_count: 0
    .wavefront_size: 32
    .workgroup_processor_mode: 1
  - .args:
      - .offset:         0
        .size:           104
        .value_kind:     by_value
    .group_segment_fixed_size: 0
    .kernarg_segment_align: 8
    .kernarg_segment_size: 104
    .language:       OpenCL C
    .language_version:
      - 2
      - 0
    .max_flat_workgroup_size: 128
    .name:           _ZN7rocprim17ROCPRIM_400000_NS6detail17trampoline_kernelINS0_14default_configENS1_20scan_config_selectorIdEEZZNS1_9scan_implILNS1_25lookback_scan_determinismE0ELb0ELb0ES3_PKdPddZZZN2at6native31launch_logcumsumexp_cuda_kernelERKNSB_10TensorBaseESF_lENKUlvE_clEvENKUlvE_clEvEUlddE_dEEDaPvRmT3_T4_T5_mT6_P12ihipStream_tbENKUlT_T0_E_clISt17integral_constantIbLb1EESW_EEDaSR_SS_EUlSR_E_NS1_11comp_targetILNS1_3genE8ELNS1_11target_archE1030ELNS1_3gpuE2ELNS1_3repE0EEENS1_30default_config_static_selectorELNS0_4arch9wavefront6targetE0EEEvT1_
    .private_segment_fixed_size: 0
    .sgpr_count:     0
    .sgpr_spill_count: 0
    .symbol:         _ZN7rocprim17ROCPRIM_400000_NS6detail17trampoline_kernelINS0_14default_configENS1_20scan_config_selectorIdEEZZNS1_9scan_implILNS1_25lookback_scan_determinismE0ELb0ELb0ES3_PKdPddZZZN2at6native31launch_logcumsumexp_cuda_kernelERKNSB_10TensorBaseESF_lENKUlvE_clEvENKUlvE_clEvEUlddE_dEEDaPvRmT3_T4_T5_mT6_P12ihipStream_tbENKUlT_T0_E_clISt17integral_constantIbLb1EESW_EEDaSR_SS_EUlSR_E_NS1_11comp_targetILNS1_3genE8ELNS1_11target_archE1030ELNS1_3gpuE2ELNS1_3repE0EEENS1_30default_config_static_selectorELNS0_4arch9wavefront6targetE0EEEvT1_.kd
    .uniform_work_group_size: 1
    .uses_dynamic_stack: false
    .vgpr_count:     0
    .vgpr_spill_count: 0
    .wavefront_size: 32
    .workgroup_processor_mode: 1
  - .args:
      - .offset:         0
        .size:           40
        .value_kind:     by_value
    .group_segment_fixed_size: 0
    .kernarg_segment_align: 8
    .kernarg_segment_size: 40
    .language:       OpenCL C
    .language_version:
      - 2
      - 0
    .max_flat_workgroup_size: 256
    .name:           _ZN7rocprim17ROCPRIM_400000_NS6detail17trampoline_kernelINS0_14default_configENS1_20scan_config_selectorIdEEZZNS1_9scan_implILNS1_25lookback_scan_determinismE0ELb0ELb0ES3_PKdPddZZZN2at6native31launch_logcumsumexp_cuda_kernelERKNSB_10TensorBaseESF_lENKUlvE_clEvENKUlvE_clEvEUlddE_dEEDaPvRmT3_T4_T5_mT6_P12ihipStream_tbENKUlT_T0_E_clISt17integral_constantIbLb1EESW_EEDaSR_SS_EUlSR_E0_NS1_11comp_targetILNS1_3genE0ELNS1_11target_archE4294967295ELNS1_3gpuE0ELNS1_3repE0EEENS1_30default_config_static_selectorELNS0_4arch9wavefront6targetE0EEEvT1_
    .private_segment_fixed_size: 0
    .sgpr_count:     0
    .sgpr_spill_count: 0
    .symbol:         _ZN7rocprim17ROCPRIM_400000_NS6detail17trampoline_kernelINS0_14default_configENS1_20scan_config_selectorIdEEZZNS1_9scan_implILNS1_25lookback_scan_determinismE0ELb0ELb0ES3_PKdPddZZZN2at6native31launch_logcumsumexp_cuda_kernelERKNSB_10TensorBaseESF_lENKUlvE_clEvENKUlvE_clEvEUlddE_dEEDaPvRmT3_T4_T5_mT6_P12ihipStream_tbENKUlT_T0_E_clISt17integral_constantIbLb1EESW_EEDaSR_SS_EUlSR_E0_NS1_11comp_targetILNS1_3genE0ELNS1_11target_archE4294967295ELNS1_3gpuE0ELNS1_3repE0EEENS1_30default_config_static_selectorELNS0_4arch9wavefront6targetE0EEEvT1_.kd
    .uniform_work_group_size: 1
    .uses_dynamic_stack: false
    .vgpr_count:     0
    .vgpr_spill_count: 0
    .wavefront_size: 32
    .workgroup_processor_mode: 1
  - .args:
      - .offset:         0
        .size:           40
        .value_kind:     by_value
    .group_segment_fixed_size: 0
    .kernarg_segment_align: 8
    .kernarg_segment_size: 40
    .language:       OpenCL C
    .language_version:
      - 2
      - 0
    .max_flat_workgroup_size: 256
    .name:           _ZN7rocprim17ROCPRIM_400000_NS6detail17trampoline_kernelINS0_14default_configENS1_20scan_config_selectorIdEEZZNS1_9scan_implILNS1_25lookback_scan_determinismE0ELb0ELb0ES3_PKdPddZZZN2at6native31launch_logcumsumexp_cuda_kernelERKNSB_10TensorBaseESF_lENKUlvE_clEvENKUlvE_clEvEUlddE_dEEDaPvRmT3_T4_T5_mT6_P12ihipStream_tbENKUlT_T0_E_clISt17integral_constantIbLb1EESW_EEDaSR_SS_EUlSR_E0_NS1_11comp_targetILNS1_3genE5ELNS1_11target_archE942ELNS1_3gpuE9ELNS1_3repE0EEENS1_30default_config_static_selectorELNS0_4arch9wavefront6targetE0EEEvT1_
    .private_segment_fixed_size: 0
    .sgpr_count:     0
    .sgpr_spill_count: 0
    .symbol:         _ZN7rocprim17ROCPRIM_400000_NS6detail17trampoline_kernelINS0_14default_configENS1_20scan_config_selectorIdEEZZNS1_9scan_implILNS1_25lookback_scan_determinismE0ELb0ELb0ES3_PKdPddZZZN2at6native31launch_logcumsumexp_cuda_kernelERKNSB_10TensorBaseESF_lENKUlvE_clEvENKUlvE_clEvEUlddE_dEEDaPvRmT3_T4_T5_mT6_P12ihipStream_tbENKUlT_T0_E_clISt17integral_constantIbLb1EESW_EEDaSR_SS_EUlSR_E0_NS1_11comp_targetILNS1_3genE5ELNS1_11target_archE942ELNS1_3gpuE9ELNS1_3repE0EEENS1_30default_config_static_selectorELNS0_4arch9wavefront6targetE0EEEvT1_.kd
    .uniform_work_group_size: 1
    .uses_dynamic_stack: false
    .vgpr_count:     0
    .vgpr_spill_count: 0
    .wavefront_size: 32
    .workgroup_processor_mode: 1
  - .args:
      - .offset:         0
        .size:           40
        .value_kind:     by_value
    .group_segment_fixed_size: 0
    .kernarg_segment_align: 8
    .kernarg_segment_size: 40
    .language:       OpenCL C
    .language_version:
      - 2
      - 0
    .max_flat_workgroup_size: 128
    .name:           _ZN7rocprim17ROCPRIM_400000_NS6detail17trampoline_kernelINS0_14default_configENS1_20scan_config_selectorIdEEZZNS1_9scan_implILNS1_25lookback_scan_determinismE0ELb0ELb0ES3_PKdPddZZZN2at6native31launch_logcumsumexp_cuda_kernelERKNSB_10TensorBaseESF_lENKUlvE_clEvENKUlvE_clEvEUlddE_dEEDaPvRmT3_T4_T5_mT6_P12ihipStream_tbENKUlT_T0_E_clISt17integral_constantIbLb1EESW_EEDaSR_SS_EUlSR_E0_NS1_11comp_targetILNS1_3genE4ELNS1_11target_archE910ELNS1_3gpuE8ELNS1_3repE0EEENS1_30default_config_static_selectorELNS0_4arch9wavefront6targetE0EEEvT1_
    .private_segment_fixed_size: 0
    .sgpr_count:     0
    .sgpr_spill_count: 0
    .symbol:         _ZN7rocprim17ROCPRIM_400000_NS6detail17trampoline_kernelINS0_14default_configENS1_20scan_config_selectorIdEEZZNS1_9scan_implILNS1_25lookback_scan_determinismE0ELb0ELb0ES3_PKdPddZZZN2at6native31launch_logcumsumexp_cuda_kernelERKNSB_10TensorBaseESF_lENKUlvE_clEvENKUlvE_clEvEUlddE_dEEDaPvRmT3_T4_T5_mT6_P12ihipStream_tbENKUlT_T0_E_clISt17integral_constantIbLb1EESW_EEDaSR_SS_EUlSR_E0_NS1_11comp_targetILNS1_3genE4ELNS1_11target_archE910ELNS1_3gpuE8ELNS1_3repE0EEENS1_30default_config_static_selectorELNS0_4arch9wavefront6targetE0EEEvT1_.kd
    .uniform_work_group_size: 1
    .uses_dynamic_stack: false
    .vgpr_count:     0
    .vgpr_spill_count: 0
    .wavefront_size: 32
    .workgroup_processor_mode: 1
  - .args:
      - .offset:         0
        .size:           40
        .value_kind:     by_value
    .group_segment_fixed_size: 0
    .kernarg_segment_align: 8
    .kernarg_segment_size: 40
    .language:       OpenCL C
    .language_version:
      - 2
      - 0
    .max_flat_workgroup_size: 256
    .name:           _ZN7rocprim17ROCPRIM_400000_NS6detail17trampoline_kernelINS0_14default_configENS1_20scan_config_selectorIdEEZZNS1_9scan_implILNS1_25lookback_scan_determinismE0ELb0ELb0ES3_PKdPddZZZN2at6native31launch_logcumsumexp_cuda_kernelERKNSB_10TensorBaseESF_lENKUlvE_clEvENKUlvE_clEvEUlddE_dEEDaPvRmT3_T4_T5_mT6_P12ihipStream_tbENKUlT_T0_E_clISt17integral_constantIbLb1EESW_EEDaSR_SS_EUlSR_E0_NS1_11comp_targetILNS1_3genE3ELNS1_11target_archE908ELNS1_3gpuE7ELNS1_3repE0EEENS1_30default_config_static_selectorELNS0_4arch9wavefront6targetE0EEEvT1_
    .private_segment_fixed_size: 0
    .sgpr_count:     0
    .sgpr_spill_count: 0
    .symbol:         _ZN7rocprim17ROCPRIM_400000_NS6detail17trampoline_kernelINS0_14default_configENS1_20scan_config_selectorIdEEZZNS1_9scan_implILNS1_25lookback_scan_determinismE0ELb0ELb0ES3_PKdPddZZZN2at6native31launch_logcumsumexp_cuda_kernelERKNSB_10TensorBaseESF_lENKUlvE_clEvENKUlvE_clEvEUlddE_dEEDaPvRmT3_T4_T5_mT6_P12ihipStream_tbENKUlT_T0_E_clISt17integral_constantIbLb1EESW_EEDaSR_SS_EUlSR_E0_NS1_11comp_targetILNS1_3genE3ELNS1_11target_archE908ELNS1_3gpuE7ELNS1_3repE0EEENS1_30default_config_static_selectorELNS0_4arch9wavefront6targetE0EEEvT1_.kd
    .uniform_work_group_size: 1
    .uses_dynamic_stack: false
    .vgpr_count:     0
    .vgpr_spill_count: 0
    .wavefront_size: 32
    .workgroup_processor_mode: 1
  - .args:
      - .offset:         0
        .size:           40
        .value_kind:     by_value
    .group_segment_fixed_size: 0
    .kernarg_segment_align: 8
    .kernarg_segment_size: 40
    .language:       OpenCL C
    .language_version:
      - 2
      - 0
    .max_flat_workgroup_size: 128
    .name:           _ZN7rocprim17ROCPRIM_400000_NS6detail17trampoline_kernelINS0_14default_configENS1_20scan_config_selectorIdEEZZNS1_9scan_implILNS1_25lookback_scan_determinismE0ELb0ELb0ES3_PKdPddZZZN2at6native31launch_logcumsumexp_cuda_kernelERKNSB_10TensorBaseESF_lENKUlvE_clEvENKUlvE_clEvEUlddE_dEEDaPvRmT3_T4_T5_mT6_P12ihipStream_tbENKUlT_T0_E_clISt17integral_constantIbLb1EESW_EEDaSR_SS_EUlSR_E0_NS1_11comp_targetILNS1_3genE2ELNS1_11target_archE906ELNS1_3gpuE6ELNS1_3repE0EEENS1_30default_config_static_selectorELNS0_4arch9wavefront6targetE0EEEvT1_
    .private_segment_fixed_size: 0
    .sgpr_count:     0
    .sgpr_spill_count: 0
    .symbol:         _ZN7rocprim17ROCPRIM_400000_NS6detail17trampoline_kernelINS0_14default_configENS1_20scan_config_selectorIdEEZZNS1_9scan_implILNS1_25lookback_scan_determinismE0ELb0ELb0ES3_PKdPddZZZN2at6native31launch_logcumsumexp_cuda_kernelERKNSB_10TensorBaseESF_lENKUlvE_clEvENKUlvE_clEvEUlddE_dEEDaPvRmT3_T4_T5_mT6_P12ihipStream_tbENKUlT_T0_E_clISt17integral_constantIbLb1EESW_EEDaSR_SS_EUlSR_E0_NS1_11comp_targetILNS1_3genE2ELNS1_11target_archE906ELNS1_3gpuE6ELNS1_3repE0EEENS1_30default_config_static_selectorELNS0_4arch9wavefront6targetE0EEEvT1_.kd
    .uniform_work_group_size: 1
    .uses_dynamic_stack: false
    .vgpr_count:     0
    .vgpr_spill_count: 0
    .wavefront_size: 32
    .workgroup_processor_mode: 1
  - .args:
      - .offset:         0
        .size:           40
        .value_kind:     by_value
    .group_segment_fixed_size: 33792
    .kernarg_segment_align: 8
    .kernarg_segment_size: 40
    .language:       OpenCL C
    .language_version:
      - 2
      - 0
    .max_flat_workgroup_size: 256
    .name:           _ZN7rocprim17ROCPRIM_400000_NS6detail17trampoline_kernelINS0_14default_configENS1_20scan_config_selectorIdEEZZNS1_9scan_implILNS1_25lookback_scan_determinismE0ELb0ELb0ES3_PKdPddZZZN2at6native31launch_logcumsumexp_cuda_kernelERKNSB_10TensorBaseESF_lENKUlvE_clEvENKUlvE_clEvEUlddE_dEEDaPvRmT3_T4_T5_mT6_P12ihipStream_tbENKUlT_T0_E_clISt17integral_constantIbLb1EESW_EEDaSR_SS_EUlSR_E0_NS1_11comp_targetILNS1_3genE10ELNS1_11target_archE1201ELNS1_3gpuE5ELNS1_3repE0EEENS1_30default_config_static_selectorELNS0_4arch9wavefront6targetE0EEEvT1_
    .private_segment_fixed_size: 0
    .sgpr_count:     50
    .sgpr_spill_count: 0
    .symbol:         _ZN7rocprim17ROCPRIM_400000_NS6detail17trampoline_kernelINS0_14default_configENS1_20scan_config_selectorIdEEZZNS1_9scan_implILNS1_25lookback_scan_determinismE0ELb0ELb0ES3_PKdPddZZZN2at6native31launch_logcumsumexp_cuda_kernelERKNSB_10TensorBaseESF_lENKUlvE_clEvENKUlvE_clEvEUlddE_dEEDaPvRmT3_T4_T5_mT6_P12ihipStream_tbENKUlT_T0_E_clISt17integral_constantIbLb1EESW_EEDaSR_SS_EUlSR_E0_NS1_11comp_targetILNS1_3genE10ELNS1_11target_archE1201ELNS1_3gpuE5ELNS1_3repE0EEENS1_30default_config_static_selectorELNS0_4arch9wavefront6targetE0EEEvT1_.kd
    .uniform_work_group_size: 1
    .uses_dynamic_stack: false
    .vgpr_count:     119
    .vgpr_spill_count: 0
    .wavefront_size: 32
    .workgroup_processor_mode: 1
  - .args:
      - .offset:         0
        .size:           40
        .value_kind:     by_value
    .group_segment_fixed_size: 0
    .kernarg_segment_align: 8
    .kernarg_segment_size: 40
    .language:       OpenCL C
    .language_version:
      - 2
      - 0
    .max_flat_workgroup_size: 256
    .name:           _ZN7rocprim17ROCPRIM_400000_NS6detail17trampoline_kernelINS0_14default_configENS1_20scan_config_selectorIdEEZZNS1_9scan_implILNS1_25lookback_scan_determinismE0ELb0ELb0ES3_PKdPddZZZN2at6native31launch_logcumsumexp_cuda_kernelERKNSB_10TensorBaseESF_lENKUlvE_clEvENKUlvE_clEvEUlddE_dEEDaPvRmT3_T4_T5_mT6_P12ihipStream_tbENKUlT_T0_E_clISt17integral_constantIbLb1EESW_EEDaSR_SS_EUlSR_E0_NS1_11comp_targetILNS1_3genE10ELNS1_11target_archE1200ELNS1_3gpuE4ELNS1_3repE0EEENS1_30default_config_static_selectorELNS0_4arch9wavefront6targetE0EEEvT1_
    .private_segment_fixed_size: 0
    .sgpr_count:     0
    .sgpr_spill_count: 0
    .symbol:         _ZN7rocprim17ROCPRIM_400000_NS6detail17trampoline_kernelINS0_14default_configENS1_20scan_config_selectorIdEEZZNS1_9scan_implILNS1_25lookback_scan_determinismE0ELb0ELb0ES3_PKdPddZZZN2at6native31launch_logcumsumexp_cuda_kernelERKNSB_10TensorBaseESF_lENKUlvE_clEvENKUlvE_clEvEUlddE_dEEDaPvRmT3_T4_T5_mT6_P12ihipStream_tbENKUlT_T0_E_clISt17integral_constantIbLb1EESW_EEDaSR_SS_EUlSR_E0_NS1_11comp_targetILNS1_3genE10ELNS1_11target_archE1200ELNS1_3gpuE4ELNS1_3repE0EEENS1_30default_config_static_selectorELNS0_4arch9wavefront6targetE0EEEvT1_.kd
    .uniform_work_group_size: 1
    .uses_dynamic_stack: false
    .vgpr_count:     0
    .vgpr_spill_count: 0
    .wavefront_size: 32
    .workgroup_processor_mode: 1
  - .args:
      - .offset:         0
        .size:           40
        .value_kind:     by_value
    .group_segment_fixed_size: 0
    .kernarg_segment_align: 8
    .kernarg_segment_size: 40
    .language:       OpenCL C
    .language_version:
      - 2
      - 0
    .max_flat_workgroup_size: 256
    .name:           _ZN7rocprim17ROCPRIM_400000_NS6detail17trampoline_kernelINS0_14default_configENS1_20scan_config_selectorIdEEZZNS1_9scan_implILNS1_25lookback_scan_determinismE0ELb0ELb0ES3_PKdPddZZZN2at6native31launch_logcumsumexp_cuda_kernelERKNSB_10TensorBaseESF_lENKUlvE_clEvENKUlvE_clEvEUlddE_dEEDaPvRmT3_T4_T5_mT6_P12ihipStream_tbENKUlT_T0_E_clISt17integral_constantIbLb1EESW_EEDaSR_SS_EUlSR_E0_NS1_11comp_targetILNS1_3genE9ELNS1_11target_archE1100ELNS1_3gpuE3ELNS1_3repE0EEENS1_30default_config_static_selectorELNS0_4arch9wavefront6targetE0EEEvT1_
    .private_segment_fixed_size: 0
    .sgpr_count:     0
    .sgpr_spill_count: 0
    .symbol:         _ZN7rocprim17ROCPRIM_400000_NS6detail17trampoline_kernelINS0_14default_configENS1_20scan_config_selectorIdEEZZNS1_9scan_implILNS1_25lookback_scan_determinismE0ELb0ELb0ES3_PKdPddZZZN2at6native31launch_logcumsumexp_cuda_kernelERKNSB_10TensorBaseESF_lENKUlvE_clEvENKUlvE_clEvEUlddE_dEEDaPvRmT3_T4_T5_mT6_P12ihipStream_tbENKUlT_T0_E_clISt17integral_constantIbLb1EESW_EEDaSR_SS_EUlSR_E0_NS1_11comp_targetILNS1_3genE9ELNS1_11target_archE1100ELNS1_3gpuE3ELNS1_3repE0EEENS1_30default_config_static_selectorELNS0_4arch9wavefront6targetE0EEEvT1_.kd
    .uniform_work_group_size: 1
    .uses_dynamic_stack: false
    .vgpr_count:     0
    .vgpr_spill_count: 0
    .wavefront_size: 32
    .workgroup_processor_mode: 1
  - .args:
      - .offset:         0
        .size:           40
        .value_kind:     by_value
    .group_segment_fixed_size: 0
    .kernarg_segment_align: 8
    .kernarg_segment_size: 40
    .language:       OpenCL C
    .language_version:
      - 2
      - 0
    .max_flat_workgroup_size: 128
    .name:           _ZN7rocprim17ROCPRIM_400000_NS6detail17trampoline_kernelINS0_14default_configENS1_20scan_config_selectorIdEEZZNS1_9scan_implILNS1_25lookback_scan_determinismE0ELb0ELb0ES3_PKdPddZZZN2at6native31launch_logcumsumexp_cuda_kernelERKNSB_10TensorBaseESF_lENKUlvE_clEvENKUlvE_clEvEUlddE_dEEDaPvRmT3_T4_T5_mT6_P12ihipStream_tbENKUlT_T0_E_clISt17integral_constantIbLb1EESW_EEDaSR_SS_EUlSR_E0_NS1_11comp_targetILNS1_3genE8ELNS1_11target_archE1030ELNS1_3gpuE2ELNS1_3repE0EEENS1_30default_config_static_selectorELNS0_4arch9wavefront6targetE0EEEvT1_
    .private_segment_fixed_size: 0
    .sgpr_count:     0
    .sgpr_spill_count: 0
    .symbol:         _ZN7rocprim17ROCPRIM_400000_NS6detail17trampoline_kernelINS0_14default_configENS1_20scan_config_selectorIdEEZZNS1_9scan_implILNS1_25lookback_scan_determinismE0ELb0ELb0ES3_PKdPddZZZN2at6native31launch_logcumsumexp_cuda_kernelERKNSB_10TensorBaseESF_lENKUlvE_clEvENKUlvE_clEvEUlddE_dEEDaPvRmT3_T4_T5_mT6_P12ihipStream_tbENKUlT_T0_E_clISt17integral_constantIbLb1EESW_EEDaSR_SS_EUlSR_E0_NS1_11comp_targetILNS1_3genE8ELNS1_11target_archE1030ELNS1_3gpuE2ELNS1_3repE0EEENS1_30default_config_static_selectorELNS0_4arch9wavefront6targetE0EEEvT1_.kd
    .uniform_work_group_size: 1
    .uses_dynamic_stack: false
    .vgpr_count:     0
    .vgpr_spill_count: 0
    .wavefront_size: 32
    .workgroup_processor_mode: 1
  - .args:
      - .address_space:  global
        .offset:         0
        .size:           8
        .value_kind:     global_buffer
      - .offset:         8
        .size:           4
        .value_kind:     by_value
      - .offset:         12
        .size:           1
        .value_kind:     by_value
      - .offset:         16
        .size:           4
        .value_kind:     by_value
      - .address_space:  global
        .offset:         24
        .size:           8
        .value_kind:     global_buffer
      - .offset:         32
        .size:           4
        .value_kind:     hidden_block_count_x
      - .offset:         36
        .size:           4
        .value_kind:     hidden_block_count_y
      - .offset:         40
        .size:           4
        .value_kind:     hidden_block_count_z
      - .offset:         44
        .size:           2
        .value_kind:     hidden_group_size_x
      - .offset:         46
        .size:           2
        .value_kind:     hidden_group_size_y
      - .offset:         48
        .size:           2
        .value_kind:     hidden_group_size_z
      - .offset:         50
        .size:           2
        .value_kind:     hidden_remainder_x
      - .offset:         52
        .size:           2
        .value_kind:     hidden_remainder_y
      - .offset:         54
        .size:           2
        .value_kind:     hidden_remainder_z
      - .offset:         72
        .size:           8
        .value_kind:     hidden_global_offset_x
      - .offset:         80
        .size:           8
        .value_kind:     hidden_global_offset_y
      - .offset:         88
        .size:           8
        .value_kind:     hidden_global_offset_z
      - .offset:         96
        .size:           2
        .value_kind:     hidden_grid_dims
    .group_segment_fixed_size: 0
    .kernarg_segment_align: 8
    .kernarg_segment_size: 288
    .language:       OpenCL C
    .language_version:
      - 2
      - 0
    .max_flat_workgroup_size: 256
    .name:           _ZN7rocprim17ROCPRIM_400000_NS6detail31init_lookback_scan_state_kernelINS1_19lookback_scan_stateIdLb1ELb1EEENS1_16block_id_wrapperIjLb0EEEEEvT_jT0_jPNS7_10value_typeE
    .private_segment_fixed_size: 0
    .sgpr_count:     12
    .sgpr_spill_count: 0
    .symbol:         _ZN7rocprim17ROCPRIM_400000_NS6detail31init_lookback_scan_state_kernelINS1_19lookback_scan_stateIdLb1ELb1EEENS1_16block_id_wrapperIjLb0EEEEEvT_jT0_jPNS7_10value_typeE.kd
    .uniform_work_group_size: 1
    .uses_dynamic_stack: false
    .vgpr_count:     8
    .vgpr_spill_count: 0
    .wavefront_size: 32
    .workgroup_processor_mode: 1
  - .args:
      - .offset:         0
        .size:           104
        .value_kind:     by_value
    .group_segment_fixed_size: 0
    .kernarg_segment_align: 8
    .kernarg_segment_size: 104
    .language:       OpenCL C
    .language_version:
      - 2
      - 0
    .max_flat_workgroup_size: 256
    .name:           _ZN7rocprim17ROCPRIM_400000_NS6detail17trampoline_kernelINS0_14default_configENS1_20scan_config_selectorIdEEZZNS1_9scan_implILNS1_25lookback_scan_determinismE0ELb0ELb0ES3_PKdPddZZZN2at6native31launch_logcumsumexp_cuda_kernelERKNSB_10TensorBaseESF_lENKUlvE_clEvENKUlvE_clEvEUlddE_dEEDaPvRmT3_T4_T5_mT6_P12ihipStream_tbENKUlT_T0_E_clISt17integral_constantIbLb1EESV_IbLb0EEEEDaSR_SS_EUlSR_E_NS1_11comp_targetILNS1_3genE0ELNS1_11target_archE4294967295ELNS1_3gpuE0ELNS1_3repE0EEENS1_30default_config_static_selectorELNS0_4arch9wavefront6targetE0EEEvT1_
    .private_segment_fixed_size: 0
    .sgpr_count:     0
    .sgpr_spill_count: 0
    .symbol:         _ZN7rocprim17ROCPRIM_400000_NS6detail17trampoline_kernelINS0_14default_configENS1_20scan_config_selectorIdEEZZNS1_9scan_implILNS1_25lookback_scan_determinismE0ELb0ELb0ES3_PKdPddZZZN2at6native31launch_logcumsumexp_cuda_kernelERKNSB_10TensorBaseESF_lENKUlvE_clEvENKUlvE_clEvEUlddE_dEEDaPvRmT3_T4_T5_mT6_P12ihipStream_tbENKUlT_T0_E_clISt17integral_constantIbLb1EESV_IbLb0EEEEDaSR_SS_EUlSR_E_NS1_11comp_targetILNS1_3genE0ELNS1_11target_archE4294967295ELNS1_3gpuE0ELNS1_3repE0EEENS1_30default_config_static_selectorELNS0_4arch9wavefront6targetE0EEEvT1_.kd
    .uniform_work_group_size: 1
    .uses_dynamic_stack: false
    .vgpr_count:     0
    .vgpr_spill_count: 0
    .wavefront_size: 32
    .workgroup_processor_mode: 1
  - .args:
      - .offset:         0
        .size:           104
        .value_kind:     by_value
    .group_segment_fixed_size: 0
    .kernarg_segment_align: 8
    .kernarg_segment_size: 104
    .language:       OpenCL C
    .language_version:
      - 2
      - 0
    .max_flat_workgroup_size: 256
    .name:           _ZN7rocprim17ROCPRIM_400000_NS6detail17trampoline_kernelINS0_14default_configENS1_20scan_config_selectorIdEEZZNS1_9scan_implILNS1_25lookback_scan_determinismE0ELb0ELb0ES3_PKdPddZZZN2at6native31launch_logcumsumexp_cuda_kernelERKNSB_10TensorBaseESF_lENKUlvE_clEvENKUlvE_clEvEUlddE_dEEDaPvRmT3_T4_T5_mT6_P12ihipStream_tbENKUlT_T0_E_clISt17integral_constantIbLb1EESV_IbLb0EEEEDaSR_SS_EUlSR_E_NS1_11comp_targetILNS1_3genE5ELNS1_11target_archE942ELNS1_3gpuE9ELNS1_3repE0EEENS1_30default_config_static_selectorELNS0_4arch9wavefront6targetE0EEEvT1_
    .private_segment_fixed_size: 0
    .sgpr_count:     0
    .sgpr_spill_count: 0
    .symbol:         _ZN7rocprim17ROCPRIM_400000_NS6detail17trampoline_kernelINS0_14default_configENS1_20scan_config_selectorIdEEZZNS1_9scan_implILNS1_25lookback_scan_determinismE0ELb0ELb0ES3_PKdPddZZZN2at6native31launch_logcumsumexp_cuda_kernelERKNSB_10TensorBaseESF_lENKUlvE_clEvENKUlvE_clEvEUlddE_dEEDaPvRmT3_T4_T5_mT6_P12ihipStream_tbENKUlT_T0_E_clISt17integral_constantIbLb1EESV_IbLb0EEEEDaSR_SS_EUlSR_E_NS1_11comp_targetILNS1_3genE5ELNS1_11target_archE942ELNS1_3gpuE9ELNS1_3repE0EEENS1_30default_config_static_selectorELNS0_4arch9wavefront6targetE0EEEvT1_.kd
    .uniform_work_group_size: 1
    .uses_dynamic_stack: false
    .vgpr_count:     0
    .vgpr_spill_count: 0
    .wavefront_size: 32
    .workgroup_processor_mode: 1
  - .args:
      - .offset:         0
        .size:           104
        .value_kind:     by_value
    .group_segment_fixed_size: 0
    .kernarg_segment_align: 8
    .kernarg_segment_size: 104
    .language:       OpenCL C
    .language_version:
      - 2
      - 0
    .max_flat_workgroup_size: 128
    .name:           _ZN7rocprim17ROCPRIM_400000_NS6detail17trampoline_kernelINS0_14default_configENS1_20scan_config_selectorIdEEZZNS1_9scan_implILNS1_25lookback_scan_determinismE0ELb0ELb0ES3_PKdPddZZZN2at6native31launch_logcumsumexp_cuda_kernelERKNSB_10TensorBaseESF_lENKUlvE_clEvENKUlvE_clEvEUlddE_dEEDaPvRmT3_T4_T5_mT6_P12ihipStream_tbENKUlT_T0_E_clISt17integral_constantIbLb1EESV_IbLb0EEEEDaSR_SS_EUlSR_E_NS1_11comp_targetILNS1_3genE4ELNS1_11target_archE910ELNS1_3gpuE8ELNS1_3repE0EEENS1_30default_config_static_selectorELNS0_4arch9wavefront6targetE0EEEvT1_
    .private_segment_fixed_size: 0
    .sgpr_count:     0
    .sgpr_spill_count: 0
    .symbol:         _ZN7rocprim17ROCPRIM_400000_NS6detail17trampoline_kernelINS0_14default_configENS1_20scan_config_selectorIdEEZZNS1_9scan_implILNS1_25lookback_scan_determinismE0ELb0ELb0ES3_PKdPddZZZN2at6native31launch_logcumsumexp_cuda_kernelERKNSB_10TensorBaseESF_lENKUlvE_clEvENKUlvE_clEvEUlddE_dEEDaPvRmT3_T4_T5_mT6_P12ihipStream_tbENKUlT_T0_E_clISt17integral_constantIbLb1EESV_IbLb0EEEEDaSR_SS_EUlSR_E_NS1_11comp_targetILNS1_3genE4ELNS1_11target_archE910ELNS1_3gpuE8ELNS1_3repE0EEENS1_30default_config_static_selectorELNS0_4arch9wavefront6targetE0EEEvT1_.kd
    .uniform_work_group_size: 1
    .uses_dynamic_stack: false
    .vgpr_count:     0
    .vgpr_spill_count: 0
    .wavefront_size: 32
    .workgroup_processor_mode: 1
  - .args:
      - .offset:         0
        .size:           104
        .value_kind:     by_value
    .group_segment_fixed_size: 0
    .kernarg_segment_align: 8
    .kernarg_segment_size: 104
    .language:       OpenCL C
    .language_version:
      - 2
      - 0
    .max_flat_workgroup_size: 256
    .name:           _ZN7rocprim17ROCPRIM_400000_NS6detail17trampoline_kernelINS0_14default_configENS1_20scan_config_selectorIdEEZZNS1_9scan_implILNS1_25lookback_scan_determinismE0ELb0ELb0ES3_PKdPddZZZN2at6native31launch_logcumsumexp_cuda_kernelERKNSB_10TensorBaseESF_lENKUlvE_clEvENKUlvE_clEvEUlddE_dEEDaPvRmT3_T4_T5_mT6_P12ihipStream_tbENKUlT_T0_E_clISt17integral_constantIbLb1EESV_IbLb0EEEEDaSR_SS_EUlSR_E_NS1_11comp_targetILNS1_3genE3ELNS1_11target_archE908ELNS1_3gpuE7ELNS1_3repE0EEENS1_30default_config_static_selectorELNS0_4arch9wavefront6targetE0EEEvT1_
    .private_segment_fixed_size: 0
    .sgpr_count:     0
    .sgpr_spill_count: 0
    .symbol:         _ZN7rocprim17ROCPRIM_400000_NS6detail17trampoline_kernelINS0_14default_configENS1_20scan_config_selectorIdEEZZNS1_9scan_implILNS1_25lookback_scan_determinismE0ELb0ELb0ES3_PKdPddZZZN2at6native31launch_logcumsumexp_cuda_kernelERKNSB_10TensorBaseESF_lENKUlvE_clEvENKUlvE_clEvEUlddE_dEEDaPvRmT3_T4_T5_mT6_P12ihipStream_tbENKUlT_T0_E_clISt17integral_constantIbLb1EESV_IbLb0EEEEDaSR_SS_EUlSR_E_NS1_11comp_targetILNS1_3genE3ELNS1_11target_archE908ELNS1_3gpuE7ELNS1_3repE0EEENS1_30default_config_static_selectorELNS0_4arch9wavefront6targetE0EEEvT1_.kd
    .uniform_work_group_size: 1
    .uses_dynamic_stack: false
    .vgpr_count:     0
    .vgpr_spill_count: 0
    .wavefront_size: 32
    .workgroup_processor_mode: 1
  - .args:
      - .offset:         0
        .size:           104
        .value_kind:     by_value
    .group_segment_fixed_size: 0
    .kernarg_segment_align: 8
    .kernarg_segment_size: 104
    .language:       OpenCL C
    .language_version:
      - 2
      - 0
    .max_flat_workgroup_size: 128
    .name:           _ZN7rocprim17ROCPRIM_400000_NS6detail17trampoline_kernelINS0_14default_configENS1_20scan_config_selectorIdEEZZNS1_9scan_implILNS1_25lookback_scan_determinismE0ELb0ELb0ES3_PKdPddZZZN2at6native31launch_logcumsumexp_cuda_kernelERKNSB_10TensorBaseESF_lENKUlvE_clEvENKUlvE_clEvEUlddE_dEEDaPvRmT3_T4_T5_mT6_P12ihipStream_tbENKUlT_T0_E_clISt17integral_constantIbLb1EESV_IbLb0EEEEDaSR_SS_EUlSR_E_NS1_11comp_targetILNS1_3genE2ELNS1_11target_archE906ELNS1_3gpuE6ELNS1_3repE0EEENS1_30default_config_static_selectorELNS0_4arch9wavefront6targetE0EEEvT1_
    .private_segment_fixed_size: 0
    .sgpr_count:     0
    .sgpr_spill_count: 0
    .symbol:         _ZN7rocprim17ROCPRIM_400000_NS6detail17trampoline_kernelINS0_14default_configENS1_20scan_config_selectorIdEEZZNS1_9scan_implILNS1_25lookback_scan_determinismE0ELb0ELb0ES3_PKdPddZZZN2at6native31launch_logcumsumexp_cuda_kernelERKNSB_10TensorBaseESF_lENKUlvE_clEvENKUlvE_clEvEUlddE_dEEDaPvRmT3_T4_T5_mT6_P12ihipStream_tbENKUlT_T0_E_clISt17integral_constantIbLb1EESV_IbLb0EEEEDaSR_SS_EUlSR_E_NS1_11comp_targetILNS1_3genE2ELNS1_11target_archE906ELNS1_3gpuE6ELNS1_3repE0EEENS1_30default_config_static_selectorELNS0_4arch9wavefront6targetE0EEEvT1_.kd
    .uniform_work_group_size: 1
    .uses_dynamic_stack: false
    .vgpr_count:     0
    .vgpr_spill_count: 0
    .wavefront_size: 32
    .workgroup_processor_mode: 1
  - .args:
      - .offset:         0
        .size:           104
        .value_kind:     by_value
    .group_segment_fixed_size: 0
    .kernarg_segment_align: 8
    .kernarg_segment_size: 104
    .language:       OpenCL C
    .language_version:
      - 2
      - 0
    .max_flat_workgroup_size: 256
    .name:           _ZN7rocprim17ROCPRIM_400000_NS6detail17trampoline_kernelINS0_14default_configENS1_20scan_config_selectorIdEEZZNS1_9scan_implILNS1_25lookback_scan_determinismE0ELb0ELb0ES3_PKdPddZZZN2at6native31launch_logcumsumexp_cuda_kernelERKNSB_10TensorBaseESF_lENKUlvE_clEvENKUlvE_clEvEUlddE_dEEDaPvRmT3_T4_T5_mT6_P12ihipStream_tbENKUlT_T0_E_clISt17integral_constantIbLb1EESV_IbLb0EEEEDaSR_SS_EUlSR_E_NS1_11comp_targetILNS1_3genE10ELNS1_11target_archE1201ELNS1_3gpuE5ELNS1_3repE0EEENS1_30default_config_static_selectorELNS0_4arch9wavefront6targetE0EEEvT1_
    .private_segment_fixed_size: 0
    .sgpr_count:     0
    .sgpr_spill_count: 0
    .symbol:         _ZN7rocprim17ROCPRIM_400000_NS6detail17trampoline_kernelINS0_14default_configENS1_20scan_config_selectorIdEEZZNS1_9scan_implILNS1_25lookback_scan_determinismE0ELb0ELb0ES3_PKdPddZZZN2at6native31launch_logcumsumexp_cuda_kernelERKNSB_10TensorBaseESF_lENKUlvE_clEvENKUlvE_clEvEUlddE_dEEDaPvRmT3_T4_T5_mT6_P12ihipStream_tbENKUlT_T0_E_clISt17integral_constantIbLb1EESV_IbLb0EEEEDaSR_SS_EUlSR_E_NS1_11comp_targetILNS1_3genE10ELNS1_11target_archE1201ELNS1_3gpuE5ELNS1_3repE0EEENS1_30default_config_static_selectorELNS0_4arch9wavefront6targetE0EEEvT1_.kd
    .uniform_work_group_size: 1
    .uses_dynamic_stack: false
    .vgpr_count:     0
    .vgpr_spill_count: 0
    .wavefront_size: 32
    .workgroup_processor_mode: 1
  - .args:
      - .offset:         0
        .size:           104
        .value_kind:     by_value
    .group_segment_fixed_size: 0
    .kernarg_segment_align: 8
    .kernarg_segment_size: 104
    .language:       OpenCL C
    .language_version:
      - 2
      - 0
    .max_flat_workgroup_size: 256
    .name:           _ZN7rocprim17ROCPRIM_400000_NS6detail17trampoline_kernelINS0_14default_configENS1_20scan_config_selectorIdEEZZNS1_9scan_implILNS1_25lookback_scan_determinismE0ELb0ELb0ES3_PKdPddZZZN2at6native31launch_logcumsumexp_cuda_kernelERKNSB_10TensorBaseESF_lENKUlvE_clEvENKUlvE_clEvEUlddE_dEEDaPvRmT3_T4_T5_mT6_P12ihipStream_tbENKUlT_T0_E_clISt17integral_constantIbLb1EESV_IbLb0EEEEDaSR_SS_EUlSR_E_NS1_11comp_targetILNS1_3genE10ELNS1_11target_archE1200ELNS1_3gpuE4ELNS1_3repE0EEENS1_30default_config_static_selectorELNS0_4arch9wavefront6targetE0EEEvT1_
    .private_segment_fixed_size: 0
    .sgpr_count:     0
    .sgpr_spill_count: 0
    .symbol:         _ZN7rocprim17ROCPRIM_400000_NS6detail17trampoline_kernelINS0_14default_configENS1_20scan_config_selectorIdEEZZNS1_9scan_implILNS1_25lookback_scan_determinismE0ELb0ELb0ES3_PKdPddZZZN2at6native31launch_logcumsumexp_cuda_kernelERKNSB_10TensorBaseESF_lENKUlvE_clEvENKUlvE_clEvEUlddE_dEEDaPvRmT3_T4_T5_mT6_P12ihipStream_tbENKUlT_T0_E_clISt17integral_constantIbLb1EESV_IbLb0EEEEDaSR_SS_EUlSR_E_NS1_11comp_targetILNS1_3genE10ELNS1_11target_archE1200ELNS1_3gpuE4ELNS1_3repE0EEENS1_30default_config_static_selectorELNS0_4arch9wavefront6targetE0EEEvT1_.kd
    .uniform_work_group_size: 1
    .uses_dynamic_stack: false
    .vgpr_count:     0
    .vgpr_spill_count: 0
    .wavefront_size: 32
    .workgroup_processor_mode: 1
  - .args:
      - .offset:         0
        .size:           104
        .value_kind:     by_value
    .group_segment_fixed_size: 0
    .kernarg_segment_align: 8
    .kernarg_segment_size: 104
    .language:       OpenCL C
    .language_version:
      - 2
      - 0
    .max_flat_workgroup_size: 256
    .name:           _ZN7rocprim17ROCPRIM_400000_NS6detail17trampoline_kernelINS0_14default_configENS1_20scan_config_selectorIdEEZZNS1_9scan_implILNS1_25lookback_scan_determinismE0ELb0ELb0ES3_PKdPddZZZN2at6native31launch_logcumsumexp_cuda_kernelERKNSB_10TensorBaseESF_lENKUlvE_clEvENKUlvE_clEvEUlddE_dEEDaPvRmT3_T4_T5_mT6_P12ihipStream_tbENKUlT_T0_E_clISt17integral_constantIbLb1EESV_IbLb0EEEEDaSR_SS_EUlSR_E_NS1_11comp_targetILNS1_3genE9ELNS1_11target_archE1100ELNS1_3gpuE3ELNS1_3repE0EEENS1_30default_config_static_selectorELNS0_4arch9wavefront6targetE0EEEvT1_
    .private_segment_fixed_size: 0
    .sgpr_count:     0
    .sgpr_spill_count: 0
    .symbol:         _ZN7rocprim17ROCPRIM_400000_NS6detail17trampoline_kernelINS0_14default_configENS1_20scan_config_selectorIdEEZZNS1_9scan_implILNS1_25lookback_scan_determinismE0ELb0ELb0ES3_PKdPddZZZN2at6native31launch_logcumsumexp_cuda_kernelERKNSB_10TensorBaseESF_lENKUlvE_clEvENKUlvE_clEvEUlddE_dEEDaPvRmT3_T4_T5_mT6_P12ihipStream_tbENKUlT_T0_E_clISt17integral_constantIbLb1EESV_IbLb0EEEEDaSR_SS_EUlSR_E_NS1_11comp_targetILNS1_3genE9ELNS1_11target_archE1100ELNS1_3gpuE3ELNS1_3repE0EEENS1_30default_config_static_selectorELNS0_4arch9wavefront6targetE0EEEvT1_.kd
    .uniform_work_group_size: 1
    .uses_dynamic_stack: false
    .vgpr_count:     0
    .vgpr_spill_count: 0
    .wavefront_size: 32
    .workgroup_processor_mode: 1
  - .args:
      - .offset:         0
        .size:           104
        .value_kind:     by_value
    .group_segment_fixed_size: 0
    .kernarg_segment_align: 8
    .kernarg_segment_size: 104
    .language:       OpenCL C
    .language_version:
      - 2
      - 0
    .max_flat_workgroup_size: 128
    .name:           _ZN7rocprim17ROCPRIM_400000_NS6detail17trampoline_kernelINS0_14default_configENS1_20scan_config_selectorIdEEZZNS1_9scan_implILNS1_25lookback_scan_determinismE0ELb0ELb0ES3_PKdPddZZZN2at6native31launch_logcumsumexp_cuda_kernelERKNSB_10TensorBaseESF_lENKUlvE_clEvENKUlvE_clEvEUlddE_dEEDaPvRmT3_T4_T5_mT6_P12ihipStream_tbENKUlT_T0_E_clISt17integral_constantIbLb1EESV_IbLb0EEEEDaSR_SS_EUlSR_E_NS1_11comp_targetILNS1_3genE8ELNS1_11target_archE1030ELNS1_3gpuE2ELNS1_3repE0EEENS1_30default_config_static_selectorELNS0_4arch9wavefront6targetE0EEEvT1_
    .private_segment_fixed_size: 0
    .sgpr_count:     0
    .sgpr_spill_count: 0
    .symbol:         _ZN7rocprim17ROCPRIM_400000_NS6detail17trampoline_kernelINS0_14default_configENS1_20scan_config_selectorIdEEZZNS1_9scan_implILNS1_25lookback_scan_determinismE0ELb0ELb0ES3_PKdPddZZZN2at6native31launch_logcumsumexp_cuda_kernelERKNSB_10TensorBaseESF_lENKUlvE_clEvENKUlvE_clEvEUlddE_dEEDaPvRmT3_T4_T5_mT6_P12ihipStream_tbENKUlT_T0_E_clISt17integral_constantIbLb1EESV_IbLb0EEEEDaSR_SS_EUlSR_E_NS1_11comp_targetILNS1_3genE8ELNS1_11target_archE1030ELNS1_3gpuE2ELNS1_3repE0EEENS1_30default_config_static_selectorELNS0_4arch9wavefront6targetE0EEEvT1_.kd
    .uniform_work_group_size: 1
    .uses_dynamic_stack: false
    .vgpr_count:     0
    .vgpr_spill_count: 0
    .wavefront_size: 32
    .workgroup_processor_mode: 1
  - .args:
      - .offset:         0
        .size:           40
        .value_kind:     by_value
    .group_segment_fixed_size: 0
    .kernarg_segment_align: 8
    .kernarg_segment_size: 40
    .language:       OpenCL C
    .language_version:
      - 2
      - 0
    .max_flat_workgroup_size: 256
    .name:           _ZN7rocprim17ROCPRIM_400000_NS6detail17trampoline_kernelINS0_14default_configENS1_20scan_config_selectorIdEEZZNS1_9scan_implILNS1_25lookback_scan_determinismE0ELb0ELb0ES3_PKdPddZZZN2at6native31launch_logcumsumexp_cuda_kernelERKNSB_10TensorBaseESF_lENKUlvE_clEvENKUlvE_clEvEUlddE_dEEDaPvRmT3_T4_T5_mT6_P12ihipStream_tbENKUlT_T0_E_clISt17integral_constantIbLb1EESV_IbLb0EEEEDaSR_SS_EUlSR_E0_NS1_11comp_targetILNS1_3genE0ELNS1_11target_archE4294967295ELNS1_3gpuE0ELNS1_3repE0EEENS1_30default_config_static_selectorELNS0_4arch9wavefront6targetE0EEEvT1_
    .private_segment_fixed_size: 0
    .sgpr_count:     0
    .sgpr_spill_count: 0
    .symbol:         _ZN7rocprim17ROCPRIM_400000_NS6detail17trampoline_kernelINS0_14default_configENS1_20scan_config_selectorIdEEZZNS1_9scan_implILNS1_25lookback_scan_determinismE0ELb0ELb0ES3_PKdPddZZZN2at6native31launch_logcumsumexp_cuda_kernelERKNSB_10TensorBaseESF_lENKUlvE_clEvENKUlvE_clEvEUlddE_dEEDaPvRmT3_T4_T5_mT6_P12ihipStream_tbENKUlT_T0_E_clISt17integral_constantIbLb1EESV_IbLb0EEEEDaSR_SS_EUlSR_E0_NS1_11comp_targetILNS1_3genE0ELNS1_11target_archE4294967295ELNS1_3gpuE0ELNS1_3repE0EEENS1_30default_config_static_selectorELNS0_4arch9wavefront6targetE0EEEvT1_.kd
    .uniform_work_group_size: 1
    .uses_dynamic_stack: false
    .vgpr_count:     0
    .vgpr_spill_count: 0
    .wavefront_size: 32
    .workgroup_processor_mode: 1
  - .args:
      - .offset:         0
        .size:           40
        .value_kind:     by_value
    .group_segment_fixed_size: 0
    .kernarg_segment_align: 8
    .kernarg_segment_size: 40
    .language:       OpenCL C
    .language_version:
      - 2
      - 0
    .max_flat_workgroup_size: 256
    .name:           _ZN7rocprim17ROCPRIM_400000_NS6detail17trampoline_kernelINS0_14default_configENS1_20scan_config_selectorIdEEZZNS1_9scan_implILNS1_25lookback_scan_determinismE0ELb0ELb0ES3_PKdPddZZZN2at6native31launch_logcumsumexp_cuda_kernelERKNSB_10TensorBaseESF_lENKUlvE_clEvENKUlvE_clEvEUlddE_dEEDaPvRmT3_T4_T5_mT6_P12ihipStream_tbENKUlT_T0_E_clISt17integral_constantIbLb1EESV_IbLb0EEEEDaSR_SS_EUlSR_E0_NS1_11comp_targetILNS1_3genE5ELNS1_11target_archE942ELNS1_3gpuE9ELNS1_3repE0EEENS1_30default_config_static_selectorELNS0_4arch9wavefront6targetE0EEEvT1_
    .private_segment_fixed_size: 0
    .sgpr_count:     0
    .sgpr_spill_count: 0
    .symbol:         _ZN7rocprim17ROCPRIM_400000_NS6detail17trampoline_kernelINS0_14default_configENS1_20scan_config_selectorIdEEZZNS1_9scan_implILNS1_25lookback_scan_determinismE0ELb0ELb0ES3_PKdPddZZZN2at6native31launch_logcumsumexp_cuda_kernelERKNSB_10TensorBaseESF_lENKUlvE_clEvENKUlvE_clEvEUlddE_dEEDaPvRmT3_T4_T5_mT6_P12ihipStream_tbENKUlT_T0_E_clISt17integral_constantIbLb1EESV_IbLb0EEEEDaSR_SS_EUlSR_E0_NS1_11comp_targetILNS1_3genE5ELNS1_11target_archE942ELNS1_3gpuE9ELNS1_3repE0EEENS1_30default_config_static_selectorELNS0_4arch9wavefront6targetE0EEEvT1_.kd
    .uniform_work_group_size: 1
    .uses_dynamic_stack: false
    .vgpr_count:     0
    .vgpr_spill_count: 0
    .wavefront_size: 32
    .workgroup_processor_mode: 1
  - .args:
      - .offset:         0
        .size:           40
        .value_kind:     by_value
    .group_segment_fixed_size: 0
    .kernarg_segment_align: 8
    .kernarg_segment_size: 40
    .language:       OpenCL C
    .language_version:
      - 2
      - 0
    .max_flat_workgroup_size: 128
    .name:           _ZN7rocprim17ROCPRIM_400000_NS6detail17trampoline_kernelINS0_14default_configENS1_20scan_config_selectorIdEEZZNS1_9scan_implILNS1_25lookback_scan_determinismE0ELb0ELb0ES3_PKdPddZZZN2at6native31launch_logcumsumexp_cuda_kernelERKNSB_10TensorBaseESF_lENKUlvE_clEvENKUlvE_clEvEUlddE_dEEDaPvRmT3_T4_T5_mT6_P12ihipStream_tbENKUlT_T0_E_clISt17integral_constantIbLb1EESV_IbLb0EEEEDaSR_SS_EUlSR_E0_NS1_11comp_targetILNS1_3genE4ELNS1_11target_archE910ELNS1_3gpuE8ELNS1_3repE0EEENS1_30default_config_static_selectorELNS0_4arch9wavefront6targetE0EEEvT1_
    .private_segment_fixed_size: 0
    .sgpr_count:     0
    .sgpr_spill_count: 0
    .symbol:         _ZN7rocprim17ROCPRIM_400000_NS6detail17trampoline_kernelINS0_14default_configENS1_20scan_config_selectorIdEEZZNS1_9scan_implILNS1_25lookback_scan_determinismE0ELb0ELb0ES3_PKdPddZZZN2at6native31launch_logcumsumexp_cuda_kernelERKNSB_10TensorBaseESF_lENKUlvE_clEvENKUlvE_clEvEUlddE_dEEDaPvRmT3_T4_T5_mT6_P12ihipStream_tbENKUlT_T0_E_clISt17integral_constantIbLb1EESV_IbLb0EEEEDaSR_SS_EUlSR_E0_NS1_11comp_targetILNS1_3genE4ELNS1_11target_archE910ELNS1_3gpuE8ELNS1_3repE0EEENS1_30default_config_static_selectorELNS0_4arch9wavefront6targetE0EEEvT1_.kd
    .uniform_work_group_size: 1
    .uses_dynamic_stack: false
    .vgpr_count:     0
    .vgpr_spill_count: 0
    .wavefront_size: 32
    .workgroup_processor_mode: 1
  - .args:
      - .offset:         0
        .size:           40
        .value_kind:     by_value
    .group_segment_fixed_size: 0
    .kernarg_segment_align: 8
    .kernarg_segment_size: 40
    .language:       OpenCL C
    .language_version:
      - 2
      - 0
    .max_flat_workgroup_size: 256
    .name:           _ZN7rocprim17ROCPRIM_400000_NS6detail17trampoline_kernelINS0_14default_configENS1_20scan_config_selectorIdEEZZNS1_9scan_implILNS1_25lookback_scan_determinismE0ELb0ELb0ES3_PKdPddZZZN2at6native31launch_logcumsumexp_cuda_kernelERKNSB_10TensorBaseESF_lENKUlvE_clEvENKUlvE_clEvEUlddE_dEEDaPvRmT3_T4_T5_mT6_P12ihipStream_tbENKUlT_T0_E_clISt17integral_constantIbLb1EESV_IbLb0EEEEDaSR_SS_EUlSR_E0_NS1_11comp_targetILNS1_3genE3ELNS1_11target_archE908ELNS1_3gpuE7ELNS1_3repE0EEENS1_30default_config_static_selectorELNS0_4arch9wavefront6targetE0EEEvT1_
    .private_segment_fixed_size: 0
    .sgpr_count:     0
    .sgpr_spill_count: 0
    .symbol:         _ZN7rocprim17ROCPRIM_400000_NS6detail17trampoline_kernelINS0_14default_configENS1_20scan_config_selectorIdEEZZNS1_9scan_implILNS1_25lookback_scan_determinismE0ELb0ELb0ES3_PKdPddZZZN2at6native31launch_logcumsumexp_cuda_kernelERKNSB_10TensorBaseESF_lENKUlvE_clEvENKUlvE_clEvEUlddE_dEEDaPvRmT3_T4_T5_mT6_P12ihipStream_tbENKUlT_T0_E_clISt17integral_constantIbLb1EESV_IbLb0EEEEDaSR_SS_EUlSR_E0_NS1_11comp_targetILNS1_3genE3ELNS1_11target_archE908ELNS1_3gpuE7ELNS1_3repE0EEENS1_30default_config_static_selectorELNS0_4arch9wavefront6targetE0EEEvT1_.kd
    .uniform_work_group_size: 1
    .uses_dynamic_stack: false
    .vgpr_count:     0
    .vgpr_spill_count: 0
    .wavefront_size: 32
    .workgroup_processor_mode: 1
  - .args:
      - .offset:         0
        .size:           40
        .value_kind:     by_value
    .group_segment_fixed_size: 0
    .kernarg_segment_align: 8
    .kernarg_segment_size: 40
    .language:       OpenCL C
    .language_version:
      - 2
      - 0
    .max_flat_workgroup_size: 128
    .name:           _ZN7rocprim17ROCPRIM_400000_NS6detail17trampoline_kernelINS0_14default_configENS1_20scan_config_selectorIdEEZZNS1_9scan_implILNS1_25lookback_scan_determinismE0ELb0ELb0ES3_PKdPddZZZN2at6native31launch_logcumsumexp_cuda_kernelERKNSB_10TensorBaseESF_lENKUlvE_clEvENKUlvE_clEvEUlddE_dEEDaPvRmT3_T4_T5_mT6_P12ihipStream_tbENKUlT_T0_E_clISt17integral_constantIbLb1EESV_IbLb0EEEEDaSR_SS_EUlSR_E0_NS1_11comp_targetILNS1_3genE2ELNS1_11target_archE906ELNS1_3gpuE6ELNS1_3repE0EEENS1_30default_config_static_selectorELNS0_4arch9wavefront6targetE0EEEvT1_
    .private_segment_fixed_size: 0
    .sgpr_count:     0
    .sgpr_spill_count: 0
    .symbol:         _ZN7rocprim17ROCPRIM_400000_NS6detail17trampoline_kernelINS0_14default_configENS1_20scan_config_selectorIdEEZZNS1_9scan_implILNS1_25lookback_scan_determinismE0ELb0ELb0ES3_PKdPddZZZN2at6native31launch_logcumsumexp_cuda_kernelERKNSB_10TensorBaseESF_lENKUlvE_clEvENKUlvE_clEvEUlddE_dEEDaPvRmT3_T4_T5_mT6_P12ihipStream_tbENKUlT_T0_E_clISt17integral_constantIbLb1EESV_IbLb0EEEEDaSR_SS_EUlSR_E0_NS1_11comp_targetILNS1_3genE2ELNS1_11target_archE906ELNS1_3gpuE6ELNS1_3repE0EEENS1_30default_config_static_selectorELNS0_4arch9wavefront6targetE0EEEvT1_.kd
    .uniform_work_group_size: 1
    .uses_dynamic_stack: false
    .vgpr_count:     0
    .vgpr_spill_count: 0
    .wavefront_size: 32
    .workgroup_processor_mode: 1
  - .args:
      - .offset:         0
        .size:           40
        .value_kind:     by_value
    .group_segment_fixed_size: 33792
    .kernarg_segment_align: 8
    .kernarg_segment_size: 40
    .language:       OpenCL C
    .language_version:
      - 2
      - 0
    .max_flat_workgroup_size: 256
    .name:           _ZN7rocprim17ROCPRIM_400000_NS6detail17trampoline_kernelINS0_14default_configENS1_20scan_config_selectorIdEEZZNS1_9scan_implILNS1_25lookback_scan_determinismE0ELb0ELb0ES3_PKdPddZZZN2at6native31launch_logcumsumexp_cuda_kernelERKNSB_10TensorBaseESF_lENKUlvE_clEvENKUlvE_clEvEUlddE_dEEDaPvRmT3_T4_T5_mT6_P12ihipStream_tbENKUlT_T0_E_clISt17integral_constantIbLb1EESV_IbLb0EEEEDaSR_SS_EUlSR_E0_NS1_11comp_targetILNS1_3genE10ELNS1_11target_archE1201ELNS1_3gpuE5ELNS1_3repE0EEENS1_30default_config_static_selectorELNS0_4arch9wavefront6targetE0EEEvT1_
    .private_segment_fixed_size: 0
    .sgpr_count:     50
    .sgpr_spill_count: 0
    .symbol:         _ZN7rocprim17ROCPRIM_400000_NS6detail17trampoline_kernelINS0_14default_configENS1_20scan_config_selectorIdEEZZNS1_9scan_implILNS1_25lookback_scan_determinismE0ELb0ELb0ES3_PKdPddZZZN2at6native31launch_logcumsumexp_cuda_kernelERKNSB_10TensorBaseESF_lENKUlvE_clEvENKUlvE_clEvEUlddE_dEEDaPvRmT3_T4_T5_mT6_P12ihipStream_tbENKUlT_T0_E_clISt17integral_constantIbLb1EESV_IbLb0EEEEDaSR_SS_EUlSR_E0_NS1_11comp_targetILNS1_3genE10ELNS1_11target_archE1201ELNS1_3gpuE5ELNS1_3repE0EEENS1_30default_config_static_selectorELNS0_4arch9wavefront6targetE0EEEvT1_.kd
    .uniform_work_group_size: 1
    .uses_dynamic_stack: false
    .vgpr_count:     119
    .vgpr_spill_count: 0
    .wavefront_size: 32
    .workgroup_processor_mode: 1
  - .args:
      - .offset:         0
        .size:           40
        .value_kind:     by_value
    .group_segment_fixed_size: 0
    .kernarg_segment_align: 8
    .kernarg_segment_size: 40
    .language:       OpenCL C
    .language_version:
      - 2
      - 0
    .max_flat_workgroup_size: 256
    .name:           _ZN7rocprim17ROCPRIM_400000_NS6detail17trampoline_kernelINS0_14default_configENS1_20scan_config_selectorIdEEZZNS1_9scan_implILNS1_25lookback_scan_determinismE0ELb0ELb0ES3_PKdPddZZZN2at6native31launch_logcumsumexp_cuda_kernelERKNSB_10TensorBaseESF_lENKUlvE_clEvENKUlvE_clEvEUlddE_dEEDaPvRmT3_T4_T5_mT6_P12ihipStream_tbENKUlT_T0_E_clISt17integral_constantIbLb1EESV_IbLb0EEEEDaSR_SS_EUlSR_E0_NS1_11comp_targetILNS1_3genE10ELNS1_11target_archE1200ELNS1_3gpuE4ELNS1_3repE0EEENS1_30default_config_static_selectorELNS0_4arch9wavefront6targetE0EEEvT1_
    .private_segment_fixed_size: 0
    .sgpr_count:     0
    .sgpr_spill_count: 0
    .symbol:         _ZN7rocprim17ROCPRIM_400000_NS6detail17trampoline_kernelINS0_14default_configENS1_20scan_config_selectorIdEEZZNS1_9scan_implILNS1_25lookback_scan_determinismE0ELb0ELb0ES3_PKdPddZZZN2at6native31launch_logcumsumexp_cuda_kernelERKNSB_10TensorBaseESF_lENKUlvE_clEvENKUlvE_clEvEUlddE_dEEDaPvRmT3_T4_T5_mT6_P12ihipStream_tbENKUlT_T0_E_clISt17integral_constantIbLb1EESV_IbLb0EEEEDaSR_SS_EUlSR_E0_NS1_11comp_targetILNS1_3genE10ELNS1_11target_archE1200ELNS1_3gpuE4ELNS1_3repE0EEENS1_30default_config_static_selectorELNS0_4arch9wavefront6targetE0EEEvT1_.kd
    .uniform_work_group_size: 1
    .uses_dynamic_stack: false
    .vgpr_count:     0
    .vgpr_spill_count: 0
    .wavefront_size: 32
    .workgroup_processor_mode: 1
  - .args:
      - .offset:         0
        .size:           40
        .value_kind:     by_value
    .group_segment_fixed_size: 0
    .kernarg_segment_align: 8
    .kernarg_segment_size: 40
    .language:       OpenCL C
    .language_version:
      - 2
      - 0
    .max_flat_workgroup_size: 256
    .name:           _ZN7rocprim17ROCPRIM_400000_NS6detail17trampoline_kernelINS0_14default_configENS1_20scan_config_selectorIdEEZZNS1_9scan_implILNS1_25lookback_scan_determinismE0ELb0ELb0ES3_PKdPddZZZN2at6native31launch_logcumsumexp_cuda_kernelERKNSB_10TensorBaseESF_lENKUlvE_clEvENKUlvE_clEvEUlddE_dEEDaPvRmT3_T4_T5_mT6_P12ihipStream_tbENKUlT_T0_E_clISt17integral_constantIbLb1EESV_IbLb0EEEEDaSR_SS_EUlSR_E0_NS1_11comp_targetILNS1_3genE9ELNS1_11target_archE1100ELNS1_3gpuE3ELNS1_3repE0EEENS1_30default_config_static_selectorELNS0_4arch9wavefront6targetE0EEEvT1_
    .private_segment_fixed_size: 0
    .sgpr_count:     0
    .sgpr_spill_count: 0
    .symbol:         _ZN7rocprim17ROCPRIM_400000_NS6detail17trampoline_kernelINS0_14default_configENS1_20scan_config_selectorIdEEZZNS1_9scan_implILNS1_25lookback_scan_determinismE0ELb0ELb0ES3_PKdPddZZZN2at6native31launch_logcumsumexp_cuda_kernelERKNSB_10TensorBaseESF_lENKUlvE_clEvENKUlvE_clEvEUlddE_dEEDaPvRmT3_T4_T5_mT6_P12ihipStream_tbENKUlT_T0_E_clISt17integral_constantIbLb1EESV_IbLb0EEEEDaSR_SS_EUlSR_E0_NS1_11comp_targetILNS1_3genE9ELNS1_11target_archE1100ELNS1_3gpuE3ELNS1_3repE0EEENS1_30default_config_static_selectorELNS0_4arch9wavefront6targetE0EEEvT1_.kd
    .uniform_work_group_size: 1
    .uses_dynamic_stack: false
    .vgpr_count:     0
    .vgpr_spill_count: 0
    .wavefront_size: 32
    .workgroup_processor_mode: 1
  - .args:
      - .offset:         0
        .size:           40
        .value_kind:     by_value
    .group_segment_fixed_size: 0
    .kernarg_segment_align: 8
    .kernarg_segment_size: 40
    .language:       OpenCL C
    .language_version:
      - 2
      - 0
    .max_flat_workgroup_size: 128
    .name:           _ZN7rocprim17ROCPRIM_400000_NS6detail17trampoline_kernelINS0_14default_configENS1_20scan_config_selectorIdEEZZNS1_9scan_implILNS1_25lookback_scan_determinismE0ELb0ELb0ES3_PKdPddZZZN2at6native31launch_logcumsumexp_cuda_kernelERKNSB_10TensorBaseESF_lENKUlvE_clEvENKUlvE_clEvEUlddE_dEEDaPvRmT3_T4_T5_mT6_P12ihipStream_tbENKUlT_T0_E_clISt17integral_constantIbLb1EESV_IbLb0EEEEDaSR_SS_EUlSR_E0_NS1_11comp_targetILNS1_3genE8ELNS1_11target_archE1030ELNS1_3gpuE2ELNS1_3repE0EEENS1_30default_config_static_selectorELNS0_4arch9wavefront6targetE0EEEvT1_
    .private_segment_fixed_size: 0
    .sgpr_count:     0
    .sgpr_spill_count: 0
    .symbol:         _ZN7rocprim17ROCPRIM_400000_NS6detail17trampoline_kernelINS0_14default_configENS1_20scan_config_selectorIdEEZZNS1_9scan_implILNS1_25lookback_scan_determinismE0ELb0ELb0ES3_PKdPddZZZN2at6native31launch_logcumsumexp_cuda_kernelERKNSB_10TensorBaseESF_lENKUlvE_clEvENKUlvE_clEvEUlddE_dEEDaPvRmT3_T4_T5_mT6_P12ihipStream_tbENKUlT_T0_E_clISt17integral_constantIbLb1EESV_IbLb0EEEEDaSR_SS_EUlSR_E0_NS1_11comp_targetILNS1_3genE8ELNS1_11target_archE1030ELNS1_3gpuE2ELNS1_3repE0EEENS1_30default_config_static_selectorELNS0_4arch9wavefront6targetE0EEEvT1_.kd
    .uniform_work_group_size: 1
    .uses_dynamic_stack: false
    .vgpr_count:     0
    .vgpr_spill_count: 0
    .wavefront_size: 32
    .workgroup_processor_mode: 1
  - .args:
      - .address_space:  global
        .offset:         0
        .size:           8
        .value_kind:     global_buffer
      - .offset:         8
        .size:           4
        .value_kind:     by_value
      - .address_space:  global
        .offset:         16
        .size:           8
        .value_kind:     global_buffer
      - .offset:         24
        .size:           4
        .value_kind:     by_value
      - .address_space:  global
        .offset:         32
        .size:           8
        .value_kind:     global_buffer
      - .offset:         40
        .size:           4
        .value_kind:     hidden_block_count_x
      - .offset:         44
        .size:           4
        .value_kind:     hidden_block_count_y
      - .offset:         48
        .size:           4
        .value_kind:     hidden_block_count_z
      - .offset:         52
        .size:           2
        .value_kind:     hidden_group_size_x
      - .offset:         54
        .size:           2
        .value_kind:     hidden_group_size_y
      - .offset:         56
        .size:           2
        .value_kind:     hidden_group_size_z
      - .offset:         58
        .size:           2
        .value_kind:     hidden_remainder_x
      - .offset:         60
        .size:           2
        .value_kind:     hidden_remainder_y
      - .offset:         62
        .size:           2
        .value_kind:     hidden_remainder_z
      - .offset:         80
        .size:           8
        .value_kind:     hidden_global_offset_x
      - .offset:         88
        .size:           8
        .value_kind:     hidden_global_offset_y
      - .offset:         96
        .size:           8
        .value_kind:     hidden_global_offset_z
      - .offset:         104
        .size:           2
        .value_kind:     hidden_grid_dims
    .group_segment_fixed_size: 0
    .kernarg_segment_align: 8
    .kernarg_segment_size: 296
    .language:       OpenCL C
    .language_version:
      - 2
      - 0
    .max_flat_workgroup_size: 256
    .name:           _ZN7rocprim17ROCPRIM_400000_NS6detail31init_lookback_scan_state_kernelINS1_19lookback_scan_stateIdLb0ELb1EEENS1_16block_id_wrapperIjLb1EEEEEvT_jT0_jPNS7_10value_typeE
    .private_segment_fixed_size: 0
    .sgpr_count:     13
    .sgpr_spill_count: 0
    .symbol:         _ZN7rocprim17ROCPRIM_400000_NS6detail31init_lookback_scan_state_kernelINS1_19lookback_scan_stateIdLb0ELb1EEENS1_16block_id_wrapperIjLb1EEEEEvT_jT0_jPNS7_10value_typeE.kd
    .uniform_work_group_size: 1
    .uses_dynamic_stack: false
    .vgpr_count:     8
    .vgpr_spill_count: 0
    .wavefront_size: 32
    .workgroup_processor_mode: 1
  - .args:
      - .offset:         0
        .size:           104
        .value_kind:     by_value
    .group_segment_fixed_size: 0
    .kernarg_segment_align: 8
    .kernarg_segment_size: 104
    .language:       OpenCL C
    .language_version:
      - 2
      - 0
    .max_flat_workgroup_size: 256
    .name:           _ZN7rocprim17ROCPRIM_400000_NS6detail17trampoline_kernelINS0_14default_configENS1_20scan_config_selectorIdEEZZNS1_9scan_implILNS1_25lookback_scan_determinismE0ELb0ELb0ES3_PKdPddZZZN2at6native31launch_logcumsumexp_cuda_kernelERKNSB_10TensorBaseESF_lENKUlvE_clEvENKUlvE_clEvEUlddE_dEEDaPvRmT3_T4_T5_mT6_P12ihipStream_tbENKUlT_T0_E_clISt17integral_constantIbLb0EESV_IbLb1EEEEDaSR_SS_EUlSR_E_NS1_11comp_targetILNS1_3genE0ELNS1_11target_archE4294967295ELNS1_3gpuE0ELNS1_3repE0EEENS1_30default_config_static_selectorELNS0_4arch9wavefront6targetE0EEEvT1_
    .private_segment_fixed_size: 0
    .sgpr_count:     0
    .sgpr_spill_count: 0
    .symbol:         _ZN7rocprim17ROCPRIM_400000_NS6detail17trampoline_kernelINS0_14default_configENS1_20scan_config_selectorIdEEZZNS1_9scan_implILNS1_25lookback_scan_determinismE0ELb0ELb0ES3_PKdPddZZZN2at6native31launch_logcumsumexp_cuda_kernelERKNSB_10TensorBaseESF_lENKUlvE_clEvENKUlvE_clEvEUlddE_dEEDaPvRmT3_T4_T5_mT6_P12ihipStream_tbENKUlT_T0_E_clISt17integral_constantIbLb0EESV_IbLb1EEEEDaSR_SS_EUlSR_E_NS1_11comp_targetILNS1_3genE0ELNS1_11target_archE4294967295ELNS1_3gpuE0ELNS1_3repE0EEENS1_30default_config_static_selectorELNS0_4arch9wavefront6targetE0EEEvT1_.kd
    .uniform_work_group_size: 1
    .uses_dynamic_stack: false
    .vgpr_count:     0
    .vgpr_spill_count: 0
    .wavefront_size: 32
    .workgroup_processor_mode: 1
  - .args:
      - .offset:         0
        .size:           104
        .value_kind:     by_value
    .group_segment_fixed_size: 0
    .kernarg_segment_align: 8
    .kernarg_segment_size: 104
    .language:       OpenCL C
    .language_version:
      - 2
      - 0
    .max_flat_workgroup_size: 256
    .name:           _ZN7rocprim17ROCPRIM_400000_NS6detail17trampoline_kernelINS0_14default_configENS1_20scan_config_selectorIdEEZZNS1_9scan_implILNS1_25lookback_scan_determinismE0ELb0ELb0ES3_PKdPddZZZN2at6native31launch_logcumsumexp_cuda_kernelERKNSB_10TensorBaseESF_lENKUlvE_clEvENKUlvE_clEvEUlddE_dEEDaPvRmT3_T4_T5_mT6_P12ihipStream_tbENKUlT_T0_E_clISt17integral_constantIbLb0EESV_IbLb1EEEEDaSR_SS_EUlSR_E_NS1_11comp_targetILNS1_3genE5ELNS1_11target_archE942ELNS1_3gpuE9ELNS1_3repE0EEENS1_30default_config_static_selectorELNS0_4arch9wavefront6targetE0EEEvT1_
    .private_segment_fixed_size: 0
    .sgpr_count:     0
    .sgpr_spill_count: 0
    .symbol:         _ZN7rocprim17ROCPRIM_400000_NS6detail17trampoline_kernelINS0_14default_configENS1_20scan_config_selectorIdEEZZNS1_9scan_implILNS1_25lookback_scan_determinismE0ELb0ELb0ES3_PKdPddZZZN2at6native31launch_logcumsumexp_cuda_kernelERKNSB_10TensorBaseESF_lENKUlvE_clEvENKUlvE_clEvEUlddE_dEEDaPvRmT3_T4_T5_mT6_P12ihipStream_tbENKUlT_T0_E_clISt17integral_constantIbLb0EESV_IbLb1EEEEDaSR_SS_EUlSR_E_NS1_11comp_targetILNS1_3genE5ELNS1_11target_archE942ELNS1_3gpuE9ELNS1_3repE0EEENS1_30default_config_static_selectorELNS0_4arch9wavefront6targetE0EEEvT1_.kd
    .uniform_work_group_size: 1
    .uses_dynamic_stack: false
    .vgpr_count:     0
    .vgpr_spill_count: 0
    .wavefront_size: 32
    .workgroup_processor_mode: 1
  - .args:
      - .offset:         0
        .size:           104
        .value_kind:     by_value
    .group_segment_fixed_size: 0
    .kernarg_segment_align: 8
    .kernarg_segment_size: 104
    .language:       OpenCL C
    .language_version:
      - 2
      - 0
    .max_flat_workgroup_size: 128
    .name:           _ZN7rocprim17ROCPRIM_400000_NS6detail17trampoline_kernelINS0_14default_configENS1_20scan_config_selectorIdEEZZNS1_9scan_implILNS1_25lookback_scan_determinismE0ELb0ELb0ES3_PKdPddZZZN2at6native31launch_logcumsumexp_cuda_kernelERKNSB_10TensorBaseESF_lENKUlvE_clEvENKUlvE_clEvEUlddE_dEEDaPvRmT3_T4_T5_mT6_P12ihipStream_tbENKUlT_T0_E_clISt17integral_constantIbLb0EESV_IbLb1EEEEDaSR_SS_EUlSR_E_NS1_11comp_targetILNS1_3genE4ELNS1_11target_archE910ELNS1_3gpuE8ELNS1_3repE0EEENS1_30default_config_static_selectorELNS0_4arch9wavefront6targetE0EEEvT1_
    .private_segment_fixed_size: 0
    .sgpr_count:     0
    .sgpr_spill_count: 0
    .symbol:         _ZN7rocprim17ROCPRIM_400000_NS6detail17trampoline_kernelINS0_14default_configENS1_20scan_config_selectorIdEEZZNS1_9scan_implILNS1_25lookback_scan_determinismE0ELb0ELb0ES3_PKdPddZZZN2at6native31launch_logcumsumexp_cuda_kernelERKNSB_10TensorBaseESF_lENKUlvE_clEvENKUlvE_clEvEUlddE_dEEDaPvRmT3_T4_T5_mT6_P12ihipStream_tbENKUlT_T0_E_clISt17integral_constantIbLb0EESV_IbLb1EEEEDaSR_SS_EUlSR_E_NS1_11comp_targetILNS1_3genE4ELNS1_11target_archE910ELNS1_3gpuE8ELNS1_3repE0EEENS1_30default_config_static_selectorELNS0_4arch9wavefront6targetE0EEEvT1_.kd
    .uniform_work_group_size: 1
    .uses_dynamic_stack: false
    .vgpr_count:     0
    .vgpr_spill_count: 0
    .wavefront_size: 32
    .workgroup_processor_mode: 1
  - .args:
      - .offset:         0
        .size:           104
        .value_kind:     by_value
    .group_segment_fixed_size: 0
    .kernarg_segment_align: 8
    .kernarg_segment_size: 104
    .language:       OpenCL C
    .language_version:
      - 2
      - 0
    .max_flat_workgroup_size: 256
    .name:           _ZN7rocprim17ROCPRIM_400000_NS6detail17trampoline_kernelINS0_14default_configENS1_20scan_config_selectorIdEEZZNS1_9scan_implILNS1_25lookback_scan_determinismE0ELb0ELb0ES3_PKdPddZZZN2at6native31launch_logcumsumexp_cuda_kernelERKNSB_10TensorBaseESF_lENKUlvE_clEvENKUlvE_clEvEUlddE_dEEDaPvRmT3_T4_T5_mT6_P12ihipStream_tbENKUlT_T0_E_clISt17integral_constantIbLb0EESV_IbLb1EEEEDaSR_SS_EUlSR_E_NS1_11comp_targetILNS1_3genE3ELNS1_11target_archE908ELNS1_3gpuE7ELNS1_3repE0EEENS1_30default_config_static_selectorELNS0_4arch9wavefront6targetE0EEEvT1_
    .private_segment_fixed_size: 0
    .sgpr_count:     0
    .sgpr_spill_count: 0
    .symbol:         _ZN7rocprim17ROCPRIM_400000_NS6detail17trampoline_kernelINS0_14default_configENS1_20scan_config_selectorIdEEZZNS1_9scan_implILNS1_25lookback_scan_determinismE0ELb0ELb0ES3_PKdPddZZZN2at6native31launch_logcumsumexp_cuda_kernelERKNSB_10TensorBaseESF_lENKUlvE_clEvENKUlvE_clEvEUlddE_dEEDaPvRmT3_T4_T5_mT6_P12ihipStream_tbENKUlT_T0_E_clISt17integral_constantIbLb0EESV_IbLb1EEEEDaSR_SS_EUlSR_E_NS1_11comp_targetILNS1_3genE3ELNS1_11target_archE908ELNS1_3gpuE7ELNS1_3repE0EEENS1_30default_config_static_selectorELNS0_4arch9wavefront6targetE0EEEvT1_.kd
    .uniform_work_group_size: 1
    .uses_dynamic_stack: false
    .vgpr_count:     0
    .vgpr_spill_count: 0
    .wavefront_size: 32
    .workgroup_processor_mode: 1
  - .args:
      - .offset:         0
        .size:           104
        .value_kind:     by_value
    .group_segment_fixed_size: 0
    .kernarg_segment_align: 8
    .kernarg_segment_size: 104
    .language:       OpenCL C
    .language_version:
      - 2
      - 0
    .max_flat_workgroup_size: 128
    .name:           _ZN7rocprim17ROCPRIM_400000_NS6detail17trampoline_kernelINS0_14default_configENS1_20scan_config_selectorIdEEZZNS1_9scan_implILNS1_25lookback_scan_determinismE0ELb0ELb0ES3_PKdPddZZZN2at6native31launch_logcumsumexp_cuda_kernelERKNSB_10TensorBaseESF_lENKUlvE_clEvENKUlvE_clEvEUlddE_dEEDaPvRmT3_T4_T5_mT6_P12ihipStream_tbENKUlT_T0_E_clISt17integral_constantIbLb0EESV_IbLb1EEEEDaSR_SS_EUlSR_E_NS1_11comp_targetILNS1_3genE2ELNS1_11target_archE906ELNS1_3gpuE6ELNS1_3repE0EEENS1_30default_config_static_selectorELNS0_4arch9wavefront6targetE0EEEvT1_
    .private_segment_fixed_size: 0
    .sgpr_count:     0
    .sgpr_spill_count: 0
    .symbol:         _ZN7rocprim17ROCPRIM_400000_NS6detail17trampoline_kernelINS0_14default_configENS1_20scan_config_selectorIdEEZZNS1_9scan_implILNS1_25lookback_scan_determinismE0ELb0ELb0ES3_PKdPddZZZN2at6native31launch_logcumsumexp_cuda_kernelERKNSB_10TensorBaseESF_lENKUlvE_clEvENKUlvE_clEvEUlddE_dEEDaPvRmT3_T4_T5_mT6_P12ihipStream_tbENKUlT_T0_E_clISt17integral_constantIbLb0EESV_IbLb1EEEEDaSR_SS_EUlSR_E_NS1_11comp_targetILNS1_3genE2ELNS1_11target_archE906ELNS1_3gpuE6ELNS1_3repE0EEENS1_30default_config_static_selectorELNS0_4arch9wavefront6targetE0EEEvT1_.kd
    .uniform_work_group_size: 1
    .uses_dynamic_stack: false
    .vgpr_count:     0
    .vgpr_spill_count: 0
    .wavefront_size: 32
    .workgroup_processor_mode: 1
  - .args:
      - .offset:         0
        .size:           104
        .value_kind:     by_value
    .group_segment_fixed_size: 33792
    .kernarg_segment_align: 8
    .kernarg_segment_size: 104
    .language:       OpenCL C
    .language_version:
      - 2
      - 0
    .max_flat_workgroup_size: 256
    .name:           _ZN7rocprim17ROCPRIM_400000_NS6detail17trampoline_kernelINS0_14default_configENS1_20scan_config_selectorIdEEZZNS1_9scan_implILNS1_25lookback_scan_determinismE0ELb0ELb0ES3_PKdPddZZZN2at6native31launch_logcumsumexp_cuda_kernelERKNSB_10TensorBaseESF_lENKUlvE_clEvENKUlvE_clEvEUlddE_dEEDaPvRmT3_T4_T5_mT6_P12ihipStream_tbENKUlT_T0_E_clISt17integral_constantIbLb0EESV_IbLb1EEEEDaSR_SS_EUlSR_E_NS1_11comp_targetILNS1_3genE10ELNS1_11target_archE1201ELNS1_3gpuE5ELNS1_3repE0EEENS1_30default_config_static_selectorELNS0_4arch9wavefront6targetE0EEEvT1_
    .private_segment_fixed_size: 0
    .sgpr_count:     96
    .sgpr_spill_count: 0
    .symbol:         _ZN7rocprim17ROCPRIM_400000_NS6detail17trampoline_kernelINS0_14default_configENS1_20scan_config_selectorIdEEZZNS1_9scan_implILNS1_25lookback_scan_determinismE0ELb0ELb0ES3_PKdPddZZZN2at6native31launch_logcumsumexp_cuda_kernelERKNSB_10TensorBaseESF_lENKUlvE_clEvENKUlvE_clEvEUlddE_dEEDaPvRmT3_T4_T5_mT6_P12ihipStream_tbENKUlT_T0_E_clISt17integral_constantIbLb0EESV_IbLb1EEEEDaSR_SS_EUlSR_E_NS1_11comp_targetILNS1_3genE10ELNS1_11target_archE1201ELNS1_3gpuE5ELNS1_3repE0EEENS1_30default_config_static_selectorELNS0_4arch9wavefront6targetE0EEEvT1_.kd
    .uniform_work_group_size: 1
    .uses_dynamic_stack: false
    .vgpr_count:     133
    .vgpr_spill_count: 0
    .wavefront_size: 32
    .workgroup_processor_mode: 1
  - .args:
      - .offset:         0
        .size:           104
        .value_kind:     by_value
    .group_segment_fixed_size: 0
    .kernarg_segment_align: 8
    .kernarg_segment_size: 104
    .language:       OpenCL C
    .language_version:
      - 2
      - 0
    .max_flat_workgroup_size: 256
    .name:           _ZN7rocprim17ROCPRIM_400000_NS6detail17trampoline_kernelINS0_14default_configENS1_20scan_config_selectorIdEEZZNS1_9scan_implILNS1_25lookback_scan_determinismE0ELb0ELb0ES3_PKdPddZZZN2at6native31launch_logcumsumexp_cuda_kernelERKNSB_10TensorBaseESF_lENKUlvE_clEvENKUlvE_clEvEUlddE_dEEDaPvRmT3_T4_T5_mT6_P12ihipStream_tbENKUlT_T0_E_clISt17integral_constantIbLb0EESV_IbLb1EEEEDaSR_SS_EUlSR_E_NS1_11comp_targetILNS1_3genE10ELNS1_11target_archE1200ELNS1_3gpuE4ELNS1_3repE0EEENS1_30default_config_static_selectorELNS0_4arch9wavefront6targetE0EEEvT1_
    .private_segment_fixed_size: 0
    .sgpr_count:     0
    .sgpr_spill_count: 0
    .symbol:         _ZN7rocprim17ROCPRIM_400000_NS6detail17trampoline_kernelINS0_14default_configENS1_20scan_config_selectorIdEEZZNS1_9scan_implILNS1_25lookback_scan_determinismE0ELb0ELb0ES3_PKdPddZZZN2at6native31launch_logcumsumexp_cuda_kernelERKNSB_10TensorBaseESF_lENKUlvE_clEvENKUlvE_clEvEUlddE_dEEDaPvRmT3_T4_T5_mT6_P12ihipStream_tbENKUlT_T0_E_clISt17integral_constantIbLb0EESV_IbLb1EEEEDaSR_SS_EUlSR_E_NS1_11comp_targetILNS1_3genE10ELNS1_11target_archE1200ELNS1_3gpuE4ELNS1_3repE0EEENS1_30default_config_static_selectorELNS0_4arch9wavefront6targetE0EEEvT1_.kd
    .uniform_work_group_size: 1
    .uses_dynamic_stack: false
    .vgpr_count:     0
    .vgpr_spill_count: 0
    .wavefront_size: 32
    .workgroup_processor_mode: 1
  - .args:
      - .offset:         0
        .size:           104
        .value_kind:     by_value
    .group_segment_fixed_size: 0
    .kernarg_segment_align: 8
    .kernarg_segment_size: 104
    .language:       OpenCL C
    .language_version:
      - 2
      - 0
    .max_flat_workgroup_size: 256
    .name:           _ZN7rocprim17ROCPRIM_400000_NS6detail17trampoline_kernelINS0_14default_configENS1_20scan_config_selectorIdEEZZNS1_9scan_implILNS1_25lookback_scan_determinismE0ELb0ELb0ES3_PKdPddZZZN2at6native31launch_logcumsumexp_cuda_kernelERKNSB_10TensorBaseESF_lENKUlvE_clEvENKUlvE_clEvEUlddE_dEEDaPvRmT3_T4_T5_mT6_P12ihipStream_tbENKUlT_T0_E_clISt17integral_constantIbLb0EESV_IbLb1EEEEDaSR_SS_EUlSR_E_NS1_11comp_targetILNS1_3genE9ELNS1_11target_archE1100ELNS1_3gpuE3ELNS1_3repE0EEENS1_30default_config_static_selectorELNS0_4arch9wavefront6targetE0EEEvT1_
    .private_segment_fixed_size: 0
    .sgpr_count:     0
    .sgpr_spill_count: 0
    .symbol:         _ZN7rocprim17ROCPRIM_400000_NS6detail17trampoline_kernelINS0_14default_configENS1_20scan_config_selectorIdEEZZNS1_9scan_implILNS1_25lookback_scan_determinismE0ELb0ELb0ES3_PKdPddZZZN2at6native31launch_logcumsumexp_cuda_kernelERKNSB_10TensorBaseESF_lENKUlvE_clEvENKUlvE_clEvEUlddE_dEEDaPvRmT3_T4_T5_mT6_P12ihipStream_tbENKUlT_T0_E_clISt17integral_constantIbLb0EESV_IbLb1EEEEDaSR_SS_EUlSR_E_NS1_11comp_targetILNS1_3genE9ELNS1_11target_archE1100ELNS1_3gpuE3ELNS1_3repE0EEENS1_30default_config_static_selectorELNS0_4arch9wavefront6targetE0EEEvT1_.kd
    .uniform_work_group_size: 1
    .uses_dynamic_stack: false
    .vgpr_count:     0
    .vgpr_spill_count: 0
    .wavefront_size: 32
    .workgroup_processor_mode: 1
  - .args:
      - .offset:         0
        .size:           104
        .value_kind:     by_value
    .group_segment_fixed_size: 0
    .kernarg_segment_align: 8
    .kernarg_segment_size: 104
    .language:       OpenCL C
    .language_version:
      - 2
      - 0
    .max_flat_workgroup_size: 128
    .name:           _ZN7rocprim17ROCPRIM_400000_NS6detail17trampoline_kernelINS0_14default_configENS1_20scan_config_selectorIdEEZZNS1_9scan_implILNS1_25lookback_scan_determinismE0ELb0ELb0ES3_PKdPddZZZN2at6native31launch_logcumsumexp_cuda_kernelERKNSB_10TensorBaseESF_lENKUlvE_clEvENKUlvE_clEvEUlddE_dEEDaPvRmT3_T4_T5_mT6_P12ihipStream_tbENKUlT_T0_E_clISt17integral_constantIbLb0EESV_IbLb1EEEEDaSR_SS_EUlSR_E_NS1_11comp_targetILNS1_3genE8ELNS1_11target_archE1030ELNS1_3gpuE2ELNS1_3repE0EEENS1_30default_config_static_selectorELNS0_4arch9wavefront6targetE0EEEvT1_
    .private_segment_fixed_size: 0
    .sgpr_count:     0
    .sgpr_spill_count: 0
    .symbol:         _ZN7rocprim17ROCPRIM_400000_NS6detail17trampoline_kernelINS0_14default_configENS1_20scan_config_selectorIdEEZZNS1_9scan_implILNS1_25lookback_scan_determinismE0ELb0ELb0ES3_PKdPddZZZN2at6native31launch_logcumsumexp_cuda_kernelERKNSB_10TensorBaseESF_lENKUlvE_clEvENKUlvE_clEvEUlddE_dEEDaPvRmT3_T4_T5_mT6_P12ihipStream_tbENKUlT_T0_E_clISt17integral_constantIbLb0EESV_IbLb1EEEEDaSR_SS_EUlSR_E_NS1_11comp_targetILNS1_3genE8ELNS1_11target_archE1030ELNS1_3gpuE2ELNS1_3repE0EEENS1_30default_config_static_selectorELNS0_4arch9wavefront6targetE0EEEvT1_.kd
    .uniform_work_group_size: 1
    .uses_dynamic_stack: false
    .vgpr_count:     0
    .vgpr_spill_count: 0
    .wavefront_size: 32
    .workgroup_processor_mode: 1
  - .args:
      - .offset:         0
        .size:           40
        .value_kind:     by_value
    .group_segment_fixed_size: 0
    .kernarg_segment_align: 8
    .kernarg_segment_size: 40
    .language:       OpenCL C
    .language_version:
      - 2
      - 0
    .max_flat_workgroup_size: 256
    .name:           _ZN7rocprim17ROCPRIM_400000_NS6detail17trampoline_kernelINS0_14default_configENS1_20scan_config_selectorIdEEZZNS1_9scan_implILNS1_25lookback_scan_determinismE0ELb0ELb0ES3_PKdPddZZZN2at6native31launch_logcumsumexp_cuda_kernelERKNSB_10TensorBaseESF_lENKUlvE_clEvENKUlvE_clEvEUlddE_dEEDaPvRmT3_T4_T5_mT6_P12ihipStream_tbENKUlT_T0_E_clISt17integral_constantIbLb0EESV_IbLb1EEEEDaSR_SS_EUlSR_E0_NS1_11comp_targetILNS1_3genE0ELNS1_11target_archE4294967295ELNS1_3gpuE0ELNS1_3repE0EEENS1_30default_config_static_selectorELNS0_4arch9wavefront6targetE0EEEvT1_
    .private_segment_fixed_size: 0
    .sgpr_count:     0
    .sgpr_spill_count: 0
    .symbol:         _ZN7rocprim17ROCPRIM_400000_NS6detail17trampoline_kernelINS0_14default_configENS1_20scan_config_selectorIdEEZZNS1_9scan_implILNS1_25lookback_scan_determinismE0ELb0ELb0ES3_PKdPddZZZN2at6native31launch_logcumsumexp_cuda_kernelERKNSB_10TensorBaseESF_lENKUlvE_clEvENKUlvE_clEvEUlddE_dEEDaPvRmT3_T4_T5_mT6_P12ihipStream_tbENKUlT_T0_E_clISt17integral_constantIbLb0EESV_IbLb1EEEEDaSR_SS_EUlSR_E0_NS1_11comp_targetILNS1_3genE0ELNS1_11target_archE4294967295ELNS1_3gpuE0ELNS1_3repE0EEENS1_30default_config_static_selectorELNS0_4arch9wavefront6targetE0EEEvT1_.kd
    .uniform_work_group_size: 1
    .uses_dynamic_stack: false
    .vgpr_count:     0
    .vgpr_spill_count: 0
    .wavefront_size: 32
    .workgroup_processor_mode: 1
  - .args:
      - .offset:         0
        .size:           40
        .value_kind:     by_value
    .group_segment_fixed_size: 0
    .kernarg_segment_align: 8
    .kernarg_segment_size: 40
    .language:       OpenCL C
    .language_version:
      - 2
      - 0
    .max_flat_workgroup_size: 256
    .name:           _ZN7rocprim17ROCPRIM_400000_NS6detail17trampoline_kernelINS0_14default_configENS1_20scan_config_selectorIdEEZZNS1_9scan_implILNS1_25lookback_scan_determinismE0ELb0ELb0ES3_PKdPddZZZN2at6native31launch_logcumsumexp_cuda_kernelERKNSB_10TensorBaseESF_lENKUlvE_clEvENKUlvE_clEvEUlddE_dEEDaPvRmT3_T4_T5_mT6_P12ihipStream_tbENKUlT_T0_E_clISt17integral_constantIbLb0EESV_IbLb1EEEEDaSR_SS_EUlSR_E0_NS1_11comp_targetILNS1_3genE5ELNS1_11target_archE942ELNS1_3gpuE9ELNS1_3repE0EEENS1_30default_config_static_selectorELNS0_4arch9wavefront6targetE0EEEvT1_
    .private_segment_fixed_size: 0
    .sgpr_count:     0
    .sgpr_spill_count: 0
    .symbol:         _ZN7rocprim17ROCPRIM_400000_NS6detail17trampoline_kernelINS0_14default_configENS1_20scan_config_selectorIdEEZZNS1_9scan_implILNS1_25lookback_scan_determinismE0ELb0ELb0ES3_PKdPddZZZN2at6native31launch_logcumsumexp_cuda_kernelERKNSB_10TensorBaseESF_lENKUlvE_clEvENKUlvE_clEvEUlddE_dEEDaPvRmT3_T4_T5_mT6_P12ihipStream_tbENKUlT_T0_E_clISt17integral_constantIbLb0EESV_IbLb1EEEEDaSR_SS_EUlSR_E0_NS1_11comp_targetILNS1_3genE5ELNS1_11target_archE942ELNS1_3gpuE9ELNS1_3repE0EEENS1_30default_config_static_selectorELNS0_4arch9wavefront6targetE0EEEvT1_.kd
    .uniform_work_group_size: 1
    .uses_dynamic_stack: false
    .vgpr_count:     0
    .vgpr_spill_count: 0
    .wavefront_size: 32
    .workgroup_processor_mode: 1
  - .args:
      - .offset:         0
        .size:           40
        .value_kind:     by_value
    .group_segment_fixed_size: 0
    .kernarg_segment_align: 8
    .kernarg_segment_size: 40
    .language:       OpenCL C
    .language_version:
      - 2
      - 0
    .max_flat_workgroup_size: 128
    .name:           _ZN7rocprim17ROCPRIM_400000_NS6detail17trampoline_kernelINS0_14default_configENS1_20scan_config_selectorIdEEZZNS1_9scan_implILNS1_25lookback_scan_determinismE0ELb0ELb0ES3_PKdPddZZZN2at6native31launch_logcumsumexp_cuda_kernelERKNSB_10TensorBaseESF_lENKUlvE_clEvENKUlvE_clEvEUlddE_dEEDaPvRmT3_T4_T5_mT6_P12ihipStream_tbENKUlT_T0_E_clISt17integral_constantIbLb0EESV_IbLb1EEEEDaSR_SS_EUlSR_E0_NS1_11comp_targetILNS1_3genE4ELNS1_11target_archE910ELNS1_3gpuE8ELNS1_3repE0EEENS1_30default_config_static_selectorELNS0_4arch9wavefront6targetE0EEEvT1_
    .private_segment_fixed_size: 0
    .sgpr_count:     0
    .sgpr_spill_count: 0
    .symbol:         _ZN7rocprim17ROCPRIM_400000_NS6detail17trampoline_kernelINS0_14default_configENS1_20scan_config_selectorIdEEZZNS1_9scan_implILNS1_25lookback_scan_determinismE0ELb0ELb0ES3_PKdPddZZZN2at6native31launch_logcumsumexp_cuda_kernelERKNSB_10TensorBaseESF_lENKUlvE_clEvENKUlvE_clEvEUlddE_dEEDaPvRmT3_T4_T5_mT6_P12ihipStream_tbENKUlT_T0_E_clISt17integral_constantIbLb0EESV_IbLb1EEEEDaSR_SS_EUlSR_E0_NS1_11comp_targetILNS1_3genE4ELNS1_11target_archE910ELNS1_3gpuE8ELNS1_3repE0EEENS1_30default_config_static_selectorELNS0_4arch9wavefront6targetE0EEEvT1_.kd
    .uniform_work_group_size: 1
    .uses_dynamic_stack: false
    .vgpr_count:     0
    .vgpr_spill_count: 0
    .wavefront_size: 32
    .workgroup_processor_mode: 1
  - .args:
      - .offset:         0
        .size:           40
        .value_kind:     by_value
    .group_segment_fixed_size: 0
    .kernarg_segment_align: 8
    .kernarg_segment_size: 40
    .language:       OpenCL C
    .language_version:
      - 2
      - 0
    .max_flat_workgroup_size: 256
    .name:           _ZN7rocprim17ROCPRIM_400000_NS6detail17trampoline_kernelINS0_14default_configENS1_20scan_config_selectorIdEEZZNS1_9scan_implILNS1_25lookback_scan_determinismE0ELb0ELb0ES3_PKdPddZZZN2at6native31launch_logcumsumexp_cuda_kernelERKNSB_10TensorBaseESF_lENKUlvE_clEvENKUlvE_clEvEUlddE_dEEDaPvRmT3_T4_T5_mT6_P12ihipStream_tbENKUlT_T0_E_clISt17integral_constantIbLb0EESV_IbLb1EEEEDaSR_SS_EUlSR_E0_NS1_11comp_targetILNS1_3genE3ELNS1_11target_archE908ELNS1_3gpuE7ELNS1_3repE0EEENS1_30default_config_static_selectorELNS0_4arch9wavefront6targetE0EEEvT1_
    .private_segment_fixed_size: 0
    .sgpr_count:     0
    .sgpr_spill_count: 0
    .symbol:         _ZN7rocprim17ROCPRIM_400000_NS6detail17trampoline_kernelINS0_14default_configENS1_20scan_config_selectorIdEEZZNS1_9scan_implILNS1_25lookback_scan_determinismE0ELb0ELb0ES3_PKdPddZZZN2at6native31launch_logcumsumexp_cuda_kernelERKNSB_10TensorBaseESF_lENKUlvE_clEvENKUlvE_clEvEUlddE_dEEDaPvRmT3_T4_T5_mT6_P12ihipStream_tbENKUlT_T0_E_clISt17integral_constantIbLb0EESV_IbLb1EEEEDaSR_SS_EUlSR_E0_NS1_11comp_targetILNS1_3genE3ELNS1_11target_archE908ELNS1_3gpuE7ELNS1_3repE0EEENS1_30default_config_static_selectorELNS0_4arch9wavefront6targetE0EEEvT1_.kd
    .uniform_work_group_size: 1
    .uses_dynamic_stack: false
    .vgpr_count:     0
    .vgpr_spill_count: 0
    .wavefront_size: 32
    .workgroup_processor_mode: 1
  - .args:
      - .offset:         0
        .size:           40
        .value_kind:     by_value
    .group_segment_fixed_size: 0
    .kernarg_segment_align: 8
    .kernarg_segment_size: 40
    .language:       OpenCL C
    .language_version:
      - 2
      - 0
    .max_flat_workgroup_size: 128
    .name:           _ZN7rocprim17ROCPRIM_400000_NS6detail17trampoline_kernelINS0_14default_configENS1_20scan_config_selectorIdEEZZNS1_9scan_implILNS1_25lookback_scan_determinismE0ELb0ELb0ES3_PKdPddZZZN2at6native31launch_logcumsumexp_cuda_kernelERKNSB_10TensorBaseESF_lENKUlvE_clEvENKUlvE_clEvEUlddE_dEEDaPvRmT3_T4_T5_mT6_P12ihipStream_tbENKUlT_T0_E_clISt17integral_constantIbLb0EESV_IbLb1EEEEDaSR_SS_EUlSR_E0_NS1_11comp_targetILNS1_3genE2ELNS1_11target_archE906ELNS1_3gpuE6ELNS1_3repE0EEENS1_30default_config_static_selectorELNS0_4arch9wavefront6targetE0EEEvT1_
    .private_segment_fixed_size: 0
    .sgpr_count:     0
    .sgpr_spill_count: 0
    .symbol:         _ZN7rocprim17ROCPRIM_400000_NS6detail17trampoline_kernelINS0_14default_configENS1_20scan_config_selectorIdEEZZNS1_9scan_implILNS1_25lookback_scan_determinismE0ELb0ELb0ES3_PKdPddZZZN2at6native31launch_logcumsumexp_cuda_kernelERKNSB_10TensorBaseESF_lENKUlvE_clEvENKUlvE_clEvEUlddE_dEEDaPvRmT3_T4_T5_mT6_P12ihipStream_tbENKUlT_T0_E_clISt17integral_constantIbLb0EESV_IbLb1EEEEDaSR_SS_EUlSR_E0_NS1_11comp_targetILNS1_3genE2ELNS1_11target_archE906ELNS1_3gpuE6ELNS1_3repE0EEENS1_30default_config_static_selectorELNS0_4arch9wavefront6targetE0EEEvT1_.kd
    .uniform_work_group_size: 1
    .uses_dynamic_stack: false
    .vgpr_count:     0
    .vgpr_spill_count: 0
    .wavefront_size: 32
    .workgroup_processor_mode: 1
  - .args:
      - .offset:         0
        .size:           40
        .value_kind:     by_value
    .group_segment_fixed_size: 33792
    .kernarg_segment_align: 8
    .kernarg_segment_size: 40
    .language:       OpenCL C
    .language_version:
      - 2
      - 0
    .max_flat_workgroup_size: 256
    .name:           _ZN7rocprim17ROCPRIM_400000_NS6detail17trampoline_kernelINS0_14default_configENS1_20scan_config_selectorIdEEZZNS1_9scan_implILNS1_25lookback_scan_determinismE0ELb0ELb0ES3_PKdPddZZZN2at6native31launch_logcumsumexp_cuda_kernelERKNSB_10TensorBaseESF_lENKUlvE_clEvENKUlvE_clEvEUlddE_dEEDaPvRmT3_T4_T5_mT6_P12ihipStream_tbENKUlT_T0_E_clISt17integral_constantIbLb0EESV_IbLb1EEEEDaSR_SS_EUlSR_E0_NS1_11comp_targetILNS1_3genE10ELNS1_11target_archE1201ELNS1_3gpuE5ELNS1_3repE0EEENS1_30default_config_static_selectorELNS0_4arch9wavefront6targetE0EEEvT1_
    .private_segment_fixed_size: 0
    .sgpr_count:     50
    .sgpr_spill_count: 0
    .symbol:         _ZN7rocprim17ROCPRIM_400000_NS6detail17trampoline_kernelINS0_14default_configENS1_20scan_config_selectorIdEEZZNS1_9scan_implILNS1_25lookback_scan_determinismE0ELb0ELb0ES3_PKdPddZZZN2at6native31launch_logcumsumexp_cuda_kernelERKNSB_10TensorBaseESF_lENKUlvE_clEvENKUlvE_clEvEUlddE_dEEDaPvRmT3_T4_T5_mT6_P12ihipStream_tbENKUlT_T0_E_clISt17integral_constantIbLb0EESV_IbLb1EEEEDaSR_SS_EUlSR_E0_NS1_11comp_targetILNS1_3genE10ELNS1_11target_archE1201ELNS1_3gpuE5ELNS1_3repE0EEENS1_30default_config_static_selectorELNS0_4arch9wavefront6targetE0EEEvT1_.kd
    .uniform_work_group_size: 1
    .uses_dynamic_stack: false
    .vgpr_count:     119
    .vgpr_spill_count: 0
    .wavefront_size: 32
    .workgroup_processor_mode: 1
  - .args:
      - .offset:         0
        .size:           40
        .value_kind:     by_value
    .group_segment_fixed_size: 0
    .kernarg_segment_align: 8
    .kernarg_segment_size: 40
    .language:       OpenCL C
    .language_version:
      - 2
      - 0
    .max_flat_workgroup_size: 256
    .name:           _ZN7rocprim17ROCPRIM_400000_NS6detail17trampoline_kernelINS0_14default_configENS1_20scan_config_selectorIdEEZZNS1_9scan_implILNS1_25lookback_scan_determinismE0ELb0ELb0ES3_PKdPddZZZN2at6native31launch_logcumsumexp_cuda_kernelERKNSB_10TensorBaseESF_lENKUlvE_clEvENKUlvE_clEvEUlddE_dEEDaPvRmT3_T4_T5_mT6_P12ihipStream_tbENKUlT_T0_E_clISt17integral_constantIbLb0EESV_IbLb1EEEEDaSR_SS_EUlSR_E0_NS1_11comp_targetILNS1_3genE10ELNS1_11target_archE1200ELNS1_3gpuE4ELNS1_3repE0EEENS1_30default_config_static_selectorELNS0_4arch9wavefront6targetE0EEEvT1_
    .private_segment_fixed_size: 0
    .sgpr_count:     0
    .sgpr_spill_count: 0
    .symbol:         _ZN7rocprim17ROCPRIM_400000_NS6detail17trampoline_kernelINS0_14default_configENS1_20scan_config_selectorIdEEZZNS1_9scan_implILNS1_25lookback_scan_determinismE0ELb0ELb0ES3_PKdPddZZZN2at6native31launch_logcumsumexp_cuda_kernelERKNSB_10TensorBaseESF_lENKUlvE_clEvENKUlvE_clEvEUlddE_dEEDaPvRmT3_T4_T5_mT6_P12ihipStream_tbENKUlT_T0_E_clISt17integral_constantIbLb0EESV_IbLb1EEEEDaSR_SS_EUlSR_E0_NS1_11comp_targetILNS1_3genE10ELNS1_11target_archE1200ELNS1_3gpuE4ELNS1_3repE0EEENS1_30default_config_static_selectorELNS0_4arch9wavefront6targetE0EEEvT1_.kd
    .uniform_work_group_size: 1
    .uses_dynamic_stack: false
    .vgpr_count:     0
    .vgpr_spill_count: 0
    .wavefront_size: 32
    .workgroup_processor_mode: 1
  - .args:
      - .offset:         0
        .size:           40
        .value_kind:     by_value
    .group_segment_fixed_size: 0
    .kernarg_segment_align: 8
    .kernarg_segment_size: 40
    .language:       OpenCL C
    .language_version:
      - 2
      - 0
    .max_flat_workgroup_size: 256
    .name:           _ZN7rocprim17ROCPRIM_400000_NS6detail17trampoline_kernelINS0_14default_configENS1_20scan_config_selectorIdEEZZNS1_9scan_implILNS1_25lookback_scan_determinismE0ELb0ELb0ES3_PKdPddZZZN2at6native31launch_logcumsumexp_cuda_kernelERKNSB_10TensorBaseESF_lENKUlvE_clEvENKUlvE_clEvEUlddE_dEEDaPvRmT3_T4_T5_mT6_P12ihipStream_tbENKUlT_T0_E_clISt17integral_constantIbLb0EESV_IbLb1EEEEDaSR_SS_EUlSR_E0_NS1_11comp_targetILNS1_3genE9ELNS1_11target_archE1100ELNS1_3gpuE3ELNS1_3repE0EEENS1_30default_config_static_selectorELNS0_4arch9wavefront6targetE0EEEvT1_
    .private_segment_fixed_size: 0
    .sgpr_count:     0
    .sgpr_spill_count: 0
    .symbol:         _ZN7rocprim17ROCPRIM_400000_NS6detail17trampoline_kernelINS0_14default_configENS1_20scan_config_selectorIdEEZZNS1_9scan_implILNS1_25lookback_scan_determinismE0ELb0ELb0ES3_PKdPddZZZN2at6native31launch_logcumsumexp_cuda_kernelERKNSB_10TensorBaseESF_lENKUlvE_clEvENKUlvE_clEvEUlddE_dEEDaPvRmT3_T4_T5_mT6_P12ihipStream_tbENKUlT_T0_E_clISt17integral_constantIbLb0EESV_IbLb1EEEEDaSR_SS_EUlSR_E0_NS1_11comp_targetILNS1_3genE9ELNS1_11target_archE1100ELNS1_3gpuE3ELNS1_3repE0EEENS1_30default_config_static_selectorELNS0_4arch9wavefront6targetE0EEEvT1_.kd
    .uniform_work_group_size: 1
    .uses_dynamic_stack: false
    .vgpr_count:     0
    .vgpr_spill_count: 0
    .wavefront_size: 32
    .workgroup_processor_mode: 1
  - .args:
      - .offset:         0
        .size:           40
        .value_kind:     by_value
    .group_segment_fixed_size: 0
    .kernarg_segment_align: 8
    .kernarg_segment_size: 40
    .language:       OpenCL C
    .language_version:
      - 2
      - 0
    .max_flat_workgroup_size: 128
    .name:           _ZN7rocprim17ROCPRIM_400000_NS6detail17trampoline_kernelINS0_14default_configENS1_20scan_config_selectorIdEEZZNS1_9scan_implILNS1_25lookback_scan_determinismE0ELb0ELb0ES3_PKdPddZZZN2at6native31launch_logcumsumexp_cuda_kernelERKNSB_10TensorBaseESF_lENKUlvE_clEvENKUlvE_clEvEUlddE_dEEDaPvRmT3_T4_T5_mT6_P12ihipStream_tbENKUlT_T0_E_clISt17integral_constantIbLb0EESV_IbLb1EEEEDaSR_SS_EUlSR_E0_NS1_11comp_targetILNS1_3genE8ELNS1_11target_archE1030ELNS1_3gpuE2ELNS1_3repE0EEENS1_30default_config_static_selectorELNS0_4arch9wavefront6targetE0EEEvT1_
    .private_segment_fixed_size: 0
    .sgpr_count:     0
    .sgpr_spill_count: 0
    .symbol:         _ZN7rocprim17ROCPRIM_400000_NS6detail17trampoline_kernelINS0_14default_configENS1_20scan_config_selectorIdEEZZNS1_9scan_implILNS1_25lookback_scan_determinismE0ELb0ELb0ES3_PKdPddZZZN2at6native31launch_logcumsumexp_cuda_kernelERKNSB_10TensorBaseESF_lENKUlvE_clEvENKUlvE_clEvEUlddE_dEEDaPvRmT3_T4_T5_mT6_P12ihipStream_tbENKUlT_T0_E_clISt17integral_constantIbLb0EESV_IbLb1EEEEDaSR_SS_EUlSR_E0_NS1_11comp_targetILNS1_3genE8ELNS1_11target_archE1030ELNS1_3gpuE2ELNS1_3repE0EEENS1_30default_config_static_selectorELNS0_4arch9wavefront6targetE0EEEvT1_.kd
    .uniform_work_group_size: 1
    .uses_dynamic_stack: false
    .vgpr_count:     0
    .vgpr_spill_count: 0
    .wavefront_size: 32
    .workgroup_processor_mode: 1
  - .args:
      - .address_space:  global
        .offset:         0
        .size:           8
        .value_kind:     global_buffer
      - .address_space:  global
        .offset:         8
        .size:           8
        .value_kind:     global_buffer
      - .offset:         16
        .size:           4
        .value_kind:     by_value
      - .offset:         20
        .size:           4
        .value_kind:     by_value
      - .offset:         24
        .size:           4
        .value_kind:     by_value
      - .offset:         32
        .size:           8
        .value_kind:     by_value
      - .offset:         40
        .size:           1
        .value_kind:     by_value
      - .offset:         48
        .size:           4
        .value_kind:     hidden_block_count_x
      - .offset:         52
        .size:           4
        .value_kind:     hidden_block_count_y
      - .offset:         56
        .size:           4
        .value_kind:     hidden_block_count_z
      - .offset:         60
        .size:           2
        .value_kind:     hidden_group_size_x
      - .offset:         62
        .size:           2
        .value_kind:     hidden_group_size_y
      - .offset:         64
        .size:           2
        .value_kind:     hidden_group_size_z
      - .offset:         66
        .size:           2
        .value_kind:     hidden_remainder_x
      - .offset:         68
        .size:           2
        .value_kind:     hidden_remainder_y
      - .offset:         70
        .size:           2
        .value_kind:     hidden_remainder_z
      - .offset:         88
        .size:           8
        .value_kind:     hidden_global_offset_x
      - .offset:         96
        .size:           8
        .value_kind:     hidden_global_offset_y
      - .offset:         104
        .size:           8
        .value_kind:     hidden_global_offset_z
      - .offset:         112
        .size:           2
        .value_kind:     hidden_grid_dims
      - .offset:         168
        .size:           4
        .value_kind:     hidden_dynamic_lds_size
    .group_segment_fixed_size: 0
    .kernarg_segment_align: 8
    .kernarg_segment_size: 304
    .language:       OpenCL C
    .language_version:
      - 2
      - 0
    .max_flat_workgroup_size: 1024
    .name:           _ZN2at6native32tensor_kernel_scan_innermost_dimIdZZZNS0_31launch_logcumsumexp_cuda_kernelERKNS_10TensorBaseES4_lENKUlvE_clEvENKUlvE_clEvEUlddE_EEvPT_PKS8_jjjS8_T0_
    .private_segment_fixed_size: 0
    .sgpr_count:     74
    .sgpr_spill_count: 0
    .symbol:         _ZN2at6native32tensor_kernel_scan_innermost_dimIdZZZNS0_31launch_logcumsumexp_cuda_kernelERKNS_10TensorBaseES4_lENKUlvE_clEvENKUlvE_clEvEUlddE_EEvPT_PKS8_jjjS8_T0_.kd
    .uniform_work_group_size: 1
    .uses_dynamic_stack: false
    .vgpr_count:     47
    .vgpr_spill_count: 0
    .wavefront_size: 32
    .workgroup_processor_mode: 1
  - .args:
      - .address_space:  global
        .offset:         0
        .size:           8
        .value_kind:     global_buffer
      - .address_space:  global
        .offset:         8
        .size:           8
        .value_kind:     global_buffer
      - .offset:         16
        .size:           4
        .value_kind:     by_value
      - .offset:         20
        .size:           4
        .value_kind:     by_value
      - .offset:         24
        .size:           4
        .value_kind:     by_value
      - .offset:         32
        .size:           8
        .value_kind:     by_value
      - .offset:         40
        .size:           1
        .value_kind:     by_value
      - .offset:         48
        .size:           4
        .value_kind:     hidden_block_count_x
      - .offset:         52
        .size:           4
        .value_kind:     hidden_block_count_y
      - .offset:         56
        .size:           4
        .value_kind:     hidden_block_count_z
      - .offset:         60
        .size:           2
        .value_kind:     hidden_group_size_x
      - .offset:         62
        .size:           2
        .value_kind:     hidden_group_size_y
      - .offset:         64
        .size:           2
        .value_kind:     hidden_group_size_z
      - .offset:         66
        .size:           2
        .value_kind:     hidden_remainder_x
      - .offset:         68
        .size:           2
        .value_kind:     hidden_remainder_y
      - .offset:         70
        .size:           2
        .value_kind:     hidden_remainder_z
      - .offset:         88
        .size:           8
        .value_kind:     hidden_global_offset_x
      - .offset:         96
        .size:           8
        .value_kind:     hidden_global_offset_y
      - .offset:         104
        .size:           8
        .value_kind:     hidden_global_offset_z
      - .offset:         112
        .size:           2
        .value_kind:     hidden_grid_dims
    .group_segment_fixed_size: 0
    .kernarg_segment_align: 8
    .kernarg_segment_size: 304
    .language:       OpenCL C
    .language_version:
      - 2
      - 0
    .max_flat_workgroup_size: 1024
    .name:           _ZN2at6native28tensor_kernel_scan_outer_dimIdjZZZNS0_31launch_logcumsumexp_cuda_kernelERKNS_10TensorBaseES4_lENKUlvE_clEvENKUlvE_clEvEUlddE_EEvPT_PKS8_jjjS8_T1_
    .private_segment_fixed_size: 0
    .sgpr_count:     78
    .sgpr_spill_count: 0
    .symbol:         _ZN2at6native28tensor_kernel_scan_outer_dimIdjZZZNS0_31launch_logcumsumexp_cuda_kernelERKNS_10TensorBaseES4_lENKUlvE_clEvENKUlvE_clEvEUlddE_EEvPT_PKS8_jjjS8_T1_.kd
    .uniform_work_group_size: 1
    .uses_dynamic_stack: false
    .vgpr_count:     32
    .vgpr_spill_count: 0
    .wavefront_size: 32
    .workgroup_processor_mode: 1
  - .args:
      - .address_space:  global
        .offset:         0
        .size:           8
        .value_kind:     global_buffer
      - .address_space:  global
        .offset:         8
        .size:           8
        .value_kind:     global_buffer
      - .offset:         16
        .size:           4
        .value_kind:     by_value
      - .offset:         20
        .size:           4
        .value_kind:     by_value
      - .offset:         24
        .size:           4
        .value_kind:     by_value
      - .offset:         32
        .size:           8
        .value_kind:     by_value
      - .offset:         40
        .size:           1
        .value_kind:     by_value
      - .offset:         48
        .size:           4
        .value_kind:     hidden_block_count_x
      - .offset:         52
        .size:           4
        .value_kind:     hidden_block_count_y
      - .offset:         56
        .size:           4
        .value_kind:     hidden_block_count_z
      - .offset:         60
        .size:           2
        .value_kind:     hidden_group_size_x
      - .offset:         62
        .size:           2
        .value_kind:     hidden_group_size_y
      - .offset:         64
        .size:           2
        .value_kind:     hidden_group_size_z
      - .offset:         66
        .size:           2
        .value_kind:     hidden_remainder_x
      - .offset:         68
        .size:           2
        .value_kind:     hidden_remainder_y
      - .offset:         70
        .size:           2
        .value_kind:     hidden_remainder_z
      - .offset:         88
        .size:           8
        .value_kind:     hidden_global_offset_x
      - .offset:         96
        .size:           8
        .value_kind:     hidden_global_offset_y
      - .offset:         104
        .size:           8
        .value_kind:     hidden_global_offset_z
      - .offset:         112
        .size:           2
        .value_kind:     hidden_grid_dims
    .group_segment_fixed_size: 0
    .kernarg_segment_align: 8
    .kernarg_segment_size: 304
    .language:       OpenCL C
    .language_version:
      - 2
      - 0
    .max_flat_workgroup_size: 1024
    .name:           _ZN2at6native28tensor_kernel_scan_outer_dimIdmZZZNS0_31launch_logcumsumexp_cuda_kernelERKNS_10TensorBaseES4_lENKUlvE_clEvENKUlvE_clEvEUlddE_EEvPT_PKS8_jjjS8_T1_
    .private_segment_fixed_size: 0
    .sgpr_count:     78
    .sgpr_spill_count: 0
    .symbol:         _ZN2at6native28tensor_kernel_scan_outer_dimIdmZZZNS0_31launch_logcumsumexp_cuda_kernelERKNS_10TensorBaseES4_lENKUlvE_clEvENKUlvE_clEvEUlddE_EEvPT_PKS8_jjjS8_T1_.kd
    .uniform_work_group_size: 1
    .uses_dynamic_stack: false
    .vgpr_count:     32
    .vgpr_spill_count: 0
    .wavefront_size: 32
    .workgroup_processor_mode: 1
  - .args:
      - .address_space:  global
        .offset:         0
        .size:           8
        .value_kind:     global_buffer
      - .offset:         8
        .size:           4
        .value_kind:     by_value
      - .offset:         12
        .size:           1
        .value_kind:     by_value
      - .offset:         16
        .size:           4
        .value_kind:     by_value
      - .address_space:  global
        .offset:         24
        .size:           8
        .value_kind:     global_buffer
      - .offset:         32
        .size:           4
        .value_kind:     hidden_block_count_x
      - .offset:         36
        .size:           4
        .value_kind:     hidden_block_count_y
      - .offset:         40
        .size:           4
        .value_kind:     hidden_block_count_z
      - .offset:         44
        .size:           2
        .value_kind:     hidden_group_size_x
      - .offset:         46
        .size:           2
        .value_kind:     hidden_group_size_y
      - .offset:         48
        .size:           2
        .value_kind:     hidden_group_size_z
      - .offset:         50
        .size:           2
        .value_kind:     hidden_remainder_x
      - .offset:         52
        .size:           2
        .value_kind:     hidden_remainder_y
      - .offset:         54
        .size:           2
        .value_kind:     hidden_remainder_z
      - .offset:         72
        .size:           8
        .value_kind:     hidden_global_offset_x
      - .offset:         80
        .size:           8
        .value_kind:     hidden_global_offset_y
      - .offset:         88
        .size:           8
        .value_kind:     hidden_global_offset_z
      - .offset:         96
        .size:           2
        .value_kind:     hidden_grid_dims
    .group_segment_fixed_size: 0
    .kernarg_segment_align: 8
    .kernarg_segment_size: 288
    .language:       OpenCL C
    .language_version:
      - 2
      - 0
    .max_flat_workgroup_size: 256
    .name:           _ZN7rocprim17ROCPRIM_400000_NS6detail31init_lookback_scan_state_kernelINS1_19lookback_scan_stateIfLb0ELb1EEENS1_16block_id_wrapperIjLb0EEEEEvT_jT0_jPNS7_10value_typeE
    .private_segment_fixed_size: 0
    .sgpr_count:     10
    .sgpr_spill_count: 0
    .symbol:         _ZN7rocprim17ROCPRIM_400000_NS6detail31init_lookback_scan_state_kernelINS1_19lookback_scan_stateIfLb0ELb1EEENS1_16block_id_wrapperIjLb0EEEEEvT_jT0_jPNS7_10value_typeE.kd
    .uniform_work_group_size: 1
    .uses_dynamic_stack: false
    .vgpr_count:     7
    .vgpr_spill_count: 0
    .wavefront_size: 32
    .workgroup_processor_mode: 1
  - .args:
      - .offset:         0
        .size:           96
        .value_kind:     by_value
    .group_segment_fixed_size: 0
    .kernarg_segment_align: 8
    .kernarg_segment_size: 96
    .language:       OpenCL C
    .language_version:
      - 2
      - 0
    .max_flat_workgroup_size: 256
    .name:           _ZN7rocprim17ROCPRIM_400000_NS6detail17trampoline_kernelINS0_14default_configENS1_20scan_config_selectorIfEEZZNS1_9scan_implILNS1_25lookback_scan_determinismE0ELb0ELb0ES3_PKfPffZZZN2at6native31launch_logcumsumexp_cuda_kernelERKNSB_10TensorBaseESF_lENKUlvE_clEvENKUlvE0_clEvEUlffE_fEEDaPvRmT3_T4_T5_mT6_P12ihipStream_tbENKUlT_T0_E_clISt17integral_constantIbLb0EESW_EEDaSR_SS_EUlSR_E_NS1_11comp_targetILNS1_3genE0ELNS1_11target_archE4294967295ELNS1_3gpuE0ELNS1_3repE0EEENS1_30default_config_static_selectorELNS0_4arch9wavefront6targetE0EEEvT1_
    .private_segment_fixed_size: 0
    .sgpr_count:     0
    .sgpr_spill_count: 0
    .symbol:         _ZN7rocprim17ROCPRIM_400000_NS6detail17trampoline_kernelINS0_14default_configENS1_20scan_config_selectorIfEEZZNS1_9scan_implILNS1_25lookback_scan_determinismE0ELb0ELb0ES3_PKfPffZZZN2at6native31launch_logcumsumexp_cuda_kernelERKNSB_10TensorBaseESF_lENKUlvE_clEvENKUlvE0_clEvEUlffE_fEEDaPvRmT3_T4_T5_mT6_P12ihipStream_tbENKUlT_T0_E_clISt17integral_constantIbLb0EESW_EEDaSR_SS_EUlSR_E_NS1_11comp_targetILNS1_3genE0ELNS1_11target_archE4294967295ELNS1_3gpuE0ELNS1_3repE0EEENS1_30default_config_static_selectorELNS0_4arch9wavefront6targetE0EEEvT1_.kd
    .uniform_work_group_size: 1
    .uses_dynamic_stack: false
    .vgpr_count:     0
    .vgpr_spill_count: 0
    .wavefront_size: 32
    .workgroup_processor_mode: 1
  - .args:
      - .offset:         0
        .size:           96
        .value_kind:     by_value
    .group_segment_fixed_size: 0
    .kernarg_segment_align: 8
    .kernarg_segment_size: 96
    .language:       OpenCL C
    .language_version:
      - 2
      - 0
    .max_flat_workgroup_size: 256
    .name:           _ZN7rocprim17ROCPRIM_400000_NS6detail17trampoline_kernelINS0_14default_configENS1_20scan_config_selectorIfEEZZNS1_9scan_implILNS1_25lookback_scan_determinismE0ELb0ELb0ES3_PKfPffZZZN2at6native31launch_logcumsumexp_cuda_kernelERKNSB_10TensorBaseESF_lENKUlvE_clEvENKUlvE0_clEvEUlffE_fEEDaPvRmT3_T4_T5_mT6_P12ihipStream_tbENKUlT_T0_E_clISt17integral_constantIbLb0EESW_EEDaSR_SS_EUlSR_E_NS1_11comp_targetILNS1_3genE5ELNS1_11target_archE942ELNS1_3gpuE9ELNS1_3repE0EEENS1_30default_config_static_selectorELNS0_4arch9wavefront6targetE0EEEvT1_
    .private_segment_fixed_size: 0
    .sgpr_count:     0
    .sgpr_spill_count: 0
    .symbol:         _ZN7rocprim17ROCPRIM_400000_NS6detail17trampoline_kernelINS0_14default_configENS1_20scan_config_selectorIfEEZZNS1_9scan_implILNS1_25lookback_scan_determinismE0ELb0ELb0ES3_PKfPffZZZN2at6native31launch_logcumsumexp_cuda_kernelERKNSB_10TensorBaseESF_lENKUlvE_clEvENKUlvE0_clEvEUlffE_fEEDaPvRmT3_T4_T5_mT6_P12ihipStream_tbENKUlT_T0_E_clISt17integral_constantIbLb0EESW_EEDaSR_SS_EUlSR_E_NS1_11comp_targetILNS1_3genE5ELNS1_11target_archE942ELNS1_3gpuE9ELNS1_3repE0EEENS1_30default_config_static_selectorELNS0_4arch9wavefront6targetE0EEEvT1_.kd
    .uniform_work_group_size: 1
    .uses_dynamic_stack: false
    .vgpr_count:     0
    .vgpr_spill_count: 0
    .wavefront_size: 32
    .workgroup_processor_mode: 1
  - .args:
      - .offset:         0
        .size:           96
        .value_kind:     by_value
    .group_segment_fixed_size: 0
    .kernarg_segment_align: 8
    .kernarg_segment_size: 96
    .language:       OpenCL C
    .language_version:
      - 2
      - 0
    .max_flat_workgroup_size: 128
    .name:           _ZN7rocprim17ROCPRIM_400000_NS6detail17trampoline_kernelINS0_14default_configENS1_20scan_config_selectorIfEEZZNS1_9scan_implILNS1_25lookback_scan_determinismE0ELb0ELb0ES3_PKfPffZZZN2at6native31launch_logcumsumexp_cuda_kernelERKNSB_10TensorBaseESF_lENKUlvE_clEvENKUlvE0_clEvEUlffE_fEEDaPvRmT3_T4_T5_mT6_P12ihipStream_tbENKUlT_T0_E_clISt17integral_constantIbLb0EESW_EEDaSR_SS_EUlSR_E_NS1_11comp_targetILNS1_3genE4ELNS1_11target_archE910ELNS1_3gpuE8ELNS1_3repE0EEENS1_30default_config_static_selectorELNS0_4arch9wavefront6targetE0EEEvT1_
    .private_segment_fixed_size: 0
    .sgpr_count:     0
    .sgpr_spill_count: 0
    .symbol:         _ZN7rocprim17ROCPRIM_400000_NS6detail17trampoline_kernelINS0_14default_configENS1_20scan_config_selectorIfEEZZNS1_9scan_implILNS1_25lookback_scan_determinismE0ELb0ELb0ES3_PKfPffZZZN2at6native31launch_logcumsumexp_cuda_kernelERKNSB_10TensorBaseESF_lENKUlvE_clEvENKUlvE0_clEvEUlffE_fEEDaPvRmT3_T4_T5_mT6_P12ihipStream_tbENKUlT_T0_E_clISt17integral_constantIbLb0EESW_EEDaSR_SS_EUlSR_E_NS1_11comp_targetILNS1_3genE4ELNS1_11target_archE910ELNS1_3gpuE8ELNS1_3repE0EEENS1_30default_config_static_selectorELNS0_4arch9wavefront6targetE0EEEvT1_.kd
    .uniform_work_group_size: 1
    .uses_dynamic_stack: false
    .vgpr_count:     0
    .vgpr_spill_count: 0
    .wavefront_size: 32
    .workgroup_processor_mode: 1
  - .args:
      - .offset:         0
        .size:           96
        .value_kind:     by_value
    .group_segment_fixed_size: 0
    .kernarg_segment_align: 8
    .kernarg_segment_size: 96
    .language:       OpenCL C
    .language_version:
      - 2
      - 0
    .max_flat_workgroup_size: 256
    .name:           _ZN7rocprim17ROCPRIM_400000_NS6detail17trampoline_kernelINS0_14default_configENS1_20scan_config_selectorIfEEZZNS1_9scan_implILNS1_25lookback_scan_determinismE0ELb0ELb0ES3_PKfPffZZZN2at6native31launch_logcumsumexp_cuda_kernelERKNSB_10TensorBaseESF_lENKUlvE_clEvENKUlvE0_clEvEUlffE_fEEDaPvRmT3_T4_T5_mT6_P12ihipStream_tbENKUlT_T0_E_clISt17integral_constantIbLb0EESW_EEDaSR_SS_EUlSR_E_NS1_11comp_targetILNS1_3genE3ELNS1_11target_archE908ELNS1_3gpuE7ELNS1_3repE0EEENS1_30default_config_static_selectorELNS0_4arch9wavefront6targetE0EEEvT1_
    .private_segment_fixed_size: 0
    .sgpr_count:     0
    .sgpr_spill_count: 0
    .symbol:         _ZN7rocprim17ROCPRIM_400000_NS6detail17trampoline_kernelINS0_14default_configENS1_20scan_config_selectorIfEEZZNS1_9scan_implILNS1_25lookback_scan_determinismE0ELb0ELb0ES3_PKfPffZZZN2at6native31launch_logcumsumexp_cuda_kernelERKNSB_10TensorBaseESF_lENKUlvE_clEvENKUlvE0_clEvEUlffE_fEEDaPvRmT3_T4_T5_mT6_P12ihipStream_tbENKUlT_T0_E_clISt17integral_constantIbLb0EESW_EEDaSR_SS_EUlSR_E_NS1_11comp_targetILNS1_3genE3ELNS1_11target_archE908ELNS1_3gpuE7ELNS1_3repE0EEENS1_30default_config_static_selectorELNS0_4arch9wavefront6targetE0EEEvT1_.kd
    .uniform_work_group_size: 1
    .uses_dynamic_stack: false
    .vgpr_count:     0
    .vgpr_spill_count: 0
    .wavefront_size: 32
    .workgroup_processor_mode: 1
  - .args:
      - .offset:         0
        .size:           96
        .value_kind:     by_value
    .group_segment_fixed_size: 0
    .kernarg_segment_align: 8
    .kernarg_segment_size: 96
    .language:       OpenCL C
    .language_version:
      - 2
      - 0
    .max_flat_workgroup_size: 256
    .name:           _ZN7rocprim17ROCPRIM_400000_NS6detail17trampoline_kernelINS0_14default_configENS1_20scan_config_selectorIfEEZZNS1_9scan_implILNS1_25lookback_scan_determinismE0ELb0ELb0ES3_PKfPffZZZN2at6native31launch_logcumsumexp_cuda_kernelERKNSB_10TensorBaseESF_lENKUlvE_clEvENKUlvE0_clEvEUlffE_fEEDaPvRmT3_T4_T5_mT6_P12ihipStream_tbENKUlT_T0_E_clISt17integral_constantIbLb0EESW_EEDaSR_SS_EUlSR_E_NS1_11comp_targetILNS1_3genE2ELNS1_11target_archE906ELNS1_3gpuE6ELNS1_3repE0EEENS1_30default_config_static_selectorELNS0_4arch9wavefront6targetE0EEEvT1_
    .private_segment_fixed_size: 0
    .sgpr_count:     0
    .sgpr_spill_count: 0
    .symbol:         _ZN7rocprim17ROCPRIM_400000_NS6detail17trampoline_kernelINS0_14default_configENS1_20scan_config_selectorIfEEZZNS1_9scan_implILNS1_25lookback_scan_determinismE0ELb0ELb0ES3_PKfPffZZZN2at6native31launch_logcumsumexp_cuda_kernelERKNSB_10TensorBaseESF_lENKUlvE_clEvENKUlvE0_clEvEUlffE_fEEDaPvRmT3_T4_T5_mT6_P12ihipStream_tbENKUlT_T0_E_clISt17integral_constantIbLb0EESW_EEDaSR_SS_EUlSR_E_NS1_11comp_targetILNS1_3genE2ELNS1_11target_archE906ELNS1_3gpuE6ELNS1_3repE0EEENS1_30default_config_static_selectorELNS0_4arch9wavefront6targetE0EEEvT1_.kd
    .uniform_work_group_size: 1
    .uses_dynamic_stack: false
    .vgpr_count:     0
    .vgpr_spill_count: 0
    .wavefront_size: 32
    .workgroup_processor_mode: 1
  - .args:
      - .offset:         0
        .size:           96
        .value_kind:     by_value
    .group_segment_fixed_size: 6144
    .kernarg_segment_align: 8
    .kernarg_segment_size: 96
    .language:       OpenCL C
    .language_version:
      - 2
      - 0
    .max_flat_workgroup_size: 256
    .name:           _ZN7rocprim17ROCPRIM_400000_NS6detail17trampoline_kernelINS0_14default_configENS1_20scan_config_selectorIfEEZZNS1_9scan_implILNS1_25lookback_scan_determinismE0ELb0ELb0ES3_PKfPffZZZN2at6native31launch_logcumsumexp_cuda_kernelERKNSB_10TensorBaseESF_lENKUlvE_clEvENKUlvE0_clEvEUlffE_fEEDaPvRmT3_T4_T5_mT6_P12ihipStream_tbENKUlT_T0_E_clISt17integral_constantIbLb0EESW_EEDaSR_SS_EUlSR_E_NS1_11comp_targetILNS1_3genE10ELNS1_11target_archE1201ELNS1_3gpuE5ELNS1_3repE0EEENS1_30default_config_static_selectorELNS0_4arch9wavefront6targetE0EEEvT1_
    .private_segment_fixed_size: 0
    .sgpr_count:     33
    .sgpr_spill_count: 0
    .symbol:         _ZN7rocprim17ROCPRIM_400000_NS6detail17trampoline_kernelINS0_14default_configENS1_20scan_config_selectorIfEEZZNS1_9scan_implILNS1_25lookback_scan_determinismE0ELb0ELb0ES3_PKfPffZZZN2at6native31launch_logcumsumexp_cuda_kernelERKNSB_10TensorBaseESF_lENKUlvE_clEvENKUlvE0_clEvEUlffE_fEEDaPvRmT3_T4_T5_mT6_P12ihipStream_tbENKUlT_T0_E_clISt17integral_constantIbLb0EESW_EEDaSR_SS_EUlSR_E_NS1_11comp_targetILNS1_3genE10ELNS1_11target_archE1201ELNS1_3gpuE5ELNS1_3repE0EEENS1_30default_config_static_selectorELNS0_4arch9wavefront6targetE0EEEvT1_.kd
    .uniform_work_group_size: 1
    .uses_dynamic_stack: false
    .vgpr_count:     48
    .vgpr_spill_count: 0
    .wavefront_size: 32
    .workgroup_processor_mode: 1
  - .args:
      - .offset:         0
        .size:           96
        .value_kind:     by_value
    .group_segment_fixed_size: 0
    .kernarg_segment_align: 8
    .kernarg_segment_size: 96
    .language:       OpenCL C
    .language_version:
      - 2
      - 0
    .max_flat_workgroup_size: 256
    .name:           _ZN7rocprim17ROCPRIM_400000_NS6detail17trampoline_kernelINS0_14default_configENS1_20scan_config_selectorIfEEZZNS1_9scan_implILNS1_25lookback_scan_determinismE0ELb0ELb0ES3_PKfPffZZZN2at6native31launch_logcumsumexp_cuda_kernelERKNSB_10TensorBaseESF_lENKUlvE_clEvENKUlvE0_clEvEUlffE_fEEDaPvRmT3_T4_T5_mT6_P12ihipStream_tbENKUlT_T0_E_clISt17integral_constantIbLb0EESW_EEDaSR_SS_EUlSR_E_NS1_11comp_targetILNS1_3genE10ELNS1_11target_archE1200ELNS1_3gpuE4ELNS1_3repE0EEENS1_30default_config_static_selectorELNS0_4arch9wavefront6targetE0EEEvT1_
    .private_segment_fixed_size: 0
    .sgpr_count:     0
    .sgpr_spill_count: 0
    .symbol:         _ZN7rocprim17ROCPRIM_400000_NS6detail17trampoline_kernelINS0_14default_configENS1_20scan_config_selectorIfEEZZNS1_9scan_implILNS1_25lookback_scan_determinismE0ELb0ELb0ES3_PKfPffZZZN2at6native31launch_logcumsumexp_cuda_kernelERKNSB_10TensorBaseESF_lENKUlvE_clEvENKUlvE0_clEvEUlffE_fEEDaPvRmT3_T4_T5_mT6_P12ihipStream_tbENKUlT_T0_E_clISt17integral_constantIbLb0EESW_EEDaSR_SS_EUlSR_E_NS1_11comp_targetILNS1_3genE10ELNS1_11target_archE1200ELNS1_3gpuE4ELNS1_3repE0EEENS1_30default_config_static_selectorELNS0_4arch9wavefront6targetE0EEEvT1_.kd
    .uniform_work_group_size: 1
    .uses_dynamic_stack: false
    .vgpr_count:     0
    .vgpr_spill_count: 0
    .wavefront_size: 32
    .workgroup_processor_mode: 1
  - .args:
      - .offset:         0
        .size:           96
        .value_kind:     by_value
    .group_segment_fixed_size: 0
    .kernarg_segment_align: 8
    .kernarg_segment_size: 96
    .language:       OpenCL C
    .language_version:
      - 2
      - 0
    .max_flat_workgroup_size: 256
    .name:           _ZN7rocprim17ROCPRIM_400000_NS6detail17trampoline_kernelINS0_14default_configENS1_20scan_config_selectorIfEEZZNS1_9scan_implILNS1_25lookback_scan_determinismE0ELb0ELb0ES3_PKfPffZZZN2at6native31launch_logcumsumexp_cuda_kernelERKNSB_10TensorBaseESF_lENKUlvE_clEvENKUlvE0_clEvEUlffE_fEEDaPvRmT3_T4_T5_mT6_P12ihipStream_tbENKUlT_T0_E_clISt17integral_constantIbLb0EESW_EEDaSR_SS_EUlSR_E_NS1_11comp_targetILNS1_3genE9ELNS1_11target_archE1100ELNS1_3gpuE3ELNS1_3repE0EEENS1_30default_config_static_selectorELNS0_4arch9wavefront6targetE0EEEvT1_
    .private_segment_fixed_size: 0
    .sgpr_count:     0
    .sgpr_spill_count: 0
    .symbol:         _ZN7rocprim17ROCPRIM_400000_NS6detail17trampoline_kernelINS0_14default_configENS1_20scan_config_selectorIfEEZZNS1_9scan_implILNS1_25lookback_scan_determinismE0ELb0ELb0ES3_PKfPffZZZN2at6native31launch_logcumsumexp_cuda_kernelERKNSB_10TensorBaseESF_lENKUlvE_clEvENKUlvE0_clEvEUlffE_fEEDaPvRmT3_T4_T5_mT6_P12ihipStream_tbENKUlT_T0_E_clISt17integral_constantIbLb0EESW_EEDaSR_SS_EUlSR_E_NS1_11comp_targetILNS1_3genE9ELNS1_11target_archE1100ELNS1_3gpuE3ELNS1_3repE0EEENS1_30default_config_static_selectorELNS0_4arch9wavefront6targetE0EEEvT1_.kd
    .uniform_work_group_size: 1
    .uses_dynamic_stack: false
    .vgpr_count:     0
    .vgpr_spill_count: 0
    .wavefront_size: 32
    .workgroup_processor_mode: 1
  - .args:
      - .offset:         0
        .size:           96
        .value_kind:     by_value
    .group_segment_fixed_size: 0
    .kernarg_segment_align: 8
    .kernarg_segment_size: 96
    .language:       OpenCL C
    .language_version:
      - 2
      - 0
    .max_flat_workgroup_size: 64
    .name:           _ZN7rocprim17ROCPRIM_400000_NS6detail17trampoline_kernelINS0_14default_configENS1_20scan_config_selectorIfEEZZNS1_9scan_implILNS1_25lookback_scan_determinismE0ELb0ELb0ES3_PKfPffZZZN2at6native31launch_logcumsumexp_cuda_kernelERKNSB_10TensorBaseESF_lENKUlvE_clEvENKUlvE0_clEvEUlffE_fEEDaPvRmT3_T4_T5_mT6_P12ihipStream_tbENKUlT_T0_E_clISt17integral_constantIbLb0EESW_EEDaSR_SS_EUlSR_E_NS1_11comp_targetILNS1_3genE8ELNS1_11target_archE1030ELNS1_3gpuE2ELNS1_3repE0EEENS1_30default_config_static_selectorELNS0_4arch9wavefront6targetE0EEEvT1_
    .private_segment_fixed_size: 0
    .sgpr_count:     0
    .sgpr_spill_count: 0
    .symbol:         _ZN7rocprim17ROCPRIM_400000_NS6detail17trampoline_kernelINS0_14default_configENS1_20scan_config_selectorIfEEZZNS1_9scan_implILNS1_25lookback_scan_determinismE0ELb0ELb0ES3_PKfPffZZZN2at6native31launch_logcumsumexp_cuda_kernelERKNSB_10TensorBaseESF_lENKUlvE_clEvENKUlvE0_clEvEUlffE_fEEDaPvRmT3_T4_T5_mT6_P12ihipStream_tbENKUlT_T0_E_clISt17integral_constantIbLb0EESW_EEDaSR_SS_EUlSR_E_NS1_11comp_targetILNS1_3genE8ELNS1_11target_archE1030ELNS1_3gpuE2ELNS1_3repE0EEENS1_30default_config_static_selectorELNS0_4arch9wavefront6targetE0EEEvT1_.kd
    .uniform_work_group_size: 1
    .uses_dynamic_stack: false
    .vgpr_count:     0
    .vgpr_spill_count: 0
    .wavefront_size: 32
    .workgroup_processor_mode: 1
  - .args:
      - .offset:         0
        .size:           40
        .value_kind:     by_value
    .group_segment_fixed_size: 0
    .kernarg_segment_align: 8
    .kernarg_segment_size: 40
    .language:       OpenCL C
    .language_version:
      - 2
      - 0
    .max_flat_workgroup_size: 128
    .name:           _ZN7rocprim17ROCPRIM_400000_NS6detail17trampoline_kernelINS0_14default_configENS1_25transform_config_selectorIfLb1EEEZNS1_14transform_implILb1ES3_S5_PfS7_NS0_8identityIfEEEE10hipError_tT2_T3_mT4_P12ihipStream_tbEUlT_E_NS1_11comp_targetILNS1_3genE0ELNS1_11target_archE4294967295ELNS1_3gpuE0ELNS1_3repE0EEENS1_30default_config_static_selectorELNS0_4arch9wavefront6targetE0EEEvT1_
    .private_segment_fixed_size: 0
    .sgpr_count:     0
    .sgpr_spill_count: 0
    .symbol:         _ZN7rocprim17ROCPRIM_400000_NS6detail17trampoline_kernelINS0_14default_configENS1_25transform_config_selectorIfLb1EEEZNS1_14transform_implILb1ES3_S5_PfS7_NS0_8identityIfEEEE10hipError_tT2_T3_mT4_P12ihipStream_tbEUlT_E_NS1_11comp_targetILNS1_3genE0ELNS1_11target_archE4294967295ELNS1_3gpuE0ELNS1_3repE0EEENS1_30default_config_static_selectorELNS0_4arch9wavefront6targetE0EEEvT1_.kd
    .uniform_work_group_size: 1
    .uses_dynamic_stack: false
    .vgpr_count:     0
    .vgpr_spill_count: 0
    .wavefront_size: 32
    .workgroup_processor_mode: 1
  - .args:
      - .offset:         0
        .size:           40
        .value_kind:     by_value
      - .offset:         40
        .size:           4
        .value_kind:     hidden_block_count_x
      - .offset:         44
        .size:           4
        .value_kind:     hidden_block_count_y
      - .offset:         48
        .size:           4
        .value_kind:     hidden_block_count_z
      - .offset:         52
        .size:           2
        .value_kind:     hidden_group_size_x
      - .offset:         54
        .size:           2
        .value_kind:     hidden_group_size_y
      - .offset:         56
        .size:           2
        .value_kind:     hidden_group_size_z
      - .offset:         58
        .size:           2
        .value_kind:     hidden_remainder_x
      - .offset:         60
        .size:           2
        .value_kind:     hidden_remainder_y
      - .offset:         62
        .size:           2
        .value_kind:     hidden_remainder_z
      - .offset:         80
        .size:           8
        .value_kind:     hidden_global_offset_x
      - .offset:         88
        .size:           8
        .value_kind:     hidden_global_offset_y
      - .offset:         96
        .size:           8
        .value_kind:     hidden_global_offset_z
      - .offset:         104
        .size:           2
        .value_kind:     hidden_grid_dims
    .group_segment_fixed_size: 0
    .kernarg_segment_align: 8
    .kernarg_segment_size: 296
    .language:       OpenCL C
    .language_version:
      - 2
      - 0
    .max_flat_workgroup_size: 1024
    .name:           _ZN7rocprim17ROCPRIM_400000_NS6detail17trampoline_kernelINS0_14default_configENS1_25transform_config_selectorIfLb1EEEZNS1_14transform_implILb1ES3_S5_PfS7_NS0_8identityIfEEEE10hipError_tT2_T3_mT4_P12ihipStream_tbEUlT_E_NS1_11comp_targetILNS1_3genE10ELNS1_11target_archE1201ELNS1_3gpuE5ELNS1_3repE0EEENS1_30default_config_static_selectorELNS0_4arch9wavefront6targetE0EEEvT1_
    .private_segment_fixed_size: 0
    .sgpr_count:     15
    .sgpr_spill_count: 0
    .symbol:         _ZN7rocprim17ROCPRIM_400000_NS6detail17trampoline_kernelINS0_14default_configENS1_25transform_config_selectorIfLb1EEEZNS1_14transform_implILb1ES3_S5_PfS7_NS0_8identityIfEEEE10hipError_tT2_T3_mT4_P12ihipStream_tbEUlT_E_NS1_11comp_targetILNS1_3genE10ELNS1_11target_archE1201ELNS1_3gpuE5ELNS1_3repE0EEENS1_30default_config_static_selectorELNS0_4arch9wavefront6targetE0EEEvT1_.kd
    .uniform_work_group_size: 1
    .uses_dynamic_stack: false
    .vgpr_count:     4
    .vgpr_spill_count: 0
    .wavefront_size: 32
    .workgroup_processor_mode: 1
  - .args:
      - .offset:         0
        .size:           40
        .value_kind:     by_value
    .group_segment_fixed_size: 0
    .kernarg_segment_align: 8
    .kernarg_segment_size: 40
    .language:       OpenCL C
    .language_version:
      - 2
      - 0
    .max_flat_workgroup_size: 256
    .name:           _ZN7rocprim17ROCPRIM_400000_NS6detail17trampoline_kernelINS0_14default_configENS1_25transform_config_selectorIfLb1EEEZNS1_14transform_implILb1ES3_S5_PfS7_NS0_8identityIfEEEE10hipError_tT2_T3_mT4_P12ihipStream_tbEUlT_E_NS1_11comp_targetILNS1_3genE5ELNS1_11target_archE942ELNS1_3gpuE9ELNS1_3repE0EEENS1_30default_config_static_selectorELNS0_4arch9wavefront6targetE0EEEvT1_
    .private_segment_fixed_size: 0
    .sgpr_count:     0
    .sgpr_spill_count: 0
    .symbol:         _ZN7rocprim17ROCPRIM_400000_NS6detail17trampoline_kernelINS0_14default_configENS1_25transform_config_selectorIfLb1EEEZNS1_14transform_implILb1ES3_S5_PfS7_NS0_8identityIfEEEE10hipError_tT2_T3_mT4_P12ihipStream_tbEUlT_E_NS1_11comp_targetILNS1_3genE5ELNS1_11target_archE942ELNS1_3gpuE9ELNS1_3repE0EEENS1_30default_config_static_selectorELNS0_4arch9wavefront6targetE0EEEvT1_.kd
    .uniform_work_group_size: 1
    .uses_dynamic_stack: false
    .vgpr_count:     0
    .vgpr_spill_count: 0
    .wavefront_size: 32
    .workgroup_processor_mode: 1
  - .args:
      - .offset:         0
        .size:           40
        .value_kind:     by_value
    .group_segment_fixed_size: 0
    .kernarg_segment_align: 8
    .kernarg_segment_size: 40
    .language:       OpenCL C
    .language_version:
      - 2
      - 0
    .max_flat_workgroup_size: 1024
    .name:           _ZN7rocprim17ROCPRIM_400000_NS6detail17trampoline_kernelINS0_14default_configENS1_25transform_config_selectorIfLb1EEEZNS1_14transform_implILb1ES3_S5_PfS7_NS0_8identityIfEEEE10hipError_tT2_T3_mT4_P12ihipStream_tbEUlT_E_NS1_11comp_targetILNS1_3genE4ELNS1_11target_archE910ELNS1_3gpuE8ELNS1_3repE0EEENS1_30default_config_static_selectorELNS0_4arch9wavefront6targetE0EEEvT1_
    .private_segment_fixed_size: 0
    .sgpr_count:     0
    .sgpr_spill_count: 0
    .symbol:         _ZN7rocprim17ROCPRIM_400000_NS6detail17trampoline_kernelINS0_14default_configENS1_25transform_config_selectorIfLb1EEEZNS1_14transform_implILb1ES3_S5_PfS7_NS0_8identityIfEEEE10hipError_tT2_T3_mT4_P12ihipStream_tbEUlT_E_NS1_11comp_targetILNS1_3genE4ELNS1_11target_archE910ELNS1_3gpuE8ELNS1_3repE0EEENS1_30default_config_static_selectorELNS0_4arch9wavefront6targetE0EEEvT1_.kd
    .uniform_work_group_size: 1
    .uses_dynamic_stack: false
    .vgpr_count:     0
    .vgpr_spill_count: 0
    .wavefront_size: 32
    .workgroup_processor_mode: 1
  - .args:
      - .offset:         0
        .size:           40
        .value_kind:     by_value
    .group_segment_fixed_size: 0
    .kernarg_segment_align: 8
    .kernarg_segment_size: 40
    .language:       OpenCL C
    .language_version:
      - 2
      - 0
    .max_flat_workgroup_size: 128
    .name:           _ZN7rocprim17ROCPRIM_400000_NS6detail17trampoline_kernelINS0_14default_configENS1_25transform_config_selectorIfLb1EEEZNS1_14transform_implILb1ES3_S5_PfS7_NS0_8identityIfEEEE10hipError_tT2_T3_mT4_P12ihipStream_tbEUlT_E_NS1_11comp_targetILNS1_3genE3ELNS1_11target_archE908ELNS1_3gpuE7ELNS1_3repE0EEENS1_30default_config_static_selectorELNS0_4arch9wavefront6targetE0EEEvT1_
    .private_segment_fixed_size: 0
    .sgpr_count:     0
    .sgpr_spill_count: 0
    .symbol:         _ZN7rocprim17ROCPRIM_400000_NS6detail17trampoline_kernelINS0_14default_configENS1_25transform_config_selectorIfLb1EEEZNS1_14transform_implILb1ES3_S5_PfS7_NS0_8identityIfEEEE10hipError_tT2_T3_mT4_P12ihipStream_tbEUlT_E_NS1_11comp_targetILNS1_3genE3ELNS1_11target_archE908ELNS1_3gpuE7ELNS1_3repE0EEENS1_30default_config_static_selectorELNS0_4arch9wavefront6targetE0EEEvT1_.kd
    .uniform_work_group_size: 1
    .uses_dynamic_stack: false
    .vgpr_count:     0
    .vgpr_spill_count: 0
    .wavefront_size: 32
    .workgroup_processor_mode: 1
  - .args:
      - .offset:         0
        .size:           40
        .value_kind:     by_value
    .group_segment_fixed_size: 0
    .kernarg_segment_align: 8
    .kernarg_segment_size: 40
    .language:       OpenCL C
    .language_version:
      - 2
      - 0
    .max_flat_workgroup_size: 1024
    .name:           _ZN7rocprim17ROCPRIM_400000_NS6detail17trampoline_kernelINS0_14default_configENS1_25transform_config_selectorIfLb1EEEZNS1_14transform_implILb1ES3_S5_PfS7_NS0_8identityIfEEEE10hipError_tT2_T3_mT4_P12ihipStream_tbEUlT_E_NS1_11comp_targetILNS1_3genE2ELNS1_11target_archE906ELNS1_3gpuE6ELNS1_3repE0EEENS1_30default_config_static_selectorELNS0_4arch9wavefront6targetE0EEEvT1_
    .private_segment_fixed_size: 0
    .sgpr_count:     0
    .sgpr_spill_count: 0
    .symbol:         _ZN7rocprim17ROCPRIM_400000_NS6detail17trampoline_kernelINS0_14default_configENS1_25transform_config_selectorIfLb1EEEZNS1_14transform_implILb1ES3_S5_PfS7_NS0_8identityIfEEEE10hipError_tT2_T3_mT4_P12ihipStream_tbEUlT_E_NS1_11comp_targetILNS1_3genE2ELNS1_11target_archE906ELNS1_3gpuE6ELNS1_3repE0EEENS1_30default_config_static_selectorELNS0_4arch9wavefront6targetE0EEEvT1_.kd
    .uniform_work_group_size: 1
    .uses_dynamic_stack: false
    .vgpr_count:     0
    .vgpr_spill_count: 0
    .wavefront_size: 32
    .workgroup_processor_mode: 1
  - .args:
      - .offset:         0
        .size:           40
        .value_kind:     by_value
    .group_segment_fixed_size: 0
    .kernarg_segment_align: 8
    .kernarg_segment_size: 40
    .language:       OpenCL C
    .language_version:
      - 2
      - 0
    .max_flat_workgroup_size: 1024
    .name:           _ZN7rocprim17ROCPRIM_400000_NS6detail17trampoline_kernelINS0_14default_configENS1_25transform_config_selectorIfLb1EEEZNS1_14transform_implILb1ES3_S5_PfS7_NS0_8identityIfEEEE10hipError_tT2_T3_mT4_P12ihipStream_tbEUlT_E_NS1_11comp_targetILNS1_3genE9ELNS1_11target_archE1100ELNS1_3gpuE3ELNS1_3repE0EEENS1_30default_config_static_selectorELNS0_4arch9wavefront6targetE0EEEvT1_
    .private_segment_fixed_size: 0
    .sgpr_count:     0
    .sgpr_spill_count: 0
    .symbol:         _ZN7rocprim17ROCPRIM_400000_NS6detail17trampoline_kernelINS0_14default_configENS1_25transform_config_selectorIfLb1EEEZNS1_14transform_implILb1ES3_S5_PfS7_NS0_8identityIfEEEE10hipError_tT2_T3_mT4_P12ihipStream_tbEUlT_E_NS1_11comp_targetILNS1_3genE9ELNS1_11target_archE1100ELNS1_3gpuE3ELNS1_3repE0EEENS1_30default_config_static_selectorELNS0_4arch9wavefront6targetE0EEEvT1_.kd
    .uniform_work_group_size: 1
    .uses_dynamic_stack: false
    .vgpr_count:     0
    .vgpr_spill_count: 0
    .wavefront_size: 32
    .workgroup_processor_mode: 1
  - .args:
      - .offset:         0
        .size:           40
        .value_kind:     by_value
    .group_segment_fixed_size: 0
    .kernarg_segment_align: 8
    .kernarg_segment_size: 40
    .language:       OpenCL C
    .language_version:
      - 2
      - 0
    .max_flat_workgroup_size: 1024
    .name:           _ZN7rocprim17ROCPRIM_400000_NS6detail17trampoline_kernelINS0_14default_configENS1_25transform_config_selectorIfLb1EEEZNS1_14transform_implILb1ES3_S5_PfS7_NS0_8identityIfEEEE10hipError_tT2_T3_mT4_P12ihipStream_tbEUlT_E_NS1_11comp_targetILNS1_3genE8ELNS1_11target_archE1030ELNS1_3gpuE2ELNS1_3repE0EEENS1_30default_config_static_selectorELNS0_4arch9wavefront6targetE0EEEvT1_
    .private_segment_fixed_size: 0
    .sgpr_count:     0
    .sgpr_spill_count: 0
    .symbol:         _ZN7rocprim17ROCPRIM_400000_NS6detail17trampoline_kernelINS0_14default_configENS1_25transform_config_selectorIfLb1EEEZNS1_14transform_implILb1ES3_S5_PfS7_NS0_8identityIfEEEE10hipError_tT2_T3_mT4_P12ihipStream_tbEUlT_E_NS1_11comp_targetILNS1_3genE8ELNS1_11target_archE1030ELNS1_3gpuE2ELNS1_3repE0EEENS1_30default_config_static_selectorELNS0_4arch9wavefront6targetE0EEEvT1_.kd
    .uniform_work_group_size: 1
    .uses_dynamic_stack: false
    .vgpr_count:     0
    .vgpr_spill_count: 0
    .wavefront_size: 32
    .workgroup_processor_mode: 1
  - .args:
      - .offset:         0
        .size:           32
        .value_kind:     by_value
    .group_segment_fixed_size: 0
    .kernarg_segment_align: 8
    .kernarg_segment_size: 32
    .language:       OpenCL C
    .language_version:
      - 2
      - 0
    .max_flat_workgroup_size: 256
    .name:           _ZN7rocprim17ROCPRIM_400000_NS6detail17trampoline_kernelINS0_14default_configENS1_20scan_config_selectorIfEEZZNS1_9scan_implILNS1_25lookback_scan_determinismE0ELb0ELb0ES3_PKfPffZZZN2at6native31launch_logcumsumexp_cuda_kernelERKNSB_10TensorBaseESF_lENKUlvE_clEvENKUlvE0_clEvEUlffE_fEEDaPvRmT3_T4_T5_mT6_P12ihipStream_tbENKUlT_T0_E_clISt17integral_constantIbLb0EESW_EEDaSR_SS_EUlSR_E0_NS1_11comp_targetILNS1_3genE0ELNS1_11target_archE4294967295ELNS1_3gpuE0ELNS1_3repE0EEENS1_30default_config_static_selectorELNS0_4arch9wavefront6targetE0EEEvT1_
    .private_segment_fixed_size: 0
    .sgpr_count:     0
    .sgpr_spill_count: 0
    .symbol:         _ZN7rocprim17ROCPRIM_400000_NS6detail17trampoline_kernelINS0_14default_configENS1_20scan_config_selectorIfEEZZNS1_9scan_implILNS1_25lookback_scan_determinismE0ELb0ELb0ES3_PKfPffZZZN2at6native31launch_logcumsumexp_cuda_kernelERKNSB_10TensorBaseESF_lENKUlvE_clEvENKUlvE0_clEvEUlffE_fEEDaPvRmT3_T4_T5_mT6_P12ihipStream_tbENKUlT_T0_E_clISt17integral_constantIbLb0EESW_EEDaSR_SS_EUlSR_E0_NS1_11comp_targetILNS1_3genE0ELNS1_11target_archE4294967295ELNS1_3gpuE0ELNS1_3repE0EEENS1_30default_config_static_selectorELNS0_4arch9wavefront6targetE0EEEvT1_.kd
    .uniform_work_group_size: 1
    .uses_dynamic_stack: false
    .vgpr_count:     0
    .vgpr_spill_count: 0
    .wavefront_size: 32
    .workgroup_processor_mode: 1
  - .args:
      - .offset:         0
        .size:           32
        .value_kind:     by_value
    .group_segment_fixed_size: 0
    .kernarg_segment_align: 8
    .kernarg_segment_size: 32
    .language:       OpenCL C
    .language_version:
      - 2
      - 0
    .max_flat_workgroup_size: 256
    .name:           _ZN7rocprim17ROCPRIM_400000_NS6detail17trampoline_kernelINS0_14default_configENS1_20scan_config_selectorIfEEZZNS1_9scan_implILNS1_25lookback_scan_determinismE0ELb0ELb0ES3_PKfPffZZZN2at6native31launch_logcumsumexp_cuda_kernelERKNSB_10TensorBaseESF_lENKUlvE_clEvENKUlvE0_clEvEUlffE_fEEDaPvRmT3_T4_T5_mT6_P12ihipStream_tbENKUlT_T0_E_clISt17integral_constantIbLb0EESW_EEDaSR_SS_EUlSR_E0_NS1_11comp_targetILNS1_3genE5ELNS1_11target_archE942ELNS1_3gpuE9ELNS1_3repE0EEENS1_30default_config_static_selectorELNS0_4arch9wavefront6targetE0EEEvT1_
    .private_segment_fixed_size: 0
    .sgpr_count:     0
    .sgpr_spill_count: 0
    .symbol:         _ZN7rocprim17ROCPRIM_400000_NS6detail17trampoline_kernelINS0_14default_configENS1_20scan_config_selectorIfEEZZNS1_9scan_implILNS1_25lookback_scan_determinismE0ELb0ELb0ES3_PKfPffZZZN2at6native31launch_logcumsumexp_cuda_kernelERKNSB_10TensorBaseESF_lENKUlvE_clEvENKUlvE0_clEvEUlffE_fEEDaPvRmT3_T4_T5_mT6_P12ihipStream_tbENKUlT_T0_E_clISt17integral_constantIbLb0EESW_EEDaSR_SS_EUlSR_E0_NS1_11comp_targetILNS1_3genE5ELNS1_11target_archE942ELNS1_3gpuE9ELNS1_3repE0EEENS1_30default_config_static_selectorELNS0_4arch9wavefront6targetE0EEEvT1_.kd
    .uniform_work_group_size: 1
    .uses_dynamic_stack: false
    .vgpr_count:     0
    .vgpr_spill_count: 0
    .wavefront_size: 32
    .workgroup_processor_mode: 1
  - .args:
      - .offset:         0
        .size:           32
        .value_kind:     by_value
    .group_segment_fixed_size: 0
    .kernarg_segment_align: 8
    .kernarg_segment_size: 32
    .language:       OpenCL C
    .language_version:
      - 2
      - 0
    .max_flat_workgroup_size: 128
    .name:           _ZN7rocprim17ROCPRIM_400000_NS6detail17trampoline_kernelINS0_14default_configENS1_20scan_config_selectorIfEEZZNS1_9scan_implILNS1_25lookback_scan_determinismE0ELb0ELb0ES3_PKfPffZZZN2at6native31launch_logcumsumexp_cuda_kernelERKNSB_10TensorBaseESF_lENKUlvE_clEvENKUlvE0_clEvEUlffE_fEEDaPvRmT3_T4_T5_mT6_P12ihipStream_tbENKUlT_T0_E_clISt17integral_constantIbLb0EESW_EEDaSR_SS_EUlSR_E0_NS1_11comp_targetILNS1_3genE4ELNS1_11target_archE910ELNS1_3gpuE8ELNS1_3repE0EEENS1_30default_config_static_selectorELNS0_4arch9wavefront6targetE0EEEvT1_
    .private_segment_fixed_size: 0
    .sgpr_count:     0
    .sgpr_spill_count: 0
    .symbol:         _ZN7rocprim17ROCPRIM_400000_NS6detail17trampoline_kernelINS0_14default_configENS1_20scan_config_selectorIfEEZZNS1_9scan_implILNS1_25lookback_scan_determinismE0ELb0ELb0ES3_PKfPffZZZN2at6native31launch_logcumsumexp_cuda_kernelERKNSB_10TensorBaseESF_lENKUlvE_clEvENKUlvE0_clEvEUlffE_fEEDaPvRmT3_T4_T5_mT6_P12ihipStream_tbENKUlT_T0_E_clISt17integral_constantIbLb0EESW_EEDaSR_SS_EUlSR_E0_NS1_11comp_targetILNS1_3genE4ELNS1_11target_archE910ELNS1_3gpuE8ELNS1_3repE0EEENS1_30default_config_static_selectorELNS0_4arch9wavefront6targetE0EEEvT1_.kd
    .uniform_work_group_size: 1
    .uses_dynamic_stack: false
    .vgpr_count:     0
    .vgpr_spill_count: 0
    .wavefront_size: 32
    .workgroup_processor_mode: 1
  - .args:
      - .offset:         0
        .size:           32
        .value_kind:     by_value
    .group_segment_fixed_size: 0
    .kernarg_segment_align: 8
    .kernarg_segment_size: 32
    .language:       OpenCL C
    .language_version:
      - 2
      - 0
    .max_flat_workgroup_size: 256
    .name:           _ZN7rocprim17ROCPRIM_400000_NS6detail17trampoline_kernelINS0_14default_configENS1_20scan_config_selectorIfEEZZNS1_9scan_implILNS1_25lookback_scan_determinismE0ELb0ELb0ES3_PKfPffZZZN2at6native31launch_logcumsumexp_cuda_kernelERKNSB_10TensorBaseESF_lENKUlvE_clEvENKUlvE0_clEvEUlffE_fEEDaPvRmT3_T4_T5_mT6_P12ihipStream_tbENKUlT_T0_E_clISt17integral_constantIbLb0EESW_EEDaSR_SS_EUlSR_E0_NS1_11comp_targetILNS1_3genE3ELNS1_11target_archE908ELNS1_3gpuE7ELNS1_3repE0EEENS1_30default_config_static_selectorELNS0_4arch9wavefront6targetE0EEEvT1_
    .private_segment_fixed_size: 0
    .sgpr_count:     0
    .sgpr_spill_count: 0
    .symbol:         _ZN7rocprim17ROCPRIM_400000_NS6detail17trampoline_kernelINS0_14default_configENS1_20scan_config_selectorIfEEZZNS1_9scan_implILNS1_25lookback_scan_determinismE0ELb0ELb0ES3_PKfPffZZZN2at6native31launch_logcumsumexp_cuda_kernelERKNSB_10TensorBaseESF_lENKUlvE_clEvENKUlvE0_clEvEUlffE_fEEDaPvRmT3_T4_T5_mT6_P12ihipStream_tbENKUlT_T0_E_clISt17integral_constantIbLb0EESW_EEDaSR_SS_EUlSR_E0_NS1_11comp_targetILNS1_3genE3ELNS1_11target_archE908ELNS1_3gpuE7ELNS1_3repE0EEENS1_30default_config_static_selectorELNS0_4arch9wavefront6targetE0EEEvT1_.kd
    .uniform_work_group_size: 1
    .uses_dynamic_stack: false
    .vgpr_count:     0
    .vgpr_spill_count: 0
    .wavefront_size: 32
    .workgroup_processor_mode: 1
  - .args:
      - .offset:         0
        .size:           32
        .value_kind:     by_value
    .group_segment_fixed_size: 0
    .kernarg_segment_align: 8
    .kernarg_segment_size: 32
    .language:       OpenCL C
    .language_version:
      - 2
      - 0
    .max_flat_workgroup_size: 256
    .name:           _ZN7rocprim17ROCPRIM_400000_NS6detail17trampoline_kernelINS0_14default_configENS1_20scan_config_selectorIfEEZZNS1_9scan_implILNS1_25lookback_scan_determinismE0ELb0ELb0ES3_PKfPffZZZN2at6native31launch_logcumsumexp_cuda_kernelERKNSB_10TensorBaseESF_lENKUlvE_clEvENKUlvE0_clEvEUlffE_fEEDaPvRmT3_T4_T5_mT6_P12ihipStream_tbENKUlT_T0_E_clISt17integral_constantIbLb0EESW_EEDaSR_SS_EUlSR_E0_NS1_11comp_targetILNS1_3genE2ELNS1_11target_archE906ELNS1_3gpuE6ELNS1_3repE0EEENS1_30default_config_static_selectorELNS0_4arch9wavefront6targetE0EEEvT1_
    .private_segment_fixed_size: 0
    .sgpr_count:     0
    .sgpr_spill_count: 0
    .symbol:         _ZN7rocprim17ROCPRIM_400000_NS6detail17trampoline_kernelINS0_14default_configENS1_20scan_config_selectorIfEEZZNS1_9scan_implILNS1_25lookback_scan_determinismE0ELb0ELb0ES3_PKfPffZZZN2at6native31launch_logcumsumexp_cuda_kernelERKNSB_10TensorBaseESF_lENKUlvE_clEvENKUlvE0_clEvEUlffE_fEEDaPvRmT3_T4_T5_mT6_P12ihipStream_tbENKUlT_T0_E_clISt17integral_constantIbLb0EESW_EEDaSR_SS_EUlSR_E0_NS1_11comp_targetILNS1_3genE2ELNS1_11target_archE906ELNS1_3gpuE6ELNS1_3repE0EEENS1_30default_config_static_selectorELNS0_4arch9wavefront6targetE0EEEvT1_.kd
    .uniform_work_group_size: 1
    .uses_dynamic_stack: false
    .vgpr_count:     0
    .vgpr_spill_count: 0
    .wavefront_size: 32
    .workgroup_processor_mode: 1
  - .args:
      - .offset:         0
        .size:           32
        .value_kind:     by_value
    .group_segment_fixed_size: 6144
    .kernarg_segment_align: 8
    .kernarg_segment_size: 32
    .language:       OpenCL C
    .language_version:
      - 2
      - 0
    .max_flat_workgroup_size: 256
    .name:           _ZN7rocprim17ROCPRIM_400000_NS6detail17trampoline_kernelINS0_14default_configENS1_20scan_config_selectorIfEEZZNS1_9scan_implILNS1_25lookback_scan_determinismE0ELb0ELb0ES3_PKfPffZZZN2at6native31launch_logcumsumexp_cuda_kernelERKNSB_10TensorBaseESF_lENKUlvE_clEvENKUlvE0_clEvEUlffE_fEEDaPvRmT3_T4_T5_mT6_P12ihipStream_tbENKUlT_T0_E_clISt17integral_constantIbLb0EESW_EEDaSR_SS_EUlSR_E0_NS1_11comp_targetILNS1_3genE10ELNS1_11target_archE1201ELNS1_3gpuE5ELNS1_3repE0EEENS1_30default_config_static_selectorELNS0_4arch9wavefront6targetE0EEEvT1_
    .private_segment_fixed_size: 0
    .sgpr_count:     19
    .sgpr_spill_count: 0
    .symbol:         _ZN7rocprim17ROCPRIM_400000_NS6detail17trampoline_kernelINS0_14default_configENS1_20scan_config_selectorIfEEZZNS1_9scan_implILNS1_25lookback_scan_determinismE0ELb0ELb0ES3_PKfPffZZZN2at6native31launch_logcumsumexp_cuda_kernelERKNSB_10TensorBaseESF_lENKUlvE_clEvENKUlvE0_clEvEUlffE_fEEDaPvRmT3_T4_T5_mT6_P12ihipStream_tbENKUlT_T0_E_clISt17integral_constantIbLb0EESW_EEDaSR_SS_EUlSR_E0_NS1_11comp_targetILNS1_3genE10ELNS1_11target_archE1201ELNS1_3gpuE5ELNS1_3repE0EEENS1_30default_config_static_selectorELNS0_4arch9wavefront6targetE0EEEvT1_.kd
    .uniform_work_group_size: 1
    .uses_dynamic_stack: false
    .vgpr_count:     35
    .vgpr_spill_count: 0
    .wavefront_size: 32
    .workgroup_processor_mode: 1
  - .args:
      - .offset:         0
        .size:           32
        .value_kind:     by_value
    .group_segment_fixed_size: 0
    .kernarg_segment_align: 8
    .kernarg_segment_size: 32
    .language:       OpenCL C
    .language_version:
      - 2
      - 0
    .max_flat_workgroup_size: 256
    .name:           _ZN7rocprim17ROCPRIM_400000_NS6detail17trampoline_kernelINS0_14default_configENS1_20scan_config_selectorIfEEZZNS1_9scan_implILNS1_25lookback_scan_determinismE0ELb0ELb0ES3_PKfPffZZZN2at6native31launch_logcumsumexp_cuda_kernelERKNSB_10TensorBaseESF_lENKUlvE_clEvENKUlvE0_clEvEUlffE_fEEDaPvRmT3_T4_T5_mT6_P12ihipStream_tbENKUlT_T0_E_clISt17integral_constantIbLb0EESW_EEDaSR_SS_EUlSR_E0_NS1_11comp_targetILNS1_3genE10ELNS1_11target_archE1200ELNS1_3gpuE4ELNS1_3repE0EEENS1_30default_config_static_selectorELNS0_4arch9wavefront6targetE0EEEvT1_
    .private_segment_fixed_size: 0
    .sgpr_count:     0
    .sgpr_spill_count: 0
    .symbol:         _ZN7rocprim17ROCPRIM_400000_NS6detail17trampoline_kernelINS0_14default_configENS1_20scan_config_selectorIfEEZZNS1_9scan_implILNS1_25lookback_scan_determinismE0ELb0ELb0ES3_PKfPffZZZN2at6native31launch_logcumsumexp_cuda_kernelERKNSB_10TensorBaseESF_lENKUlvE_clEvENKUlvE0_clEvEUlffE_fEEDaPvRmT3_T4_T5_mT6_P12ihipStream_tbENKUlT_T0_E_clISt17integral_constantIbLb0EESW_EEDaSR_SS_EUlSR_E0_NS1_11comp_targetILNS1_3genE10ELNS1_11target_archE1200ELNS1_3gpuE4ELNS1_3repE0EEENS1_30default_config_static_selectorELNS0_4arch9wavefront6targetE0EEEvT1_.kd
    .uniform_work_group_size: 1
    .uses_dynamic_stack: false
    .vgpr_count:     0
    .vgpr_spill_count: 0
    .wavefront_size: 32
    .workgroup_processor_mode: 1
  - .args:
      - .offset:         0
        .size:           32
        .value_kind:     by_value
    .group_segment_fixed_size: 0
    .kernarg_segment_align: 8
    .kernarg_segment_size: 32
    .language:       OpenCL C
    .language_version:
      - 2
      - 0
    .max_flat_workgroup_size: 256
    .name:           _ZN7rocprim17ROCPRIM_400000_NS6detail17trampoline_kernelINS0_14default_configENS1_20scan_config_selectorIfEEZZNS1_9scan_implILNS1_25lookback_scan_determinismE0ELb0ELb0ES3_PKfPffZZZN2at6native31launch_logcumsumexp_cuda_kernelERKNSB_10TensorBaseESF_lENKUlvE_clEvENKUlvE0_clEvEUlffE_fEEDaPvRmT3_T4_T5_mT6_P12ihipStream_tbENKUlT_T0_E_clISt17integral_constantIbLb0EESW_EEDaSR_SS_EUlSR_E0_NS1_11comp_targetILNS1_3genE9ELNS1_11target_archE1100ELNS1_3gpuE3ELNS1_3repE0EEENS1_30default_config_static_selectorELNS0_4arch9wavefront6targetE0EEEvT1_
    .private_segment_fixed_size: 0
    .sgpr_count:     0
    .sgpr_spill_count: 0
    .symbol:         _ZN7rocprim17ROCPRIM_400000_NS6detail17trampoline_kernelINS0_14default_configENS1_20scan_config_selectorIfEEZZNS1_9scan_implILNS1_25lookback_scan_determinismE0ELb0ELb0ES3_PKfPffZZZN2at6native31launch_logcumsumexp_cuda_kernelERKNSB_10TensorBaseESF_lENKUlvE_clEvENKUlvE0_clEvEUlffE_fEEDaPvRmT3_T4_T5_mT6_P12ihipStream_tbENKUlT_T0_E_clISt17integral_constantIbLb0EESW_EEDaSR_SS_EUlSR_E0_NS1_11comp_targetILNS1_3genE9ELNS1_11target_archE1100ELNS1_3gpuE3ELNS1_3repE0EEENS1_30default_config_static_selectorELNS0_4arch9wavefront6targetE0EEEvT1_.kd
    .uniform_work_group_size: 1
    .uses_dynamic_stack: false
    .vgpr_count:     0
    .vgpr_spill_count: 0
    .wavefront_size: 32
    .workgroup_processor_mode: 1
  - .args:
      - .offset:         0
        .size:           32
        .value_kind:     by_value
    .group_segment_fixed_size: 0
    .kernarg_segment_align: 8
    .kernarg_segment_size: 32
    .language:       OpenCL C
    .language_version:
      - 2
      - 0
    .max_flat_workgroup_size: 64
    .name:           _ZN7rocprim17ROCPRIM_400000_NS6detail17trampoline_kernelINS0_14default_configENS1_20scan_config_selectorIfEEZZNS1_9scan_implILNS1_25lookback_scan_determinismE0ELb0ELb0ES3_PKfPffZZZN2at6native31launch_logcumsumexp_cuda_kernelERKNSB_10TensorBaseESF_lENKUlvE_clEvENKUlvE0_clEvEUlffE_fEEDaPvRmT3_T4_T5_mT6_P12ihipStream_tbENKUlT_T0_E_clISt17integral_constantIbLb0EESW_EEDaSR_SS_EUlSR_E0_NS1_11comp_targetILNS1_3genE8ELNS1_11target_archE1030ELNS1_3gpuE2ELNS1_3repE0EEENS1_30default_config_static_selectorELNS0_4arch9wavefront6targetE0EEEvT1_
    .private_segment_fixed_size: 0
    .sgpr_count:     0
    .sgpr_spill_count: 0
    .symbol:         _ZN7rocprim17ROCPRIM_400000_NS6detail17trampoline_kernelINS0_14default_configENS1_20scan_config_selectorIfEEZZNS1_9scan_implILNS1_25lookback_scan_determinismE0ELb0ELb0ES3_PKfPffZZZN2at6native31launch_logcumsumexp_cuda_kernelERKNSB_10TensorBaseESF_lENKUlvE_clEvENKUlvE0_clEvEUlffE_fEEDaPvRmT3_T4_T5_mT6_P12ihipStream_tbENKUlT_T0_E_clISt17integral_constantIbLb0EESW_EEDaSR_SS_EUlSR_E0_NS1_11comp_targetILNS1_3genE8ELNS1_11target_archE1030ELNS1_3gpuE2ELNS1_3repE0EEENS1_30default_config_static_selectorELNS0_4arch9wavefront6targetE0EEEvT1_.kd
    .uniform_work_group_size: 1
    .uses_dynamic_stack: false
    .vgpr_count:     0
    .vgpr_spill_count: 0
    .wavefront_size: 32
    .workgroup_processor_mode: 1
  - .args:
      - .address_space:  global
        .offset:         0
        .size:           8
        .value_kind:     global_buffer
      - .offset:         8
        .size:           4
        .value_kind:     by_value
      - .address_space:  global
        .offset:         16
        .size:           8
        .value_kind:     global_buffer
      - .offset:         24
        .size:           4
        .value_kind:     by_value
      - .address_space:  global
        .offset:         32
        .size:           8
        .value_kind:     global_buffer
      - .offset:         40
        .size:           4
        .value_kind:     hidden_block_count_x
      - .offset:         44
        .size:           4
        .value_kind:     hidden_block_count_y
      - .offset:         48
        .size:           4
        .value_kind:     hidden_block_count_z
      - .offset:         52
        .size:           2
        .value_kind:     hidden_group_size_x
      - .offset:         54
        .size:           2
        .value_kind:     hidden_group_size_y
      - .offset:         56
        .size:           2
        .value_kind:     hidden_group_size_z
      - .offset:         58
        .size:           2
        .value_kind:     hidden_remainder_x
      - .offset:         60
        .size:           2
        .value_kind:     hidden_remainder_y
      - .offset:         62
        .size:           2
        .value_kind:     hidden_remainder_z
      - .offset:         80
        .size:           8
        .value_kind:     hidden_global_offset_x
      - .offset:         88
        .size:           8
        .value_kind:     hidden_global_offset_y
      - .offset:         96
        .size:           8
        .value_kind:     hidden_global_offset_z
      - .offset:         104
        .size:           2
        .value_kind:     hidden_grid_dims
    .group_segment_fixed_size: 0
    .kernarg_segment_align: 8
    .kernarg_segment_size: 296
    .language:       OpenCL C
    .language_version:
      - 2
      - 0
    .max_flat_workgroup_size: 256
    .name:           _ZN7rocprim17ROCPRIM_400000_NS6detail31init_lookback_scan_state_kernelINS1_19lookback_scan_stateIfLb1ELb1EEENS1_16block_id_wrapperIjLb1EEEEEvT_jT0_jPNS7_10value_typeE
    .private_segment_fixed_size: 0
    .sgpr_count:     14
    .sgpr_spill_count: 0
    .symbol:         _ZN7rocprim17ROCPRIM_400000_NS6detail31init_lookback_scan_state_kernelINS1_19lookback_scan_stateIfLb1ELb1EEENS1_16block_id_wrapperIjLb1EEEEEvT_jT0_jPNS7_10value_typeE.kd
    .uniform_work_group_size: 1
    .uses_dynamic_stack: false
    .vgpr_count:     7
    .vgpr_spill_count: 0
    .wavefront_size: 32
    .workgroup_processor_mode: 1
  - .args:
      - .offset:         0
        .size:           96
        .value_kind:     by_value
    .group_segment_fixed_size: 0
    .kernarg_segment_align: 8
    .kernarg_segment_size: 96
    .language:       OpenCL C
    .language_version:
      - 2
      - 0
    .max_flat_workgroup_size: 256
    .name:           _ZN7rocprim17ROCPRIM_400000_NS6detail17trampoline_kernelINS0_14default_configENS1_20scan_config_selectorIfEEZZNS1_9scan_implILNS1_25lookback_scan_determinismE0ELb0ELb0ES3_PKfPffZZZN2at6native31launch_logcumsumexp_cuda_kernelERKNSB_10TensorBaseESF_lENKUlvE_clEvENKUlvE0_clEvEUlffE_fEEDaPvRmT3_T4_T5_mT6_P12ihipStream_tbENKUlT_T0_E_clISt17integral_constantIbLb1EESW_EEDaSR_SS_EUlSR_E_NS1_11comp_targetILNS1_3genE0ELNS1_11target_archE4294967295ELNS1_3gpuE0ELNS1_3repE0EEENS1_30default_config_static_selectorELNS0_4arch9wavefront6targetE0EEEvT1_
    .private_segment_fixed_size: 0
    .sgpr_count:     0
    .sgpr_spill_count: 0
    .symbol:         _ZN7rocprim17ROCPRIM_400000_NS6detail17trampoline_kernelINS0_14default_configENS1_20scan_config_selectorIfEEZZNS1_9scan_implILNS1_25lookback_scan_determinismE0ELb0ELb0ES3_PKfPffZZZN2at6native31launch_logcumsumexp_cuda_kernelERKNSB_10TensorBaseESF_lENKUlvE_clEvENKUlvE0_clEvEUlffE_fEEDaPvRmT3_T4_T5_mT6_P12ihipStream_tbENKUlT_T0_E_clISt17integral_constantIbLb1EESW_EEDaSR_SS_EUlSR_E_NS1_11comp_targetILNS1_3genE0ELNS1_11target_archE4294967295ELNS1_3gpuE0ELNS1_3repE0EEENS1_30default_config_static_selectorELNS0_4arch9wavefront6targetE0EEEvT1_.kd
    .uniform_work_group_size: 1
    .uses_dynamic_stack: false
    .vgpr_count:     0
    .vgpr_spill_count: 0
    .wavefront_size: 32
    .workgroup_processor_mode: 1
  - .args:
      - .offset:         0
        .size:           96
        .value_kind:     by_value
    .group_segment_fixed_size: 0
    .kernarg_segment_align: 8
    .kernarg_segment_size: 96
    .language:       OpenCL C
    .language_version:
      - 2
      - 0
    .max_flat_workgroup_size: 256
    .name:           _ZN7rocprim17ROCPRIM_400000_NS6detail17trampoline_kernelINS0_14default_configENS1_20scan_config_selectorIfEEZZNS1_9scan_implILNS1_25lookback_scan_determinismE0ELb0ELb0ES3_PKfPffZZZN2at6native31launch_logcumsumexp_cuda_kernelERKNSB_10TensorBaseESF_lENKUlvE_clEvENKUlvE0_clEvEUlffE_fEEDaPvRmT3_T4_T5_mT6_P12ihipStream_tbENKUlT_T0_E_clISt17integral_constantIbLb1EESW_EEDaSR_SS_EUlSR_E_NS1_11comp_targetILNS1_3genE5ELNS1_11target_archE942ELNS1_3gpuE9ELNS1_3repE0EEENS1_30default_config_static_selectorELNS0_4arch9wavefront6targetE0EEEvT1_
    .private_segment_fixed_size: 0
    .sgpr_count:     0
    .sgpr_spill_count: 0
    .symbol:         _ZN7rocprim17ROCPRIM_400000_NS6detail17trampoline_kernelINS0_14default_configENS1_20scan_config_selectorIfEEZZNS1_9scan_implILNS1_25lookback_scan_determinismE0ELb0ELb0ES3_PKfPffZZZN2at6native31launch_logcumsumexp_cuda_kernelERKNSB_10TensorBaseESF_lENKUlvE_clEvENKUlvE0_clEvEUlffE_fEEDaPvRmT3_T4_T5_mT6_P12ihipStream_tbENKUlT_T0_E_clISt17integral_constantIbLb1EESW_EEDaSR_SS_EUlSR_E_NS1_11comp_targetILNS1_3genE5ELNS1_11target_archE942ELNS1_3gpuE9ELNS1_3repE0EEENS1_30default_config_static_selectorELNS0_4arch9wavefront6targetE0EEEvT1_.kd
    .uniform_work_group_size: 1
    .uses_dynamic_stack: false
    .vgpr_count:     0
    .vgpr_spill_count: 0
    .wavefront_size: 32
    .workgroup_processor_mode: 1
  - .args:
      - .offset:         0
        .size:           96
        .value_kind:     by_value
    .group_segment_fixed_size: 0
    .kernarg_segment_align: 8
    .kernarg_segment_size: 96
    .language:       OpenCL C
    .language_version:
      - 2
      - 0
    .max_flat_workgroup_size: 128
    .name:           _ZN7rocprim17ROCPRIM_400000_NS6detail17trampoline_kernelINS0_14default_configENS1_20scan_config_selectorIfEEZZNS1_9scan_implILNS1_25lookback_scan_determinismE0ELb0ELb0ES3_PKfPffZZZN2at6native31launch_logcumsumexp_cuda_kernelERKNSB_10TensorBaseESF_lENKUlvE_clEvENKUlvE0_clEvEUlffE_fEEDaPvRmT3_T4_T5_mT6_P12ihipStream_tbENKUlT_T0_E_clISt17integral_constantIbLb1EESW_EEDaSR_SS_EUlSR_E_NS1_11comp_targetILNS1_3genE4ELNS1_11target_archE910ELNS1_3gpuE8ELNS1_3repE0EEENS1_30default_config_static_selectorELNS0_4arch9wavefront6targetE0EEEvT1_
    .private_segment_fixed_size: 0
    .sgpr_count:     0
    .sgpr_spill_count: 0
    .symbol:         _ZN7rocprim17ROCPRIM_400000_NS6detail17trampoline_kernelINS0_14default_configENS1_20scan_config_selectorIfEEZZNS1_9scan_implILNS1_25lookback_scan_determinismE0ELb0ELb0ES3_PKfPffZZZN2at6native31launch_logcumsumexp_cuda_kernelERKNSB_10TensorBaseESF_lENKUlvE_clEvENKUlvE0_clEvEUlffE_fEEDaPvRmT3_T4_T5_mT6_P12ihipStream_tbENKUlT_T0_E_clISt17integral_constantIbLb1EESW_EEDaSR_SS_EUlSR_E_NS1_11comp_targetILNS1_3genE4ELNS1_11target_archE910ELNS1_3gpuE8ELNS1_3repE0EEENS1_30default_config_static_selectorELNS0_4arch9wavefront6targetE0EEEvT1_.kd
    .uniform_work_group_size: 1
    .uses_dynamic_stack: false
    .vgpr_count:     0
    .vgpr_spill_count: 0
    .wavefront_size: 32
    .workgroup_processor_mode: 1
  - .args:
      - .offset:         0
        .size:           96
        .value_kind:     by_value
    .group_segment_fixed_size: 0
    .kernarg_segment_align: 8
    .kernarg_segment_size: 96
    .language:       OpenCL C
    .language_version:
      - 2
      - 0
    .max_flat_workgroup_size: 256
    .name:           _ZN7rocprim17ROCPRIM_400000_NS6detail17trampoline_kernelINS0_14default_configENS1_20scan_config_selectorIfEEZZNS1_9scan_implILNS1_25lookback_scan_determinismE0ELb0ELb0ES3_PKfPffZZZN2at6native31launch_logcumsumexp_cuda_kernelERKNSB_10TensorBaseESF_lENKUlvE_clEvENKUlvE0_clEvEUlffE_fEEDaPvRmT3_T4_T5_mT6_P12ihipStream_tbENKUlT_T0_E_clISt17integral_constantIbLb1EESW_EEDaSR_SS_EUlSR_E_NS1_11comp_targetILNS1_3genE3ELNS1_11target_archE908ELNS1_3gpuE7ELNS1_3repE0EEENS1_30default_config_static_selectorELNS0_4arch9wavefront6targetE0EEEvT1_
    .private_segment_fixed_size: 0
    .sgpr_count:     0
    .sgpr_spill_count: 0
    .symbol:         _ZN7rocprim17ROCPRIM_400000_NS6detail17trampoline_kernelINS0_14default_configENS1_20scan_config_selectorIfEEZZNS1_9scan_implILNS1_25lookback_scan_determinismE0ELb0ELb0ES3_PKfPffZZZN2at6native31launch_logcumsumexp_cuda_kernelERKNSB_10TensorBaseESF_lENKUlvE_clEvENKUlvE0_clEvEUlffE_fEEDaPvRmT3_T4_T5_mT6_P12ihipStream_tbENKUlT_T0_E_clISt17integral_constantIbLb1EESW_EEDaSR_SS_EUlSR_E_NS1_11comp_targetILNS1_3genE3ELNS1_11target_archE908ELNS1_3gpuE7ELNS1_3repE0EEENS1_30default_config_static_selectorELNS0_4arch9wavefront6targetE0EEEvT1_.kd
    .uniform_work_group_size: 1
    .uses_dynamic_stack: false
    .vgpr_count:     0
    .vgpr_spill_count: 0
    .wavefront_size: 32
    .workgroup_processor_mode: 1
  - .args:
      - .offset:         0
        .size:           96
        .value_kind:     by_value
    .group_segment_fixed_size: 0
    .kernarg_segment_align: 8
    .kernarg_segment_size: 96
    .language:       OpenCL C
    .language_version:
      - 2
      - 0
    .max_flat_workgroup_size: 256
    .name:           _ZN7rocprim17ROCPRIM_400000_NS6detail17trampoline_kernelINS0_14default_configENS1_20scan_config_selectorIfEEZZNS1_9scan_implILNS1_25lookback_scan_determinismE0ELb0ELb0ES3_PKfPffZZZN2at6native31launch_logcumsumexp_cuda_kernelERKNSB_10TensorBaseESF_lENKUlvE_clEvENKUlvE0_clEvEUlffE_fEEDaPvRmT3_T4_T5_mT6_P12ihipStream_tbENKUlT_T0_E_clISt17integral_constantIbLb1EESW_EEDaSR_SS_EUlSR_E_NS1_11comp_targetILNS1_3genE2ELNS1_11target_archE906ELNS1_3gpuE6ELNS1_3repE0EEENS1_30default_config_static_selectorELNS0_4arch9wavefront6targetE0EEEvT1_
    .private_segment_fixed_size: 0
    .sgpr_count:     0
    .sgpr_spill_count: 0
    .symbol:         _ZN7rocprim17ROCPRIM_400000_NS6detail17trampoline_kernelINS0_14default_configENS1_20scan_config_selectorIfEEZZNS1_9scan_implILNS1_25lookback_scan_determinismE0ELb0ELb0ES3_PKfPffZZZN2at6native31launch_logcumsumexp_cuda_kernelERKNSB_10TensorBaseESF_lENKUlvE_clEvENKUlvE0_clEvEUlffE_fEEDaPvRmT3_T4_T5_mT6_P12ihipStream_tbENKUlT_T0_E_clISt17integral_constantIbLb1EESW_EEDaSR_SS_EUlSR_E_NS1_11comp_targetILNS1_3genE2ELNS1_11target_archE906ELNS1_3gpuE6ELNS1_3repE0EEENS1_30default_config_static_selectorELNS0_4arch9wavefront6targetE0EEEvT1_.kd
    .uniform_work_group_size: 1
    .uses_dynamic_stack: false
    .vgpr_count:     0
    .vgpr_spill_count: 0
    .wavefront_size: 32
    .workgroup_processor_mode: 1
  - .args:
      - .offset:         0
        .size:           96
        .value_kind:     by_value
    .group_segment_fixed_size: 0
    .kernarg_segment_align: 8
    .kernarg_segment_size: 96
    .language:       OpenCL C
    .language_version:
      - 2
      - 0
    .max_flat_workgroup_size: 256
    .name:           _ZN7rocprim17ROCPRIM_400000_NS6detail17trampoline_kernelINS0_14default_configENS1_20scan_config_selectorIfEEZZNS1_9scan_implILNS1_25lookback_scan_determinismE0ELb0ELb0ES3_PKfPffZZZN2at6native31launch_logcumsumexp_cuda_kernelERKNSB_10TensorBaseESF_lENKUlvE_clEvENKUlvE0_clEvEUlffE_fEEDaPvRmT3_T4_T5_mT6_P12ihipStream_tbENKUlT_T0_E_clISt17integral_constantIbLb1EESW_EEDaSR_SS_EUlSR_E_NS1_11comp_targetILNS1_3genE10ELNS1_11target_archE1201ELNS1_3gpuE5ELNS1_3repE0EEENS1_30default_config_static_selectorELNS0_4arch9wavefront6targetE0EEEvT1_
    .private_segment_fixed_size: 0
    .sgpr_count:     0
    .sgpr_spill_count: 0
    .symbol:         _ZN7rocprim17ROCPRIM_400000_NS6detail17trampoline_kernelINS0_14default_configENS1_20scan_config_selectorIfEEZZNS1_9scan_implILNS1_25lookback_scan_determinismE0ELb0ELb0ES3_PKfPffZZZN2at6native31launch_logcumsumexp_cuda_kernelERKNSB_10TensorBaseESF_lENKUlvE_clEvENKUlvE0_clEvEUlffE_fEEDaPvRmT3_T4_T5_mT6_P12ihipStream_tbENKUlT_T0_E_clISt17integral_constantIbLb1EESW_EEDaSR_SS_EUlSR_E_NS1_11comp_targetILNS1_3genE10ELNS1_11target_archE1201ELNS1_3gpuE5ELNS1_3repE0EEENS1_30default_config_static_selectorELNS0_4arch9wavefront6targetE0EEEvT1_.kd
    .uniform_work_group_size: 1
    .uses_dynamic_stack: false
    .vgpr_count:     0
    .vgpr_spill_count: 0
    .wavefront_size: 32
    .workgroup_processor_mode: 1
  - .args:
      - .offset:         0
        .size:           96
        .value_kind:     by_value
    .group_segment_fixed_size: 0
    .kernarg_segment_align: 8
    .kernarg_segment_size: 96
    .language:       OpenCL C
    .language_version:
      - 2
      - 0
    .max_flat_workgroup_size: 256
    .name:           _ZN7rocprim17ROCPRIM_400000_NS6detail17trampoline_kernelINS0_14default_configENS1_20scan_config_selectorIfEEZZNS1_9scan_implILNS1_25lookback_scan_determinismE0ELb0ELb0ES3_PKfPffZZZN2at6native31launch_logcumsumexp_cuda_kernelERKNSB_10TensorBaseESF_lENKUlvE_clEvENKUlvE0_clEvEUlffE_fEEDaPvRmT3_T4_T5_mT6_P12ihipStream_tbENKUlT_T0_E_clISt17integral_constantIbLb1EESW_EEDaSR_SS_EUlSR_E_NS1_11comp_targetILNS1_3genE10ELNS1_11target_archE1200ELNS1_3gpuE4ELNS1_3repE0EEENS1_30default_config_static_selectorELNS0_4arch9wavefront6targetE0EEEvT1_
    .private_segment_fixed_size: 0
    .sgpr_count:     0
    .sgpr_spill_count: 0
    .symbol:         _ZN7rocprim17ROCPRIM_400000_NS6detail17trampoline_kernelINS0_14default_configENS1_20scan_config_selectorIfEEZZNS1_9scan_implILNS1_25lookback_scan_determinismE0ELb0ELb0ES3_PKfPffZZZN2at6native31launch_logcumsumexp_cuda_kernelERKNSB_10TensorBaseESF_lENKUlvE_clEvENKUlvE0_clEvEUlffE_fEEDaPvRmT3_T4_T5_mT6_P12ihipStream_tbENKUlT_T0_E_clISt17integral_constantIbLb1EESW_EEDaSR_SS_EUlSR_E_NS1_11comp_targetILNS1_3genE10ELNS1_11target_archE1200ELNS1_3gpuE4ELNS1_3repE0EEENS1_30default_config_static_selectorELNS0_4arch9wavefront6targetE0EEEvT1_.kd
    .uniform_work_group_size: 1
    .uses_dynamic_stack: false
    .vgpr_count:     0
    .vgpr_spill_count: 0
    .wavefront_size: 32
    .workgroup_processor_mode: 1
  - .args:
      - .offset:         0
        .size:           96
        .value_kind:     by_value
    .group_segment_fixed_size: 0
    .kernarg_segment_align: 8
    .kernarg_segment_size: 96
    .language:       OpenCL C
    .language_version:
      - 2
      - 0
    .max_flat_workgroup_size: 256
    .name:           _ZN7rocprim17ROCPRIM_400000_NS6detail17trampoline_kernelINS0_14default_configENS1_20scan_config_selectorIfEEZZNS1_9scan_implILNS1_25lookback_scan_determinismE0ELb0ELb0ES3_PKfPffZZZN2at6native31launch_logcumsumexp_cuda_kernelERKNSB_10TensorBaseESF_lENKUlvE_clEvENKUlvE0_clEvEUlffE_fEEDaPvRmT3_T4_T5_mT6_P12ihipStream_tbENKUlT_T0_E_clISt17integral_constantIbLb1EESW_EEDaSR_SS_EUlSR_E_NS1_11comp_targetILNS1_3genE9ELNS1_11target_archE1100ELNS1_3gpuE3ELNS1_3repE0EEENS1_30default_config_static_selectorELNS0_4arch9wavefront6targetE0EEEvT1_
    .private_segment_fixed_size: 0
    .sgpr_count:     0
    .sgpr_spill_count: 0
    .symbol:         _ZN7rocprim17ROCPRIM_400000_NS6detail17trampoline_kernelINS0_14default_configENS1_20scan_config_selectorIfEEZZNS1_9scan_implILNS1_25lookback_scan_determinismE0ELb0ELb0ES3_PKfPffZZZN2at6native31launch_logcumsumexp_cuda_kernelERKNSB_10TensorBaseESF_lENKUlvE_clEvENKUlvE0_clEvEUlffE_fEEDaPvRmT3_T4_T5_mT6_P12ihipStream_tbENKUlT_T0_E_clISt17integral_constantIbLb1EESW_EEDaSR_SS_EUlSR_E_NS1_11comp_targetILNS1_3genE9ELNS1_11target_archE1100ELNS1_3gpuE3ELNS1_3repE0EEENS1_30default_config_static_selectorELNS0_4arch9wavefront6targetE0EEEvT1_.kd
    .uniform_work_group_size: 1
    .uses_dynamic_stack: false
    .vgpr_count:     0
    .vgpr_spill_count: 0
    .wavefront_size: 32
    .workgroup_processor_mode: 1
  - .args:
      - .offset:         0
        .size:           96
        .value_kind:     by_value
    .group_segment_fixed_size: 0
    .kernarg_segment_align: 8
    .kernarg_segment_size: 96
    .language:       OpenCL C
    .language_version:
      - 2
      - 0
    .max_flat_workgroup_size: 64
    .name:           _ZN7rocprim17ROCPRIM_400000_NS6detail17trampoline_kernelINS0_14default_configENS1_20scan_config_selectorIfEEZZNS1_9scan_implILNS1_25lookback_scan_determinismE0ELb0ELb0ES3_PKfPffZZZN2at6native31launch_logcumsumexp_cuda_kernelERKNSB_10TensorBaseESF_lENKUlvE_clEvENKUlvE0_clEvEUlffE_fEEDaPvRmT3_T4_T5_mT6_P12ihipStream_tbENKUlT_T0_E_clISt17integral_constantIbLb1EESW_EEDaSR_SS_EUlSR_E_NS1_11comp_targetILNS1_3genE8ELNS1_11target_archE1030ELNS1_3gpuE2ELNS1_3repE0EEENS1_30default_config_static_selectorELNS0_4arch9wavefront6targetE0EEEvT1_
    .private_segment_fixed_size: 0
    .sgpr_count:     0
    .sgpr_spill_count: 0
    .symbol:         _ZN7rocprim17ROCPRIM_400000_NS6detail17trampoline_kernelINS0_14default_configENS1_20scan_config_selectorIfEEZZNS1_9scan_implILNS1_25lookback_scan_determinismE0ELb0ELb0ES3_PKfPffZZZN2at6native31launch_logcumsumexp_cuda_kernelERKNSB_10TensorBaseESF_lENKUlvE_clEvENKUlvE0_clEvEUlffE_fEEDaPvRmT3_T4_T5_mT6_P12ihipStream_tbENKUlT_T0_E_clISt17integral_constantIbLb1EESW_EEDaSR_SS_EUlSR_E_NS1_11comp_targetILNS1_3genE8ELNS1_11target_archE1030ELNS1_3gpuE2ELNS1_3repE0EEENS1_30default_config_static_selectorELNS0_4arch9wavefront6targetE0EEEvT1_.kd
    .uniform_work_group_size: 1
    .uses_dynamic_stack: false
    .vgpr_count:     0
    .vgpr_spill_count: 0
    .wavefront_size: 32
    .workgroup_processor_mode: 1
  - .args:
      - .offset:         0
        .size:           32
        .value_kind:     by_value
    .group_segment_fixed_size: 0
    .kernarg_segment_align: 8
    .kernarg_segment_size: 32
    .language:       OpenCL C
    .language_version:
      - 2
      - 0
    .max_flat_workgroup_size: 256
    .name:           _ZN7rocprim17ROCPRIM_400000_NS6detail17trampoline_kernelINS0_14default_configENS1_20scan_config_selectorIfEEZZNS1_9scan_implILNS1_25lookback_scan_determinismE0ELb0ELb0ES3_PKfPffZZZN2at6native31launch_logcumsumexp_cuda_kernelERKNSB_10TensorBaseESF_lENKUlvE_clEvENKUlvE0_clEvEUlffE_fEEDaPvRmT3_T4_T5_mT6_P12ihipStream_tbENKUlT_T0_E_clISt17integral_constantIbLb1EESW_EEDaSR_SS_EUlSR_E0_NS1_11comp_targetILNS1_3genE0ELNS1_11target_archE4294967295ELNS1_3gpuE0ELNS1_3repE0EEENS1_30default_config_static_selectorELNS0_4arch9wavefront6targetE0EEEvT1_
    .private_segment_fixed_size: 0
    .sgpr_count:     0
    .sgpr_spill_count: 0
    .symbol:         _ZN7rocprim17ROCPRIM_400000_NS6detail17trampoline_kernelINS0_14default_configENS1_20scan_config_selectorIfEEZZNS1_9scan_implILNS1_25lookback_scan_determinismE0ELb0ELb0ES3_PKfPffZZZN2at6native31launch_logcumsumexp_cuda_kernelERKNSB_10TensorBaseESF_lENKUlvE_clEvENKUlvE0_clEvEUlffE_fEEDaPvRmT3_T4_T5_mT6_P12ihipStream_tbENKUlT_T0_E_clISt17integral_constantIbLb1EESW_EEDaSR_SS_EUlSR_E0_NS1_11comp_targetILNS1_3genE0ELNS1_11target_archE4294967295ELNS1_3gpuE0ELNS1_3repE0EEENS1_30default_config_static_selectorELNS0_4arch9wavefront6targetE0EEEvT1_.kd
    .uniform_work_group_size: 1
    .uses_dynamic_stack: false
    .vgpr_count:     0
    .vgpr_spill_count: 0
    .wavefront_size: 32
    .workgroup_processor_mode: 1
  - .args:
      - .offset:         0
        .size:           32
        .value_kind:     by_value
    .group_segment_fixed_size: 0
    .kernarg_segment_align: 8
    .kernarg_segment_size: 32
    .language:       OpenCL C
    .language_version:
      - 2
      - 0
    .max_flat_workgroup_size: 256
    .name:           _ZN7rocprim17ROCPRIM_400000_NS6detail17trampoline_kernelINS0_14default_configENS1_20scan_config_selectorIfEEZZNS1_9scan_implILNS1_25lookback_scan_determinismE0ELb0ELb0ES3_PKfPffZZZN2at6native31launch_logcumsumexp_cuda_kernelERKNSB_10TensorBaseESF_lENKUlvE_clEvENKUlvE0_clEvEUlffE_fEEDaPvRmT3_T4_T5_mT6_P12ihipStream_tbENKUlT_T0_E_clISt17integral_constantIbLb1EESW_EEDaSR_SS_EUlSR_E0_NS1_11comp_targetILNS1_3genE5ELNS1_11target_archE942ELNS1_3gpuE9ELNS1_3repE0EEENS1_30default_config_static_selectorELNS0_4arch9wavefront6targetE0EEEvT1_
    .private_segment_fixed_size: 0
    .sgpr_count:     0
    .sgpr_spill_count: 0
    .symbol:         _ZN7rocprim17ROCPRIM_400000_NS6detail17trampoline_kernelINS0_14default_configENS1_20scan_config_selectorIfEEZZNS1_9scan_implILNS1_25lookback_scan_determinismE0ELb0ELb0ES3_PKfPffZZZN2at6native31launch_logcumsumexp_cuda_kernelERKNSB_10TensorBaseESF_lENKUlvE_clEvENKUlvE0_clEvEUlffE_fEEDaPvRmT3_T4_T5_mT6_P12ihipStream_tbENKUlT_T0_E_clISt17integral_constantIbLb1EESW_EEDaSR_SS_EUlSR_E0_NS1_11comp_targetILNS1_3genE5ELNS1_11target_archE942ELNS1_3gpuE9ELNS1_3repE0EEENS1_30default_config_static_selectorELNS0_4arch9wavefront6targetE0EEEvT1_.kd
    .uniform_work_group_size: 1
    .uses_dynamic_stack: false
    .vgpr_count:     0
    .vgpr_spill_count: 0
    .wavefront_size: 32
    .workgroup_processor_mode: 1
  - .args:
      - .offset:         0
        .size:           32
        .value_kind:     by_value
    .group_segment_fixed_size: 0
    .kernarg_segment_align: 8
    .kernarg_segment_size: 32
    .language:       OpenCL C
    .language_version:
      - 2
      - 0
    .max_flat_workgroup_size: 128
    .name:           _ZN7rocprim17ROCPRIM_400000_NS6detail17trampoline_kernelINS0_14default_configENS1_20scan_config_selectorIfEEZZNS1_9scan_implILNS1_25lookback_scan_determinismE0ELb0ELb0ES3_PKfPffZZZN2at6native31launch_logcumsumexp_cuda_kernelERKNSB_10TensorBaseESF_lENKUlvE_clEvENKUlvE0_clEvEUlffE_fEEDaPvRmT3_T4_T5_mT6_P12ihipStream_tbENKUlT_T0_E_clISt17integral_constantIbLb1EESW_EEDaSR_SS_EUlSR_E0_NS1_11comp_targetILNS1_3genE4ELNS1_11target_archE910ELNS1_3gpuE8ELNS1_3repE0EEENS1_30default_config_static_selectorELNS0_4arch9wavefront6targetE0EEEvT1_
    .private_segment_fixed_size: 0
    .sgpr_count:     0
    .sgpr_spill_count: 0
    .symbol:         _ZN7rocprim17ROCPRIM_400000_NS6detail17trampoline_kernelINS0_14default_configENS1_20scan_config_selectorIfEEZZNS1_9scan_implILNS1_25lookback_scan_determinismE0ELb0ELb0ES3_PKfPffZZZN2at6native31launch_logcumsumexp_cuda_kernelERKNSB_10TensorBaseESF_lENKUlvE_clEvENKUlvE0_clEvEUlffE_fEEDaPvRmT3_T4_T5_mT6_P12ihipStream_tbENKUlT_T0_E_clISt17integral_constantIbLb1EESW_EEDaSR_SS_EUlSR_E0_NS1_11comp_targetILNS1_3genE4ELNS1_11target_archE910ELNS1_3gpuE8ELNS1_3repE0EEENS1_30default_config_static_selectorELNS0_4arch9wavefront6targetE0EEEvT1_.kd
    .uniform_work_group_size: 1
    .uses_dynamic_stack: false
    .vgpr_count:     0
    .vgpr_spill_count: 0
    .wavefront_size: 32
    .workgroup_processor_mode: 1
  - .args:
      - .offset:         0
        .size:           32
        .value_kind:     by_value
    .group_segment_fixed_size: 0
    .kernarg_segment_align: 8
    .kernarg_segment_size: 32
    .language:       OpenCL C
    .language_version:
      - 2
      - 0
    .max_flat_workgroup_size: 256
    .name:           _ZN7rocprim17ROCPRIM_400000_NS6detail17trampoline_kernelINS0_14default_configENS1_20scan_config_selectorIfEEZZNS1_9scan_implILNS1_25lookback_scan_determinismE0ELb0ELb0ES3_PKfPffZZZN2at6native31launch_logcumsumexp_cuda_kernelERKNSB_10TensorBaseESF_lENKUlvE_clEvENKUlvE0_clEvEUlffE_fEEDaPvRmT3_T4_T5_mT6_P12ihipStream_tbENKUlT_T0_E_clISt17integral_constantIbLb1EESW_EEDaSR_SS_EUlSR_E0_NS1_11comp_targetILNS1_3genE3ELNS1_11target_archE908ELNS1_3gpuE7ELNS1_3repE0EEENS1_30default_config_static_selectorELNS0_4arch9wavefront6targetE0EEEvT1_
    .private_segment_fixed_size: 0
    .sgpr_count:     0
    .sgpr_spill_count: 0
    .symbol:         _ZN7rocprim17ROCPRIM_400000_NS6detail17trampoline_kernelINS0_14default_configENS1_20scan_config_selectorIfEEZZNS1_9scan_implILNS1_25lookback_scan_determinismE0ELb0ELb0ES3_PKfPffZZZN2at6native31launch_logcumsumexp_cuda_kernelERKNSB_10TensorBaseESF_lENKUlvE_clEvENKUlvE0_clEvEUlffE_fEEDaPvRmT3_T4_T5_mT6_P12ihipStream_tbENKUlT_T0_E_clISt17integral_constantIbLb1EESW_EEDaSR_SS_EUlSR_E0_NS1_11comp_targetILNS1_3genE3ELNS1_11target_archE908ELNS1_3gpuE7ELNS1_3repE0EEENS1_30default_config_static_selectorELNS0_4arch9wavefront6targetE0EEEvT1_.kd
    .uniform_work_group_size: 1
    .uses_dynamic_stack: false
    .vgpr_count:     0
    .vgpr_spill_count: 0
    .wavefront_size: 32
    .workgroup_processor_mode: 1
  - .args:
      - .offset:         0
        .size:           32
        .value_kind:     by_value
    .group_segment_fixed_size: 0
    .kernarg_segment_align: 8
    .kernarg_segment_size: 32
    .language:       OpenCL C
    .language_version:
      - 2
      - 0
    .max_flat_workgroup_size: 256
    .name:           _ZN7rocprim17ROCPRIM_400000_NS6detail17trampoline_kernelINS0_14default_configENS1_20scan_config_selectorIfEEZZNS1_9scan_implILNS1_25lookback_scan_determinismE0ELb0ELb0ES3_PKfPffZZZN2at6native31launch_logcumsumexp_cuda_kernelERKNSB_10TensorBaseESF_lENKUlvE_clEvENKUlvE0_clEvEUlffE_fEEDaPvRmT3_T4_T5_mT6_P12ihipStream_tbENKUlT_T0_E_clISt17integral_constantIbLb1EESW_EEDaSR_SS_EUlSR_E0_NS1_11comp_targetILNS1_3genE2ELNS1_11target_archE906ELNS1_3gpuE6ELNS1_3repE0EEENS1_30default_config_static_selectorELNS0_4arch9wavefront6targetE0EEEvT1_
    .private_segment_fixed_size: 0
    .sgpr_count:     0
    .sgpr_spill_count: 0
    .symbol:         _ZN7rocprim17ROCPRIM_400000_NS6detail17trampoline_kernelINS0_14default_configENS1_20scan_config_selectorIfEEZZNS1_9scan_implILNS1_25lookback_scan_determinismE0ELb0ELb0ES3_PKfPffZZZN2at6native31launch_logcumsumexp_cuda_kernelERKNSB_10TensorBaseESF_lENKUlvE_clEvENKUlvE0_clEvEUlffE_fEEDaPvRmT3_T4_T5_mT6_P12ihipStream_tbENKUlT_T0_E_clISt17integral_constantIbLb1EESW_EEDaSR_SS_EUlSR_E0_NS1_11comp_targetILNS1_3genE2ELNS1_11target_archE906ELNS1_3gpuE6ELNS1_3repE0EEENS1_30default_config_static_selectorELNS0_4arch9wavefront6targetE0EEEvT1_.kd
    .uniform_work_group_size: 1
    .uses_dynamic_stack: false
    .vgpr_count:     0
    .vgpr_spill_count: 0
    .wavefront_size: 32
    .workgroup_processor_mode: 1
  - .args:
      - .offset:         0
        .size:           32
        .value_kind:     by_value
    .group_segment_fixed_size: 6144
    .kernarg_segment_align: 8
    .kernarg_segment_size: 32
    .language:       OpenCL C
    .language_version:
      - 2
      - 0
    .max_flat_workgroup_size: 256
    .name:           _ZN7rocprim17ROCPRIM_400000_NS6detail17trampoline_kernelINS0_14default_configENS1_20scan_config_selectorIfEEZZNS1_9scan_implILNS1_25lookback_scan_determinismE0ELb0ELb0ES3_PKfPffZZZN2at6native31launch_logcumsumexp_cuda_kernelERKNSB_10TensorBaseESF_lENKUlvE_clEvENKUlvE0_clEvEUlffE_fEEDaPvRmT3_T4_T5_mT6_P12ihipStream_tbENKUlT_T0_E_clISt17integral_constantIbLb1EESW_EEDaSR_SS_EUlSR_E0_NS1_11comp_targetILNS1_3genE10ELNS1_11target_archE1201ELNS1_3gpuE5ELNS1_3repE0EEENS1_30default_config_static_selectorELNS0_4arch9wavefront6targetE0EEEvT1_
    .private_segment_fixed_size: 0
    .sgpr_count:     19
    .sgpr_spill_count: 0
    .symbol:         _ZN7rocprim17ROCPRIM_400000_NS6detail17trampoline_kernelINS0_14default_configENS1_20scan_config_selectorIfEEZZNS1_9scan_implILNS1_25lookback_scan_determinismE0ELb0ELb0ES3_PKfPffZZZN2at6native31launch_logcumsumexp_cuda_kernelERKNSB_10TensorBaseESF_lENKUlvE_clEvENKUlvE0_clEvEUlffE_fEEDaPvRmT3_T4_T5_mT6_P12ihipStream_tbENKUlT_T0_E_clISt17integral_constantIbLb1EESW_EEDaSR_SS_EUlSR_E0_NS1_11comp_targetILNS1_3genE10ELNS1_11target_archE1201ELNS1_3gpuE5ELNS1_3repE0EEENS1_30default_config_static_selectorELNS0_4arch9wavefront6targetE0EEEvT1_.kd
    .uniform_work_group_size: 1
    .uses_dynamic_stack: false
    .vgpr_count:     35
    .vgpr_spill_count: 0
    .wavefront_size: 32
    .workgroup_processor_mode: 1
  - .args:
      - .offset:         0
        .size:           32
        .value_kind:     by_value
    .group_segment_fixed_size: 0
    .kernarg_segment_align: 8
    .kernarg_segment_size: 32
    .language:       OpenCL C
    .language_version:
      - 2
      - 0
    .max_flat_workgroup_size: 256
    .name:           _ZN7rocprim17ROCPRIM_400000_NS6detail17trampoline_kernelINS0_14default_configENS1_20scan_config_selectorIfEEZZNS1_9scan_implILNS1_25lookback_scan_determinismE0ELb0ELb0ES3_PKfPffZZZN2at6native31launch_logcumsumexp_cuda_kernelERKNSB_10TensorBaseESF_lENKUlvE_clEvENKUlvE0_clEvEUlffE_fEEDaPvRmT3_T4_T5_mT6_P12ihipStream_tbENKUlT_T0_E_clISt17integral_constantIbLb1EESW_EEDaSR_SS_EUlSR_E0_NS1_11comp_targetILNS1_3genE10ELNS1_11target_archE1200ELNS1_3gpuE4ELNS1_3repE0EEENS1_30default_config_static_selectorELNS0_4arch9wavefront6targetE0EEEvT1_
    .private_segment_fixed_size: 0
    .sgpr_count:     0
    .sgpr_spill_count: 0
    .symbol:         _ZN7rocprim17ROCPRIM_400000_NS6detail17trampoline_kernelINS0_14default_configENS1_20scan_config_selectorIfEEZZNS1_9scan_implILNS1_25lookback_scan_determinismE0ELb0ELb0ES3_PKfPffZZZN2at6native31launch_logcumsumexp_cuda_kernelERKNSB_10TensorBaseESF_lENKUlvE_clEvENKUlvE0_clEvEUlffE_fEEDaPvRmT3_T4_T5_mT6_P12ihipStream_tbENKUlT_T0_E_clISt17integral_constantIbLb1EESW_EEDaSR_SS_EUlSR_E0_NS1_11comp_targetILNS1_3genE10ELNS1_11target_archE1200ELNS1_3gpuE4ELNS1_3repE0EEENS1_30default_config_static_selectorELNS0_4arch9wavefront6targetE0EEEvT1_.kd
    .uniform_work_group_size: 1
    .uses_dynamic_stack: false
    .vgpr_count:     0
    .vgpr_spill_count: 0
    .wavefront_size: 32
    .workgroup_processor_mode: 1
  - .args:
      - .offset:         0
        .size:           32
        .value_kind:     by_value
    .group_segment_fixed_size: 0
    .kernarg_segment_align: 8
    .kernarg_segment_size: 32
    .language:       OpenCL C
    .language_version:
      - 2
      - 0
    .max_flat_workgroup_size: 256
    .name:           _ZN7rocprim17ROCPRIM_400000_NS6detail17trampoline_kernelINS0_14default_configENS1_20scan_config_selectorIfEEZZNS1_9scan_implILNS1_25lookback_scan_determinismE0ELb0ELb0ES3_PKfPffZZZN2at6native31launch_logcumsumexp_cuda_kernelERKNSB_10TensorBaseESF_lENKUlvE_clEvENKUlvE0_clEvEUlffE_fEEDaPvRmT3_T4_T5_mT6_P12ihipStream_tbENKUlT_T0_E_clISt17integral_constantIbLb1EESW_EEDaSR_SS_EUlSR_E0_NS1_11comp_targetILNS1_3genE9ELNS1_11target_archE1100ELNS1_3gpuE3ELNS1_3repE0EEENS1_30default_config_static_selectorELNS0_4arch9wavefront6targetE0EEEvT1_
    .private_segment_fixed_size: 0
    .sgpr_count:     0
    .sgpr_spill_count: 0
    .symbol:         _ZN7rocprim17ROCPRIM_400000_NS6detail17trampoline_kernelINS0_14default_configENS1_20scan_config_selectorIfEEZZNS1_9scan_implILNS1_25lookback_scan_determinismE0ELb0ELb0ES3_PKfPffZZZN2at6native31launch_logcumsumexp_cuda_kernelERKNSB_10TensorBaseESF_lENKUlvE_clEvENKUlvE0_clEvEUlffE_fEEDaPvRmT3_T4_T5_mT6_P12ihipStream_tbENKUlT_T0_E_clISt17integral_constantIbLb1EESW_EEDaSR_SS_EUlSR_E0_NS1_11comp_targetILNS1_3genE9ELNS1_11target_archE1100ELNS1_3gpuE3ELNS1_3repE0EEENS1_30default_config_static_selectorELNS0_4arch9wavefront6targetE0EEEvT1_.kd
    .uniform_work_group_size: 1
    .uses_dynamic_stack: false
    .vgpr_count:     0
    .vgpr_spill_count: 0
    .wavefront_size: 32
    .workgroup_processor_mode: 1
  - .args:
      - .offset:         0
        .size:           32
        .value_kind:     by_value
    .group_segment_fixed_size: 0
    .kernarg_segment_align: 8
    .kernarg_segment_size: 32
    .language:       OpenCL C
    .language_version:
      - 2
      - 0
    .max_flat_workgroup_size: 64
    .name:           _ZN7rocprim17ROCPRIM_400000_NS6detail17trampoline_kernelINS0_14default_configENS1_20scan_config_selectorIfEEZZNS1_9scan_implILNS1_25lookback_scan_determinismE0ELb0ELb0ES3_PKfPffZZZN2at6native31launch_logcumsumexp_cuda_kernelERKNSB_10TensorBaseESF_lENKUlvE_clEvENKUlvE0_clEvEUlffE_fEEDaPvRmT3_T4_T5_mT6_P12ihipStream_tbENKUlT_T0_E_clISt17integral_constantIbLb1EESW_EEDaSR_SS_EUlSR_E0_NS1_11comp_targetILNS1_3genE8ELNS1_11target_archE1030ELNS1_3gpuE2ELNS1_3repE0EEENS1_30default_config_static_selectorELNS0_4arch9wavefront6targetE0EEEvT1_
    .private_segment_fixed_size: 0
    .sgpr_count:     0
    .sgpr_spill_count: 0
    .symbol:         _ZN7rocprim17ROCPRIM_400000_NS6detail17trampoline_kernelINS0_14default_configENS1_20scan_config_selectorIfEEZZNS1_9scan_implILNS1_25lookback_scan_determinismE0ELb0ELb0ES3_PKfPffZZZN2at6native31launch_logcumsumexp_cuda_kernelERKNSB_10TensorBaseESF_lENKUlvE_clEvENKUlvE0_clEvEUlffE_fEEDaPvRmT3_T4_T5_mT6_P12ihipStream_tbENKUlT_T0_E_clISt17integral_constantIbLb1EESW_EEDaSR_SS_EUlSR_E0_NS1_11comp_targetILNS1_3genE8ELNS1_11target_archE1030ELNS1_3gpuE2ELNS1_3repE0EEENS1_30default_config_static_selectorELNS0_4arch9wavefront6targetE0EEEvT1_.kd
    .uniform_work_group_size: 1
    .uses_dynamic_stack: false
    .vgpr_count:     0
    .vgpr_spill_count: 0
    .wavefront_size: 32
    .workgroup_processor_mode: 1
  - .args:
      - .address_space:  global
        .offset:         0
        .size:           8
        .value_kind:     global_buffer
      - .offset:         8
        .size:           4
        .value_kind:     by_value
      - .offset:         12
        .size:           1
        .value_kind:     by_value
      - .offset:         16
        .size:           4
        .value_kind:     by_value
      - .address_space:  global
        .offset:         24
        .size:           8
        .value_kind:     global_buffer
      - .offset:         32
        .size:           4
        .value_kind:     hidden_block_count_x
      - .offset:         36
        .size:           4
        .value_kind:     hidden_block_count_y
      - .offset:         40
        .size:           4
        .value_kind:     hidden_block_count_z
      - .offset:         44
        .size:           2
        .value_kind:     hidden_group_size_x
      - .offset:         46
        .size:           2
        .value_kind:     hidden_group_size_y
      - .offset:         48
        .size:           2
        .value_kind:     hidden_group_size_z
      - .offset:         50
        .size:           2
        .value_kind:     hidden_remainder_x
      - .offset:         52
        .size:           2
        .value_kind:     hidden_remainder_y
      - .offset:         54
        .size:           2
        .value_kind:     hidden_remainder_z
      - .offset:         72
        .size:           8
        .value_kind:     hidden_global_offset_x
      - .offset:         80
        .size:           8
        .value_kind:     hidden_global_offset_y
      - .offset:         88
        .size:           8
        .value_kind:     hidden_global_offset_z
      - .offset:         96
        .size:           2
        .value_kind:     hidden_grid_dims
    .group_segment_fixed_size: 0
    .kernarg_segment_align: 8
    .kernarg_segment_size: 288
    .language:       OpenCL C
    .language_version:
      - 2
      - 0
    .max_flat_workgroup_size: 256
    .name:           _ZN7rocprim17ROCPRIM_400000_NS6detail31init_lookback_scan_state_kernelINS1_19lookback_scan_stateIfLb1ELb1EEENS1_16block_id_wrapperIjLb0EEEEEvT_jT0_jPNS7_10value_typeE
    .private_segment_fixed_size: 0
    .sgpr_count:     12
    .sgpr_spill_count: 0
    .symbol:         _ZN7rocprim17ROCPRIM_400000_NS6detail31init_lookback_scan_state_kernelINS1_19lookback_scan_stateIfLb1ELb1EEENS1_16block_id_wrapperIjLb0EEEEEvT_jT0_jPNS7_10value_typeE.kd
    .uniform_work_group_size: 1
    .uses_dynamic_stack: false
    .vgpr_count:     7
    .vgpr_spill_count: 0
    .wavefront_size: 32
    .workgroup_processor_mode: 1
  - .args:
      - .offset:         0
        .size:           96
        .value_kind:     by_value
    .group_segment_fixed_size: 0
    .kernarg_segment_align: 8
    .kernarg_segment_size: 96
    .language:       OpenCL C
    .language_version:
      - 2
      - 0
    .max_flat_workgroup_size: 256
    .name:           _ZN7rocprim17ROCPRIM_400000_NS6detail17trampoline_kernelINS0_14default_configENS1_20scan_config_selectorIfEEZZNS1_9scan_implILNS1_25lookback_scan_determinismE0ELb0ELb0ES3_PKfPffZZZN2at6native31launch_logcumsumexp_cuda_kernelERKNSB_10TensorBaseESF_lENKUlvE_clEvENKUlvE0_clEvEUlffE_fEEDaPvRmT3_T4_T5_mT6_P12ihipStream_tbENKUlT_T0_E_clISt17integral_constantIbLb1EESV_IbLb0EEEEDaSR_SS_EUlSR_E_NS1_11comp_targetILNS1_3genE0ELNS1_11target_archE4294967295ELNS1_3gpuE0ELNS1_3repE0EEENS1_30default_config_static_selectorELNS0_4arch9wavefront6targetE0EEEvT1_
    .private_segment_fixed_size: 0
    .sgpr_count:     0
    .sgpr_spill_count: 0
    .symbol:         _ZN7rocprim17ROCPRIM_400000_NS6detail17trampoline_kernelINS0_14default_configENS1_20scan_config_selectorIfEEZZNS1_9scan_implILNS1_25lookback_scan_determinismE0ELb0ELb0ES3_PKfPffZZZN2at6native31launch_logcumsumexp_cuda_kernelERKNSB_10TensorBaseESF_lENKUlvE_clEvENKUlvE0_clEvEUlffE_fEEDaPvRmT3_T4_T5_mT6_P12ihipStream_tbENKUlT_T0_E_clISt17integral_constantIbLb1EESV_IbLb0EEEEDaSR_SS_EUlSR_E_NS1_11comp_targetILNS1_3genE0ELNS1_11target_archE4294967295ELNS1_3gpuE0ELNS1_3repE0EEENS1_30default_config_static_selectorELNS0_4arch9wavefront6targetE0EEEvT1_.kd
    .uniform_work_group_size: 1
    .uses_dynamic_stack: false
    .vgpr_count:     0
    .vgpr_spill_count: 0
    .wavefront_size: 32
    .workgroup_processor_mode: 1
  - .args:
      - .offset:         0
        .size:           96
        .value_kind:     by_value
    .group_segment_fixed_size: 0
    .kernarg_segment_align: 8
    .kernarg_segment_size: 96
    .language:       OpenCL C
    .language_version:
      - 2
      - 0
    .max_flat_workgroup_size: 256
    .name:           _ZN7rocprim17ROCPRIM_400000_NS6detail17trampoline_kernelINS0_14default_configENS1_20scan_config_selectorIfEEZZNS1_9scan_implILNS1_25lookback_scan_determinismE0ELb0ELb0ES3_PKfPffZZZN2at6native31launch_logcumsumexp_cuda_kernelERKNSB_10TensorBaseESF_lENKUlvE_clEvENKUlvE0_clEvEUlffE_fEEDaPvRmT3_T4_T5_mT6_P12ihipStream_tbENKUlT_T0_E_clISt17integral_constantIbLb1EESV_IbLb0EEEEDaSR_SS_EUlSR_E_NS1_11comp_targetILNS1_3genE5ELNS1_11target_archE942ELNS1_3gpuE9ELNS1_3repE0EEENS1_30default_config_static_selectorELNS0_4arch9wavefront6targetE0EEEvT1_
    .private_segment_fixed_size: 0
    .sgpr_count:     0
    .sgpr_spill_count: 0
    .symbol:         _ZN7rocprim17ROCPRIM_400000_NS6detail17trampoline_kernelINS0_14default_configENS1_20scan_config_selectorIfEEZZNS1_9scan_implILNS1_25lookback_scan_determinismE0ELb0ELb0ES3_PKfPffZZZN2at6native31launch_logcumsumexp_cuda_kernelERKNSB_10TensorBaseESF_lENKUlvE_clEvENKUlvE0_clEvEUlffE_fEEDaPvRmT3_T4_T5_mT6_P12ihipStream_tbENKUlT_T0_E_clISt17integral_constantIbLb1EESV_IbLb0EEEEDaSR_SS_EUlSR_E_NS1_11comp_targetILNS1_3genE5ELNS1_11target_archE942ELNS1_3gpuE9ELNS1_3repE0EEENS1_30default_config_static_selectorELNS0_4arch9wavefront6targetE0EEEvT1_.kd
    .uniform_work_group_size: 1
    .uses_dynamic_stack: false
    .vgpr_count:     0
    .vgpr_spill_count: 0
    .wavefront_size: 32
    .workgroup_processor_mode: 1
  - .args:
      - .offset:         0
        .size:           96
        .value_kind:     by_value
    .group_segment_fixed_size: 0
    .kernarg_segment_align: 8
    .kernarg_segment_size: 96
    .language:       OpenCL C
    .language_version:
      - 2
      - 0
    .max_flat_workgroup_size: 128
    .name:           _ZN7rocprim17ROCPRIM_400000_NS6detail17trampoline_kernelINS0_14default_configENS1_20scan_config_selectorIfEEZZNS1_9scan_implILNS1_25lookback_scan_determinismE0ELb0ELb0ES3_PKfPffZZZN2at6native31launch_logcumsumexp_cuda_kernelERKNSB_10TensorBaseESF_lENKUlvE_clEvENKUlvE0_clEvEUlffE_fEEDaPvRmT3_T4_T5_mT6_P12ihipStream_tbENKUlT_T0_E_clISt17integral_constantIbLb1EESV_IbLb0EEEEDaSR_SS_EUlSR_E_NS1_11comp_targetILNS1_3genE4ELNS1_11target_archE910ELNS1_3gpuE8ELNS1_3repE0EEENS1_30default_config_static_selectorELNS0_4arch9wavefront6targetE0EEEvT1_
    .private_segment_fixed_size: 0
    .sgpr_count:     0
    .sgpr_spill_count: 0
    .symbol:         _ZN7rocprim17ROCPRIM_400000_NS6detail17trampoline_kernelINS0_14default_configENS1_20scan_config_selectorIfEEZZNS1_9scan_implILNS1_25lookback_scan_determinismE0ELb0ELb0ES3_PKfPffZZZN2at6native31launch_logcumsumexp_cuda_kernelERKNSB_10TensorBaseESF_lENKUlvE_clEvENKUlvE0_clEvEUlffE_fEEDaPvRmT3_T4_T5_mT6_P12ihipStream_tbENKUlT_T0_E_clISt17integral_constantIbLb1EESV_IbLb0EEEEDaSR_SS_EUlSR_E_NS1_11comp_targetILNS1_3genE4ELNS1_11target_archE910ELNS1_3gpuE8ELNS1_3repE0EEENS1_30default_config_static_selectorELNS0_4arch9wavefront6targetE0EEEvT1_.kd
    .uniform_work_group_size: 1
    .uses_dynamic_stack: false
    .vgpr_count:     0
    .vgpr_spill_count: 0
    .wavefront_size: 32
    .workgroup_processor_mode: 1
  - .args:
      - .offset:         0
        .size:           96
        .value_kind:     by_value
    .group_segment_fixed_size: 0
    .kernarg_segment_align: 8
    .kernarg_segment_size: 96
    .language:       OpenCL C
    .language_version:
      - 2
      - 0
    .max_flat_workgroup_size: 256
    .name:           _ZN7rocprim17ROCPRIM_400000_NS6detail17trampoline_kernelINS0_14default_configENS1_20scan_config_selectorIfEEZZNS1_9scan_implILNS1_25lookback_scan_determinismE0ELb0ELb0ES3_PKfPffZZZN2at6native31launch_logcumsumexp_cuda_kernelERKNSB_10TensorBaseESF_lENKUlvE_clEvENKUlvE0_clEvEUlffE_fEEDaPvRmT3_T4_T5_mT6_P12ihipStream_tbENKUlT_T0_E_clISt17integral_constantIbLb1EESV_IbLb0EEEEDaSR_SS_EUlSR_E_NS1_11comp_targetILNS1_3genE3ELNS1_11target_archE908ELNS1_3gpuE7ELNS1_3repE0EEENS1_30default_config_static_selectorELNS0_4arch9wavefront6targetE0EEEvT1_
    .private_segment_fixed_size: 0
    .sgpr_count:     0
    .sgpr_spill_count: 0
    .symbol:         _ZN7rocprim17ROCPRIM_400000_NS6detail17trampoline_kernelINS0_14default_configENS1_20scan_config_selectorIfEEZZNS1_9scan_implILNS1_25lookback_scan_determinismE0ELb0ELb0ES3_PKfPffZZZN2at6native31launch_logcumsumexp_cuda_kernelERKNSB_10TensorBaseESF_lENKUlvE_clEvENKUlvE0_clEvEUlffE_fEEDaPvRmT3_T4_T5_mT6_P12ihipStream_tbENKUlT_T0_E_clISt17integral_constantIbLb1EESV_IbLb0EEEEDaSR_SS_EUlSR_E_NS1_11comp_targetILNS1_3genE3ELNS1_11target_archE908ELNS1_3gpuE7ELNS1_3repE0EEENS1_30default_config_static_selectorELNS0_4arch9wavefront6targetE0EEEvT1_.kd
    .uniform_work_group_size: 1
    .uses_dynamic_stack: false
    .vgpr_count:     0
    .vgpr_spill_count: 0
    .wavefront_size: 32
    .workgroup_processor_mode: 1
  - .args:
      - .offset:         0
        .size:           96
        .value_kind:     by_value
    .group_segment_fixed_size: 0
    .kernarg_segment_align: 8
    .kernarg_segment_size: 96
    .language:       OpenCL C
    .language_version:
      - 2
      - 0
    .max_flat_workgroup_size: 256
    .name:           _ZN7rocprim17ROCPRIM_400000_NS6detail17trampoline_kernelINS0_14default_configENS1_20scan_config_selectorIfEEZZNS1_9scan_implILNS1_25lookback_scan_determinismE0ELb0ELb0ES3_PKfPffZZZN2at6native31launch_logcumsumexp_cuda_kernelERKNSB_10TensorBaseESF_lENKUlvE_clEvENKUlvE0_clEvEUlffE_fEEDaPvRmT3_T4_T5_mT6_P12ihipStream_tbENKUlT_T0_E_clISt17integral_constantIbLb1EESV_IbLb0EEEEDaSR_SS_EUlSR_E_NS1_11comp_targetILNS1_3genE2ELNS1_11target_archE906ELNS1_3gpuE6ELNS1_3repE0EEENS1_30default_config_static_selectorELNS0_4arch9wavefront6targetE0EEEvT1_
    .private_segment_fixed_size: 0
    .sgpr_count:     0
    .sgpr_spill_count: 0
    .symbol:         _ZN7rocprim17ROCPRIM_400000_NS6detail17trampoline_kernelINS0_14default_configENS1_20scan_config_selectorIfEEZZNS1_9scan_implILNS1_25lookback_scan_determinismE0ELb0ELb0ES3_PKfPffZZZN2at6native31launch_logcumsumexp_cuda_kernelERKNSB_10TensorBaseESF_lENKUlvE_clEvENKUlvE0_clEvEUlffE_fEEDaPvRmT3_T4_T5_mT6_P12ihipStream_tbENKUlT_T0_E_clISt17integral_constantIbLb1EESV_IbLb0EEEEDaSR_SS_EUlSR_E_NS1_11comp_targetILNS1_3genE2ELNS1_11target_archE906ELNS1_3gpuE6ELNS1_3repE0EEENS1_30default_config_static_selectorELNS0_4arch9wavefront6targetE0EEEvT1_.kd
    .uniform_work_group_size: 1
    .uses_dynamic_stack: false
    .vgpr_count:     0
    .vgpr_spill_count: 0
    .wavefront_size: 32
    .workgroup_processor_mode: 1
  - .args:
      - .offset:         0
        .size:           96
        .value_kind:     by_value
    .group_segment_fixed_size: 0
    .kernarg_segment_align: 8
    .kernarg_segment_size: 96
    .language:       OpenCL C
    .language_version:
      - 2
      - 0
    .max_flat_workgroup_size: 256
    .name:           _ZN7rocprim17ROCPRIM_400000_NS6detail17trampoline_kernelINS0_14default_configENS1_20scan_config_selectorIfEEZZNS1_9scan_implILNS1_25lookback_scan_determinismE0ELb0ELb0ES3_PKfPffZZZN2at6native31launch_logcumsumexp_cuda_kernelERKNSB_10TensorBaseESF_lENKUlvE_clEvENKUlvE0_clEvEUlffE_fEEDaPvRmT3_T4_T5_mT6_P12ihipStream_tbENKUlT_T0_E_clISt17integral_constantIbLb1EESV_IbLb0EEEEDaSR_SS_EUlSR_E_NS1_11comp_targetILNS1_3genE10ELNS1_11target_archE1201ELNS1_3gpuE5ELNS1_3repE0EEENS1_30default_config_static_selectorELNS0_4arch9wavefront6targetE0EEEvT1_
    .private_segment_fixed_size: 0
    .sgpr_count:     0
    .sgpr_spill_count: 0
    .symbol:         _ZN7rocprim17ROCPRIM_400000_NS6detail17trampoline_kernelINS0_14default_configENS1_20scan_config_selectorIfEEZZNS1_9scan_implILNS1_25lookback_scan_determinismE0ELb0ELb0ES3_PKfPffZZZN2at6native31launch_logcumsumexp_cuda_kernelERKNSB_10TensorBaseESF_lENKUlvE_clEvENKUlvE0_clEvEUlffE_fEEDaPvRmT3_T4_T5_mT6_P12ihipStream_tbENKUlT_T0_E_clISt17integral_constantIbLb1EESV_IbLb0EEEEDaSR_SS_EUlSR_E_NS1_11comp_targetILNS1_3genE10ELNS1_11target_archE1201ELNS1_3gpuE5ELNS1_3repE0EEENS1_30default_config_static_selectorELNS0_4arch9wavefront6targetE0EEEvT1_.kd
    .uniform_work_group_size: 1
    .uses_dynamic_stack: false
    .vgpr_count:     0
    .vgpr_spill_count: 0
    .wavefront_size: 32
    .workgroup_processor_mode: 1
  - .args:
      - .offset:         0
        .size:           96
        .value_kind:     by_value
    .group_segment_fixed_size: 0
    .kernarg_segment_align: 8
    .kernarg_segment_size: 96
    .language:       OpenCL C
    .language_version:
      - 2
      - 0
    .max_flat_workgroup_size: 256
    .name:           _ZN7rocprim17ROCPRIM_400000_NS6detail17trampoline_kernelINS0_14default_configENS1_20scan_config_selectorIfEEZZNS1_9scan_implILNS1_25lookback_scan_determinismE0ELb0ELb0ES3_PKfPffZZZN2at6native31launch_logcumsumexp_cuda_kernelERKNSB_10TensorBaseESF_lENKUlvE_clEvENKUlvE0_clEvEUlffE_fEEDaPvRmT3_T4_T5_mT6_P12ihipStream_tbENKUlT_T0_E_clISt17integral_constantIbLb1EESV_IbLb0EEEEDaSR_SS_EUlSR_E_NS1_11comp_targetILNS1_3genE10ELNS1_11target_archE1200ELNS1_3gpuE4ELNS1_3repE0EEENS1_30default_config_static_selectorELNS0_4arch9wavefront6targetE0EEEvT1_
    .private_segment_fixed_size: 0
    .sgpr_count:     0
    .sgpr_spill_count: 0
    .symbol:         _ZN7rocprim17ROCPRIM_400000_NS6detail17trampoline_kernelINS0_14default_configENS1_20scan_config_selectorIfEEZZNS1_9scan_implILNS1_25lookback_scan_determinismE0ELb0ELb0ES3_PKfPffZZZN2at6native31launch_logcumsumexp_cuda_kernelERKNSB_10TensorBaseESF_lENKUlvE_clEvENKUlvE0_clEvEUlffE_fEEDaPvRmT3_T4_T5_mT6_P12ihipStream_tbENKUlT_T0_E_clISt17integral_constantIbLb1EESV_IbLb0EEEEDaSR_SS_EUlSR_E_NS1_11comp_targetILNS1_3genE10ELNS1_11target_archE1200ELNS1_3gpuE4ELNS1_3repE0EEENS1_30default_config_static_selectorELNS0_4arch9wavefront6targetE0EEEvT1_.kd
    .uniform_work_group_size: 1
    .uses_dynamic_stack: false
    .vgpr_count:     0
    .vgpr_spill_count: 0
    .wavefront_size: 32
    .workgroup_processor_mode: 1
  - .args:
      - .offset:         0
        .size:           96
        .value_kind:     by_value
    .group_segment_fixed_size: 0
    .kernarg_segment_align: 8
    .kernarg_segment_size: 96
    .language:       OpenCL C
    .language_version:
      - 2
      - 0
    .max_flat_workgroup_size: 256
    .name:           _ZN7rocprim17ROCPRIM_400000_NS6detail17trampoline_kernelINS0_14default_configENS1_20scan_config_selectorIfEEZZNS1_9scan_implILNS1_25lookback_scan_determinismE0ELb0ELb0ES3_PKfPffZZZN2at6native31launch_logcumsumexp_cuda_kernelERKNSB_10TensorBaseESF_lENKUlvE_clEvENKUlvE0_clEvEUlffE_fEEDaPvRmT3_T4_T5_mT6_P12ihipStream_tbENKUlT_T0_E_clISt17integral_constantIbLb1EESV_IbLb0EEEEDaSR_SS_EUlSR_E_NS1_11comp_targetILNS1_3genE9ELNS1_11target_archE1100ELNS1_3gpuE3ELNS1_3repE0EEENS1_30default_config_static_selectorELNS0_4arch9wavefront6targetE0EEEvT1_
    .private_segment_fixed_size: 0
    .sgpr_count:     0
    .sgpr_spill_count: 0
    .symbol:         _ZN7rocprim17ROCPRIM_400000_NS6detail17trampoline_kernelINS0_14default_configENS1_20scan_config_selectorIfEEZZNS1_9scan_implILNS1_25lookback_scan_determinismE0ELb0ELb0ES3_PKfPffZZZN2at6native31launch_logcumsumexp_cuda_kernelERKNSB_10TensorBaseESF_lENKUlvE_clEvENKUlvE0_clEvEUlffE_fEEDaPvRmT3_T4_T5_mT6_P12ihipStream_tbENKUlT_T0_E_clISt17integral_constantIbLb1EESV_IbLb0EEEEDaSR_SS_EUlSR_E_NS1_11comp_targetILNS1_3genE9ELNS1_11target_archE1100ELNS1_3gpuE3ELNS1_3repE0EEENS1_30default_config_static_selectorELNS0_4arch9wavefront6targetE0EEEvT1_.kd
    .uniform_work_group_size: 1
    .uses_dynamic_stack: false
    .vgpr_count:     0
    .vgpr_spill_count: 0
    .wavefront_size: 32
    .workgroup_processor_mode: 1
  - .args:
      - .offset:         0
        .size:           96
        .value_kind:     by_value
    .group_segment_fixed_size: 0
    .kernarg_segment_align: 8
    .kernarg_segment_size: 96
    .language:       OpenCL C
    .language_version:
      - 2
      - 0
    .max_flat_workgroup_size: 64
    .name:           _ZN7rocprim17ROCPRIM_400000_NS6detail17trampoline_kernelINS0_14default_configENS1_20scan_config_selectorIfEEZZNS1_9scan_implILNS1_25lookback_scan_determinismE0ELb0ELb0ES3_PKfPffZZZN2at6native31launch_logcumsumexp_cuda_kernelERKNSB_10TensorBaseESF_lENKUlvE_clEvENKUlvE0_clEvEUlffE_fEEDaPvRmT3_T4_T5_mT6_P12ihipStream_tbENKUlT_T0_E_clISt17integral_constantIbLb1EESV_IbLb0EEEEDaSR_SS_EUlSR_E_NS1_11comp_targetILNS1_3genE8ELNS1_11target_archE1030ELNS1_3gpuE2ELNS1_3repE0EEENS1_30default_config_static_selectorELNS0_4arch9wavefront6targetE0EEEvT1_
    .private_segment_fixed_size: 0
    .sgpr_count:     0
    .sgpr_spill_count: 0
    .symbol:         _ZN7rocprim17ROCPRIM_400000_NS6detail17trampoline_kernelINS0_14default_configENS1_20scan_config_selectorIfEEZZNS1_9scan_implILNS1_25lookback_scan_determinismE0ELb0ELb0ES3_PKfPffZZZN2at6native31launch_logcumsumexp_cuda_kernelERKNSB_10TensorBaseESF_lENKUlvE_clEvENKUlvE0_clEvEUlffE_fEEDaPvRmT3_T4_T5_mT6_P12ihipStream_tbENKUlT_T0_E_clISt17integral_constantIbLb1EESV_IbLb0EEEEDaSR_SS_EUlSR_E_NS1_11comp_targetILNS1_3genE8ELNS1_11target_archE1030ELNS1_3gpuE2ELNS1_3repE0EEENS1_30default_config_static_selectorELNS0_4arch9wavefront6targetE0EEEvT1_.kd
    .uniform_work_group_size: 1
    .uses_dynamic_stack: false
    .vgpr_count:     0
    .vgpr_spill_count: 0
    .wavefront_size: 32
    .workgroup_processor_mode: 1
  - .args:
      - .offset:         0
        .size:           32
        .value_kind:     by_value
    .group_segment_fixed_size: 0
    .kernarg_segment_align: 8
    .kernarg_segment_size: 32
    .language:       OpenCL C
    .language_version:
      - 2
      - 0
    .max_flat_workgroup_size: 256
    .name:           _ZN7rocprim17ROCPRIM_400000_NS6detail17trampoline_kernelINS0_14default_configENS1_20scan_config_selectorIfEEZZNS1_9scan_implILNS1_25lookback_scan_determinismE0ELb0ELb0ES3_PKfPffZZZN2at6native31launch_logcumsumexp_cuda_kernelERKNSB_10TensorBaseESF_lENKUlvE_clEvENKUlvE0_clEvEUlffE_fEEDaPvRmT3_T4_T5_mT6_P12ihipStream_tbENKUlT_T0_E_clISt17integral_constantIbLb1EESV_IbLb0EEEEDaSR_SS_EUlSR_E0_NS1_11comp_targetILNS1_3genE0ELNS1_11target_archE4294967295ELNS1_3gpuE0ELNS1_3repE0EEENS1_30default_config_static_selectorELNS0_4arch9wavefront6targetE0EEEvT1_
    .private_segment_fixed_size: 0
    .sgpr_count:     0
    .sgpr_spill_count: 0
    .symbol:         _ZN7rocprim17ROCPRIM_400000_NS6detail17trampoline_kernelINS0_14default_configENS1_20scan_config_selectorIfEEZZNS1_9scan_implILNS1_25lookback_scan_determinismE0ELb0ELb0ES3_PKfPffZZZN2at6native31launch_logcumsumexp_cuda_kernelERKNSB_10TensorBaseESF_lENKUlvE_clEvENKUlvE0_clEvEUlffE_fEEDaPvRmT3_T4_T5_mT6_P12ihipStream_tbENKUlT_T0_E_clISt17integral_constantIbLb1EESV_IbLb0EEEEDaSR_SS_EUlSR_E0_NS1_11comp_targetILNS1_3genE0ELNS1_11target_archE4294967295ELNS1_3gpuE0ELNS1_3repE0EEENS1_30default_config_static_selectorELNS0_4arch9wavefront6targetE0EEEvT1_.kd
    .uniform_work_group_size: 1
    .uses_dynamic_stack: false
    .vgpr_count:     0
    .vgpr_spill_count: 0
    .wavefront_size: 32
    .workgroup_processor_mode: 1
  - .args:
      - .offset:         0
        .size:           32
        .value_kind:     by_value
    .group_segment_fixed_size: 0
    .kernarg_segment_align: 8
    .kernarg_segment_size: 32
    .language:       OpenCL C
    .language_version:
      - 2
      - 0
    .max_flat_workgroup_size: 256
    .name:           _ZN7rocprim17ROCPRIM_400000_NS6detail17trampoline_kernelINS0_14default_configENS1_20scan_config_selectorIfEEZZNS1_9scan_implILNS1_25lookback_scan_determinismE0ELb0ELb0ES3_PKfPffZZZN2at6native31launch_logcumsumexp_cuda_kernelERKNSB_10TensorBaseESF_lENKUlvE_clEvENKUlvE0_clEvEUlffE_fEEDaPvRmT3_T4_T5_mT6_P12ihipStream_tbENKUlT_T0_E_clISt17integral_constantIbLb1EESV_IbLb0EEEEDaSR_SS_EUlSR_E0_NS1_11comp_targetILNS1_3genE5ELNS1_11target_archE942ELNS1_3gpuE9ELNS1_3repE0EEENS1_30default_config_static_selectorELNS0_4arch9wavefront6targetE0EEEvT1_
    .private_segment_fixed_size: 0
    .sgpr_count:     0
    .sgpr_spill_count: 0
    .symbol:         _ZN7rocprim17ROCPRIM_400000_NS6detail17trampoline_kernelINS0_14default_configENS1_20scan_config_selectorIfEEZZNS1_9scan_implILNS1_25lookback_scan_determinismE0ELb0ELb0ES3_PKfPffZZZN2at6native31launch_logcumsumexp_cuda_kernelERKNSB_10TensorBaseESF_lENKUlvE_clEvENKUlvE0_clEvEUlffE_fEEDaPvRmT3_T4_T5_mT6_P12ihipStream_tbENKUlT_T0_E_clISt17integral_constantIbLb1EESV_IbLb0EEEEDaSR_SS_EUlSR_E0_NS1_11comp_targetILNS1_3genE5ELNS1_11target_archE942ELNS1_3gpuE9ELNS1_3repE0EEENS1_30default_config_static_selectorELNS0_4arch9wavefront6targetE0EEEvT1_.kd
    .uniform_work_group_size: 1
    .uses_dynamic_stack: false
    .vgpr_count:     0
    .vgpr_spill_count: 0
    .wavefront_size: 32
    .workgroup_processor_mode: 1
  - .args:
      - .offset:         0
        .size:           32
        .value_kind:     by_value
    .group_segment_fixed_size: 0
    .kernarg_segment_align: 8
    .kernarg_segment_size: 32
    .language:       OpenCL C
    .language_version:
      - 2
      - 0
    .max_flat_workgroup_size: 128
    .name:           _ZN7rocprim17ROCPRIM_400000_NS6detail17trampoline_kernelINS0_14default_configENS1_20scan_config_selectorIfEEZZNS1_9scan_implILNS1_25lookback_scan_determinismE0ELb0ELb0ES3_PKfPffZZZN2at6native31launch_logcumsumexp_cuda_kernelERKNSB_10TensorBaseESF_lENKUlvE_clEvENKUlvE0_clEvEUlffE_fEEDaPvRmT3_T4_T5_mT6_P12ihipStream_tbENKUlT_T0_E_clISt17integral_constantIbLb1EESV_IbLb0EEEEDaSR_SS_EUlSR_E0_NS1_11comp_targetILNS1_3genE4ELNS1_11target_archE910ELNS1_3gpuE8ELNS1_3repE0EEENS1_30default_config_static_selectorELNS0_4arch9wavefront6targetE0EEEvT1_
    .private_segment_fixed_size: 0
    .sgpr_count:     0
    .sgpr_spill_count: 0
    .symbol:         _ZN7rocprim17ROCPRIM_400000_NS6detail17trampoline_kernelINS0_14default_configENS1_20scan_config_selectorIfEEZZNS1_9scan_implILNS1_25lookback_scan_determinismE0ELb0ELb0ES3_PKfPffZZZN2at6native31launch_logcumsumexp_cuda_kernelERKNSB_10TensorBaseESF_lENKUlvE_clEvENKUlvE0_clEvEUlffE_fEEDaPvRmT3_T4_T5_mT6_P12ihipStream_tbENKUlT_T0_E_clISt17integral_constantIbLb1EESV_IbLb0EEEEDaSR_SS_EUlSR_E0_NS1_11comp_targetILNS1_3genE4ELNS1_11target_archE910ELNS1_3gpuE8ELNS1_3repE0EEENS1_30default_config_static_selectorELNS0_4arch9wavefront6targetE0EEEvT1_.kd
    .uniform_work_group_size: 1
    .uses_dynamic_stack: false
    .vgpr_count:     0
    .vgpr_spill_count: 0
    .wavefront_size: 32
    .workgroup_processor_mode: 1
  - .args:
      - .offset:         0
        .size:           32
        .value_kind:     by_value
    .group_segment_fixed_size: 0
    .kernarg_segment_align: 8
    .kernarg_segment_size: 32
    .language:       OpenCL C
    .language_version:
      - 2
      - 0
    .max_flat_workgroup_size: 256
    .name:           _ZN7rocprim17ROCPRIM_400000_NS6detail17trampoline_kernelINS0_14default_configENS1_20scan_config_selectorIfEEZZNS1_9scan_implILNS1_25lookback_scan_determinismE0ELb0ELb0ES3_PKfPffZZZN2at6native31launch_logcumsumexp_cuda_kernelERKNSB_10TensorBaseESF_lENKUlvE_clEvENKUlvE0_clEvEUlffE_fEEDaPvRmT3_T4_T5_mT6_P12ihipStream_tbENKUlT_T0_E_clISt17integral_constantIbLb1EESV_IbLb0EEEEDaSR_SS_EUlSR_E0_NS1_11comp_targetILNS1_3genE3ELNS1_11target_archE908ELNS1_3gpuE7ELNS1_3repE0EEENS1_30default_config_static_selectorELNS0_4arch9wavefront6targetE0EEEvT1_
    .private_segment_fixed_size: 0
    .sgpr_count:     0
    .sgpr_spill_count: 0
    .symbol:         _ZN7rocprim17ROCPRIM_400000_NS6detail17trampoline_kernelINS0_14default_configENS1_20scan_config_selectorIfEEZZNS1_9scan_implILNS1_25lookback_scan_determinismE0ELb0ELb0ES3_PKfPffZZZN2at6native31launch_logcumsumexp_cuda_kernelERKNSB_10TensorBaseESF_lENKUlvE_clEvENKUlvE0_clEvEUlffE_fEEDaPvRmT3_T4_T5_mT6_P12ihipStream_tbENKUlT_T0_E_clISt17integral_constantIbLb1EESV_IbLb0EEEEDaSR_SS_EUlSR_E0_NS1_11comp_targetILNS1_3genE3ELNS1_11target_archE908ELNS1_3gpuE7ELNS1_3repE0EEENS1_30default_config_static_selectorELNS0_4arch9wavefront6targetE0EEEvT1_.kd
    .uniform_work_group_size: 1
    .uses_dynamic_stack: false
    .vgpr_count:     0
    .vgpr_spill_count: 0
    .wavefront_size: 32
    .workgroup_processor_mode: 1
  - .args:
      - .offset:         0
        .size:           32
        .value_kind:     by_value
    .group_segment_fixed_size: 0
    .kernarg_segment_align: 8
    .kernarg_segment_size: 32
    .language:       OpenCL C
    .language_version:
      - 2
      - 0
    .max_flat_workgroup_size: 256
    .name:           _ZN7rocprim17ROCPRIM_400000_NS6detail17trampoline_kernelINS0_14default_configENS1_20scan_config_selectorIfEEZZNS1_9scan_implILNS1_25lookback_scan_determinismE0ELb0ELb0ES3_PKfPffZZZN2at6native31launch_logcumsumexp_cuda_kernelERKNSB_10TensorBaseESF_lENKUlvE_clEvENKUlvE0_clEvEUlffE_fEEDaPvRmT3_T4_T5_mT6_P12ihipStream_tbENKUlT_T0_E_clISt17integral_constantIbLb1EESV_IbLb0EEEEDaSR_SS_EUlSR_E0_NS1_11comp_targetILNS1_3genE2ELNS1_11target_archE906ELNS1_3gpuE6ELNS1_3repE0EEENS1_30default_config_static_selectorELNS0_4arch9wavefront6targetE0EEEvT1_
    .private_segment_fixed_size: 0
    .sgpr_count:     0
    .sgpr_spill_count: 0
    .symbol:         _ZN7rocprim17ROCPRIM_400000_NS6detail17trampoline_kernelINS0_14default_configENS1_20scan_config_selectorIfEEZZNS1_9scan_implILNS1_25lookback_scan_determinismE0ELb0ELb0ES3_PKfPffZZZN2at6native31launch_logcumsumexp_cuda_kernelERKNSB_10TensorBaseESF_lENKUlvE_clEvENKUlvE0_clEvEUlffE_fEEDaPvRmT3_T4_T5_mT6_P12ihipStream_tbENKUlT_T0_E_clISt17integral_constantIbLb1EESV_IbLb0EEEEDaSR_SS_EUlSR_E0_NS1_11comp_targetILNS1_3genE2ELNS1_11target_archE906ELNS1_3gpuE6ELNS1_3repE0EEENS1_30default_config_static_selectorELNS0_4arch9wavefront6targetE0EEEvT1_.kd
    .uniform_work_group_size: 1
    .uses_dynamic_stack: false
    .vgpr_count:     0
    .vgpr_spill_count: 0
    .wavefront_size: 32
    .workgroup_processor_mode: 1
  - .args:
      - .offset:         0
        .size:           32
        .value_kind:     by_value
    .group_segment_fixed_size: 6144
    .kernarg_segment_align: 8
    .kernarg_segment_size: 32
    .language:       OpenCL C
    .language_version:
      - 2
      - 0
    .max_flat_workgroup_size: 256
    .name:           _ZN7rocprim17ROCPRIM_400000_NS6detail17trampoline_kernelINS0_14default_configENS1_20scan_config_selectorIfEEZZNS1_9scan_implILNS1_25lookback_scan_determinismE0ELb0ELb0ES3_PKfPffZZZN2at6native31launch_logcumsumexp_cuda_kernelERKNSB_10TensorBaseESF_lENKUlvE_clEvENKUlvE0_clEvEUlffE_fEEDaPvRmT3_T4_T5_mT6_P12ihipStream_tbENKUlT_T0_E_clISt17integral_constantIbLb1EESV_IbLb0EEEEDaSR_SS_EUlSR_E0_NS1_11comp_targetILNS1_3genE10ELNS1_11target_archE1201ELNS1_3gpuE5ELNS1_3repE0EEENS1_30default_config_static_selectorELNS0_4arch9wavefront6targetE0EEEvT1_
    .private_segment_fixed_size: 0
    .sgpr_count:     19
    .sgpr_spill_count: 0
    .symbol:         _ZN7rocprim17ROCPRIM_400000_NS6detail17trampoline_kernelINS0_14default_configENS1_20scan_config_selectorIfEEZZNS1_9scan_implILNS1_25lookback_scan_determinismE0ELb0ELb0ES3_PKfPffZZZN2at6native31launch_logcumsumexp_cuda_kernelERKNSB_10TensorBaseESF_lENKUlvE_clEvENKUlvE0_clEvEUlffE_fEEDaPvRmT3_T4_T5_mT6_P12ihipStream_tbENKUlT_T0_E_clISt17integral_constantIbLb1EESV_IbLb0EEEEDaSR_SS_EUlSR_E0_NS1_11comp_targetILNS1_3genE10ELNS1_11target_archE1201ELNS1_3gpuE5ELNS1_3repE0EEENS1_30default_config_static_selectorELNS0_4arch9wavefront6targetE0EEEvT1_.kd
    .uniform_work_group_size: 1
    .uses_dynamic_stack: false
    .vgpr_count:     35
    .vgpr_spill_count: 0
    .wavefront_size: 32
    .workgroup_processor_mode: 1
  - .args:
      - .offset:         0
        .size:           32
        .value_kind:     by_value
    .group_segment_fixed_size: 0
    .kernarg_segment_align: 8
    .kernarg_segment_size: 32
    .language:       OpenCL C
    .language_version:
      - 2
      - 0
    .max_flat_workgroup_size: 256
    .name:           _ZN7rocprim17ROCPRIM_400000_NS6detail17trampoline_kernelINS0_14default_configENS1_20scan_config_selectorIfEEZZNS1_9scan_implILNS1_25lookback_scan_determinismE0ELb0ELb0ES3_PKfPffZZZN2at6native31launch_logcumsumexp_cuda_kernelERKNSB_10TensorBaseESF_lENKUlvE_clEvENKUlvE0_clEvEUlffE_fEEDaPvRmT3_T4_T5_mT6_P12ihipStream_tbENKUlT_T0_E_clISt17integral_constantIbLb1EESV_IbLb0EEEEDaSR_SS_EUlSR_E0_NS1_11comp_targetILNS1_3genE10ELNS1_11target_archE1200ELNS1_3gpuE4ELNS1_3repE0EEENS1_30default_config_static_selectorELNS0_4arch9wavefront6targetE0EEEvT1_
    .private_segment_fixed_size: 0
    .sgpr_count:     0
    .sgpr_spill_count: 0
    .symbol:         _ZN7rocprim17ROCPRIM_400000_NS6detail17trampoline_kernelINS0_14default_configENS1_20scan_config_selectorIfEEZZNS1_9scan_implILNS1_25lookback_scan_determinismE0ELb0ELb0ES3_PKfPffZZZN2at6native31launch_logcumsumexp_cuda_kernelERKNSB_10TensorBaseESF_lENKUlvE_clEvENKUlvE0_clEvEUlffE_fEEDaPvRmT3_T4_T5_mT6_P12ihipStream_tbENKUlT_T0_E_clISt17integral_constantIbLb1EESV_IbLb0EEEEDaSR_SS_EUlSR_E0_NS1_11comp_targetILNS1_3genE10ELNS1_11target_archE1200ELNS1_3gpuE4ELNS1_3repE0EEENS1_30default_config_static_selectorELNS0_4arch9wavefront6targetE0EEEvT1_.kd
    .uniform_work_group_size: 1
    .uses_dynamic_stack: false
    .vgpr_count:     0
    .vgpr_spill_count: 0
    .wavefront_size: 32
    .workgroup_processor_mode: 1
  - .args:
      - .offset:         0
        .size:           32
        .value_kind:     by_value
    .group_segment_fixed_size: 0
    .kernarg_segment_align: 8
    .kernarg_segment_size: 32
    .language:       OpenCL C
    .language_version:
      - 2
      - 0
    .max_flat_workgroup_size: 256
    .name:           _ZN7rocprim17ROCPRIM_400000_NS6detail17trampoline_kernelINS0_14default_configENS1_20scan_config_selectorIfEEZZNS1_9scan_implILNS1_25lookback_scan_determinismE0ELb0ELb0ES3_PKfPffZZZN2at6native31launch_logcumsumexp_cuda_kernelERKNSB_10TensorBaseESF_lENKUlvE_clEvENKUlvE0_clEvEUlffE_fEEDaPvRmT3_T4_T5_mT6_P12ihipStream_tbENKUlT_T0_E_clISt17integral_constantIbLb1EESV_IbLb0EEEEDaSR_SS_EUlSR_E0_NS1_11comp_targetILNS1_3genE9ELNS1_11target_archE1100ELNS1_3gpuE3ELNS1_3repE0EEENS1_30default_config_static_selectorELNS0_4arch9wavefront6targetE0EEEvT1_
    .private_segment_fixed_size: 0
    .sgpr_count:     0
    .sgpr_spill_count: 0
    .symbol:         _ZN7rocprim17ROCPRIM_400000_NS6detail17trampoline_kernelINS0_14default_configENS1_20scan_config_selectorIfEEZZNS1_9scan_implILNS1_25lookback_scan_determinismE0ELb0ELb0ES3_PKfPffZZZN2at6native31launch_logcumsumexp_cuda_kernelERKNSB_10TensorBaseESF_lENKUlvE_clEvENKUlvE0_clEvEUlffE_fEEDaPvRmT3_T4_T5_mT6_P12ihipStream_tbENKUlT_T0_E_clISt17integral_constantIbLb1EESV_IbLb0EEEEDaSR_SS_EUlSR_E0_NS1_11comp_targetILNS1_3genE9ELNS1_11target_archE1100ELNS1_3gpuE3ELNS1_3repE0EEENS1_30default_config_static_selectorELNS0_4arch9wavefront6targetE0EEEvT1_.kd
    .uniform_work_group_size: 1
    .uses_dynamic_stack: false
    .vgpr_count:     0
    .vgpr_spill_count: 0
    .wavefront_size: 32
    .workgroup_processor_mode: 1
  - .args:
      - .offset:         0
        .size:           32
        .value_kind:     by_value
    .group_segment_fixed_size: 0
    .kernarg_segment_align: 8
    .kernarg_segment_size: 32
    .language:       OpenCL C
    .language_version:
      - 2
      - 0
    .max_flat_workgroup_size: 64
    .name:           _ZN7rocprim17ROCPRIM_400000_NS6detail17trampoline_kernelINS0_14default_configENS1_20scan_config_selectorIfEEZZNS1_9scan_implILNS1_25lookback_scan_determinismE0ELb0ELb0ES3_PKfPffZZZN2at6native31launch_logcumsumexp_cuda_kernelERKNSB_10TensorBaseESF_lENKUlvE_clEvENKUlvE0_clEvEUlffE_fEEDaPvRmT3_T4_T5_mT6_P12ihipStream_tbENKUlT_T0_E_clISt17integral_constantIbLb1EESV_IbLb0EEEEDaSR_SS_EUlSR_E0_NS1_11comp_targetILNS1_3genE8ELNS1_11target_archE1030ELNS1_3gpuE2ELNS1_3repE0EEENS1_30default_config_static_selectorELNS0_4arch9wavefront6targetE0EEEvT1_
    .private_segment_fixed_size: 0
    .sgpr_count:     0
    .sgpr_spill_count: 0
    .symbol:         _ZN7rocprim17ROCPRIM_400000_NS6detail17trampoline_kernelINS0_14default_configENS1_20scan_config_selectorIfEEZZNS1_9scan_implILNS1_25lookback_scan_determinismE0ELb0ELb0ES3_PKfPffZZZN2at6native31launch_logcumsumexp_cuda_kernelERKNSB_10TensorBaseESF_lENKUlvE_clEvENKUlvE0_clEvEUlffE_fEEDaPvRmT3_T4_T5_mT6_P12ihipStream_tbENKUlT_T0_E_clISt17integral_constantIbLb1EESV_IbLb0EEEEDaSR_SS_EUlSR_E0_NS1_11comp_targetILNS1_3genE8ELNS1_11target_archE1030ELNS1_3gpuE2ELNS1_3repE0EEENS1_30default_config_static_selectorELNS0_4arch9wavefront6targetE0EEEvT1_.kd
    .uniform_work_group_size: 1
    .uses_dynamic_stack: false
    .vgpr_count:     0
    .vgpr_spill_count: 0
    .wavefront_size: 32
    .workgroup_processor_mode: 1
  - .args:
      - .address_space:  global
        .offset:         0
        .size:           8
        .value_kind:     global_buffer
      - .offset:         8
        .size:           4
        .value_kind:     by_value
      - .address_space:  global
        .offset:         16
        .size:           8
        .value_kind:     global_buffer
      - .offset:         24
        .size:           4
        .value_kind:     by_value
      - .address_space:  global
        .offset:         32
        .size:           8
        .value_kind:     global_buffer
      - .offset:         40
        .size:           4
        .value_kind:     hidden_block_count_x
      - .offset:         44
        .size:           4
        .value_kind:     hidden_block_count_y
      - .offset:         48
        .size:           4
        .value_kind:     hidden_block_count_z
      - .offset:         52
        .size:           2
        .value_kind:     hidden_group_size_x
      - .offset:         54
        .size:           2
        .value_kind:     hidden_group_size_y
      - .offset:         56
        .size:           2
        .value_kind:     hidden_group_size_z
      - .offset:         58
        .size:           2
        .value_kind:     hidden_remainder_x
      - .offset:         60
        .size:           2
        .value_kind:     hidden_remainder_y
      - .offset:         62
        .size:           2
        .value_kind:     hidden_remainder_z
      - .offset:         80
        .size:           8
        .value_kind:     hidden_global_offset_x
      - .offset:         88
        .size:           8
        .value_kind:     hidden_global_offset_y
      - .offset:         96
        .size:           8
        .value_kind:     hidden_global_offset_z
      - .offset:         104
        .size:           2
        .value_kind:     hidden_grid_dims
    .group_segment_fixed_size: 0
    .kernarg_segment_align: 8
    .kernarg_segment_size: 296
    .language:       OpenCL C
    .language_version:
      - 2
      - 0
    .max_flat_workgroup_size: 256
    .name:           _ZN7rocprim17ROCPRIM_400000_NS6detail31init_lookback_scan_state_kernelINS1_19lookback_scan_stateIfLb0ELb1EEENS1_16block_id_wrapperIjLb1EEEEEvT_jT0_jPNS7_10value_typeE
    .private_segment_fixed_size: 0
    .sgpr_count:     12
    .sgpr_spill_count: 0
    .symbol:         _ZN7rocprim17ROCPRIM_400000_NS6detail31init_lookback_scan_state_kernelINS1_19lookback_scan_stateIfLb0ELb1EEENS1_16block_id_wrapperIjLb1EEEEEvT_jT0_jPNS7_10value_typeE.kd
    .uniform_work_group_size: 1
    .uses_dynamic_stack: false
    .vgpr_count:     7
    .vgpr_spill_count: 0
    .wavefront_size: 32
    .workgroup_processor_mode: 1
  - .args:
      - .offset:         0
        .size:           96
        .value_kind:     by_value
    .group_segment_fixed_size: 0
    .kernarg_segment_align: 8
    .kernarg_segment_size: 96
    .language:       OpenCL C
    .language_version:
      - 2
      - 0
    .max_flat_workgroup_size: 256
    .name:           _ZN7rocprim17ROCPRIM_400000_NS6detail17trampoline_kernelINS0_14default_configENS1_20scan_config_selectorIfEEZZNS1_9scan_implILNS1_25lookback_scan_determinismE0ELb0ELb0ES3_PKfPffZZZN2at6native31launch_logcumsumexp_cuda_kernelERKNSB_10TensorBaseESF_lENKUlvE_clEvENKUlvE0_clEvEUlffE_fEEDaPvRmT3_T4_T5_mT6_P12ihipStream_tbENKUlT_T0_E_clISt17integral_constantIbLb0EESV_IbLb1EEEEDaSR_SS_EUlSR_E_NS1_11comp_targetILNS1_3genE0ELNS1_11target_archE4294967295ELNS1_3gpuE0ELNS1_3repE0EEENS1_30default_config_static_selectorELNS0_4arch9wavefront6targetE0EEEvT1_
    .private_segment_fixed_size: 0
    .sgpr_count:     0
    .sgpr_spill_count: 0
    .symbol:         _ZN7rocprim17ROCPRIM_400000_NS6detail17trampoline_kernelINS0_14default_configENS1_20scan_config_selectorIfEEZZNS1_9scan_implILNS1_25lookback_scan_determinismE0ELb0ELb0ES3_PKfPffZZZN2at6native31launch_logcumsumexp_cuda_kernelERKNSB_10TensorBaseESF_lENKUlvE_clEvENKUlvE0_clEvEUlffE_fEEDaPvRmT3_T4_T5_mT6_P12ihipStream_tbENKUlT_T0_E_clISt17integral_constantIbLb0EESV_IbLb1EEEEDaSR_SS_EUlSR_E_NS1_11comp_targetILNS1_3genE0ELNS1_11target_archE4294967295ELNS1_3gpuE0ELNS1_3repE0EEENS1_30default_config_static_selectorELNS0_4arch9wavefront6targetE0EEEvT1_.kd
    .uniform_work_group_size: 1
    .uses_dynamic_stack: false
    .vgpr_count:     0
    .vgpr_spill_count: 0
    .wavefront_size: 32
    .workgroup_processor_mode: 1
  - .args:
      - .offset:         0
        .size:           96
        .value_kind:     by_value
    .group_segment_fixed_size: 0
    .kernarg_segment_align: 8
    .kernarg_segment_size: 96
    .language:       OpenCL C
    .language_version:
      - 2
      - 0
    .max_flat_workgroup_size: 256
    .name:           _ZN7rocprim17ROCPRIM_400000_NS6detail17trampoline_kernelINS0_14default_configENS1_20scan_config_selectorIfEEZZNS1_9scan_implILNS1_25lookback_scan_determinismE0ELb0ELb0ES3_PKfPffZZZN2at6native31launch_logcumsumexp_cuda_kernelERKNSB_10TensorBaseESF_lENKUlvE_clEvENKUlvE0_clEvEUlffE_fEEDaPvRmT3_T4_T5_mT6_P12ihipStream_tbENKUlT_T0_E_clISt17integral_constantIbLb0EESV_IbLb1EEEEDaSR_SS_EUlSR_E_NS1_11comp_targetILNS1_3genE5ELNS1_11target_archE942ELNS1_3gpuE9ELNS1_3repE0EEENS1_30default_config_static_selectorELNS0_4arch9wavefront6targetE0EEEvT1_
    .private_segment_fixed_size: 0
    .sgpr_count:     0
    .sgpr_spill_count: 0
    .symbol:         _ZN7rocprim17ROCPRIM_400000_NS6detail17trampoline_kernelINS0_14default_configENS1_20scan_config_selectorIfEEZZNS1_9scan_implILNS1_25lookback_scan_determinismE0ELb0ELb0ES3_PKfPffZZZN2at6native31launch_logcumsumexp_cuda_kernelERKNSB_10TensorBaseESF_lENKUlvE_clEvENKUlvE0_clEvEUlffE_fEEDaPvRmT3_T4_T5_mT6_P12ihipStream_tbENKUlT_T0_E_clISt17integral_constantIbLb0EESV_IbLb1EEEEDaSR_SS_EUlSR_E_NS1_11comp_targetILNS1_3genE5ELNS1_11target_archE942ELNS1_3gpuE9ELNS1_3repE0EEENS1_30default_config_static_selectorELNS0_4arch9wavefront6targetE0EEEvT1_.kd
    .uniform_work_group_size: 1
    .uses_dynamic_stack: false
    .vgpr_count:     0
    .vgpr_spill_count: 0
    .wavefront_size: 32
    .workgroup_processor_mode: 1
  - .args:
      - .offset:         0
        .size:           96
        .value_kind:     by_value
    .group_segment_fixed_size: 0
    .kernarg_segment_align: 8
    .kernarg_segment_size: 96
    .language:       OpenCL C
    .language_version:
      - 2
      - 0
    .max_flat_workgroup_size: 128
    .name:           _ZN7rocprim17ROCPRIM_400000_NS6detail17trampoline_kernelINS0_14default_configENS1_20scan_config_selectorIfEEZZNS1_9scan_implILNS1_25lookback_scan_determinismE0ELb0ELb0ES3_PKfPffZZZN2at6native31launch_logcumsumexp_cuda_kernelERKNSB_10TensorBaseESF_lENKUlvE_clEvENKUlvE0_clEvEUlffE_fEEDaPvRmT3_T4_T5_mT6_P12ihipStream_tbENKUlT_T0_E_clISt17integral_constantIbLb0EESV_IbLb1EEEEDaSR_SS_EUlSR_E_NS1_11comp_targetILNS1_3genE4ELNS1_11target_archE910ELNS1_3gpuE8ELNS1_3repE0EEENS1_30default_config_static_selectorELNS0_4arch9wavefront6targetE0EEEvT1_
    .private_segment_fixed_size: 0
    .sgpr_count:     0
    .sgpr_spill_count: 0
    .symbol:         _ZN7rocprim17ROCPRIM_400000_NS6detail17trampoline_kernelINS0_14default_configENS1_20scan_config_selectorIfEEZZNS1_9scan_implILNS1_25lookback_scan_determinismE0ELb0ELb0ES3_PKfPffZZZN2at6native31launch_logcumsumexp_cuda_kernelERKNSB_10TensorBaseESF_lENKUlvE_clEvENKUlvE0_clEvEUlffE_fEEDaPvRmT3_T4_T5_mT6_P12ihipStream_tbENKUlT_T0_E_clISt17integral_constantIbLb0EESV_IbLb1EEEEDaSR_SS_EUlSR_E_NS1_11comp_targetILNS1_3genE4ELNS1_11target_archE910ELNS1_3gpuE8ELNS1_3repE0EEENS1_30default_config_static_selectorELNS0_4arch9wavefront6targetE0EEEvT1_.kd
    .uniform_work_group_size: 1
    .uses_dynamic_stack: false
    .vgpr_count:     0
    .vgpr_spill_count: 0
    .wavefront_size: 32
    .workgroup_processor_mode: 1
  - .args:
      - .offset:         0
        .size:           96
        .value_kind:     by_value
    .group_segment_fixed_size: 0
    .kernarg_segment_align: 8
    .kernarg_segment_size: 96
    .language:       OpenCL C
    .language_version:
      - 2
      - 0
    .max_flat_workgroup_size: 256
    .name:           _ZN7rocprim17ROCPRIM_400000_NS6detail17trampoline_kernelINS0_14default_configENS1_20scan_config_selectorIfEEZZNS1_9scan_implILNS1_25lookback_scan_determinismE0ELb0ELb0ES3_PKfPffZZZN2at6native31launch_logcumsumexp_cuda_kernelERKNSB_10TensorBaseESF_lENKUlvE_clEvENKUlvE0_clEvEUlffE_fEEDaPvRmT3_T4_T5_mT6_P12ihipStream_tbENKUlT_T0_E_clISt17integral_constantIbLb0EESV_IbLb1EEEEDaSR_SS_EUlSR_E_NS1_11comp_targetILNS1_3genE3ELNS1_11target_archE908ELNS1_3gpuE7ELNS1_3repE0EEENS1_30default_config_static_selectorELNS0_4arch9wavefront6targetE0EEEvT1_
    .private_segment_fixed_size: 0
    .sgpr_count:     0
    .sgpr_spill_count: 0
    .symbol:         _ZN7rocprim17ROCPRIM_400000_NS6detail17trampoline_kernelINS0_14default_configENS1_20scan_config_selectorIfEEZZNS1_9scan_implILNS1_25lookback_scan_determinismE0ELb0ELb0ES3_PKfPffZZZN2at6native31launch_logcumsumexp_cuda_kernelERKNSB_10TensorBaseESF_lENKUlvE_clEvENKUlvE0_clEvEUlffE_fEEDaPvRmT3_T4_T5_mT6_P12ihipStream_tbENKUlT_T0_E_clISt17integral_constantIbLb0EESV_IbLb1EEEEDaSR_SS_EUlSR_E_NS1_11comp_targetILNS1_3genE3ELNS1_11target_archE908ELNS1_3gpuE7ELNS1_3repE0EEENS1_30default_config_static_selectorELNS0_4arch9wavefront6targetE0EEEvT1_.kd
    .uniform_work_group_size: 1
    .uses_dynamic_stack: false
    .vgpr_count:     0
    .vgpr_spill_count: 0
    .wavefront_size: 32
    .workgroup_processor_mode: 1
  - .args:
      - .offset:         0
        .size:           96
        .value_kind:     by_value
    .group_segment_fixed_size: 0
    .kernarg_segment_align: 8
    .kernarg_segment_size: 96
    .language:       OpenCL C
    .language_version:
      - 2
      - 0
    .max_flat_workgroup_size: 256
    .name:           _ZN7rocprim17ROCPRIM_400000_NS6detail17trampoline_kernelINS0_14default_configENS1_20scan_config_selectorIfEEZZNS1_9scan_implILNS1_25lookback_scan_determinismE0ELb0ELb0ES3_PKfPffZZZN2at6native31launch_logcumsumexp_cuda_kernelERKNSB_10TensorBaseESF_lENKUlvE_clEvENKUlvE0_clEvEUlffE_fEEDaPvRmT3_T4_T5_mT6_P12ihipStream_tbENKUlT_T0_E_clISt17integral_constantIbLb0EESV_IbLb1EEEEDaSR_SS_EUlSR_E_NS1_11comp_targetILNS1_3genE2ELNS1_11target_archE906ELNS1_3gpuE6ELNS1_3repE0EEENS1_30default_config_static_selectorELNS0_4arch9wavefront6targetE0EEEvT1_
    .private_segment_fixed_size: 0
    .sgpr_count:     0
    .sgpr_spill_count: 0
    .symbol:         _ZN7rocprim17ROCPRIM_400000_NS6detail17trampoline_kernelINS0_14default_configENS1_20scan_config_selectorIfEEZZNS1_9scan_implILNS1_25lookback_scan_determinismE0ELb0ELb0ES3_PKfPffZZZN2at6native31launch_logcumsumexp_cuda_kernelERKNSB_10TensorBaseESF_lENKUlvE_clEvENKUlvE0_clEvEUlffE_fEEDaPvRmT3_T4_T5_mT6_P12ihipStream_tbENKUlT_T0_E_clISt17integral_constantIbLb0EESV_IbLb1EEEEDaSR_SS_EUlSR_E_NS1_11comp_targetILNS1_3genE2ELNS1_11target_archE906ELNS1_3gpuE6ELNS1_3repE0EEENS1_30default_config_static_selectorELNS0_4arch9wavefront6targetE0EEEvT1_.kd
    .uniform_work_group_size: 1
    .uses_dynamic_stack: false
    .vgpr_count:     0
    .vgpr_spill_count: 0
    .wavefront_size: 32
    .workgroup_processor_mode: 1
  - .args:
      - .offset:         0
        .size:           96
        .value_kind:     by_value
    .group_segment_fixed_size: 6144
    .kernarg_segment_align: 8
    .kernarg_segment_size: 96
    .language:       OpenCL C
    .language_version:
      - 2
      - 0
    .max_flat_workgroup_size: 256
    .name:           _ZN7rocprim17ROCPRIM_400000_NS6detail17trampoline_kernelINS0_14default_configENS1_20scan_config_selectorIfEEZZNS1_9scan_implILNS1_25lookback_scan_determinismE0ELb0ELb0ES3_PKfPffZZZN2at6native31launch_logcumsumexp_cuda_kernelERKNSB_10TensorBaseESF_lENKUlvE_clEvENKUlvE0_clEvEUlffE_fEEDaPvRmT3_T4_T5_mT6_P12ihipStream_tbENKUlT_T0_E_clISt17integral_constantIbLb0EESV_IbLb1EEEEDaSR_SS_EUlSR_E_NS1_11comp_targetILNS1_3genE10ELNS1_11target_archE1201ELNS1_3gpuE5ELNS1_3repE0EEENS1_30default_config_static_selectorELNS0_4arch9wavefront6targetE0EEEvT1_
    .private_segment_fixed_size: 0
    .sgpr_count:     38
    .sgpr_spill_count: 0
    .symbol:         _ZN7rocprim17ROCPRIM_400000_NS6detail17trampoline_kernelINS0_14default_configENS1_20scan_config_selectorIfEEZZNS1_9scan_implILNS1_25lookback_scan_determinismE0ELb0ELb0ES3_PKfPffZZZN2at6native31launch_logcumsumexp_cuda_kernelERKNSB_10TensorBaseESF_lENKUlvE_clEvENKUlvE0_clEvEUlffE_fEEDaPvRmT3_T4_T5_mT6_P12ihipStream_tbENKUlT_T0_E_clISt17integral_constantIbLb0EESV_IbLb1EEEEDaSR_SS_EUlSR_E_NS1_11comp_targetILNS1_3genE10ELNS1_11target_archE1201ELNS1_3gpuE5ELNS1_3repE0EEENS1_30default_config_static_selectorELNS0_4arch9wavefront6targetE0EEEvT1_.kd
    .uniform_work_group_size: 1
    .uses_dynamic_stack: false
    .vgpr_count:     48
    .vgpr_spill_count: 0
    .wavefront_size: 32
    .workgroup_processor_mode: 1
  - .args:
      - .offset:         0
        .size:           96
        .value_kind:     by_value
    .group_segment_fixed_size: 0
    .kernarg_segment_align: 8
    .kernarg_segment_size: 96
    .language:       OpenCL C
    .language_version:
      - 2
      - 0
    .max_flat_workgroup_size: 256
    .name:           _ZN7rocprim17ROCPRIM_400000_NS6detail17trampoline_kernelINS0_14default_configENS1_20scan_config_selectorIfEEZZNS1_9scan_implILNS1_25lookback_scan_determinismE0ELb0ELb0ES3_PKfPffZZZN2at6native31launch_logcumsumexp_cuda_kernelERKNSB_10TensorBaseESF_lENKUlvE_clEvENKUlvE0_clEvEUlffE_fEEDaPvRmT3_T4_T5_mT6_P12ihipStream_tbENKUlT_T0_E_clISt17integral_constantIbLb0EESV_IbLb1EEEEDaSR_SS_EUlSR_E_NS1_11comp_targetILNS1_3genE10ELNS1_11target_archE1200ELNS1_3gpuE4ELNS1_3repE0EEENS1_30default_config_static_selectorELNS0_4arch9wavefront6targetE0EEEvT1_
    .private_segment_fixed_size: 0
    .sgpr_count:     0
    .sgpr_spill_count: 0
    .symbol:         _ZN7rocprim17ROCPRIM_400000_NS6detail17trampoline_kernelINS0_14default_configENS1_20scan_config_selectorIfEEZZNS1_9scan_implILNS1_25lookback_scan_determinismE0ELb0ELb0ES3_PKfPffZZZN2at6native31launch_logcumsumexp_cuda_kernelERKNSB_10TensorBaseESF_lENKUlvE_clEvENKUlvE0_clEvEUlffE_fEEDaPvRmT3_T4_T5_mT6_P12ihipStream_tbENKUlT_T0_E_clISt17integral_constantIbLb0EESV_IbLb1EEEEDaSR_SS_EUlSR_E_NS1_11comp_targetILNS1_3genE10ELNS1_11target_archE1200ELNS1_3gpuE4ELNS1_3repE0EEENS1_30default_config_static_selectorELNS0_4arch9wavefront6targetE0EEEvT1_.kd
    .uniform_work_group_size: 1
    .uses_dynamic_stack: false
    .vgpr_count:     0
    .vgpr_spill_count: 0
    .wavefront_size: 32
    .workgroup_processor_mode: 1
  - .args:
      - .offset:         0
        .size:           96
        .value_kind:     by_value
    .group_segment_fixed_size: 0
    .kernarg_segment_align: 8
    .kernarg_segment_size: 96
    .language:       OpenCL C
    .language_version:
      - 2
      - 0
    .max_flat_workgroup_size: 256
    .name:           _ZN7rocprim17ROCPRIM_400000_NS6detail17trampoline_kernelINS0_14default_configENS1_20scan_config_selectorIfEEZZNS1_9scan_implILNS1_25lookback_scan_determinismE0ELb0ELb0ES3_PKfPffZZZN2at6native31launch_logcumsumexp_cuda_kernelERKNSB_10TensorBaseESF_lENKUlvE_clEvENKUlvE0_clEvEUlffE_fEEDaPvRmT3_T4_T5_mT6_P12ihipStream_tbENKUlT_T0_E_clISt17integral_constantIbLb0EESV_IbLb1EEEEDaSR_SS_EUlSR_E_NS1_11comp_targetILNS1_3genE9ELNS1_11target_archE1100ELNS1_3gpuE3ELNS1_3repE0EEENS1_30default_config_static_selectorELNS0_4arch9wavefront6targetE0EEEvT1_
    .private_segment_fixed_size: 0
    .sgpr_count:     0
    .sgpr_spill_count: 0
    .symbol:         _ZN7rocprim17ROCPRIM_400000_NS6detail17trampoline_kernelINS0_14default_configENS1_20scan_config_selectorIfEEZZNS1_9scan_implILNS1_25lookback_scan_determinismE0ELb0ELb0ES3_PKfPffZZZN2at6native31launch_logcumsumexp_cuda_kernelERKNSB_10TensorBaseESF_lENKUlvE_clEvENKUlvE0_clEvEUlffE_fEEDaPvRmT3_T4_T5_mT6_P12ihipStream_tbENKUlT_T0_E_clISt17integral_constantIbLb0EESV_IbLb1EEEEDaSR_SS_EUlSR_E_NS1_11comp_targetILNS1_3genE9ELNS1_11target_archE1100ELNS1_3gpuE3ELNS1_3repE0EEENS1_30default_config_static_selectorELNS0_4arch9wavefront6targetE0EEEvT1_.kd
    .uniform_work_group_size: 1
    .uses_dynamic_stack: false
    .vgpr_count:     0
    .vgpr_spill_count: 0
    .wavefront_size: 32
    .workgroup_processor_mode: 1
  - .args:
      - .offset:         0
        .size:           96
        .value_kind:     by_value
    .group_segment_fixed_size: 0
    .kernarg_segment_align: 8
    .kernarg_segment_size: 96
    .language:       OpenCL C
    .language_version:
      - 2
      - 0
    .max_flat_workgroup_size: 64
    .name:           _ZN7rocprim17ROCPRIM_400000_NS6detail17trampoline_kernelINS0_14default_configENS1_20scan_config_selectorIfEEZZNS1_9scan_implILNS1_25lookback_scan_determinismE0ELb0ELb0ES3_PKfPffZZZN2at6native31launch_logcumsumexp_cuda_kernelERKNSB_10TensorBaseESF_lENKUlvE_clEvENKUlvE0_clEvEUlffE_fEEDaPvRmT3_T4_T5_mT6_P12ihipStream_tbENKUlT_T0_E_clISt17integral_constantIbLb0EESV_IbLb1EEEEDaSR_SS_EUlSR_E_NS1_11comp_targetILNS1_3genE8ELNS1_11target_archE1030ELNS1_3gpuE2ELNS1_3repE0EEENS1_30default_config_static_selectorELNS0_4arch9wavefront6targetE0EEEvT1_
    .private_segment_fixed_size: 0
    .sgpr_count:     0
    .sgpr_spill_count: 0
    .symbol:         _ZN7rocprim17ROCPRIM_400000_NS6detail17trampoline_kernelINS0_14default_configENS1_20scan_config_selectorIfEEZZNS1_9scan_implILNS1_25lookback_scan_determinismE0ELb0ELb0ES3_PKfPffZZZN2at6native31launch_logcumsumexp_cuda_kernelERKNSB_10TensorBaseESF_lENKUlvE_clEvENKUlvE0_clEvEUlffE_fEEDaPvRmT3_T4_T5_mT6_P12ihipStream_tbENKUlT_T0_E_clISt17integral_constantIbLb0EESV_IbLb1EEEEDaSR_SS_EUlSR_E_NS1_11comp_targetILNS1_3genE8ELNS1_11target_archE1030ELNS1_3gpuE2ELNS1_3repE0EEENS1_30default_config_static_selectorELNS0_4arch9wavefront6targetE0EEEvT1_.kd
    .uniform_work_group_size: 1
    .uses_dynamic_stack: false
    .vgpr_count:     0
    .vgpr_spill_count: 0
    .wavefront_size: 32
    .workgroup_processor_mode: 1
  - .args:
      - .offset:         0
        .size:           32
        .value_kind:     by_value
    .group_segment_fixed_size: 0
    .kernarg_segment_align: 8
    .kernarg_segment_size: 32
    .language:       OpenCL C
    .language_version:
      - 2
      - 0
    .max_flat_workgroup_size: 256
    .name:           _ZN7rocprim17ROCPRIM_400000_NS6detail17trampoline_kernelINS0_14default_configENS1_20scan_config_selectorIfEEZZNS1_9scan_implILNS1_25lookback_scan_determinismE0ELb0ELb0ES3_PKfPffZZZN2at6native31launch_logcumsumexp_cuda_kernelERKNSB_10TensorBaseESF_lENKUlvE_clEvENKUlvE0_clEvEUlffE_fEEDaPvRmT3_T4_T5_mT6_P12ihipStream_tbENKUlT_T0_E_clISt17integral_constantIbLb0EESV_IbLb1EEEEDaSR_SS_EUlSR_E0_NS1_11comp_targetILNS1_3genE0ELNS1_11target_archE4294967295ELNS1_3gpuE0ELNS1_3repE0EEENS1_30default_config_static_selectorELNS0_4arch9wavefront6targetE0EEEvT1_
    .private_segment_fixed_size: 0
    .sgpr_count:     0
    .sgpr_spill_count: 0
    .symbol:         _ZN7rocprim17ROCPRIM_400000_NS6detail17trampoline_kernelINS0_14default_configENS1_20scan_config_selectorIfEEZZNS1_9scan_implILNS1_25lookback_scan_determinismE0ELb0ELb0ES3_PKfPffZZZN2at6native31launch_logcumsumexp_cuda_kernelERKNSB_10TensorBaseESF_lENKUlvE_clEvENKUlvE0_clEvEUlffE_fEEDaPvRmT3_T4_T5_mT6_P12ihipStream_tbENKUlT_T0_E_clISt17integral_constantIbLb0EESV_IbLb1EEEEDaSR_SS_EUlSR_E0_NS1_11comp_targetILNS1_3genE0ELNS1_11target_archE4294967295ELNS1_3gpuE0ELNS1_3repE0EEENS1_30default_config_static_selectorELNS0_4arch9wavefront6targetE0EEEvT1_.kd
    .uniform_work_group_size: 1
    .uses_dynamic_stack: false
    .vgpr_count:     0
    .vgpr_spill_count: 0
    .wavefront_size: 32
    .workgroup_processor_mode: 1
  - .args:
      - .offset:         0
        .size:           32
        .value_kind:     by_value
    .group_segment_fixed_size: 0
    .kernarg_segment_align: 8
    .kernarg_segment_size: 32
    .language:       OpenCL C
    .language_version:
      - 2
      - 0
    .max_flat_workgroup_size: 256
    .name:           _ZN7rocprim17ROCPRIM_400000_NS6detail17trampoline_kernelINS0_14default_configENS1_20scan_config_selectorIfEEZZNS1_9scan_implILNS1_25lookback_scan_determinismE0ELb0ELb0ES3_PKfPffZZZN2at6native31launch_logcumsumexp_cuda_kernelERKNSB_10TensorBaseESF_lENKUlvE_clEvENKUlvE0_clEvEUlffE_fEEDaPvRmT3_T4_T5_mT6_P12ihipStream_tbENKUlT_T0_E_clISt17integral_constantIbLb0EESV_IbLb1EEEEDaSR_SS_EUlSR_E0_NS1_11comp_targetILNS1_3genE5ELNS1_11target_archE942ELNS1_3gpuE9ELNS1_3repE0EEENS1_30default_config_static_selectorELNS0_4arch9wavefront6targetE0EEEvT1_
    .private_segment_fixed_size: 0
    .sgpr_count:     0
    .sgpr_spill_count: 0
    .symbol:         _ZN7rocprim17ROCPRIM_400000_NS6detail17trampoline_kernelINS0_14default_configENS1_20scan_config_selectorIfEEZZNS1_9scan_implILNS1_25lookback_scan_determinismE0ELb0ELb0ES3_PKfPffZZZN2at6native31launch_logcumsumexp_cuda_kernelERKNSB_10TensorBaseESF_lENKUlvE_clEvENKUlvE0_clEvEUlffE_fEEDaPvRmT3_T4_T5_mT6_P12ihipStream_tbENKUlT_T0_E_clISt17integral_constantIbLb0EESV_IbLb1EEEEDaSR_SS_EUlSR_E0_NS1_11comp_targetILNS1_3genE5ELNS1_11target_archE942ELNS1_3gpuE9ELNS1_3repE0EEENS1_30default_config_static_selectorELNS0_4arch9wavefront6targetE0EEEvT1_.kd
    .uniform_work_group_size: 1
    .uses_dynamic_stack: false
    .vgpr_count:     0
    .vgpr_spill_count: 0
    .wavefront_size: 32
    .workgroup_processor_mode: 1
  - .args:
      - .offset:         0
        .size:           32
        .value_kind:     by_value
    .group_segment_fixed_size: 0
    .kernarg_segment_align: 8
    .kernarg_segment_size: 32
    .language:       OpenCL C
    .language_version:
      - 2
      - 0
    .max_flat_workgroup_size: 128
    .name:           _ZN7rocprim17ROCPRIM_400000_NS6detail17trampoline_kernelINS0_14default_configENS1_20scan_config_selectorIfEEZZNS1_9scan_implILNS1_25lookback_scan_determinismE0ELb0ELb0ES3_PKfPffZZZN2at6native31launch_logcumsumexp_cuda_kernelERKNSB_10TensorBaseESF_lENKUlvE_clEvENKUlvE0_clEvEUlffE_fEEDaPvRmT3_T4_T5_mT6_P12ihipStream_tbENKUlT_T0_E_clISt17integral_constantIbLb0EESV_IbLb1EEEEDaSR_SS_EUlSR_E0_NS1_11comp_targetILNS1_3genE4ELNS1_11target_archE910ELNS1_3gpuE8ELNS1_3repE0EEENS1_30default_config_static_selectorELNS0_4arch9wavefront6targetE0EEEvT1_
    .private_segment_fixed_size: 0
    .sgpr_count:     0
    .sgpr_spill_count: 0
    .symbol:         _ZN7rocprim17ROCPRIM_400000_NS6detail17trampoline_kernelINS0_14default_configENS1_20scan_config_selectorIfEEZZNS1_9scan_implILNS1_25lookback_scan_determinismE0ELb0ELb0ES3_PKfPffZZZN2at6native31launch_logcumsumexp_cuda_kernelERKNSB_10TensorBaseESF_lENKUlvE_clEvENKUlvE0_clEvEUlffE_fEEDaPvRmT3_T4_T5_mT6_P12ihipStream_tbENKUlT_T0_E_clISt17integral_constantIbLb0EESV_IbLb1EEEEDaSR_SS_EUlSR_E0_NS1_11comp_targetILNS1_3genE4ELNS1_11target_archE910ELNS1_3gpuE8ELNS1_3repE0EEENS1_30default_config_static_selectorELNS0_4arch9wavefront6targetE0EEEvT1_.kd
    .uniform_work_group_size: 1
    .uses_dynamic_stack: false
    .vgpr_count:     0
    .vgpr_spill_count: 0
    .wavefront_size: 32
    .workgroup_processor_mode: 1
  - .args:
      - .offset:         0
        .size:           32
        .value_kind:     by_value
    .group_segment_fixed_size: 0
    .kernarg_segment_align: 8
    .kernarg_segment_size: 32
    .language:       OpenCL C
    .language_version:
      - 2
      - 0
    .max_flat_workgroup_size: 256
    .name:           _ZN7rocprim17ROCPRIM_400000_NS6detail17trampoline_kernelINS0_14default_configENS1_20scan_config_selectorIfEEZZNS1_9scan_implILNS1_25lookback_scan_determinismE0ELb0ELb0ES3_PKfPffZZZN2at6native31launch_logcumsumexp_cuda_kernelERKNSB_10TensorBaseESF_lENKUlvE_clEvENKUlvE0_clEvEUlffE_fEEDaPvRmT3_T4_T5_mT6_P12ihipStream_tbENKUlT_T0_E_clISt17integral_constantIbLb0EESV_IbLb1EEEEDaSR_SS_EUlSR_E0_NS1_11comp_targetILNS1_3genE3ELNS1_11target_archE908ELNS1_3gpuE7ELNS1_3repE0EEENS1_30default_config_static_selectorELNS0_4arch9wavefront6targetE0EEEvT1_
    .private_segment_fixed_size: 0
    .sgpr_count:     0
    .sgpr_spill_count: 0
    .symbol:         _ZN7rocprim17ROCPRIM_400000_NS6detail17trampoline_kernelINS0_14default_configENS1_20scan_config_selectorIfEEZZNS1_9scan_implILNS1_25lookback_scan_determinismE0ELb0ELb0ES3_PKfPffZZZN2at6native31launch_logcumsumexp_cuda_kernelERKNSB_10TensorBaseESF_lENKUlvE_clEvENKUlvE0_clEvEUlffE_fEEDaPvRmT3_T4_T5_mT6_P12ihipStream_tbENKUlT_T0_E_clISt17integral_constantIbLb0EESV_IbLb1EEEEDaSR_SS_EUlSR_E0_NS1_11comp_targetILNS1_3genE3ELNS1_11target_archE908ELNS1_3gpuE7ELNS1_3repE0EEENS1_30default_config_static_selectorELNS0_4arch9wavefront6targetE0EEEvT1_.kd
    .uniform_work_group_size: 1
    .uses_dynamic_stack: false
    .vgpr_count:     0
    .vgpr_spill_count: 0
    .wavefront_size: 32
    .workgroup_processor_mode: 1
  - .args:
      - .offset:         0
        .size:           32
        .value_kind:     by_value
    .group_segment_fixed_size: 0
    .kernarg_segment_align: 8
    .kernarg_segment_size: 32
    .language:       OpenCL C
    .language_version:
      - 2
      - 0
    .max_flat_workgroup_size: 256
    .name:           _ZN7rocprim17ROCPRIM_400000_NS6detail17trampoline_kernelINS0_14default_configENS1_20scan_config_selectorIfEEZZNS1_9scan_implILNS1_25lookback_scan_determinismE0ELb0ELb0ES3_PKfPffZZZN2at6native31launch_logcumsumexp_cuda_kernelERKNSB_10TensorBaseESF_lENKUlvE_clEvENKUlvE0_clEvEUlffE_fEEDaPvRmT3_T4_T5_mT6_P12ihipStream_tbENKUlT_T0_E_clISt17integral_constantIbLb0EESV_IbLb1EEEEDaSR_SS_EUlSR_E0_NS1_11comp_targetILNS1_3genE2ELNS1_11target_archE906ELNS1_3gpuE6ELNS1_3repE0EEENS1_30default_config_static_selectorELNS0_4arch9wavefront6targetE0EEEvT1_
    .private_segment_fixed_size: 0
    .sgpr_count:     0
    .sgpr_spill_count: 0
    .symbol:         _ZN7rocprim17ROCPRIM_400000_NS6detail17trampoline_kernelINS0_14default_configENS1_20scan_config_selectorIfEEZZNS1_9scan_implILNS1_25lookback_scan_determinismE0ELb0ELb0ES3_PKfPffZZZN2at6native31launch_logcumsumexp_cuda_kernelERKNSB_10TensorBaseESF_lENKUlvE_clEvENKUlvE0_clEvEUlffE_fEEDaPvRmT3_T4_T5_mT6_P12ihipStream_tbENKUlT_T0_E_clISt17integral_constantIbLb0EESV_IbLb1EEEEDaSR_SS_EUlSR_E0_NS1_11comp_targetILNS1_3genE2ELNS1_11target_archE906ELNS1_3gpuE6ELNS1_3repE0EEENS1_30default_config_static_selectorELNS0_4arch9wavefront6targetE0EEEvT1_.kd
    .uniform_work_group_size: 1
    .uses_dynamic_stack: false
    .vgpr_count:     0
    .vgpr_spill_count: 0
    .wavefront_size: 32
    .workgroup_processor_mode: 1
  - .args:
      - .offset:         0
        .size:           32
        .value_kind:     by_value
    .group_segment_fixed_size: 6144
    .kernarg_segment_align: 8
    .kernarg_segment_size: 32
    .language:       OpenCL C
    .language_version:
      - 2
      - 0
    .max_flat_workgroup_size: 256
    .name:           _ZN7rocprim17ROCPRIM_400000_NS6detail17trampoline_kernelINS0_14default_configENS1_20scan_config_selectorIfEEZZNS1_9scan_implILNS1_25lookback_scan_determinismE0ELb0ELb0ES3_PKfPffZZZN2at6native31launch_logcumsumexp_cuda_kernelERKNSB_10TensorBaseESF_lENKUlvE_clEvENKUlvE0_clEvEUlffE_fEEDaPvRmT3_T4_T5_mT6_P12ihipStream_tbENKUlT_T0_E_clISt17integral_constantIbLb0EESV_IbLb1EEEEDaSR_SS_EUlSR_E0_NS1_11comp_targetILNS1_3genE10ELNS1_11target_archE1201ELNS1_3gpuE5ELNS1_3repE0EEENS1_30default_config_static_selectorELNS0_4arch9wavefront6targetE0EEEvT1_
    .private_segment_fixed_size: 0
    .sgpr_count:     19
    .sgpr_spill_count: 0
    .symbol:         _ZN7rocprim17ROCPRIM_400000_NS6detail17trampoline_kernelINS0_14default_configENS1_20scan_config_selectorIfEEZZNS1_9scan_implILNS1_25lookback_scan_determinismE0ELb0ELb0ES3_PKfPffZZZN2at6native31launch_logcumsumexp_cuda_kernelERKNSB_10TensorBaseESF_lENKUlvE_clEvENKUlvE0_clEvEUlffE_fEEDaPvRmT3_T4_T5_mT6_P12ihipStream_tbENKUlT_T0_E_clISt17integral_constantIbLb0EESV_IbLb1EEEEDaSR_SS_EUlSR_E0_NS1_11comp_targetILNS1_3genE10ELNS1_11target_archE1201ELNS1_3gpuE5ELNS1_3repE0EEENS1_30default_config_static_selectorELNS0_4arch9wavefront6targetE0EEEvT1_.kd
    .uniform_work_group_size: 1
    .uses_dynamic_stack: false
    .vgpr_count:     35
    .vgpr_spill_count: 0
    .wavefront_size: 32
    .workgroup_processor_mode: 1
  - .args:
      - .offset:         0
        .size:           32
        .value_kind:     by_value
    .group_segment_fixed_size: 0
    .kernarg_segment_align: 8
    .kernarg_segment_size: 32
    .language:       OpenCL C
    .language_version:
      - 2
      - 0
    .max_flat_workgroup_size: 256
    .name:           _ZN7rocprim17ROCPRIM_400000_NS6detail17trampoline_kernelINS0_14default_configENS1_20scan_config_selectorIfEEZZNS1_9scan_implILNS1_25lookback_scan_determinismE0ELb0ELb0ES3_PKfPffZZZN2at6native31launch_logcumsumexp_cuda_kernelERKNSB_10TensorBaseESF_lENKUlvE_clEvENKUlvE0_clEvEUlffE_fEEDaPvRmT3_T4_T5_mT6_P12ihipStream_tbENKUlT_T0_E_clISt17integral_constantIbLb0EESV_IbLb1EEEEDaSR_SS_EUlSR_E0_NS1_11comp_targetILNS1_3genE10ELNS1_11target_archE1200ELNS1_3gpuE4ELNS1_3repE0EEENS1_30default_config_static_selectorELNS0_4arch9wavefront6targetE0EEEvT1_
    .private_segment_fixed_size: 0
    .sgpr_count:     0
    .sgpr_spill_count: 0
    .symbol:         _ZN7rocprim17ROCPRIM_400000_NS6detail17trampoline_kernelINS0_14default_configENS1_20scan_config_selectorIfEEZZNS1_9scan_implILNS1_25lookback_scan_determinismE0ELb0ELb0ES3_PKfPffZZZN2at6native31launch_logcumsumexp_cuda_kernelERKNSB_10TensorBaseESF_lENKUlvE_clEvENKUlvE0_clEvEUlffE_fEEDaPvRmT3_T4_T5_mT6_P12ihipStream_tbENKUlT_T0_E_clISt17integral_constantIbLb0EESV_IbLb1EEEEDaSR_SS_EUlSR_E0_NS1_11comp_targetILNS1_3genE10ELNS1_11target_archE1200ELNS1_3gpuE4ELNS1_3repE0EEENS1_30default_config_static_selectorELNS0_4arch9wavefront6targetE0EEEvT1_.kd
    .uniform_work_group_size: 1
    .uses_dynamic_stack: false
    .vgpr_count:     0
    .vgpr_spill_count: 0
    .wavefront_size: 32
    .workgroup_processor_mode: 1
  - .args:
      - .offset:         0
        .size:           32
        .value_kind:     by_value
    .group_segment_fixed_size: 0
    .kernarg_segment_align: 8
    .kernarg_segment_size: 32
    .language:       OpenCL C
    .language_version:
      - 2
      - 0
    .max_flat_workgroup_size: 256
    .name:           _ZN7rocprim17ROCPRIM_400000_NS6detail17trampoline_kernelINS0_14default_configENS1_20scan_config_selectorIfEEZZNS1_9scan_implILNS1_25lookback_scan_determinismE0ELb0ELb0ES3_PKfPffZZZN2at6native31launch_logcumsumexp_cuda_kernelERKNSB_10TensorBaseESF_lENKUlvE_clEvENKUlvE0_clEvEUlffE_fEEDaPvRmT3_T4_T5_mT6_P12ihipStream_tbENKUlT_T0_E_clISt17integral_constantIbLb0EESV_IbLb1EEEEDaSR_SS_EUlSR_E0_NS1_11comp_targetILNS1_3genE9ELNS1_11target_archE1100ELNS1_3gpuE3ELNS1_3repE0EEENS1_30default_config_static_selectorELNS0_4arch9wavefront6targetE0EEEvT1_
    .private_segment_fixed_size: 0
    .sgpr_count:     0
    .sgpr_spill_count: 0
    .symbol:         _ZN7rocprim17ROCPRIM_400000_NS6detail17trampoline_kernelINS0_14default_configENS1_20scan_config_selectorIfEEZZNS1_9scan_implILNS1_25lookback_scan_determinismE0ELb0ELb0ES3_PKfPffZZZN2at6native31launch_logcumsumexp_cuda_kernelERKNSB_10TensorBaseESF_lENKUlvE_clEvENKUlvE0_clEvEUlffE_fEEDaPvRmT3_T4_T5_mT6_P12ihipStream_tbENKUlT_T0_E_clISt17integral_constantIbLb0EESV_IbLb1EEEEDaSR_SS_EUlSR_E0_NS1_11comp_targetILNS1_3genE9ELNS1_11target_archE1100ELNS1_3gpuE3ELNS1_3repE0EEENS1_30default_config_static_selectorELNS0_4arch9wavefront6targetE0EEEvT1_.kd
    .uniform_work_group_size: 1
    .uses_dynamic_stack: false
    .vgpr_count:     0
    .vgpr_spill_count: 0
    .wavefront_size: 32
    .workgroup_processor_mode: 1
  - .args:
      - .offset:         0
        .size:           32
        .value_kind:     by_value
    .group_segment_fixed_size: 0
    .kernarg_segment_align: 8
    .kernarg_segment_size: 32
    .language:       OpenCL C
    .language_version:
      - 2
      - 0
    .max_flat_workgroup_size: 64
    .name:           _ZN7rocprim17ROCPRIM_400000_NS6detail17trampoline_kernelINS0_14default_configENS1_20scan_config_selectorIfEEZZNS1_9scan_implILNS1_25lookback_scan_determinismE0ELb0ELb0ES3_PKfPffZZZN2at6native31launch_logcumsumexp_cuda_kernelERKNSB_10TensorBaseESF_lENKUlvE_clEvENKUlvE0_clEvEUlffE_fEEDaPvRmT3_T4_T5_mT6_P12ihipStream_tbENKUlT_T0_E_clISt17integral_constantIbLb0EESV_IbLb1EEEEDaSR_SS_EUlSR_E0_NS1_11comp_targetILNS1_3genE8ELNS1_11target_archE1030ELNS1_3gpuE2ELNS1_3repE0EEENS1_30default_config_static_selectorELNS0_4arch9wavefront6targetE0EEEvT1_
    .private_segment_fixed_size: 0
    .sgpr_count:     0
    .sgpr_spill_count: 0
    .symbol:         _ZN7rocprim17ROCPRIM_400000_NS6detail17trampoline_kernelINS0_14default_configENS1_20scan_config_selectorIfEEZZNS1_9scan_implILNS1_25lookback_scan_determinismE0ELb0ELb0ES3_PKfPffZZZN2at6native31launch_logcumsumexp_cuda_kernelERKNSB_10TensorBaseESF_lENKUlvE_clEvENKUlvE0_clEvEUlffE_fEEDaPvRmT3_T4_T5_mT6_P12ihipStream_tbENKUlT_T0_E_clISt17integral_constantIbLb0EESV_IbLb1EEEEDaSR_SS_EUlSR_E0_NS1_11comp_targetILNS1_3genE8ELNS1_11target_archE1030ELNS1_3gpuE2ELNS1_3repE0EEENS1_30default_config_static_selectorELNS0_4arch9wavefront6targetE0EEEvT1_.kd
    .uniform_work_group_size: 1
    .uses_dynamic_stack: false
    .vgpr_count:     0
    .vgpr_spill_count: 0
    .wavefront_size: 32
    .workgroup_processor_mode: 1
  - .args:
      - .address_space:  global
        .offset:         0
        .size:           8
        .value_kind:     global_buffer
      - .address_space:  global
        .offset:         8
        .size:           8
        .value_kind:     global_buffer
      - .offset:         16
        .size:           4
        .value_kind:     by_value
      - .offset:         20
        .size:           4
        .value_kind:     by_value
      - .offset:         24
        .size:           4
        .value_kind:     by_value
      - .offset:         28
        .size:           4
        .value_kind:     by_value
      - .offset:         32
        .size:           1
        .value_kind:     by_value
      - .offset:         40
        .size:           4
        .value_kind:     hidden_block_count_x
      - .offset:         44
        .size:           4
        .value_kind:     hidden_block_count_y
      - .offset:         48
        .size:           4
        .value_kind:     hidden_block_count_z
      - .offset:         52
        .size:           2
        .value_kind:     hidden_group_size_x
      - .offset:         54
        .size:           2
        .value_kind:     hidden_group_size_y
      - .offset:         56
        .size:           2
        .value_kind:     hidden_group_size_z
      - .offset:         58
        .size:           2
        .value_kind:     hidden_remainder_x
      - .offset:         60
        .size:           2
        .value_kind:     hidden_remainder_y
      - .offset:         62
        .size:           2
        .value_kind:     hidden_remainder_z
      - .offset:         80
        .size:           8
        .value_kind:     hidden_global_offset_x
      - .offset:         88
        .size:           8
        .value_kind:     hidden_global_offset_y
      - .offset:         96
        .size:           8
        .value_kind:     hidden_global_offset_z
      - .offset:         104
        .size:           2
        .value_kind:     hidden_grid_dims
      - .offset:         160
        .size:           4
        .value_kind:     hidden_dynamic_lds_size
    .group_segment_fixed_size: 0
    .kernarg_segment_align: 8
    .kernarg_segment_size: 296
    .language:       OpenCL C
    .language_version:
      - 2
      - 0
    .max_flat_workgroup_size: 1024
    .name:           _ZN2at6native32tensor_kernel_scan_innermost_dimIfZZZNS0_31launch_logcumsumexp_cuda_kernelERKNS_10TensorBaseES4_lENKUlvE_clEvENKUlvE0_clEvEUlffE_EEvPT_PKS8_jjjS8_T0_
    .private_segment_fixed_size: 0
    .sgpr_count:     27
    .sgpr_spill_count: 0
    .symbol:         _ZN2at6native32tensor_kernel_scan_innermost_dimIfZZZNS0_31launch_logcumsumexp_cuda_kernelERKNS_10TensorBaseES4_lENKUlvE_clEvENKUlvE0_clEvEUlffE_EEvPT_PKS8_jjjS8_T0_.kd
    .uniform_work_group_size: 1
    .uses_dynamic_stack: false
    .vgpr_count:     34
    .vgpr_spill_count: 0
    .wavefront_size: 32
    .workgroup_processor_mode: 1
  - .args:
      - .address_space:  global
        .offset:         0
        .size:           8
        .value_kind:     global_buffer
      - .address_space:  global
        .offset:         8
        .size:           8
        .value_kind:     global_buffer
      - .offset:         16
        .size:           4
        .value_kind:     by_value
      - .offset:         20
        .size:           4
        .value_kind:     by_value
      - .offset:         24
        .size:           4
        .value_kind:     by_value
      - .offset:         28
        .size:           4
        .value_kind:     by_value
      - .offset:         32
        .size:           1
        .value_kind:     by_value
      - .offset:         40
        .size:           4
        .value_kind:     hidden_block_count_x
      - .offset:         44
        .size:           4
        .value_kind:     hidden_block_count_y
      - .offset:         48
        .size:           4
        .value_kind:     hidden_block_count_z
      - .offset:         52
        .size:           2
        .value_kind:     hidden_group_size_x
      - .offset:         54
        .size:           2
        .value_kind:     hidden_group_size_y
      - .offset:         56
        .size:           2
        .value_kind:     hidden_group_size_z
      - .offset:         58
        .size:           2
        .value_kind:     hidden_remainder_x
      - .offset:         60
        .size:           2
        .value_kind:     hidden_remainder_y
      - .offset:         62
        .size:           2
        .value_kind:     hidden_remainder_z
      - .offset:         80
        .size:           8
        .value_kind:     hidden_global_offset_x
      - .offset:         88
        .size:           8
        .value_kind:     hidden_global_offset_y
      - .offset:         96
        .size:           8
        .value_kind:     hidden_global_offset_z
      - .offset:         104
        .size:           2
        .value_kind:     hidden_grid_dims
    .group_segment_fixed_size: 0
    .kernarg_segment_align: 8
    .kernarg_segment_size: 296
    .language:       OpenCL C
    .language_version:
      - 2
      - 0
    .max_flat_workgroup_size: 1024
    .name:           _ZN2at6native28tensor_kernel_scan_outer_dimIfjZZZNS0_31launch_logcumsumexp_cuda_kernelERKNS_10TensorBaseES4_lENKUlvE_clEvENKUlvE0_clEvEUlffE_EEvPT_PKS8_jjjS8_T1_
    .private_segment_fixed_size: 0
    .sgpr_count:     31
    .sgpr_spill_count: 0
    .symbol:         _ZN2at6native28tensor_kernel_scan_outer_dimIfjZZZNS0_31launch_logcumsumexp_cuda_kernelERKNS_10TensorBaseES4_lENKUlvE_clEvENKUlvE0_clEvEUlffE_EEvPT_PKS8_jjjS8_T1_.kd
    .uniform_work_group_size: 1
    .uses_dynamic_stack: false
    .vgpr_count:     19
    .vgpr_spill_count: 0
    .wavefront_size: 32
    .workgroup_processor_mode: 1
  - .args:
      - .address_space:  global
        .offset:         0
        .size:           8
        .value_kind:     global_buffer
      - .address_space:  global
        .offset:         8
        .size:           8
        .value_kind:     global_buffer
      - .offset:         16
        .size:           4
        .value_kind:     by_value
      - .offset:         20
        .size:           4
        .value_kind:     by_value
      - .offset:         24
        .size:           4
        .value_kind:     by_value
      - .offset:         28
        .size:           4
        .value_kind:     by_value
      - .offset:         32
        .size:           1
        .value_kind:     by_value
      - .offset:         40
        .size:           4
        .value_kind:     hidden_block_count_x
      - .offset:         44
        .size:           4
        .value_kind:     hidden_block_count_y
      - .offset:         48
        .size:           4
        .value_kind:     hidden_block_count_z
      - .offset:         52
        .size:           2
        .value_kind:     hidden_group_size_x
      - .offset:         54
        .size:           2
        .value_kind:     hidden_group_size_y
      - .offset:         56
        .size:           2
        .value_kind:     hidden_group_size_z
      - .offset:         58
        .size:           2
        .value_kind:     hidden_remainder_x
      - .offset:         60
        .size:           2
        .value_kind:     hidden_remainder_y
      - .offset:         62
        .size:           2
        .value_kind:     hidden_remainder_z
      - .offset:         80
        .size:           8
        .value_kind:     hidden_global_offset_x
      - .offset:         88
        .size:           8
        .value_kind:     hidden_global_offset_y
      - .offset:         96
        .size:           8
        .value_kind:     hidden_global_offset_z
      - .offset:         104
        .size:           2
        .value_kind:     hidden_grid_dims
    .group_segment_fixed_size: 0
    .kernarg_segment_align: 8
    .kernarg_segment_size: 296
    .language:       OpenCL C
    .language_version:
      - 2
      - 0
    .max_flat_workgroup_size: 1024
    .name:           _ZN2at6native28tensor_kernel_scan_outer_dimIfmZZZNS0_31launch_logcumsumexp_cuda_kernelERKNS_10TensorBaseES4_lENKUlvE_clEvENKUlvE0_clEvEUlffE_EEvPT_PKS8_jjjS8_T1_
    .private_segment_fixed_size: 0
    .sgpr_count:     31
    .sgpr_spill_count: 0
    .symbol:         _ZN2at6native28tensor_kernel_scan_outer_dimIfmZZZNS0_31launch_logcumsumexp_cuda_kernelERKNS_10TensorBaseES4_lENKUlvE_clEvENKUlvE0_clEvEUlffE_EEvPT_PKS8_jjjS8_T1_.kd
    .uniform_work_group_size: 1
    .uses_dynamic_stack: false
    .vgpr_count:     19
    .vgpr_spill_count: 0
    .wavefront_size: 32
    .workgroup_processor_mode: 1
  - .args:
      - .offset:         0
        .size:           24
        .value_kind:     by_value
      - .offset:         24
        .size:           4
        .value_kind:     by_value
      - .offset:         28
        .size:           1
        .value_kind:     by_value
      - .offset:         32
        .size:           4
        .value_kind:     by_value
      - .address_space:  global
        .offset:         40
        .size:           8
        .value_kind:     global_buffer
      - .offset:         48
        .size:           4
        .value_kind:     hidden_block_count_x
      - .offset:         52
        .size:           4
        .value_kind:     hidden_block_count_y
      - .offset:         56
        .size:           4
        .value_kind:     hidden_block_count_z
      - .offset:         60
        .size:           2
        .value_kind:     hidden_group_size_x
      - .offset:         62
        .size:           2
        .value_kind:     hidden_group_size_y
      - .offset:         64
        .size:           2
        .value_kind:     hidden_group_size_z
      - .offset:         66
        .size:           2
        .value_kind:     hidden_remainder_x
      - .offset:         68
        .size:           2
        .value_kind:     hidden_remainder_y
      - .offset:         70
        .size:           2
        .value_kind:     hidden_remainder_z
      - .offset:         88
        .size:           8
        .value_kind:     hidden_global_offset_x
      - .offset:         96
        .size:           8
        .value_kind:     hidden_global_offset_y
      - .offset:         104
        .size:           8
        .value_kind:     hidden_global_offset_z
      - .offset:         112
        .size:           2
        .value_kind:     hidden_grid_dims
    .group_segment_fixed_size: 0
    .kernarg_segment_align: 8
    .kernarg_segment_size: 304
    .language:       OpenCL C
    .language_version:
      - 2
      - 0
    .max_flat_workgroup_size: 256
    .name:           _ZN7rocprim17ROCPRIM_400000_NS6detail31init_lookback_scan_state_kernelINS1_19lookback_scan_stateIN3c107complexIdEELb0ELb0EEENS1_16block_id_wrapperIjLb0EEEEEvT_jT0_jPNSA_10value_typeE
    .private_segment_fixed_size: 0
    .sgpr_count:     17
    .sgpr_spill_count: 0
    .symbol:         _ZN7rocprim17ROCPRIM_400000_NS6detail31init_lookback_scan_state_kernelINS1_19lookback_scan_stateIN3c107complexIdEELb0ELb0EEENS1_16block_id_wrapperIjLb0EEEEEvT_jT0_jPNSA_10value_typeE.kd
    .uniform_work_group_size: 1
    .uses_dynamic_stack: false
    .vgpr_count:     6
    .vgpr_spill_count: 0
    .wavefront_size: 32
    .workgroup_processor_mode: 1
  - .args:
      - .offset:         0
        .size:           128
        .value_kind:     by_value
    .group_segment_fixed_size: 0
    .kernarg_segment_align: 16
    .kernarg_segment_size: 128
    .language:       OpenCL C
    .language_version:
      - 2
      - 0
    .max_flat_workgroup_size: 128
    .name:           _ZN7rocprim17ROCPRIM_400000_NS6detail17trampoline_kernelINS0_14default_configENS1_20scan_config_selectorIN3c107complexIdEEEEZZNS1_9scan_implILNS1_25lookback_scan_determinismE0ELb0ELb0ES3_PKS7_PS7_S7_ZZZN2at6native31launch_logcumsumexp_cuda_kernelERKNSE_10TensorBaseESI_lENKUlvE_clEvENKUlvE1_clEvEUlS7_S7_E_S7_EEDaPvRmT3_T4_T5_mT6_P12ihipStream_tbENKUlT_T0_E_clISt17integral_constantIbLb0EESZ_EEDaSU_SV_EUlSU_E_NS1_11comp_targetILNS1_3genE0ELNS1_11target_archE4294967295ELNS1_3gpuE0ELNS1_3repE0EEENS1_30default_config_static_selectorELNS0_4arch9wavefront6targetE0EEEvT1_
    .private_segment_fixed_size: 0
    .sgpr_count:     0
    .sgpr_spill_count: 0
    .symbol:         _ZN7rocprim17ROCPRIM_400000_NS6detail17trampoline_kernelINS0_14default_configENS1_20scan_config_selectorIN3c107complexIdEEEEZZNS1_9scan_implILNS1_25lookback_scan_determinismE0ELb0ELb0ES3_PKS7_PS7_S7_ZZZN2at6native31launch_logcumsumexp_cuda_kernelERKNSE_10TensorBaseESI_lENKUlvE_clEvENKUlvE1_clEvEUlS7_S7_E_S7_EEDaPvRmT3_T4_T5_mT6_P12ihipStream_tbENKUlT_T0_E_clISt17integral_constantIbLb0EESZ_EEDaSU_SV_EUlSU_E_NS1_11comp_targetILNS1_3genE0ELNS1_11target_archE4294967295ELNS1_3gpuE0ELNS1_3repE0EEENS1_30default_config_static_selectorELNS0_4arch9wavefront6targetE0EEEvT1_.kd
    .uniform_work_group_size: 1
    .uses_dynamic_stack: false
    .vgpr_count:     0
    .vgpr_spill_count: 0
    .wavefront_size: 32
    .workgroup_processor_mode: 1
  - .args:
      - .offset:         0
        .size:           128
        .value_kind:     by_value
    .group_segment_fixed_size: 0
    .kernarg_segment_align: 16
    .kernarg_segment_size: 128
    .language:       OpenCL C
    .language_version:
      - 2
      - 0
    .max_flat_workgroup_size: 256
    .name:           _ZN7rocprim17ROCPRIM_400000_NS6detail17trampoline_kernelINS0_14default_configENS1_20scan_config_selectorIN3c107complexIdEEEEZZNS1_9scan_implILNS1_25lookback_scan_determinismE0ELb0ELb0ES3_PKS7_PS7_S7_ZZZN2at6native31launch_logcumsumexp_cuda_kernelERKNSE_10TensorBaseESI_lENKUlvE_clEvENKUlvE1_clEvEUlS7_S7_E_S7_EEDaPvRmT3_T4_T5_mT6_P12ihipStream_tbENKUlT_T0_E_clISt17integral_constantIbLb0EESZ_EEDaSU_SV_EUlSU_E_NS1_11comp_targetILNS1_3genE5ELNS1_11target_archE942ELNS1_3gpuE9ELNS1_3repE0EEENS1_30default_config_static_selectorELNS0_4arch9wavefront6targetE0EEEvT1_
    .private_segment_fixed_size: 0
    .sgpr_count:     0
    .sgpr_spill_count: 0
    .symbol:         _ZN7rocprim17ROCPRIM_400000_NS6detail17trampoline_kernelINS0_14default_configENS1_20scan_config_selectorIN3c107complexIdEEEEZZNS1_9scan_implILNS1_25lookback_scan_determinismE0ELb0ELb0ES3_PKS7_PS7_S7_ZZZN2at6native31launch_logcumsumexp_cuda_kernelERKNSE_10TensorBaseESI_lENKUlvE_clEvENKUlvE1_clEvEUlS7_S7_E_S7_EEDaPvRmT3_T4_T5_mT6_P12ihipStream_tbENKUlT_T0_E_clISt17integral_constantIbLb0EESZ_EEDaSU_SV_EUlSU_E_NS1_11comp_targetILNS1_3genE5ELNS1_11target_archE942ELNS1_3gpuE9ELNS1_3repE0EEENS1_30default_config_static_selectorELNS0_4arch9wavefront6targetE0EEEvT1_.kd
    .uniform_work_group_size: 1
    .uses_dynamic_stack: false
    .vgpr_count:     0
    .vgpr_spill_count: 0
    .wavefront_size: 32
    .workgroup_processor_mode: 1
  - .args:
      - .offset:         0
        .size:           128
        .value_kind:     by_value
    .group_segment_fixed_size: 0
    .kernarg_segment_align: 16
    .kernarg_segment_size: 128
    .language:       OpenCL C
    .language_version:
      - 2
      - 0
    .max_flat_workgroup_size: 64
    .name:           _ZN7rocprim17ROCPRIM_400000_NS6detail17trampoline_kernelINS0_14default_configENS1_20scan_config_selectorIN3c107complexIdEEEEZZNS1_9scan_implILNS1_25lookback_scan_determinismE0ELb0ELb0ES3_PKS7_PS7_S7_ZZZN2at6native31launch_logcumsumexp_cuda_kernelERKNSE_10TensorBaseESI_lENKUlvE_clEvENKUlvE1_clEvEUlS7_S7_E_S7_EEDaPvRmT3_T4_T5_mT6_P12ihipStream_tbENKUlT_T0_E_clISt17integral_constantIbLb0EESZ_EEDaSU_SV_EUlSU_E_NS1_11comp_targetILNS1_3genE4ELNS1_11target_archE910ELNS1_3gpuE8ELNS1_3repE0EEENS1_30default_config_static_selectorELNS0_4arch9wavefront6targetE0EEEvT1_
    .private_segment_fixed_size: 0
    .sgpr_count:     0
    .sgpr_spill_count: 0
    .symbol:         _ZN7rocprim17ROCPRIM_400000_NS6detail17trampoline_kernelINS0_14default_configENS1_20scan_config_selectorIN3c107complexIdEEEEZZNS1_9scan_implILNS1_25lookback_scan_determinismE0ELb0ELb0ES3_PKS7_PS7_S7_ZZZN2at6native31launch_logcumsumexp_cuda_kernelERKNSE_10TensorBaseESI_lENKUlvE_clEvENKUlvE1_clEvEUlS7_S7_E_S7_EEDaPvRmT3_T4_T5_mT6_P12ihipStream_tbENKUlT_T0_E_clISt17integral_constantIbLb0EESZ_EEDaSU_SV_EUlSU_E_NS1_11comp_targetILNS1_3genE4ELNS1_11target_archE910ELNS1_3gpuE8ELNS1_3repE0EEENS1_30default_config_static_selectorELNS0_4arch9wavefront6targetE0EEEvT1_.kd
    .uniform_work_group_size: 1
    .uses_dynamic_stack: false
    .vgpr_count:     0
    .vgpr_spill_count: 0
    .wavefront_size: 32
    .workgroup_processor_mode: 1
  - .args:
      - .offset:         0
        .size:           128
        .value_kind:     by_value
    .group_segment_fixed_size: 0
    .kernarg_segment_align: 16
    .kernarg_segment_size: 128
    .language:       OpenCL C
    .language_version:
      - 2
      - 0
    .max_flat_workgroup_size: 128
    .name:           _ZN7rocprim17ROCPRIM_400000_NS6detail17trampoline_kernelINS0_14default_configENS1_20scan_config_selectorIN3c107complexIdEEEEZZNS1_9scan_implILNS1_25lookback_scan_determinismE0ELb0ELb0ES3_PKS7_PS7_S7_ZZZN2at6native31launch_logcumsumexp_cuda_kernelERKNSE_10TensorBaseESI_lENKUlvE_clEvENKUlvE1_clEvEUlS7_S7_E_S7_EEDaPvRmT3_T4_T5_mT6_P12ihipStream_tbENKUlT_T0_E_clISt17integral_constantIbLb0EESZ_EEDaSU_SV_EUlSU_E_NS1_11comp_targetILNS1_3genE3ELNS1_11target_archE908ELNS1_3gpuE7ELNS1_3repE0EEENS1_30default_config_static_selectorELNS0_4arch9wavefront6targetE0EEEvT1_
    .private_segment_fixed_size: 0
    .sgpr_count:     0
    .sgpr_spill_count: 0
    .symbol:         _ZN7rocprim17ROCPRIM_400000_NS6detail17trampoline_kernelINS0_14default_configENS1_20scan_config_selectorIN3c107complexIdEEEEZZNS1_9scan_implILNS1_25lookback_scan_determinismE0ELb0ELb0ES3_PKS7_PS7_S7_ZZZN2at6native31launch_logcumsumexp_cuda_kernelERKNSE_10TensorBaseESI_lENKUlvE_clEvENKUlvE1_clEvEUlS7_S7_E_S7_EEDaPvRmT3_T4_T5_mT6_P12ihipStream_tbENKUlT_T0_E_clISt17integral_constantIbLb0EESZ_EEDaSU_SV_EUlSU_E_NS1_11comp_targetILNS1_3genE3ELNS1_11target_archE908ELNS1_3gpuE7ELNS1_3repE0EEENS1_30default_config_static_selectorELNS0_4arch9wavefront6targetE0EEEvT1_.kd
    .uniform_work_group_size: 1
    .uses_dynamic_stack: false
    .vgpr_count:     0
    .vgpr_spill_count: 0
    .wavefront_size: 32
    .workgroup_processor_mode: 1
  - .args:
      - .offset:         0
        .size:           128
        .value_kind:     by_value
    .group_segment_fixed_size: 0
    .kernarg_segment_align: 16
    .kernarg_segment_size: 128
    .language:       OpenCL C
    .language_version:
      - 2
      - 0
    .max_flat_workgroup_size: 64
    .name:           _ZN7rocprim17ROCPRIM_400000_NS6detail17trampoline_kernelINS0_14default_configENS1_20scan_config_selectorIN3c107complexIdEEEEZZNS1_9scan_implILNS1_25lookback_scan_determinismE0ELb0ELb0ES3_PKS7_PS7_S7_ZZZN2at6native31launch_logcumsumexp_cuda_kernelERKNSE_10TensorBaseESI_lENKUlvE_clEvENKUlvE1_clEvEUlS7_S7_E_S7_EEDaPvRmT3_T4_T5_mT6_P12ihipStream_tbENKUlT_T0_E_clISt17integral_constantIbLb0EESZ_EEDaSU_SV_EUlSU_E_NS1_11comp_targetILNS1_3genE2ELNS1_11target_archE906ELNS1_3gpuE6ELNS1_3repE0EEENS1_30default_config_static_selectorELNS0_4arch9wavefront6targetE0EEEvT1_
    .private_segment_fixed_size: 0
    .sgpr_count:     0
    .sgpr_spill_count: 0
    .symbol:         _ZN7rocprim17ROCPRIM_400000_NS6detail17trampoline_kernelINS0_14default_configENS1_20scan_config_selectorIN3c107complexIdEEEEZZNS1_9scan_implILNS1_25lookback_scan_determinismE0ELb0ELb0ES3_PKS7_PS7_S7_ZZZN2at6native31launch_logcumsumexp_cuda_kernelERKNSE_10TensorBaseESI_lENKUlvE_clEvENKUlvE1_clEvEUlS7_S7_E_S7_EEDaPvRmT3_T4_T5_mT6_P12ihipStream_tbENKUlT_T0_E_clISt17integral_constantIbLb0EESZ_EEDaSU_SV_EUlSU_E_NS1_11comp_targetILNS1_3genE2ELNS1_11target_archE906ELNS1_3gpuE6ELNS1_3repE0EEENS1_30default_config_static_selectorELNS0_4arch9wavefront6targetE0EEEvT1_.kd
    .uniform_work_group_size: 1
    .uses_dynamic_stack: false
    .vgpr_count:     0
    .vgpr_spill_count: 0
    .wavefront_size: 32
    .workgroup_processor_mode: 1
  - .args:
      - .offset:         0
        .size:           128
        .value_kind:     by_value
    .group_segment_fixed_size: 45056
    .kernarg_segment_align: 16
    .kernarg_segment_size: 128
    .language:       OpenCL C
    .language_version:
      - 2
      - 0
    .max_flat_workgroup_size: 256
    .name:           _ZN7rocprim17ROCPRIM_400000_NS6detail17trampoline_kernelINS0_14default_configENS1_20scan_config_selectorIN3c107complexIdEEEEZZNS1_9scan_implILNS1_25lookback_scan_determinismE0ELb0ELb0ES3_PKS7_PS7_S7_ZZZN2at6native31launch_logcumsumexp_cuda_kernelERKNSE_10TensorBaseESI_lENKUlvE_clEvENKUlvE1_clEvEUlS7_S7_E_S7_EEDaPvRmT3_T4_T5_mT6_P12ihipStream_tbENKUlT_T0_E_clISt17integral_constantIbLb0EESZ_EEDaSU_SV_EUlSU_E_NS1_11comp_targetILNS1_3genE10ELNS1_11target_archE1201ELNS1_3gpuE5ELNS1_3repE0EEENS1_30default_config_static_selectorELNS0_4arch9wavefront6targetE0EEEvT1_
    .private_segment_fixed_size: 0
    .sgpr_count:     52
    .sgpr_spill_count: 0
    .symbol:         _ZN7rocprim17ROCPRIM_400000_NS6detail17trampoline_kernelINS0_14default_configENS1_20scan_config_selectorIN3c107complexIdEEEEZZNS1_9scan_implILNS1_25lookback_scan_determinismE0ELb0ELb0ES3_PKS7_PS7_S7_ZZZN2at6native31launch_logcumsumexp_cuda_kernelERKNSE_10TensorBaseESI_lENKUlvE_clEvENKUlvE1_clEvEUlS7_S7_E_S7_EEDaPvRmT3_T4_T5_mT6_P12ihipStream_tbENKUlT_T0_E_clISt17integral_constantIbLb0EESZ_EEDaSU_SV_EUlSU_E_NS1_11comp_targetILNS1_3genE10ELNS1_11target_archE1201ELNS1_3gpuE5ELNS1_3repE0EEENS1_30default_config_static_selectorELNS0_4arch9wavefront6targetE0EEEvT1_.kd
    .uniform_work_group_size: 1
    .uses_dynamic_stack: false
    .vgpr_count:     185
    .vgpr_spill_count: 0
    .wavefront_size: 32
    .workgroup_processor_mode: 1
  - .args:
      - .offset:         0
        .size:           128
        .value_kind:     by_value
    .group_segment_fixed_size: 0
    .kernarg_segment_align: 16
    .kernarg_segment_size: 128
    .language:       OpenCL C
    .language_version:
      - 2
      - 0
    .max_flat_workgroup_size: 256
    .name:           _ZN7rocprim17ROCPRIM_400000_NS6detail17trampoline_kernelINS0_14default_configENS1_20scan_config_selectorIN3c107complexIdEEEEZZNS1_9scan_implILNS1_25lookback_scan_determinismE0ELb0ELb0ES3_PKS7_PS7_S7_ZZZN2at6native31launch_logcumsumexp_cuda_kernelERKNSE_10TensorBaseESI_lENKUlvE_clEvENKUlvE1_clEvEUlS7_S7_E_S7_EEDaPvRmT3_T4_T5_mT6_P12ihipStream_tbENKUlT_T0_E_clISt17integral_constantIbLb0EESZ_EEDaSU_SV_EUlSU_E_NS1_11comp_targetILNS1_3genE10ELNS1_11target_archE1200ELNS1_3gpuE4ELNS1_3repE0EEENS1_30default_config_static_selectorELNS0_4arch9wavefront6targetE0EEEvT1_
    .private_segment_fixed_size: 0
    .sgpr_count:     0
    .sgpr_spill_count: 0
    .symbol:         _ZN7rocprim17ROCPRIM_400000_NS6detail17trampoline_kernelINS0_14default_configENS1_20scan_config_selectorIN3c107complexIdEEEEZZNS1_9scan_implILNS1_25lookback_scan_determinismE0ELb0ELb0ES3_PKS7_PS7_S7_ZZZN2at6native31launch_logcumsumexp_cuda_kernelERKNSE_10TensorBaseESI_lENKUlvE_clEvENKUlvE1_clEvEUlS7_S7_E_S7_EEDaPvRmT3_T4_T5_mT6_P12ihipStream_tbENKUlT_T0_E_clISt17integral_constantIbLb0EESZ_EEDaSU_SV_EUlSU_E_NS1_11comp_targetILNS1_3genE10ELNS1_11target_archE1200ELNS1_3gpuE4ELNS1_3repE0EEENS1_30default_config_static_selectorELNS0_4arch9wavefront6targetE0EEEvT1_.kd
    .uniform_work_group_size: 1
    .uses_dynamic_stack: false
    .vgpr_count:     0
    .vgpr_spill_count: 0
    .wavefront_size: 32
    .workgroup_processor_mode: 1
  - .args:
      - .offset:         0
        .size:           128
        .value_kind:     by_value
    .group_segment_fixed_size: 0
    .kernarg_segment_align: 16
    .kernarg_segment_size: 128
    .language:       OpenCL C
    .language_version:
      - 2
      - 0
    .max_flat_workgroup_size: 256
    .name:           _ZN7rocprim17ROCPRIM_400000_NS6detail17trampoline_kernelINS0_14default_configENS1_20scan_config_selectorIN3c107complexIdEEEEZZNS1_9scan_implILNS1_25lookback_scan_determinismE0ELb0ELb0ES3_PKS7_PS7_S7_ZZZN2at6native31launch_logcumsumexp_cuda_kernelERKNSE_10TensorBaseESI_lENKUlvE_clEvENKUlvE1_clEvEUlS7_S7_E_S7_EEDaPvRmT3_T4_T5_mT6_P12ihipStream_tbENKUlT_T0_E_clISt17integral_constantIbLb0EESZ_EEDaSU_SV_EUlSU_E_NS1_11comp_targetILNS1_3genE9ELNS1_11target_archE1100ELNS1_3gpuE3ELNS1_3repE0EEENS1_30default_config_static_selectorELNS0_4arch9wavefront6targetE0EEEvT1_
    .private_segment_fixed_size: 0
    .sgpr_count:     0
    .sgpr_spill_count: 0
    .symbol:         _ZN7rocprim17ROCPRIM_400000_NS6detail17trampoline_kernelINS0_14default_configENS1_20scan_config_selectorIN3c107complexIdEEEEZZNS1_9scan_implILNS1_25lookback_scan_determinismE0ELb0ELb0ES3_PKS7_PS7_S7_ZZZN2at6native31launch_logcumsumexp_cuda_kernelERKNSE_10TensorBaseESI_lENKUlvE_clEvENKUlvE1_clEvEUlS7_S7_E_S7_EEDaPvRmT3_T4_T5_mT6_P12ihipStream_tbENKUlT_T0_E_clISt17integral_constantIbLb0EESZ_EEDaSU_SV_EUlSU_E_NS1_11comp_targetILNS1_3genE9ELNS1_11target_archE1100ELNS1_3gpuE3ELNS1_3repE0EEENS1_30default_config_static_selectorELNS0_4arch9wavefront6targetE0EEEvT1_.kd
    .uniform_work_group_size: 1
    .uses_dynamic_stack: false
    .vgpr_count:     0
    .vgpr_spill_count: 0
    .wavefront_size: 32
    .workgroup_processor_mode: 1
  - .args:
      - .offset:         0
        .size:           128
        .value_kind:     by_value
    .group_segment_fixed_size: 0
    .kernarg_segment_align: 16
    .kernarg_segment_size: 128
    .language:       OpenCL C
    .language_version:
      - 2
      - 0
    .max_flat_workgroup_size: 256
    .name:           _ZN7rocprim17ROCPRIM_400000_NS6detail17trampoline_kernelINS0_14default_configENS1_20scan_config_selectorIN3c107complexIdEEEEZZNS1_9scan_implILNS1_25lookback_scan_determinismE0ELb0ELb0ES3_PKS7_PS7_S7_ZZZN2at6native31launch_logcumsumexp_cuda_kernelERKNSE_10TensorBaseESI_lENKUlvE_clEvENKUlvE1_clEvEUlS7_S7_E_S7_EEDaPvRmT3_T4_T5_mT6_P12ihipStream_tbENKUlT_T0_E_clISt17integral_constantIbLb0EESZ_EEDaSU_SV_EUlSU_E_NS1_11comp_targetILNS1_3genE8ELNS1_11target_archE1030ELNS1_3gpuE2ELNS1_3repE0EEENS1_30default_config_static_selectorELNS0_4arch9wavefront6targetE0EEEvT1_
    .private_segment_fixed_size: 0
    .sgpr_count:     0
    .sgpr_spill_count: 0
    .symbol:         _ZN7rocprim17ROCPRIM_400000_NS6detail17trampoline_kernelINS0_14default_configENS1_20scan_config_selectorIN3c107complexIdEEEEZZNS1_9scan_implILNS1_25lookback_scan_determinismE0ELb0ELb0ES3_PKS7_PS7_S7_ZZZN2at6native31launch_logcumsumexp_cuda_kernelERKNSE_10TensorBaseESI_lENKUlvE_clEvENKUlvE1_clEvEUlS7_S7_E_S7_EEDaPvRmT3_T4_T5_mT6_P12ihipStream_tbENKUlT_T0_E_clISt17integral_constantIbLb0EESZ_EEDaSU_SV_EUlSU_E_NS1_11comp_targetILNS1_3genE8ELNS1_11target_archE1030ELNS1_3gpuE2ELNS1_3repE0EEENS1_30default_config_static_selectorELNS0_4arch9wavefront6targetE0EEEvT1_.kd
    .uniform_work_group_size: 1
    .uses_dynamic_stack: false
    .vgpr_count:     0
    .vgpr_spill_count: 0
    .wavefront_size: 32
    .workgroup_processor_mode: 1
  - .args:
      - .offset:         0
        .size:           40
        .value_kind:     by_value
    .group_segment_fixed_size: 0
    .kernarg_segment_align: 8
    .kernarg_segment_size: 40
    .language:       OpenCL C
    .language_version:
      - 2
      - 0
    .max_flat_workgroup_size: 128
    .name:           _ZN7rocprim17ROCPRIM_400000_NS6detail17trampoline_kernelINS0_14default_configENS1_25transform_config_selectorIN3c107complexIdEELb1EEEZNS1_14transform_implILb1ES3_S8_PS7_SA_NS0_8identityIS7_EEEE10hipError_tT2_T3_mT4_P12ihipStream_tbEUlT_E_NS1_11comp_targetILNS1_3genE0ELNS1_11target_archE4294967295ELNS1_3gpuE0ELNS1_3repE0EEENS1_30default_config_static_selectorELNS0_4arch9wavefront6targetE0EEEvT1_
    .private_segment_fixed_size: 0
    .sgpr_count:     0
    .sgpr_spill_count: 0
    .symbol:         _ZN7rocprim17ROCPRIM_400000_NS6detail17trampoline_kernelINS0_14default_configENS1_25transform_config_selectorIN3c107complexIdEELb1EEEZNS1_14transform_implILb1ES3_S8_PS7_SA_NS0_8identityIS7_EEEE10hipError_tT2_T3_mT4_P12ihipStream_tbEUlT_E_NS1_11comp_targetILNS1_3genE0ELNS1_11target_archE4294967295ELNS1_3gpuE0ELNS1_3repE0EEENS1_30default_config_static_selectorELNS0_4arch9wavefront6targetE0EEEvT1_.kd
    .uniform_work_group_size: 1
    .uses_dynamic_stack: false
    .vgpr_count:     0
    .vgpr_spill_count: 0
    .wavefront_size: 32
    .workgroup_processor_mode: 1
  - .args:
      - .offset:         0
        .size:           40
        .value_kind:     by_value
      - .offset:         40
        .size:           4
        .value_kind:     hidden_block_count_x
      - .offset:         44
        .size:           4
        .value_kind:     hidden_block_count_y
      - .offset:         48
        .size:           4
        .value_kind:     hidden_block_count_z
      - .offset:         52
        .size:           2
        .value_kind:     hidden_group_size_x
      - .offset:         54
        .size:           2
        .value_kind:     hidden_group_size_y
      - .offset:         56
        .size:           2
        .value_kind:     hidden_group_size_z
      - .offset:         58
        .size:           2
        .value_kind:     hidden_remainder_x
      - .offset:         60
        .size:           2
        .value_kind:     hidden_remainder_y
      - .offset:         62
        .size:           2
        .value_kind:     hidden_remainder_z
      - .offset:         80
        .size:           8
        .value_kind:     hidden_global_offset_x
      - .offset:         88
        .size:           8
        .value_kind:     hidden_global_offset_y
      - .offset:         96
        .size:           8
        .value_kind:     hidden_global_offset_z
      - .offset:         104
        .size:           2
        .value_kind:     hidden_grid_dims
    .group_segment_fixed_size: 0
    .kernarg_segment_align: 8
    .kernarg_segment_size: 296
    .language:       OpenCL C
    .language_version:
      - 2
      - 0
    .max_flat_workgroup_size: 64
    .name:           _ZN7rocprim17ROCPRIM_400000_NS6detail17trampoline_kernelINS0_14default_configENS1_25transform_config_selectorIN3c107complexIdEELb1EEEZNS1_14transform_implILb1ES3_S8_PS7_SA_NS0_8identityIS7_EEEE10hipError_tT2_T3_mT4_P12ihipStream_tbEUlT_E_NS1_11comp_targetILNS1_3genE10ELNS1_11target_archE1201ELNS1_3gpuE5ELNS1_3repE0EEENS1_30default_config_static_selectorELNS0_4arch9wavefront6targetE0EEEvT1_
    .private_segment_fixed_size: 0
    .sgpr_count:     10
    .sgpr_spill_count: 0
    .symbol:         _ZN7rocprim17ROCPRIM_400000_NS6detail17trampoline_kernelINS0_14default_configENS1_25transform_config_selectorIN3c107complexIdEELb1EEEZNS1_14transform_implILb1ES3_S8_PS7_SA_NS0_8identityIS7_EEEE10hipError_tT2_T3_mT4_P12ihipStream_tbEUlT_E_NS1_11comp_targetILNS1_3genE10ELNS1_11target_archE1201ELNS1_3gpuE5ELNS1_3repE0EEENS1_30default_config_static_selectorELNS0_4arch9wavefront6targetE0EEEvT1_.kd
    .uniform_work_group_size: 1
    .uses_dynamic_stack: false
    .vgpr_count:     5
    .vgpr_spill_count: 0
    .wavefront_size: 32
    .workgroup_processor_mode: 1
  - .args:
      - .offset:         0
        .size:           40
        .value_kind:     by_value
    .group_segment_fixed_size: 0
    .kernarg_segment_align: 8
    .kernarg_segment_size: 40
    .language:       OpenCL C
    .language_version:
      - 2
      - 0
    .max_flat_workgroup_size: 256
    .name:           _ZN7rocprim17ROCPRIM_400000_NS6detail17trampoline_kernelINS0_14default_configENS1_25transform_config_selectorIN3c107complexIdEELb1EEEZNS1_14transform_implILb1ES3_S8_PS7_SA_NS0_8identityIS7_EEEE10hipError_tT2_T3_mT4_P12ihipStream_tbEUlT_E_NS1_11comp_targetILNS1_3genE5ELNS1_11target_archE942ELNS1_3gpuE9ELNS1_3repE0EEENS1_30default_config_static_selectorELNS0_4arch9wavefront6targetE0EEEvT1_
    .private_segment_fixed_size: 0
    .sgpr_count:     0
    .sgpr_spill_count: 0
    .symbol:         _ZN7rocprim17ROCPRIM_400000_NS6detail17trampoline_kernelINS0_14default_configENS1_25transform_config_selectorIN3c107complexIdEELb1EEEZNS1_14transform_implILb1ES3_S8_PS7_SA_NS0_8identityIS7_EEEE10hipError_tT2_T3_mT4_P12ihipStream_tbEUlT_E_NS1_11comp_targetILNS1_3genE5ELNS1_11target_archE942ELNS1_3gpuE9ELNS1_3repE0EEENS1_30default_config_static_selectorELNS0_4arch9wavefront6targetE0EEEvT1_.kd
    .uniform_work_group_size: 1
    .uses_dynamic_stack: false
    .vgpr_count:     0
    .vgpr_spill_count: 0
    .wavefront_size: 32
    .workgroup_processor_mode: 1
  - .args:
      - .offset:         0
        .size:           40
        .value_kind:     by_value
    .group_segment_fixed_size: 0
    .kernarg_segment_align: 8
    .kernarg_segment_size: 40
    .language:       OpenCL C
    .language_version:
      - 2
      - 0
    .max_flat_workgroup_size: 1024
    .name:           _ZN7rocprim17ROCPRIM_400000_NS6detail17trampoline_kernelINS0_14default_configENS1_25transform_config_selectorIN3c107complexIdEELb1EEEZNS1_14transform_implILb1ES3_S8_PS7_SA_NS0_8identityIS7_EEEE10hipError_tT2_T3_mT4_P12ihipStream_tbEUlT_E_NS1_11comp_targetILNS1_3genE4ELNS1_11target_archE910ELNS1_3gpuE8ELNS1_3repE0EEENS1_30default_config_static_selectorELNS0_4arch9wavefront6targetE0EEEvT1_
    .private_segment_fixed_size: 0
    .sgpr_count:     0
    .sgpr_spill_count: 0
    .symbol:         _ZN7rocprim17ROCPRIM_400000_NS6detail17trampoline_kernelINS0_14default_configENS1_25transform_config_selectorIN3c107complexIdEELb1EEEZNS1_14transform_implILb1ES3_S8_PS7_SA_NS0_8identityIS7_EEEE10hipError_tT2_T3_mT4_P12ihipStream_tbEUlT_E_NS1_11comp_targetILNS1_3genE4ELNS1_11target_archE910ELNS1_3gpuE8ELNS1_3repE0EEENS1_30default_config_static_selectorELNS0_4arch9wavefront6targetE0EEEvT1_.kd
    .uniform_work_group_size: 1
    .uses_dynamic_stack: false
    .vgpr_count:     0
    .vgpr_spill_count: 0
    .wavefront_size: 32
    .workgroup_processor_mode: 1
  - .args:
      - .offset:         0
        .size:           40
        .value_kind:     by_value
    .group_segment_fixed_size: 0
    .kernarg_segment_align: 8
    .kernarg_segment_size: 40
    .language:       OpenCL C
    .language_version:
      - 2
      - 0
    .max_flat_workgroup_size: 128
    .name:           _ZN7rocprim17ROCPRIM_400000_NS6detail17trampoline_kernelINS0_14default_configENS1_25transform_config_selectorIN3c107complexIdEELb1EEEZNS1_14transform_implILb1ES3_S8_PS7_SA_NS0_8identityIS7_EEEE10hipError_tT2_T3_mT4_P12ihipStream_tbEUlT_E_NS1_11comp_targetILNS1_3genE3ELNS1_11target_archE908ELNS1_3gpuE7ELNS1_3repE0EEENS1_30default_config_static_selectorELNS0_4arch9wavefront6targetE0EEEvT1_
    .private_segment_fixed_size: 0
    .sgpr_count:     0
    .sgpr_spill_count: 0
    .symbol:         _ZN7rocprim17ROCPRIM_400000_NS6detail17trampoline_kernelINS0_14default_configENS1_25transform_config_selectorIN3c107complexIdEELb1EEEZNS1_14transform_implILb1ES3_S8_PS7_SA_NS0_8identityIS7_EEEE10hipError_tT2_T3_mT4_P12ihipStream_tbEUlT_E_NS1_11comp_targetILNS1_3genE3ELNS1_11target_archE908ELNS1_3gpuE7ELNS1_3repE0EEENS1_30default_config_static_selectorELNS0_4arch9wavefront6targetE0EEEvT1_.kd
    .uniform_work_group_size: 1
    .uses_dynamic_stack: false
    .vgpr_count:     0
    .vgpr_spill_count: 0
    .wavefront_size: 32
    .workgroup_processor_mode: 1
  - .args:
      - .offset:         0
        .size:           40
        .value_kind:     by_value
    .group_segment_fixed_size: 0
    .kernarg_segment_align: 8
    .kernarg_segment_size: 40
    .language:       OpenCL C
    .language_version:
      - 2
      - 0
    .max_flat_workgroup_size: 1024
    .name:           _ZN7rocprim17ROCPRIM_400000_NS6detail17trampoline_kernelINS0_14default_configENS1_25transform_config_selectorIN3c107complexIdEELb1EEEZNS1_14transform_implILb1ES3_S8_PS7_SA_NS0_8identityIS7_EEEE10hipError_tT2_T3_mT4_P12ihipStream_tbEUlT_E_NS1_11comp_targetILNS1_3genE2ELNS1_11target_archE906ELNS1_3gpuE6ELNS1_3repE0EEENS1_30default_config_static_selectorELNS0_4arch9wavefront6targetE0EEEvT1_
    .private_segment_fixed_size: 0
    .sgpr_count:     0
    .sgpr_spill_count: 0
    .symbol:         _ZN7rocprim17ROCPRIM_400000_NS6detail17trampoline_kernelINS0_14default_configENS1_25transform_config_selectorIN3c107complexIdEELb1EEEZNS1_14transform_implILb1ES3_S8_PS7_SA_NS0_8identityIS7_EEEE10hipError_tT2_T3_mT4_P12ihipStream_tbEUlT_E_NS1_11comp_targetILNS1_3genE2ELNS1_11target_archE906ELNS1_3gpuE6ELNS1_3repE0EEENS1_30default_config_static_selectorELNS0_4arch9wavefront6targetE0EEEvT1_.kd
    .uniform_work_group_size: 1
    .uses_dynamic_stack: false
    .vgpr_count:     0
    .vgpr_spill_count: 0
    .wavefront_size: 32
    .workgroup_processor_mode: 1
  - .args:
      - .offset:         0
        .size:           40
        .value_kind:     by_value
    .group_segment_fixed_size: 0
    .kernarg_segment_align: 8
    .kernarg_segment_size: 40
    .language:       OpenCL C
    .language_version:
      - 2
      - 0
    .max_flat_workgroup_size: 1024
    .name:           _ZN7rocprim17ROCPRIM_400000_NS6detail17trampoline_kernelINS0_14default_configENS1_25transform_config_selectorIN3c107complexIdEELb1EEEZNS1_14transform_implILb1ES3_S8_PS7_SA_NS0_8identityIS7_EEEE10hipError_tT2_T3_mT4_P12ihipStream_tbEUlT_E_NS1_11comp_targetILNS1_3genE9ELNS1_11target_archE1100ELNS1_3gpuE3ELNS1_3repE0EEENS1_30default_config_static_selectorELNS0_4arch9wavefront6targetE0EEEvT1_
    .private_segment_fixed_size: 0
    .sgpr_count:     0
    .sgpr_spill_count: 0
    .symbol:         _ZN7rocprim17ROCPRIM_400000_NS6detail17trampoline_kernelINS0_14default_configENS1_25transform_config_selectorIN3c107complexIdEELb1EEEZNS1_14transform_implILb1ES3_S8_PS7_SA_NS0_8identityIS7_EEEE10hipError_tT2_T3_mT4_P12ihipStream_tbEUlT_E_NS1_11comp_targetILNS1_3genE9ELNS1_11target_archE1100ELNS1_3gpuE3ELNS1_3repE0EEENS1_30default_config_static_selectorELNS0_4arch9wavefront6targetE0EEEvT1_.kd
    .uniform_work_group_size: 1
    .uses_dynamic_stack: false
    .vgpr_count:     0
    .vgpr_spill_count: 0
    .wavefront_size: 32
    .workgroup_processor_mode: 1
  - .args:
      - .offset:         0
        .size:           40
        .value_kind:     by_value
    .group_segment_fixed_size: 0
    .kernarg_segment_align: 8
    .kernarg_segment_size: 40
    .language:       OpenCL C
    .language_version:
      - 2
      - 0
    .max_flat_workgroup_size: 1024
    .name:           _ZN7rocprim17ROCPRIM_400000_NS6detail17trampoline_kernelINS0_14default_configENS1_25transform_config_selectorIN3c107complexIdEELb1EEEZNS1_14transform_implILb1ES3_S8_PS7_SA_NS0_8identityIS7_EEEE10hipError_tT2_T3_mT4_P12ihipStream_tbEUlT_E_NS1_11comp_targetILNS1_3genE8ELNS1_11target_archE1030ELNS1_3gpuE2ELNS1_3repE0EEENS1_30default_config_static_selectorELNS0_4arch9wavefront6targetE0EEEvT1_
    .private_segment_fixed_size: 0
    .sgpr_count:     0
    .sgpr_spill_count: 0
    .symbol:         _ZN7rocprim17ROCPRIM_400000_NS6detail17trampoline_kernelINS0_14default_configENS1_25transform_config_selectorIN3c107complexIdEELb1EEEZNS1_14transform_implILb1ES3_S8_PS7_SA_NS0_8identityIS7_EEEE10hipError_tT2_T3_mT4_P12ihipStream_tbEUlT_E_NS1_11comp_targetILNS1_3genE8ELNS1_11target_archE1030ELNS1_3gpuE2ELNS1_3repE0EEENS1_30default_config_static_selectorELNS0_4arch9wavefront6targetE0EEEvT1_.kd
    .uniform_work_group_size: 1
    .uses_dynamic_stack: false
    .vgpr_count:     0
    .vgpr_spill_count: 0
    .wavefront_size: 32
    .workgroup_processor_mode: 1
  - .args:
      - .offset:         0
        .size:           48
        .value_kind:     by_value
    .group_segment_fixed_size: 0
    .kernarg_segment_align: 16
    .kernarg_segment_size: 48
    .language:       OpenCL C
    .language_version:
      - 2
      - 0
    .max_flat_workgroup_size: 128
    .name:           _ZN7rocprim17ROCPRIM_400000_NS6detail17trampoline_kernelINS0_14default_configENS1_20scan_config_selectorIN3c107complexIdEEEEZZNS1_9scan_implILNS1_25lookback_scan_determinismE0ELb0ELb0ES3_PKS7_PS7_S7_ZZZN2at6native31launch_logcumsumexp_cuda_kernelERKNSE_10TensorBaseESI_lENKUlvE_clEvENKUlvE1_clEvEUlS7_S7_E_S7_EEDaPvRmT3_T4_T5_mT6_P12ihipStream_tbENKUlT_T0_E_clISt17integral_constantIbLb0EESZ_EEDaSU_SV_EUlSU_E0_NS1_11comp_targetILNS1_3genE0ELNS1_11target_archE4294967295ELNS1_3gpuE0ELNS1_3repE0EEENS1_30default_config_static_selectorELNS0_4arch9wavefront6targetE0EEEvT1_
    .private_segment_fixed_size: 0
    .sgpr_count:     0
    .sgpr_spill_count: 0
    .symbol:         _ZN7rocprim17ROCPRIM_400000_NS6detail17trampoline_kernelINS0_14default_configENS1_20scan_config_selectorIN3c107complexIdEEEEZZNS1_9scan_implILNS1_25lookback_scan_determinismE0ELb0ELb0ES3_PKS7_PS7_S7_ZZZN2at6native31launch_logcumsumexp_cuda_kernelERKNSE_10TensorBaseESI_lENKUlvE_clEvENKUlvE1_clEvEUlS7_S7_E_S7_EEDaPvRmT3_T4_T5_mT6_P12ihipStream_tbENKUlT_T0_E_clISt17integral_constantIbLb0EESZ_EEDaSU_SV_EUlSU_E0_NS1_11comp_targetILNS1_3genE0ELNS1_11target_archE4294967295ELNS1_3gpuE0ELNS1_3repE0EEENS1_30default_config_static_selectorELNS0_4arch9wavefront6targetE0EEEvT1_.kd
    .uniform_work_group_size: 1
    .uses_dynamic_stack: false
    .vgpr_count:     0
    .vgpr_spill_count: 0
    .wavefront_size: 32
    .workgroup_processor_mode: 1
  - .args:
      - .offset:         0
        .size:           48
        .value_kind:     by_value
    .group_segment_fixed_size: 0
    .kernarg_segment_align: 16
    .kernarg_segment_size: 48
    .language:       OpenCL C
    .language_version:
      - 2
      - 0
    .max_flat_workgroup_size: 256
    .name:           _ZN7rocprim17ROCPRIM_400000_NS6detail17trampoline_kernelINS0_14default_configENS1_20scan_config_selectorIN3c107complexIdEEEEZZNS1_9scan_implILNS1_25lookback_scan_determinismE0ELb0ELb0ES3_PKS7_PS7_S7_ZZZN2at6native31launch_logcumsumexp_cuda_kernelERKNSE_10TensorBaseESI_lENKUlvE_clEvENKUlvE1_clEvEUlS7_S7_E_S7_EEDaPvRmT3_T4_T5_mT6_P12ihipStream_tbENKUlT_T0_E_clISt17integral_constantIbLb0EESZ_EEDaSU_SV_EUlSU_E0_NS1_11comp_targetILNS1_3genE5ELNS1_11target_archE942ELNS1_3gpuE9ELNS1_3repE0EEENS1_30default_config_static_selectorELNS0_4arch9wavefront6targetE0EEEvT1_
    .private_segment_fixed_size: 0
    .sgpr_count:     0
    .sgpr_spill_count: 0
    .symbol:         _ZN7rocprim17ROCPRIM_400000_NS6detail17trampoline_kernelINS0_14default_configENS1_20scan_config_selectorIN3c107complexIdEEEEZZNS1_9scan_implILNS1_25lookback_scan_determinismE0ELb0ELb0ES3_PKS7_PS7_S7_ZZZN2at6native31launch_logcumsumexp_cuda_kernelERKNSE_10TensorBaseESI_lENKUlvE_clEvENKUlvE1_clEvEUlS7_S7_E_S7_EEDaPvRmT3_T4_T5_mT6_P12ihipStream_tbENKUlT_T0_E_clISt17integral_constantIbLb0EESZ_EEDaSU_SV_EUlSU_E0_NS1_11comp_targetILNS1_3genE5ELNS1_11target_archE942ELNS1_3gpuE9ELNS1_3repE0EEENS1_30default_config_static_selectorELNS0_4arch9wavefront6targetE0EEEvT1_.kd
    .uniform_work_group_size: 1
    .uses_dynamic_stack: false
    .vgpr_count:     0
    .vgpr_spill_count: 0
    .wavefront_size: 32
    .workgroup_processor_mode: 1
  - .args:
      - .offset:         0
        .size:           48
        .value_kind:     by_value
    .group_segment_fixed_size: 0
    .kernarg_segment_align: 16
    .kernarg_segment_size: 48
    .language:       OpenCL C
    .language_version:
      - 2
      - 0
    .max_flat_workgroup_size: 64
    .name:           _ZN7rocprim17ROCPRIM_400000_NS6detail17trampoline_kernelINS0_14default_configENS1_20scan_config_selectorIN3c107complexIdEEEEZZNS1_9scan_implILNS1_25lookback_scan_determinismE0ELb0ELb0ES3_PKS7_PS7_S7_ZZZN2at6native31launch_logcumsumexp_cuda_kernelERKNSE_10TensorBaseESI_lENKUlvE_clEvENKUlvE1_clEvEUlS7_S7_E_S7_EEDaPvRmT3_T4_T5_mT6_P12ihipStream_tbENKUlT_T0_E_clISt17integral_constantIbLb0EESZ_EEDaSU_SV_EUlSU_E0_NS1_11comp_targetILNS1_3genE4ELNS1_11target_archE910ELNS1_3gpuE8ELNS1_3repE0EEENS1_30default_config_static_selectorELNS0_4arch9wavefront6targetE0EEEvT1_
    .private_segment_fixed_size: 0
    .sgpr_count:     0
    .sgpr_spill_count: 0
    .symbol:         _ZN7rocprim17ROCPRIM_400000_NS6detail17trampoline_kernelINS0_14default_configENS1_20scan_config_selectorIN3c107complexIdEEEEZZNS1_9scan_implILNS1_25lookback_scan_determinismE0ELb0ELb0ES3_PKS7_PS7_S7_ZZZN2at6native31launch_logcumsumexp_cuda_kernelERKNSE_10TensorBaseESI_lENKUlvE_clEvENKUlvE1_clEvEUlS7_S7_E_S7_EEDaPvRmT3_T4_T5_mT6_P12ihipStream_tbENKUlT_T0_E_clISt17integral_constantIbLb0EESZ_EEDaSU_SV_EUlSU_E0_NS1_11comp_targetILNS1_3genE4ELNS1_11target_archE910ELNS1_3gpuE8ELNS1_3repE0EEENS1_30default_config_static_selectorELNS0_4arch9wavefront6targetE0EEEvT1_.kd
    .uniform_work_group_size: 1
    .uses_dynamic_stack: false
    .vgpr_count:     0
    .vgpr_spill_count: 0
    .wavefront_size: 32
    .workgroup_processor_mode: 1
  - .args:
      - .offset:         0
        .size:           48
        .value_kind:     by_value
    .group_segment_fixed_size: 0
    .kernarg_segment_align: 16
    .kernarg_segment_size: 48
    .language:       OpenCL C
    .language_version:
      - 2
      - 0
    .max_flat_workgroup_size: 128
    .name:           _ZN7rocprim17ROCPRIM_400000_NS6detail17trampoline_kernelINS0_14default_configENS1_20scan_config_selectorIN3c107complexIdEEEEZZNS1_9scan_implILNS1_25lookback_scan_determinismE0ELb0ELb0ES3_PKS7_PS7_S7_ZZZN2at6native31launch_logcumsumexp_cuda_kernelERKNSE_10TensorBaseESI_lENKUlvE_clEvENKUlvE1_clEvEUlS7_S7_E_S7_EEDaPvRmT3_T4_T5_mT6_P12ihipStream_tbENKUlT_T0_E_clISt17integral_constantIbLb0EESZ_EEDaSU_SV_EUlSU_E0_NS1_11comp_targetILNS1_3genE3ELNS1_11target_archE908ELNS1_3gpuE7ELNS1_3repE0EEENS1_30default_config_static_selectorELNS0_4arch9wavefront6targetE0EEEvT1_
    .private_segment_fixed_size: 0
    .sgpr_count:     0
    .sgpr_spill_count: 0
    .symbol:         _ZN7rocprim17ROCPRIM_400000_NS6detail17trampoline_kernelINS0_14default_configENS1_20scan_config_selectorIN3c107complexIdEEEEZZNS1_9scan_implILNS1_25lookback_scan_determinismE0ELb0ELb0ES3_PKS7_PS7_S7_ZZZN2at6native31launch_logcumsumexp_cuda_kernelERKNSE_10TensorBaseESI_lENKUlvE_clEvENKUlvE1_clEvEUlS7_S7_E_S7_EEDaPvRmT3_T4_T5_mT6_P12ihipStream_tbENKUlT_T0_E_clISt17integral_constantIbLb0EESZ_EEDaSU_SV_EUlSU_E0_NS1_11comp_targetILNS1_3genE3ELNS1_11target_archE908ELNS1_3gpuE7ELNS1_3repE0EEENS1_30default_config_static_selectorELNS0_4arch9wavefront6targetE0EEEvT1_.kd
    .uniform_work_group_size: 1
    .uses_dynamic_stack: false
    .vgpr_count:     0
    .vgpr_spill_count: 0
    .wavefront_size: 32
    .workgroup_processor_mode: 1
  - .args:
      - .offset:         0
        .size:           48
        .value_kind:     by_value
    .group_segment_fixed_size: 0
    .kernarg_segment_align: 16
    .kernarg_segment_size: 48
    .language:       OpenCL C
    .language_version:
      - 2
      - 0
    .max_flat_workgroup_size: 64
    .name:           _ZN7rocprim17ROCPRIM_400000_NS6detail17trampoline_kernelINS0_14default_configENS1_20scan_config_selectorIN3c107complexIdEEEEZZNS1_9scan_implILNS1_25lookback_scan_determinismE0ELb0ELb0ES3_PKS7_PS7_S7_ZZZN2at6native31launch_logcumsumexp_cuda_kernelERKNSE_10TensorBaseESI_lENKUlvE_clEvENKUlvE1_clEvEUlS7_S7_E_S7_EEDaPvRmT3_T4_T5_mT6_P12ihipStream_tbENKUlT_T0_E_clISt17integral_constantIbLb0EESZ_EEDaSU_SV_EUlSU_E0_NS1_11comp_targetILNS1_3genE2ELNS1_11target_archE906ELNS1_3gpuE6ELNS1_3repE0EEENS1_30default_config_static_selectorELNS0_4arch9wavefront6targetE0EEEvT1_
    .private_segment_fixed_size: 0
    .sgpr_count:     0
    .sgpr_spill_count: 0
    .symbol:         _ZN7rocprim17ROCPRIM_400000_NS6detail17trampoline_kernelINS0_14default_configENS1_20scan_config_selectorIN3c107complexIdEEEEZZNS1_9scan_implILNS1_25lookback_scan_determinismE0ELb0ELb0ES3_PKS7_PS7_S7_ZZZN2at6native31launch_logcumsumexp_cuda_kernelERKNSE_10TensorBaseESI_lENKUlvE_clEvENKUlvE1_clEvEUlS7_S7_E_S7_EEDaPvRmT3_T4_T5_mT6_P12ihipStream_tbENKUlT_T0_E_clISt17integral_constantIbLb0EESZ_EEDaSU_SV_EUlSU_E0_NS1_11comp_targetILNS1_3genE2ELNS1_11target_archE906ELNS1_3gpuE6ELNS1_3repE0EEENS1_30default_config_static_selectorELNS0_4arch9wavefront6targetE0EEEvT1_.kd
    .uniform_work_group_size: 1
    .uses_dynamic_stack: false
    .vgpr_count:     0
    .vgpr_spill_count: 0
    .wavefront_size: 32
    .workgroup_processor_mode: 1
  - .args:
      - .offset:         0
        .size:           48
        .value_kind:     by_value
    .group_segment_fixed_size: 45056
    .kernarg_segment_align: 16
    .kernarg_segment_size: 48
    .language:       OpenCL C
    .language_version:
      - 2
      - 0
    .max_flat_workgroup_size: 256
    .name:           _ZN7rocprim17ROCPRIM_400000_NS6detail17trampoline_kernelINS0_14default_configENS1_20scan_config_selectorIN3c107complexIdEEEEZZNS1_9scan_implILNS1_25lookback_scan_determinismE0ELb0ELb0ES3_PKS7_PS7_S7_ZZZN2at6native31launch_logcumsumexp_cuda_kernelERKNSE_10TensorBaseESI_lENKUlvE_clEvENKUlvE1_clEvEUlS7_S7_E_S7_EEDaPvRmT3_T4_T5_mT6_P12ihipStream_tbENKUlT_T0_E_clISt17integral_constantIbLb0EESZ_EEDaSU_SV_EUlSU_E0_NS1_11comp_targetILNS1_3genE10ELNS1_11target_archE1201ELNS1_3gpuE5ELNS1_3repE0EEENS1_30default_config_static_selectorELNS0_4arch9wavefront6targetE0EEEvT1_
    .private_segment_fixed_size: 0
    .sgpr_count:     39
    .sgpr_spill_count: 0
    .symbol:         _ZN7rocprim17ROCPRIM_400000_NS6detail17trampoline_kernelINS0_14default_configENS1_20scan_config_selectorIN3c107complexIdEEEEZZNS1_9scan_implILNS1_25lookback_scan_determinismE0ELb0ELb0ES3_PKS7_PS7_S7_ZZZN2at6native31launch_logcumsumexp_cuda_kernelERKNSE_10TensorBaseESI_lENKUlvE_clEvENKUlvE1_clEvEUlS7_S7_E_S7_EEDaPvRmT3_T4_T5_mT6_P12ihipStream_tbENKUlT_T0_E_clISt17integral_constantIbLb0EESZ_EEDaSU_SV_EUlSU_E0_NS1_11comp_targetILNS1_3genE10ELNS1_11target_archE1201ELNS1_3gpuE5ELNS1_3repE0EEENS1_30default_config_static_selectorELNS0_4arch9wavefront6targetE0EEEvT1_.kd
    .uniform_work_group_size: 1
    .uses_dynamic_stack: false
    .vgpr_count:     185
    .vgpr_spill_count: 0
    .wavefront_size: 32
    .workgroup_processor_mode: 1
  - .args:
      - .offset:         0
        .size:           48
        .value_kind:     by_value
    .group_segment_fixed_size: 0
    .kernarg_segment_align: 16
    .kernarg_segment_size: 48
    .language:       OpenCL C
    .language_version:
      - 2
      - 0
    .max_flat_workgroup_size: 256
    .name:           _ZN7rocprim17ROCPRIM_400000_NS6detail17trampoline_kernelINS0_14default_configENS1_20scan_config_selectorIN3c107complexIdEEEEZZNS1_9scan_implILNS1_25lookback_scan_determinismE0ELb0ELb0ES3_PKS7_PS7_S7_ZZZN2at6native31launch_logcumsumexp_cuda_kernelERKNSE_10TensorBaseESI_lENKUlvE_clEvENKUlvE1_clEvEUlS7_S7_E_S7_EEDaPvRmT3_T4_T5_mT6_P12ihipStream_tbENKUlT_T0_E_clISt17integral_constantIbLb0EESZ_EEDaSU_SV_EUlSU_E0_NS1_11comp_targetILNS1_3genE10ELNS1_11target_archE1200ELNS1_3gpuE4ELNS1_3repE0EEENS1_30default_config_static_selectorELNS0_4arch9wavefront6targetE0EEEvT1_
    .private_segment_fixed_size: 0
    .sgpr_count:     0
    .sgpr_spill_count: 0
    .symbol:         _ZN7rocprim17ROCPRIM_400000_NS6detail17trampoline_kernelINS0_14default_configENS1_20scan_config_selectorIN3c107complexIdEEEEZZNS1_9scan_implILNS1_25lookback_scan_determinismE0ELb0ELb0ES3_PKS7_PS7_S7_ZZZN2at6native31launch_logcumsumexp_cuda_kernelERKNSE_10TensorBaseESI_lENKUlvE_clEvENKUlvE1_clEvEUlS7_S7_E_S7_EEDaPvRmT3_T4_T5_mT6_P12ihipStream_tbENKUlT_T0_E_clISt17integral_constantIbLb0EESZ_EEDaSU_SV_EUlSU_E0_NS1_11comp_targetILNS1_3genE10ELNS1_11target_archE1200ELNS1_3gpuE4ELNS1_3repE0EEENS1_30default_config_static_selectorELNS0_4arch9wavefront6targetE0EEEvT1_.kd
    .uniform_work_group_size: 1
    .uses_dynamic_stack: false
    .vgpr_count:     0
    .vgpr_spill_count: 0
    .wavefront_size: 32
    .workgroup_processor_mode: 1
  - .args:
      - .offset:         0
        .size:           48
        .value_kind:     by_value
    .group_segment_fixed_size: 0
    .kernarg_segment_align: 16
    .kernarg_segment_size: 48
    .language:       OpenCL C
    .language_version:
      - 2
      - 0
    .max_flat_workgroup_size: 256
    .name:           _ZN7rocprim17ROCPRIM_400000_NS6detail17trampoline_kernelINS0_14default_configENS1_20scan_config_selectorIN3c107complexIdEEEEZZNS1_9scan_implILNS1_25lookback_scan_determinismE0ELb0ELb0ES3_PKS7_PS7_S7_ZZZN2at6native31launch_logcumsumexp_cuda_kernelERKNSE_10TensorBaseESI_lENKUlvE_clEvENKUlvE1_clEvEUlS7_S7_E_S7_EEDaPvRmT3_T4_T5_mT6_P12ihipStream_tbENKUlT_T0_E_clISt17integral_constantIbLb0EESZ_EEDaSU_SV_EUlSU_E0_NS1_11comp_targetILNS1_3genE9ELNS1_11target_archE1100ELNS1_3gpuE3ELNS1_3repE0EEENS1_30default_config_static_selectorELNS0_4arch9wavefront6targetE0EEEvT1_
    .private_segment_fixed_size: 0
    .sgpr_count:     0
    .sgpr_spill_count: 0
    .symbol:         _ZN7rocprim17ROCPRIM_400000_NS6detail17trampoline_kernelINS0_14default_configENS1_20scan_config_selectorIN3c107complexIdEEEEZZNS1_9scan_implILNS1_25lookback_scan_determinismE0ELb0ELb0ES3_PKS7_PS7_S7_ZZZN2at6native31launch_logcumsumexp_cuda_kernelERKNSE_10TensorBaseESI_lENKUlvE_clEvENKUlvE1_clEvEUlS7_S7_E_S7_EEDaPvRmT3_T4_T5_mT6_P12ihipStream_tbENKUlT_T0_E_clISt17integral_constantIbLb0EESZ_EEDaSU_SV_EUlSU_E0_NS1_11comp_targetILNS1_3genE9ELNS1_11target_archE1100ELNS1_3gpuE3ELNS1_3repE0EEENS1_30default_config_static_selectorELNS0_4arch9wavefront6targetE0EEEvT1_.kd
    .uniform_work_group_size: 1
    .uses_dynamic_stack: false
    .vgpr_count:     0
    .vgpr_spill_count: 0
    .wavefront_size: 32
    .workgroup_processor_mode: 1
  - .args:
      - .offset:         0
        .size:           48
        .value_kind:     by_value
    .group_segment_fixed_size: 0
    .kernarg_segment_align: 16
    .kernarg_segment_size: 48
    .language:       OpenCL C
    .language_version:
      - 2
      - 0
    .max_flat_workgroup_size: 256
    .name:           _ZN7rocprim17ROCPRIM_400000_NS6detail17trampoline_kernelINS0_14default_configENS1_20scan_config_selectorIN3c107complexIdEEEEZZNS1_9scan_implILNS1_25lookback_scan_determinismE0ELb0ELb0ES3_PKS7_PS7_S7_ZZZN2at6native31launch_logcumsumexp_cuda_kernelERKNSE_10TensorBaseESI_lENKUlvE_clEvENKUlvE1_clEvEUlS7_S7_E_S7_EEDaPvRmT3_T4_T5_mT6_P12ihipStream_tbENKUlT_T0_E_clISt17integral_constantIbLb0EESZ_EEDaSU_SV_EUlSU_E0_NS1_11comp_targetILNS1_3genE8ELNS1_11target_archE1030ELNS1_3gpuE2ELNS1_3repE0EEENS1_30default_config_static_selectorELNS0_4arch9wavefront6targetE0EEEvT1_
    .private_segment_fixed_size: 0
    .sgpr_count:     0
    .sgpr_spill_count: 0
    .symbol:         _ZN7rocprim17ROCPRIM_400000_NS6detail17trampoline_kernelINS0_14default_configENS1_20scan_config_selectorIN3c107complexIdEEEEZZNS1_9scan_implILNS1_25lookback_scan_determinismE0ELb0ELb0ES3_PKS7_PS7_S7_ZZZN2at6native31launch_logcumsumexp_cuda_kernelERKNSE_10TensorBaseESI_lENKUlvE_clEvENKUlvE1_clEvEUlS7_S7_E_S7_EEDaPvRmT3_T4_T5_mT6_P12ihipStream_tbENKUlT_T0_E_clISt17integral_constantIbLb0EESZ_EEDaSU_SV_EUlSU_E0_NS1_11comp_targetILNS1_3genE8ELNS1_11target_archE1030ELNS1_3gpuE2ELNS1_3repE0EEENS1_30default_config_static_selectorELNS0_4arch9wavefront6targetE0EEEvT1_.kd
    .uniform_work_group_size: 1
    .uses_dynamic_stack: false
    .vgpr_count:     0
    .vgpr_spill_count: 0
    .wavefront_size: 32
    .workgroup_processor_mode: 1
  - .args:
      - .offset:         0
        .size:           24
        .value_kind:     by_value
      - .offset:         24
        .size:           4
        .value_kind:     by_value
      - .address_space:  global
        .offset:         32
        .size:           8
        .value_kind:     global_buffer
      - .offset:         40
        .size:           4
        .value_kind:     by_value
      - .address_space:  global
        .offset:         48
        .size:           8
        .value_kind:     global_buffer
      - .offset:         56
        .size:           4
        .value_kind:     hidden_block_count_x
      - .offset:         60
        .size:           4
        .value_kind:     hidden_block_count_y
      - .offset:         64
        .size:           4
        .value_kind:     hidden_block_count_z
      - .offset:         68
        .size:           2
        .value_kind:     hidden_group_size_x
      - .offset:         70
        .size:           2
        .value_kind:     hidden_group_size_y
      - .offset:         72
        .size:           2
        .value_kind:     hidden_group_size_z
      - .offset:         74
        .size:           2
        .value_kind:     hidden_remainder_x
      - .offset:         76
        .size:           2
        .value_kind:     hidden_remainder_y
      - .offset:         78
        .size:           2
        .value_kind:     hidden_remainder_z
      - .offset:         96
        .size:           8
        .value_kind:     hidden_global_offset_x
      - .offset:         104
        .size:           8
        .value_kind:     hidden_global_offset_y
      - .offset:         112
        .size:           8
        .value_kind:     hidden_global_offset_z
      - .offset:         120
        .size:           2
        .value_kind:     hidden_grid_dims
    .group_segment_fixed_size: 0
    .kernarg_segment_align: 8
    .kernarg_segment_size: 312
    .language:       OpenCL C
    .language_version:
      - 2
      - 0
    .max_flat_workgroup_size: 256
    .name:           _ZN7rocprim17ROCPRIM_400000_NS6detail31init_lookback_scan_state_kernelINS1_19lookback_scan_stateIN3c107complexIdEELb1ELb0EEENS1_16block_id_wrapperIjLb1EEEEEvT_jT0_jPNSA_10value_typeE
    .private_segment_fixed_size: 0
    .sgpr_count:     20
    .sgpr_spill_count: 0
    .symbol:         _ZN7rocprim17ROCPRIM_400000_NS6detail31init_lookback_scan_state_kernelINS1_19lookback_scan_stateIN3c107complexIdEELb1ELb0EEENS1_16block_id_wrapperIjLb1EEEEEvT_jT0_jPNSA_10value_typeE.kd
    .uniform_work_group_size: 1
    .uses_dynamic_stack: false
    .vgpr_count:     6
    .vgpr_spill_count: 0
    .wavefront_size: 32
    .workgroup_processor_mode: 1
  - .args:
      - .offset:         0
        .size:           128
        .value_kind:     by_value
    .group_segment_fixed_size: 0
    .kernarg_segment_align: 16
    .kernarg_segment_size: 128
    .language:       OpenCL C
    .language_version:
      - 2
      - 0
    .max_flat_workgroup_size: 128
    .name:           _ZN7rocprim17ROCPRIM_400000_NS6detail17trampoline_kernelINS0_14default_configENS1_20scan_config_selectorIN3c107complexIdEEEEZZNS1_9scan_implILNS1_25lookback_scan_determinismE0ELb0ELb0ES3_PKS7_PS7_S7_ZZZN2at6native31launch_logcumsumexp_cuda_kernelERKNSE_10TensorBaseESI_lENKUlvE_clEvENKUlvE1_clEvEUlS7_S7_E_S7_EEDaPvRmT3_T4_T5_mT6_P12ihipStream_tbENKUlT_T0_E_clISt17integral_constantIbLb1EESZ_EEDaSU_SV_EUlSU_E_NS1_11comp_targetILNS1_3genE0ELNS1_11target_archE4294967295ELNS1_3gpuE0ELNS1_3repE0EEENS1_30default_config_static_selectorELNS0_4arch9wavefront6targetE0EEEvT1_
    .private_segment_fixed_size: 0
    .sgpr_count:     0
    .sgpr_spill_count: 0
    .symbol:         _ZN7rocprim17ROCPRIM_400000_NS6detail17trampoline_kernelINS0_14default_configENS1_20scan_config_selectorIN3c107complexIdEEEEZZNS1_9scan_implILNS1_25lookback_scan_determinismE0ELb0ELb0ES3_PKS7_PS7_S7_ZZZN2at6native31launch_logcumsumexp_cuda_kernelERKNSE_10TensorBaseESI_lENKUlvE_clEvENKUlvE1_clEvEUlS7_S7_E_S7_EEDaPvRmT3_T4_T5_mT6_P12ihipStream_tbENKUlT_T0_E_clISt17integral_constantIbLb1EESZ_EEDaSU_SV_EUlSU_E_NS1_11comp_targetILNS1_3genE0ELNS1_11target_archE4294967295ELNS1_3gpuE0ELNS1_3repE0EEENS1_30default_config_static_selectorELNS0_4arch9wavefront6targetE0EEEvT1_.kd
    .uniform_work_group_size: 1
    .uses_dynamic_stack: false
    .vgpr_count:     0
    .vgpr_spill_count: 0
    .wavefront_size: 32
    .workgroup_processor_mode: 1
  - .args:
      - .offset:         0
        .size:           128
        .value_kind:     by_value
    .group_segment_fixed_size: 0
    .kernarg_segment_align: 16
    .kernarg_segment_size: 128
    .language:       OpenCL C
    .language_version:
      - 2
      - 0
    .max_flat_workgroup_size: 256
    .name:           _ZN7rocprim17ROCPRIM_400000_NS6detail17trampoline_kernelINS0_14default_configENS1_20scan_config_selectorIN3c107complexIdEEEEZZNS1_9scan_implILNS1_25lookback_scan_determinismE0ELb0ELb0ES3_PKS7_PS7_S7_ZZZN2at6native31launch_logcumsumexp_cuda_kernelERKNSE_10TensorBaseESI_lENKUlvE_clEvENKUlvE1_clEvEUlS7_S7_E_S7_EEDaPvRmT3_T4_T5_mT6_P12ihipStream_tbENKUlT_T0_E_clISt17integral_constantIbLb1EESZ_EEDaSU_SV_EUlSU_E_NS1_11comp_targetILNS1_3genE5ELNS1_11target_archE942ELNS1_3gpuE9ELNS1_3repE0EEENS1_30default_config_static_selectorELNS0_4arch9wavefront6targetE0EEEvT1_
    .private_segment_fixed_size: 0
    .sgpr_count:     0
    .sgpr_spill_count: 0
    .symbol:         _ZN7rocprim17ROCPRIM_400000_NS6detail17trampoline_kernelINS0_14default_configENS1_20scan_config_selectorIN3c107complexIdEEEEZZNS1_9scan_implILNS1_25lookback_scan_determinismE0ELb0ELb0ES3_PKS7_PS7_S7_ZZZN2at6native31launch_logcumsumexp_cuda_kernelERKNSE_10TensorBaseESI_lENKUlvE_clEvENKUlvE1_clEvEUlS7_S7_E_S7_EEDaPvRmT3_T4_T5_mT6_P12ihipStream_tbENKUlT_T0_E_clISt17integral_constantIbLb1EESZ_EEDaSU_SV_EUlSU_E_NS1_11comp_targetILNS1_3genE5ELNS1_11target_archE942ELNS1_3gpuE9ELNS1_3repE0EEENS1_30default_config_static_selectorELNS0_4arch9wavefront6targetE0EEEvT1_.kd
    .uniform_work_group_size: 1
    .uses_dynamic_stack: false
    .vgpr_count:     0
    .vgpr_spill_count: 0
    .wavefront_size: 32
    .workgroup_processor_mode: 1
  - .args:
      - .offset:         0
        .size:           128
        .value_kind:     by_value
    .group_segment_fixed_size: 0
    .kernarg_segment_align: 16
    .kernarg_segment_size: 128
    .language:       OpenCL C
    .language_version:
      - 2
      - 0
    .max_flat_workgroup_size: 64
    .name:           _ZN7rocprim17ROCPRIM_400000_NS6detail17trampoline_kernelINS0_14default_configENS1_20scan_config_selectorIN3c107complexIdEEEEZZNS1_9scan_implILNS1_25lookback_scan_determinismE0ELb0ELb0ES3_PKS7_PS7_S7_ZZZN2at6native31launch_logcumsumexp_cuda_kernelERKNSE_10TensorBaseESI_lENKUlvE_clEvENKUlvE1_clEvEUlS7_S7_E_S7_EEDaPvRmT3_T4_T5_mT6_P12ihipStream_tbENKUlT_T0_E_clISt17integral_constantIbLb1EESZ_EEDaSU_SV_EUlSU_E_NS1_11comp_targetILNS1_3genE4ELNS1_11target_archE910ELNS1_3gpuE8ELNS1_3repE0EEENS1_30default_config_static_selectorELNS0_4arch9wavefront6targetE0EEEvT1_
    .private_segment_fixed_size: 0
    .sgpr_count:     0
    .sgpr_spill_count: 0
    .symbol:         _ZN7rocprim17ROCPRIM_400000_NS6detail17trampoline_kernelINS0_14default_configENS1_20scan_config_selectorIN3c107complexIdEEEEZZNS1_9scan_implILNS1_25lookback_scan_determinismE0ELb0ELb0ES3_PKS7_PS7_S7_ZZZN2at6native31launch_logcumsumexp_cuda_kernelERKNSE_10TensorBaseESI_lENKUlvE_clEvENKUlvE1_clEvEUlS7_S7_E_S7_EEDaPvRmT3_T4_T5_mT6_P12ihipStream_tbENKUlT_T0_E_clISt17integral_constantIbLb1EESZ_EEDaSU_SV_EUlSU_E_NS1_11comp_targetILNS1_3genE4ELNS1_11target_archE910ELNS1_3gpuE8ELNS1_3repE0EEENS1_30default_config_static_selectorELNS0_4arch9wavefront6targetE0EEEvT1_.kd
    .uniform_work_group_size: 1
    .uses_dynamic_stack: false
    .vgpr_count:     0
    .vgpr_spill_count: 0
    .wavefront_size: 32
    .workgroup_processor_mode: 1
  - .args:
      - .offset:         0
        .size:           128
        .value_kind:     by_value
    .group_segment_fixed_size: 0
    .kernarg_segment_align: 16
    .kernarg_segment_size: 128
    .language:       OpenCL C
    .language_version:
      - 2
      - 0
    .max_flat_workgroup_size: 128
    .name:           _ZN7rocprim17ROCPRIM_400000_NS6detail17trampoline_kernelINS0_14default_configENS1_20scan_config_selectorIN3c107complexIdEEEEZZNS1_9scan_implILNS1_25lookback_scan_determinismE0ELb0ELb0ES3_PKS7_PS7_S7_ZZZN2at6native31launch_logcumsumexp_cuda_kernelERKNSE_10TensorBaseESI_lENKUlvE_clEvENKUlvE1_clEvEUlS7_S7_E_S7_EEDaPvRmT3_T4_T5_mT6_P12ihipStream_tbENKUlT_T0_E_clISt17integral_constantIbLb1EESZ_EEDaSU_SV_EUlSU_E_NS1_11comp_targetILNS1_3genE3ELNS1_11target_archE908ELNS1_3gpuE7ELNS1_3repE0EEENS1_30default_config_static_selectorELNS0_4arch9wavefront6targetE0EEEvT1_
    .private_segment_fixed_size: 0
    .sgpr_count:     0
    .sgpr_spill_count: 0
    .symbol:         _ZN7rocprim17ROCPRIM_400000_NS6detail17trampoline_kernelINS0_14default_configENS1_20scan_config_selectorIN3c107complexIdEEEEZZNS1_9scan_implILNS1_25lookback_scan_determinismE0ELb0ELb0ES3_PKS7_PS7_S7_ZZZN2at6native31launch_logcumsumexp_cuda_kernelERKNSE_10TensorBaseESI_lENKUlvE_clEvENKUlvE1_clEvEUlS7_S7_E_S7_EEDaPvRmT3_T4_T5_mT6_P12ihipStream_tbENKUlT_T0_E_clISt17integral_constantIbLb1EESZ_EEDaSU_SV_EUlSU_E_NS1_11comp_targetILNS1_3genE3ELNS1_11target_archE908ELNS1_3gpuE7ELNS1_3repE0EEENS1_30default_config_static_selectorELNS0_4arch9wavefront6targetE0EEEvT1_.kd
    .uniform_work_group_size: 1
    .uses_dynamic_stack: false
    .vgpr_count:     0
    .vgpr_spill_count: 0
    .wavefront_size: 32
    .workgroup_processor_mode: 1
  - .args:
      - .offset:         0
        .size:           128
        .value_kind:     by_value
    .group_segment_fixed_size: 0
    .kernarg_segment_align: 16
    .kernarg_segment_size: 128
    .language:       OpenCL C
    .language_version:
      - 2
      - 0
    .max_flat_workgroup_size: 64
    .name:           _ZN7rocprim17ROCPRIM_400000_NS6detail17trampoline_kernelINS0_14default_configENS1_20scan_config_selectorIN3c107complexIdEEEEZZNS1_9scan_implILNS1_25lookback_scan_determinismE0ELb0ELb0ES3_PKS7_PS7_S7_ZZZN2at6native31launch_logcumsumexp_cuda_kernelERKNSE_10TensorBaseESI_lENKUlvE_clEvENKUlvE1_clEvEUlS7_S7_E_S7_EEDaPvRmT3_T4_T5_mT6_P12ihipStream_tbENKUlT_T0_E_clISt17integral_constantIbLb1EESZ_EEDaSU_SV_EUlSU_E_NS1_11comp_targetILNS1_3genE2ELNS1_11target_archE906ELNS1_3gpuE6ELNS1_3repE0EEENS1_30default_config_static_selectorELNS0_4arch9wavefront6targetE0EEEvT1_
    .private_segment_fixed_size: 0
    .sgpr_count:     0
    .sgpr_spill_count: 0
    .symbol:         _ZN7rocprim17ROCPRIM_400000_NS6detail17trampoline_kernelINS0_14default_configENS1_20scan_config_selectorIN3c107complexIdEEEEZZNS1_9scan_implILNS1_25lookback_scan_determinismE0ELb0ELb0ES3_PKS7_PS7_S7_ZZZN2at6native31launch_logcumsumexp_cuda_kernelERKNSE_10TensorBaseESI_lENKUlvE_clEvENKUlvE1_clEvEUlS7_S7_E_S7_EEDaPvRmT3_T4_T5_mT6_P12ihipStream_tbENKUlT_T0_E_clISt17integral_constantIbLb1EESZ_EEDaSU_SV_EUlSU_E_NS1_11comp_targetILNS1_3genE2ELNS1_11target_archE906ELNS1_3gpuE6ELNS1_3repE0EEENS1_30default_config_static_selectorELNS0_4arch9wavefront6targetE0EEEvT1_.kd
    .uniform_work_group_size: 1
    .uses_dynamic_stack: false
    .vgpr_count:     0
    .vgpr_spill_count: 0
    .wavefront_size: 32
    .workgroup_processor_mode: 1
  - .args:
      - .offset:         0
        .size:           128
        .value_kind:     by_value
    .group_segment_fixed_size: 0
    .kernarg_segment_align: 16
    .kernarg_segment_size: 128
    .language:       OpenCL C
    .language_version:
      - 2
      - 0
    .max_flat_workgroup_size: 256
    .name:           _ZN7rocprim17ROCPRIM_400000_NS6detail17trampoline_kernelINS0_14default_configENS1_20scan_config_selectorIN3c107complexIdEEEEZZNS1_9scan_implILNS1_25lookback_scan_determinismE0ELb0ELb0ES3_PKS7_PS7_S7_ZZZN2at6native31launch_logcumsumexp_cuda_kernelERKNSE_10TensorBaseESI_lENKUlvE_clEvENKUlvE1_clEvEUlS7_S7_E_S7_EEDaPvRmT3_T4_T5_mT6_P12ihipStream_tbENKUlT_T0_E_clISt17integral_constantIbLb1EESZ_EEDaSU_SV_EUlSU_E_NS1_11comp_targetILNS1_3genE10ELNS1_11target_archE1201ELNS1_3gpuE5ELNS1_3repE0EEENS1_30default_config_static_selectorELNS0_4arch9wavefront6targetE0EEEvT1_
    .private_segment_fixed_size: 0
    .sgpr_count:     0
    .sgpr_spill_count: 0
    .symbol:         _ZN7rocprim17ROCPRIM_400000_NS6detail17trampoline_kernelINS0_14default_configENS1_20scan_config_selectorIN3c107complexIdEEEEZZNS1_9scan_implILNS1_25lookback_scan_determinismE0ELb0ELb0ES3_PKS7_PS7_S7_ZZZN2at6native31launch_logcumsumexp_cuda_kernelERKNSE_10TensorBaseESI_lENKUlvE_clEvENKUlvE1_clEvEUlS7_S7_E_S7_EEDaPvRmT3_T4_T5_mT6_P12ihipStream_tbENKUlT_T0_E_clISt17integral_constantIbLb1EESZ_EEDaSU_SV_EUlSU_E_NS1_11comp_targetILNS1_3genE10ELNS1_11target_archE1201ELNS1_3gpuE5ELNS1_3repE0EEENS1_30default_config_static_selectorELNS0_4arch9wavefront6targetE0EEEvT1_.kd
    .uniform_work_group_size: 1
    .uses_dynamic_stack: false
    .vgpr_count:     0
    .vgpr_spill_count: 0
    .wavefront_size: 32
    .workgroup_processor_mode: 1
  - .args:
      - .offset:         0
        .size:           128
        .value_kind:     by_value
    .group_segment_fixed_size: 0
    .kernarg_segment_align: 16
    .kernarg_segment_size: 128
    .language:       OpenCL C
    .language_version:
      - 2
      - 0
    .max_flat_workgroup_size: 256
    .name:           _ZN7rocprim17ROCPRIM_400000_NS6detail17trampoline_kernelINS0_14default_configENS1_20scan_config_selectorIN3c107complexIdEEEEZZNS1_9scan_implILNS1_25lookback_scan_determinismE0ELb0ELb0ES3_PKS7_PS7_S7_ZZZN2at6native31launch_logcumsumexp_cuda_kernelERKNSE_10TensorBaseESI_lENKUlvE_clEvENKUlvE1_clEvEUlS7_S7_E_S7_EEDaPvRmT3_T4_T5_mT6_P12ihipStream_tbENKUlT_T0_E_clISt17integral_constantIbLb1EESZ_EEDaSU_SV_EUlSU_E_NS1_11comp_targetILNS1_3genE10ELNS1_11target_archE1200ELNS1_3gpuE4ELNS1_3repE0EEENS1_30default_config_static_selectorELNS0_4arch9wavefront6targetE0EEEvT1_
    .private_segment_fixed_size: 0
    .sgpr_count:     0
    .sgpr_spill_count: 0
    .symbol:         _ZN7rocprim17ROCPRIM_400000_NS6detail17trampoline_kernelINS0_14default_configENS1_20scan_config_selectorIN3c107complexIdEEEEZZNS1_9scan_implILNS1_25lookback_scan_determinismE0ELb0ELb0ES3_PKS7_PS7_S7_ZZZN2at6native31launch_logcumsumexp_cuda_kernelERKNSE_10TensorBaseESI_lENKUlvE_clEvENKUlvE1_clEvEUlS7_S7_E_S7_EEDaPvRmT3_T4_T5_mT6_P12ihipStream_tbENKUlT_T0_E_clISt17integral_constantIbLb1EESZ_EEDaSU_SV_EUlSU_E_NS1_11comp_targetILNS1_3genE10ELNS1_11target_archE1200ELNS1_3gpuE4ELNS1_3repE0EEENS1_30default_config_static_selectorELNS0_4arch9wavefront6targetE0EEEvT1_.kd
    .uniform_work_group_size: 1
    .uses_dynamic_stack: false
    .vgpr_count:     0
    .vgpr_spill_count: 0
    .wavefront_size: 32
    .workgroup_processor_mode: 1
  - .args:
      - .offset:         0
        .size:           128
        .value_kind:     by_value
    .group_segment_fixed_size: 0
    .kernarg_segment_align: 16
    .kernarg_segment_size: 128
    .language:       OpenCL C
    .language_version:
      - 2
      - 0
    .max_flat_workgroup_size: 256
    .name:           _ZN7rocprim17ROCPRIM_400000_NS6detail17trampoline_kernelINS0_14default_configENS1_20scan_config_selectorIN3c107complexIdEEEEZZNS1_9scan_implILNS1_25lookback_scan_determinismE0ELb0ELb0ES3_PKS7_PS7_S7_ZZZN2at6native31launch_logcumsumexp_cuda_kernelERKNSE_10TensorBaseESI_lENKUlvE_clEvENKUlvE1_clEvEUlS7_S7_E_S7_EEDaPvRmT3_T4_T5_mT6_P12ihipStream_tbENKUlT_T0_E_clISt17integral_constantIbLb1EESZ_EEDaSU_SV_EUlSU_E_NS1_11comp_targetILNS1_3genE9ELNS1_11target_archE1100ELNS1_3gpuE3ELNS1_3repE0EEENS1_30default_config_static_selectorELNS0_4arch9wavefront6targetE0EEEvT1_
    .private_segment_fixed_size: 0
    .sgpr_count:     0
    .sgpr_spill_count: 0
    .symbol:         _ZN7rocprim17ROCPRIM_400000_NS6detail17trampoline_kernelINS0_14default_configENS1_20scan_config_selectorIN3c107complexIdEEEEZZNS1_9scan_implILNS1_25lookback_scan_determinismE0ELb0ELb0ES3_PKS7_PS7_S7_ZZZN2at6native31launch_logcumsumexp_cuda_kernelERKNSE_10TensorBaseESI_lENKUlvE_clEvENKUlvE1_clEvEUlS7_S7_E_S7_EEDaPvRmT3_T4_T5_mT6_P12ihipStream_tbENKUlT_T0_E_clISt17integral_constantIbLb1EESZ_EEDaSU_SV_EUlSU_E_NS1_11comp_targetILNS1_3genE9ELNS1_11target_archE1100ELNS1_3gpuE3ELNS1_3repE0EEENS1_30default_config_static_selectorELNS0_4arch9wavefront6targetE0EEEvT1_.kd
    .uniform_work_group_size: 1
    .uses_dynamic_stack: false
    .vgpr_count:     0
    .vgpr_spill_count: 0
    .wavefront_size: 32
    .workgroup_processor_mode: 1
  - .args:
      - .offset:         0
        .size:           128
        .value_kind:     by_value
    .group_segment_fixed_size: 0
    .kernarg_segment_align: 16
    .kernarg_segment_size: 128
    .language:       OpenCL C
    .language_version:
      - 2
      - 0
    .max_flat_workgroup_size: 256
    .name:           _ZN7rocprim17ROCPRIM_400000_NS6detail17trampoline_kernelINS0_14default_configENS1_20scan_config_selectorIN3c107complexIdEEEEZZNS1_9scan_implILNS1_25lookback_scan_determinismE0ELb0ELb0ES3_PKS7_PS7_S7_ZZZN2at6native31launch_logcumsumexp_cuda_kernelERKNSE_10TensorBaseESI_lENKUlvE_clEvENKUlvE1_clEvEUlS7_S7_E_S7_EEDaPvRmT3_T4_T5_mT6_P12ihipStream_tbENKUlT_T0_E_clISt17integral_constantIbLb1EESZ_EEDaSU_SV_EUlSU_E_NS1_11comp_targetILNS1_3genE8ELNS1_11target_archE1030ELNS1_3gpuE2ELNS1_3repE0EEENS1_30default_config_static_selectorELNS0_4arch9wavefront6targetE0EEEvT1_
    .private_segment_fixed_size: 0
    .sgpr_count:     0
    .sgpr_spill_count: 0
    .symbol:         _ZN7rocprim17ROCPRIM_400000_NS6detail17trampoline_kernelINS0_14default_configENS1_20scan_config_selectorIN3c107complexIdEEEEZZNS1_9scan_implILNS1_25lookback_scan_determinismE0ELb0ELb0ES3_PKS7_PS7_S7_ZZZN2at6native31launch_logcumsumexp_cuda_kernelERKNSE_10TensorBaseESI_lENKUlvE_clEvENKUlvE1_clEvEUlS7_S7_E_S7_EEDaPvRmT3_T4_T5_mT6_P12ihipStream_tbENKUlT_T0_E_clISt17integral_constantIbLb1EESZ_EEDaSU_SV_EUlSU_E_NS1_11comp_targetILNS1_3genE8ELNS1_11target_archE1030ELNS1_3gpuE2ELNS1_3repE0EEENS1_30default_config_static_selectorELNS0_4arch9wavefront6targetE0EEEvT1_.kd
    .uniform_work_group_size: 1
    .uses_dynamic_stack: false
    .vgpr_count:     0
    .vgpr_spill_count: 0
    .wavefront_size: 32
    .workgroup_processor_mode: 1
  - .args:
      - .offset:         0
        .size:           48
        .value_kind:     by_value
    .group_segment_fixed_size: 0
    .kernarg_segment_align: 16
    .kernarg_segment_size: 48
    .language:       OpenCL C
    .language_version:
      - 2
      - 0
    .max_flat_workgroup_size: 128
    .name:           _ZN7rocprim17ROCPRIM_400000_NS6detail17trampoline_kernelINS0_14default_configENS1_20scan_config_selectorIN3c107complexIdEEEEZZNS1_9scan_implILNS1_25lookback_scan_determinismE0ELb0ELb0ES3_PKS7_PS7_S7_ZZZN2at6native31launch_logcumsumexp_cuda_kernelERKNSE_10TensorBaseESI_lENKUlvE_clEvENKUlvE1_clEvEUlS7_S7_E_S7_EEDaPvRmT3_T4_T5_mT6_P12ihipStream_tbENKUlT_T0_E_clISt17integral_constantIbLb1EESZ_EEDaSU_SV_EUlSU_E0_NS1_11comp_targetILNS1_3genE0ELNS1_11target_archE4294967295ELNS1_3gpuE0ELNS1_3repE0EEENS1_30default_config_static_selectorELNS0_4arch9wavefront6targetE0EEEvT1_
    .private_segment_fixed_size: 0
    .sgpr_count:     0
    .sgpr_spill_count: 0
    .symbol:         _ZN7rocprim17ROCPRIM_400000_NS6detail17trampoline_kernelINS0_14default_configENS1_20scan_config_selectorIN3c107complexIdEEEEZZNS1_9scan_implILNS1_25lookback_scan_determinismE0ELb0ELb0ES3_PKS7_PS7_S7_ZZZN2at6native31launch_logcumsumexp_cuda_kernelERKNSE_10TensorBaseESI_lENKUlvE_clEvENKUlvE1_clEvEUlS7_S7_E_S7_EEDaPvRmT3_T4_T5_mT6_P12ihipStream_tbENKUlT_T0_E_clISt17integral_constantIbLb1EESZ_EEDaSU_SV_EUlSU_E0_NS1_11comp_targetILNS1_3genE0ELNS1_11target_archE4294967295ELNS1_3gpuE0ELNS1_3repE0EEENS1_30default_config_static_selectorELNS0_4arch9wavefront6targetE0EEEvT1_.kd
    .uniform_work_group_size: 1
    .uses_dynamic_stack: false
    .vgpr_count:     0
    .vgpr_spill_count: 0
    .wavefront_size: 32
    .workgroup_processor_mode: 1
  - .args:
      - .offset:         0
        .size:           48
        .value_kind:     by_value
    .group_segment_fixed_size: 0
    .kernarg_segment_align: 16
    .kernarg_segment_size: 48
    .language:       OpenCL C
    .language_version:
      - 2
      - 0
    .max_flat_workgroup_size: 256
    .name:           _ZN7rocprim17ROCPRIM_400000_NS6detail17trampoline_kernelINS0_14default_configENS1_20scan_config_selectorIN3c107complexIdEEEEZZNS1_9scan_implILNS1_25lookback_scan_determinismE0ELb0ELb0ES3_PKS7_PS7_S7_ZZZN2at6native31launch_logcumsumexp_cuda_kernelERKNSE_10TensorBaseESI_lENKUlvE_clEvENKUlvE1_clEvEUlS7_S7_E_S7_EEDaPvRmT3_T4_T5_mT6_P12ihipStream_tbENKUlT_T0_E_clISt17integral_constantIbLb1EESZ_EEDaSU_SV_EUlSU_E0_NS1_11comp_targetILNS1_3genE5ELNS1_11target_archE942ELNS1_3gpuE9ELNS1_3repE0EEENS1_30default_config_static_selectorELNS0_4arch9wavefront6targetE0EEEvT1_
    .private_segment_fixed_size: 0
    .sgpr_count:     0
    .sgpr_spill_count: 0
    .symbol:         _ZN7rocprim17ROCPRIM_400000_NS6detail17trampoline_kernelINS0_14default_configENS1_20scan_config_selectorIN3c107complexIdEEEEZZNS1_9scan_implILNS1_25lookback_scan_determinismE0ELb0ELb0ES3_PKS7_PS7_S7_ZZZN2at6native31launch_logcumsumexp_cuda_kernelERKNSE_10TensorBaseESI_lENKUlvE_clEvENKUlvE1_clEvEUlS7_S7_E_S7_EEDaPvRmT3_T4_T5_mT6_P12ihipStream_tbENKUlT_T0_E_clISt17integral_constantIbLb1EESZ_EEDaSU_SV_EUlSU_E0_NS1_11comp_targetILNS1_3genE5ELNS1_11target_archE942ELNS1_3gpuE9ELNS1_3repE0EEENS1_30default_config_static_selectorELNS0_4arch9wavefront6targetE0EEEvT1_.kd
    .uniform_work_group_size: 1
    .uses_dynamic_stack: false
    .vgpr_count:     0
    .vgpr_spill_count: 0
    .wavefront_size: 32
    .workgroup_processor_mode: 1
  - .args:
      - .offset:         0
        .size:           48
        .value_kind:     by_value
    .group_segment_fixed_size: 0
    .kernarg_segment_align: 16
    .kernarg_segment_size: 48
    .language:       OpenCL C
    .language_version:
      - 2
      - 0
    .max_flat_workgroup_size: 64
    .name:           _ZN7rocprim17ROCPRIM_400000_NS6detail17trampoline_kernelINS0_14default_configENS1_20scan_config_selectorIN3c107complexIdEEEEZZNS1_9scan_implILNS1_25lookback_scan_determinismE0ELb0ELb0ES3_PKS7_PS7_S7_ZZZN2at6native31launch_logcumsumexp_cuda_kernelERKNSE_10TensorBaseESI_lENKUlvE_clEvENKUlvE1_clEvEUlS7_S7_E_S7_EEDaPvRmT3_T4_T5_mT6_P12ihipStream_tbENKUlT_T0_E_clISt17integral_constantIbLb1EESZ_EEDaSU_SV_EUlSU_E0_NS1_11comp_targetILNS1_3genE4ELNS1_11target_archE910ELNS1_3gpuE8ELNS1_3repE0EEENS1_30default_config_static_selectorELNS0_4arch9wavefront6targetE0EEEvT1_
    .private_segment_fixed_size: 0
    .sgpr_count:     0
    .sgpr_spill_count: 0
    .symbol:         _ZN7rocprim17ROCPRIM_400000_NS6detail17trampoline_kernelINS0_14default_configENS1_20scan_config_selectorIN3c107complexIdEEEEZZNS1_9scan_implILNS1_25lookback_scan_determinismE0ELb0ELb0ES3_PKS7_PS7_S7_ZZZN2at6native31launch_logcumsumexp_cuda_kernelERKNSE_10TensorBaseESI_lENKUlvE_clEvENKUlvE1_clEvEUlS7_S7_E_S7_EEDaPvRmT3_T4_T5_mT6_P12ihipStream_tbENKUlT_T0_E_clISt17integral_constantIbLb1EESZ_EEDaSU_SV_EUlSU_E0_NS1_11comp_targetILNS1_3genE4ELNS1_11target_archE910ELNS1_3gpuE8ELNS1_3repE0EEENS1_30default_config_static_selectorELNS0_4arch9wavefront6targetE0EEEvT1_.kd
    .uniform_work_group_size: 1
    .uses_dynamic_stack: false
    .vgpr_count:     0
    .vgpr_spill_count: 0
    .wavefront_size: 32
    .workgroup_processor_mode: 1
  - .args:
      - .offset:         0
        .size:           48
        .value_kind:     by_value
    .group_segment_fixed_size: 0
    .kernarg_segment_align: 16
    .kernarg_segment_size: 48
    .language:       OpenCL C
    .language_version:
      - 2
      - 0
    .max_flat_workgroup_size: 128
    .name:           _ZN7rocprim17ROCPRIM_400000_NS6detail17trampoline_kernelINS0_14default_configENS1_20scan_config_selectorIN3c107complexIdEEEEZZNS1_9scan_implILNS1_25lookback_scan_determinismE0ELb0ELb0ES3_PKS7_PS7_S7_ZZZN2at6native31launch_logcumsumexp_cuda_kernelERKNSE_10TensorBaseESI_lENKUlvE_clEvENKUlvE1_clEvEUlS7_S7_E_S7_EEDaPvRmT3_T4_T5_mT6_P12ihipStream_tbENKUlT_T0_E_clISt17integral_constantIbLb1EESZ_EEDaSU_SV_EUlSU_E0_NS1_11comp_targetILNS1_3genE3ELNS1_11target_archE908ELNS1_3gpuE7ELNS1_3repE0EEENS1_30default_config_static_selectorELNS0_4arch9wavefront6targetE0EEEvT1_
    .private_segment_fixed_size: 0
    .sgpr_count:     0
    .sgpr_spill_count: 0
    .symbol:         _ZN7rocprim17ROCPRIM_400000_NS6detail17trampoline_kernelINS0_14default_configENS1_20scan_config_selectorIN3c107complexIdEEEEZZNS1_9scan_implILNS1_25lookback_scan_determinismE0ELb0ELb0ES3_PKS7_PS7_S7_ZZZN2at6native31launch_logcumsumexp_cuda_kernelERKNSE_10TensorBaseESI_lENKUlvE_clEvENKUlvE1_clEvEUlS7_S7_E_S7_EEDaPvRmT3_T4_T5_mT6_P12ihipStream_tbENKUlT_T0_E_clISt17integral_constantIbLb1EESZ_EEDaSU_SV_EUlSU_E0_NS1_11comp_targetILNS1_3genE3ELNS1_11target_archE908ELNS1_3gpuE7ELNS1_3repE0EEENS1_30default_config_static_selectorELNS0_4arch9wavefront6targetE0EEEvT1_.kd
    .uniform_work_group_size: 1
    .uses_dynamic_stack: false
    .vgpr_count:     0
    .vgpr_spill_count: 0
    .wavefront_size: 32
    .workgroup_processor_mode: 1
  - .args:
      - .offset:         0
        .size:           48
        .value_kind:     by_value
    .group_segment_fixed_size: 0
    .kernarg_segment_align: 16
    .kernarg_segment_size: 48
    .language:       OpenCL C
    .language_version:
      - 2
      - 0
    .max_flat_workgroup_size: 64
    .name:           _ZN7rocprim17ROCPRIM_400000_NS6detail17trampoline_kernelINS0_14default_configENS1_20scan_config_selectorIN3c107complexIdEEEEZZNS1_9scan_implILNS1_25lookback_scan_determinismE0ELb0ELb0ES3_PKS7_PS7_S7_ZZZN2at6native31launch_logcumsumexp_cuda_kernelERKNSE_10TensorBaseESI_lENKUlvE_clEvENKUlvE1_clEvEUlS7_S7_E_S7_EEDaPvRmT3_T4_T5_mT6_P12ihipStream_tbENKUlT_T0_E_clISt17integral_constantIbLb1EESZ_EEDaSU_SV_EUlSU_E0_NS1_11comp_targetILNS1_3genE2ELNS1_11target_archE906ELNS1_3gpuE6ELNS1_3repE0EEENS1_30default_config_static_selectorELNS0_4arch9wavefront6targetE0EEEvT1_
    .private_segment_fixed_size: 0
    .sgpr_count:     0
    .sgpr_spill_count: 0
    .symbol:         _ZN7rocprim17ROCPRIM_400000_NS6detail17trampoline_kernelINS0_14default_configENS1_20scan_config_selectorIN3c107complexIdEEEEZZNS1_9scan_implILNS1_25lookback_scan_determinismE0ELb0ELb0ES3_PKS7_PS7_S7_ZZZN2at6native31launch_logcumsumexp_cuda_kernelERKNSE_10TensorBaseESI_lENKUlvE_clEvENKUlvE1_clEvEUlS7_S7_E_S7_EEDaPvRmT3_T4_T5_mT6_P12ihipStream_tbENKUlT_T0_E_clISt17integral_constantIbLb1EESZ_EEDaSU_SV_EUlSU_E0_NS1_11comp_targetILNS1_3genE2ELNS1_11target_archE906ELNS1_3gpuE6ELNS1_3repE0EEENS1_30default_config_static_selectorELNS0_4arch9wavefront6targetE0EEEvT1_.kd
    .uniform_work_group_size: 1
    .uses_dynamic_stack: false
    .vgpr_count:     0
    .vgpr_spill_count: 0
    .wavefront_size: 32
    .workgroup_processor_mode: 1
  - .args:
      - .offset:         0
        .size:           48
        .value_kind:     by_value
    .group_segment_fixed_size: 45056
    .kernarg_segment_align: 16
    .kernarg_segment_size: 48
    .language:       OpenCL C
    .language_version:
      - 2
      - 0
    .max_flat_workgroup_size: 256
    .name:           _ZN7rocprim17ROCPRIM_400000_NS6detail17trampoline_kernelINS0_14default_configENS1_20scan_config_selectorIN3c107complexIdEEEEZZNS1_9scan_implILNS1_25lookback_scan_determinismE0ELb0ELb0ES3_PKS7_PS7_S7_ZZZN2at6native31launch_logcumsumexp_cuda_kernelERKNSE_10TensorBaseESI_lENKUlvE_clEvENKUlvE1_clEvEUlS7_S7_E_S7_EEDaPvRmT3_T4_T5_mT6_P12ihipStream_tbENKUlT_T0_E_clISt17integral_constantIbLb1EESZ_EEDaSU_SV_EUlSU_E0_NS1_11comp_targetILNS1_3genE10ELNS1_11target_archE1201ELNS1_3gpuE5ELNS1_3repE0EEENS1_30default_config_static_selectorELNS0_4arch9wavefront6targetE0EEEvT1_
    .private_segment_fixed_size: 0
    .sgpr_count:     39
    .sgpr_spill_count: 0
    .symbol:         _ZN7rocprim17ROCPRIM_400000_NS6detail17trampoline_kernelINS0_14default_configENS1_20scan_config_selectorIN3c107complexIdEEEEZZNS1_9scan_implILNS1_25lookback_scan_determinismE0ELb0ELb0ES3_PKS7_PS7_S7_ZZZN2at6native31launch_logcumsumexp_cuda_kernelERKNSE_10TensorBaseESI_lENKUlvE_clEvENKUlvE1_clEvEUlS7_S7_E_S7_EEDaPvRmT3_T4_T5_mT6_P12ihipStream_tbENKUlT_T0_E_clISt17integral_constantIbLb1EESZ_EEDaSU_SV_EUlSU_E0_NS1_11comp_targetILNS1_3genE10ELNS1_11target_archE1201ELNS1_3gpuE5ELNS1_3repE0EEENS1_30default_config_static_selectorELNS0_4arch9wavefront6targetE0EEEvT1_.kd
    .uniform_work_group_size: 1
    .uses_dynamic_stack: false
    .vgpr_count:     185
    .vgpr_spill_count: 0
    .wavefront_size: 32
    .workgroup_processor_mode: 1
  - .args:
      - .offset:         0
        .size:           48
        .value_kind:     by_value
    .group_segment_fixed_size: 0
    .kernarg_segment_align: 16
    .kernarg_segment_size: 48
    .language:       OpenCL C
    .language_version:
      - 2
      - 0
    .max_flat_workgroup_size: 256
    .name:           _ZN7rocprim17ROCPRIM_400000_NS6detail17trampoline_kernelINS0_14default_configENS1_20scan_config_selectorIN3c107complexIdEEEEZZNS1_9scan_implILNS1_25lookback_scan_determinismE0ELb0ELb0ES3_PKS7_PS7_S7_ZZZN2at6native31launch_logcumsumexp_cuda_kernelERKNSE_10TensorBaseESI_lENKUlvE_clEvENKUlvE1_clEvEUlS7_S7_E_S7_EEDaPvRmT3_T4_T5_mT6_P12ihipStream_tbENKUlT_T0_E_clISt17integral_constantIbLb1EESZ_EEDaSU_SV_EUlSU_E0_NS1_11comp_targetILNS1_3genE10ELNS1_11target_archE1200ELNS1_3gpuE4ELNS1_3repE0EEENS1_30default_config_static_selectorELNS0_4arch9wavefront6targetE0EEEvT1_
    .private_segment_fixed_size: 0
    .sgpr_count:     0
    .sgpr_spill_count: 0
    .symbol:         _ZN7rocprim17ROCPRIM_400000_NS6detail17trampoline_kernelINS0_14default_configENS1_20scan_config_selectorIN3c107complexIdEEEEZZNS1_9scan_implILNS1_25lookback_scan_determinismE0ELb0ELb0ES3_PKS7_PS7_S7_ZZZN2at6native31launch_logcumsumexp_cuda_kernelERKNSE_10TensorBaseESI_lENKUlvE_clEvENKUlvE1_clEvEUlS7_S7_E_S7_EEDaPvRmT3_T4_T5_mT6_P12ihipStream_tbENKUlT_T0_E_clISt17integral_constantIbLb1EESZ_EEDaSU_SV_EUlSU_E0_NS1_11comp_targetILNS1_3genE10ELNS1_11target_archE1200ELNS1_3gpuE4ELNS1_3repE0EEENS1_30default_config_static_selectorELNS0_4arch9wavefront6targetE0EEEvT1_.kd
    .uniform_work_group_size: 1
    .uses_dynamic_stack: false
    .vgpr_count:     0
    .vgpr_spill_count: 0
    .wavefront_size: 32
    .workgroup_processor_mode: 1
  - .args:
      - .offset:         0
        .size:           48
        .value_kind:     by_value
    .group_segment_fixed_size: 0
    .kernarg_segment_align: 16
    .kernarg_segment_size: 48
    .language:       OpenCL C
    .language_version:
      - 2
      - 0
    .max_flat_workgroup_size: 256
    .name:           _ZN7rocprim17ROCPRIM_400000_NS6detail17trampoline_kernelINS0_14default_configENS1_20scan_config_selectorIN3c107complexIdEEEEZZNS1_9scan_implILNS1_25lookback_scan_determinismE0ELb0ELb0ES3_PKS7_PS7_S7_ZZZN2at6native31launch_logcumsumexp_cuda_kernelERKNSE_10TensorBaseESI_lENKUlvE_clEvENKUlvE1_clEvEUlS7_S7_E_S7_EEDaPvRmT3_T4_T5_mT6_P12ihipStream_tbENKUlT_T0_E_clISt17integral_constantIbLb1EESZ_EEDaSU_SV_EUlSU_E0_NS1_11comp_targetILNS1_3genE9ELNS1_11target_archE1100ELNS1_3gpuE3ELNS1_3repE0EEENS1_30default_config_static_selectorELNS0_4arch9wavefront6targetE0EEEvT1_
    .private_segment_fixed_size: 0
    .sgpr_count:     0
    .sgpr_spill_count: 0
    .symbol:         _ZN7rocprim17ROCPRIM_400000_NS6detail17trampoline_kernelINS0_14default_configENS1_20scan_config_selectorIN3c107complexIdEEEEZZNS1_9scan_implILNS1_25lookback_scan_determinismE0ELb0ELb0ES3_PKS7_PS7_S7_ZZZN2at6native31launch_logcumsumexp_cuda_kernelERKNSE_10TensorBaseESI_lENKUlvE_clEvENKUlvE1_clEvEUlS7_S7_E_S7_EEDaPvRmT3_T4_T5_mT6_P12ihipStream_tbENKUlT_T0_E_clISt17integral_constantIbLb1EESZ_EEDaSU_SV_EUlSU_E0_NS1_11comp_targetILNS1_3genE9ELNS1_11target_archE1100ELNS1_3gpuE3ELNS1_3repE0EEENS1_30default_config_static_selectorELNS0_4arch9wavefront6targetE0EEEvT1_.kd
    .uniform_work_group_size: 1
    .uses_dynamic_stack: false
    .vgpr_count:     0
    .vgpr_spill_count: 0
    .wavefront_size: 32
    .workgroup_processor_mode: 1
  - .args:
      - .offset:         0
        .size:           48
        .value_kind:     by_value
    .group_segment_fixed_size: 0
    .kernarg_segment_align: 16
    .kernarg_segment_size: 48
    .language:       OpenCL C
    .language_version:
      - 2
      - 0
    .max_flat_workgroup_size: 256
    .name:           _ZN7rocprim17ROCPRIM_400000_NS6detail17trampoline_kernelINS0_14default_configENS1_20scan_config_selectorIN3c107complexIdEEEEZZNS1_9scan_implILNS1_25lookback_scan_determinismE0ELb0ELb0ES3_PKS7_PS7_S7_ZZZN2at6native31launch_logcumsumexp_cuda_kernelERKNSE_10TensorBaseESI_lENKUlvE_clEvENKUlvE1_clEvEUlS7_S7_E_S7_EEDaPvRmT3_T4_T5_mT6_P12ihipStream_tbENKUlT_T0_E_clISt17integral_constantIbLb1EESZ_EEDaSU_SV_EUlSU_E0_NS1_11comp_targetILNS1_3genE8ELNS1_11target_archE1030ELNS1_3gpuE2ELNS1_3repE0EEENS1_30default_config_static_selectorELNS0_4arch9wavefront6targetE0EEEvT1_
    .private_segment_fixed_size: 0
    .sgpr_count:     0
    .sgpr_spill_count: 0
    .symbol:         _ZN7rocprim17ROCPRIM_400000_NS6detail17trampoline_kernelINS0_14default_configENS1_20scan_config_selectorIN3c107complexIdEEEEZZNS1_9scan_implILNS1_25lookback_scan_determinismE0ELb0ELb0ES3_PKS7_PS7_S7_ZZZN2at6native31launch_logcumsumexp_cuda_kernelERKNSE_10TensorBaseESI_lENKUlvE_clEvENKUlvE1_clEvEUlS7_S7_E_S7_EEDaPvRmT3_T4_T5_mT6_P12ihipStream_tbENKUlT_T0_E_clISt17integral_constantIbLb1EESZ_EEDaSU_SV_EUlSU_E0_NS1_11comp_targetILNS1_3genE8ELNS1_11target_archE1030ELNS1_3gpuE2ELNS1_3repE0EEENS1_30default_config_static_selectorELNS0_4arch9wavefront6targetE0EEEvT1_.kd
    .uniform_work_group_size: 1
    .uses_dynamic_stack: false
    .vgpr_count:     0
    .vgpr_spill_count: 0
    .wavefront_size: 32
    .workgroup_processor_mode: 1
  - .args:
      - .offset:         0
        .size:           24
        .value_kind:     by_value
      - .offset:         24
        .size:           4
        .value_kind:     by_value
      - .offset:         28
        .size:           1
        .value_kind:     by_value
      - .offset:         32
        .size:           4
        .value_kind:     by_value
      - .address_space:  global
        .offset:         40
        .size:           8
        .value_kind:     global_buffer
      - .offset:         48
        .size:           4
        .value_kind:     hidden_block_count_x
      - .offset:         52
        .size:           4
        .value_kind:     hidden_block_count_y
      - .offset:         56
        .size:           4
        .value_kind:     hidden_block_count_z
      - .offset:         60
        .size:           2
        .value_kind:     hidden_group_size_x
      - .offset:         62
        .size:           2
        .value_kind:     hidden_group_size_y
      - .offset:         64
        .size:           2
        .value_kind:     hidden_group_size_z
      - .offset:         66
        .size:           2
        .value_kind:     hidden_remainder_x
      - .offset:         68
        .size:           2
        .value_kind:     hidden_remainder_y
      - .offset:         70
        .size:           2
        .value_kind:     hidden_remainder_z
      - .offset:         88
        .size:           8
        .value_kind:     hidden_global_offset_x
      - .offset:         96
        .size:           8
        .value_kind:     hidden_global_offset_y
      - .offset:         104
        .size:           8
        .value_kind:     hidden_global_offset_z
      - .offset:         112
        .size:           2
        .value_kind:     hidden_grid_dims
    .group_segment_fixed_size: 0
    .kernarg_segment_align: 8
    .kernarg_segment_size: 304
    .language:       OpenCL C
    .language_version:
      - 2
      - 0
    .max_flat_workgroup_size: 256
    .name:           _ZN7rocprim17ROCPRIM_400000_NS6detail31init_lookback_scan_state_kernelINS1_19lookback_scan_stateIN3c107complexIdEELb1ELb0EEENS1_16block_id_wrapperIjLb0EEEEEvT_jT0_jPNSA_10value_typeE
    .private_segment_fixed_size: 0
    .sgpr_count:     18
    .sgpr_spill_count: 0
    .symbol:         _ZN7rocprim17ROCPRIM_400000_NS6detail31init_lookback_scan_state_kernelINS1_19lookback_scan_stateIN3c107complexIdEELb1ELb0EEENS1_16block_id_wrapperIjLb0EEEEEvT_jT0_jPNSA_10value_typeE.kd
    .uniform_work_group_size: 1
    .uses_dynamic_stack: false
    .vgpr_count:     6
    .vgpr_spill_count: 0
    .wavefront_size: 32
    .workgroup_processor_mode: 1
  - .args:
      - .offset:         0
        .size:           128
        .value_kind:     by_value
    .group_segment_fixed_size: 0
    .kernarg_segment_align: 16
    .kernarg_segment_size: 128
    .language:       OpenCL C
    .language_version:
      - 2
      - 0
    .max_flat_workgroup_size: 128
    .name:           _ZN7rocprim17ROCPRIM_400000_NS6detail17trampoline_kernelINS0_14default_configENS1_20scan_config_selectorIN3c107complexIdEEEEZZNS1_9scan_implILNS1_25lookback_scan_determinismE0ELb0ELb0ES3_PKS7_PS7_S7_ZZZN2at6native31launch_logcumsumexp_cuda_kernelERKNSE_10TensorBaseESI_lENKUlvE_clEvENKUlvE1_clEvEUlS7_S7_E_S7_EEDaPvRmT3_T4_T5_mT6_P12ihipStream_tbENKUlT_T0_E_clISt17integral_constantIbLb1EESY_IbLb0EEEEDaSU_SV_EUlSU_E_NS1_11comp_targetILNS1_3genE0ELNS1_11target_archE4294967295ELNS1_3gpuE0ELNS1_3repE0EEENS1_30default_config_static_selectorELNS0_4arch9wavefront6targetE0EEEvT1_
    .private_segment_fixed_size: 0
    .sgpr_count:     0
    .sgpr_spill_count: 0
    .symbol:         _ZN7rocprim17ROCPRIM_400000_NS6detail17trampoline_kernelINS0_14default_configENS1_20scan_config_selectorIN3c107complexIdEEEEZZNS1_9scan_implILNS1_25lookback_scan_determinismE0ELb0ELb0ES3_PKS7_PS7_S7_ZZZN2at6native31launch_logcumsumexp_cuda_kernelERKNSE_10TensorBaseESI_lENKUlvE_clEvENKUlvE1_clEvEUlS7_S7_E_S7_EEDaPvRmT3_T4_T5_mT6_P12ihipStream_tbENKUlT_T0_E_clISt17integral_constantIbLb1EESY_IbLb0EEEEDaSU_SV_EUlSU_E_NS1_11comp_targetILNS1_3genE0ELNS1_11target_archE4294967295ELNS1_3gpuE0ELNS1_3repE0EEENS1_30default_config_static_selectorELNS0_4arch9wavefront6targetE0EEEvT1_.kd
    .uniform_work_group_size: 1
    .uses_dynamic_stack: false
    .vgpr_count:     0
    .vgpr_spill_count: 0
    .wavefront_size: 32
    .workgroup_processor_mode: 1
  - .args:
      - .offset:         0
        .size:           128
        .value_kind:     by_value
    .group_segment_fixed_size: 0
    .kernarg_segment_align: 16
    .kernarg_segment_size: 128
    .language:       OpenCL C
    .language_version:
      - 2
      - 0
    .max_flat_workgroup_size: 256
    .name:           _ZN7rocprim17ROCPRIM_400000_NS6detail17trampoline_kernelINS0_14default_configENS1_20scan_config_selectorIN3c107complexIdEEEEZZNS1_9scan_implILNS1_25lookback_scan_determinismE0ELb0ELb0ES3_PKS7_PS7_S7_ZZZN2at6native31launch_logcumsumexp_cuda_kernelERKNSE_10TensorBaseESI_lENKUlvE_clEvENKUlvE1_clEvEUlS7_S7_E_S7_EEDaPvRmT3_T4_T5_mT6_P12ihipStream_tbENKUlT_T0_E_clISt17integral_constantIbLb1EESY_IbLb0EEEEDaSU_SV_EUlSU_E_NS1_11comp_targetILNS1_3genE5ELNS1_11target_archE942ELNS1_3gpuE9ELNS1_3repE0EEENS1_30default_config_static_selectorELNS0_4arch9wavefront6targetE0EEEvT1_
    .private_segment_fixed_size: 0
    .sgpr_count:     0
    .sgpr_spill_count: 0
    .symbol:         _ZN7rocprim17ROCPRIM_400000_NS6detail17trampoline_kernelINS0_14default_configENS1_20scan_config_selectorIN3c107complexIdEEEEZZNS1_9scan_implILNS1_25lookback_scan_determinismE0ELb0ELb0ES3_PKS7_PS7_S7_ZZZN2at6native31launch_logcumsumexp_cuda_kernelERKNSE_10TensorBaseESI_lENKUlvE_clEvENKUlvE1_clEvEUlS7_S7_E_S7_EEDaPvRmT3_T4_T5_mT6_P12ihipStream_tbENKUlT_T0_E_clISt17integral_constantIbLb1EESY_IbLb0EEEEDaSU_SV_EUlSU_E_NS1_11comp_targetILNS1_3genE5ELNS1_11target_archE942ELNS1_3gpuE9ELNS1_3repE0EEENS1_30default_config_static_selectorELNS0_4arch9wavefront6targetE0EEEvT1_.kd
    .uniform_work_group_size: 1
    .uses_dynamic_stack: false
    .vgpr_count:     0
    .vgpr_spill_count: 0
    .wavefront_size: 32
    .workgroup_processor_mode: 1
  - .args:
      - .offset:         0
        .size:           128
        .value_kind:     by_value
    .group_segment_fixed_size: 0
    .kernarg_segment_align: 16
    .kernarg_segment_size: 128
    .language:       OpenCL C
    .language_version:
      - 2
      - 0
    .max_flat_workgroup_size: 64
    .name:           _ZN7rocprim17ROCPRIM_400000_NS6detail17trampoline_kernelINS0_14default_configENS1_20scan_config_selectorIN3c107complexIdEEEEZZNS1_9scan_implILNS1_25lookback_scan_determinismE0ELb0ELb0ES3_PKS7_PS7_S7_ZZZN2at6native31launch_logcumsumexp_cuda_kernelERKNSE_10TensorBaseESI_lENKUlvE_clEvENKUlvE1_clEvEUlS7_S7_E_S7_EEDaPvRmT3_T4_T5_mT6_P12ihipStream_tbENKUlT_T0_E_clISt17integral_constantIbLb1EESY_IbLb0EEEEDaSU_SV_EUlSU_E_NS1_11comp_targetILNS1_3genE4ELNS1_11target_archE910ELNS1_3gpuE8ELNS1_3repE0EEENS1_30default_config_static_selectorELNS0_4arch9wavefront6targetE0EEEvT1_
    .private_segment_fixed_size: 0
    .sgpr_count:     0
    .sgpr_spill_count: 0
    .symbol:         _ZN7rocprim17ROCPRIM_400000_NS6detail17trampoline_kernelINS0_14default_configENS1_20scan_config_selectorIN3c107complexIdEEEEZZNS1_9scan_implILNS1_25lookback_scan_determinismE0ELb0ELb0ES3_PKS7_PS7_S7_ZZZN2at6native31launch_logcumsumexp_cuda_kernelERKNSE_10TensorBaseESI_lENKUlvE_clEvENKUlvE1_clEvEUlS7_S7_E_S7_EEDaPvRmT3_T4_T5_mT6_P12ihipStream_tbENKUlT_T0_E_clISt17integral_constantIbLb1EESY_IbLb0EEEEDaSU_SV_EUlSU_E_NS1_11comp_targetILNS1_3genE4ELNS1_11target_archE910ELNS1_3gpuE8ELNS1_3repE0EEENS1_30default_config_static_selectorELNS0_4arch9wavefront6targetE0EEEvT1_.kd
    .uniform_work_group_size: 1
    .uses_dynamic_stack: false
    .vgpr_count:     0
    .vgpr_spill_count: 0
    .wavefront_size: 32
    .workgroup_processor_mode: 1
  - .args:
      - .offset:         0
        .size:           128
        .value_kind:     by_value
    .group_segment_fixed_size: 0
    .kernarg_segment_align: 16
    .kernarg_segment_size: 128
    .language:       OpenCL C
    .language_version:
      - 2
      - 0
    .max_flat_workgroup_size: 128
    .name:           _ZN7rocprim17ROCPRIM_400000_NS6detail17trampoline_kernelINS0_14default_configENS1_20scan_config_selectorIN3c107complexIdEEEEZZNS1_9scan_implILNS1_25lookback_scan_determinismE0ELb0ELb0ES3_PKS7_PS7_S7_ZZZN2at6native31launch_logcumsumexp_cuda_kernelERKNSE_10TensorBaseESI_lENKUlvE_clEvENKUlvE1_clEvEUlS7_S7_E_S7_EEDaPvRmT3_T4_T5_mT6_P12ihipStream_tbENKUlT_T0_E_clISt17integral_constantIbLb1EESY_IbLb0EEEEDaSU_SV_EUlSU_E_NS1_11comp_targetILNS1_3genE3ELNS1_11target_archE908ELNS1_3gpuE7ELNS1_3repE0EEENS1_30default_config_static_selectorELNS0_4arch9wavefront6targetE0EEEvT1_
    .private_segment_fixed_size: 0
    .sgpr_count:     0
    .sgpr_spill_count: 0
    .symbol:         _ZN7rocprim17ROCPRIM_400000_NS6detail17trampoline_kernelINS0_14default_configENS1_20scan_config_selectorIN3c107complexIdEEEEZZNS1_9scan_implILNS1_25lookback_scan_determinismE0ELb0ELb0ES3_PKS7_PS7_S7_ZZZN2at6native31launch_logcumsumexp_cuda_kernelERKNSE_10TensorBaseESI_lENKUlvE_clEvENKUlvE1_clEvEUlS7_S7_E_S7_EEDaPvRmT3_T4_T5_mT6_P12ihipStream_tbENKUlT_T0_E_clISt17integral_constantIbLb1EESY_IbLb0EEEEDaSU_SV_EUlSU_E_NS1_11comp_targetILNS1_3genE3ELNS1_11target_archE908ELNS1_3gpuE7ELNS1_3repE0EEENS1_30default_config_static_selectorELNS0_4arch9wavefront6targetE0EEEvT1_.kd
    .uniform_work_group_size: 1
    .uses_dynamic_stack: false
    .vgpr_count:     0
    .vgpr_spill_count: 0
    .wavefront_size: 32
    .workgroup_processor_mode: 1
  - .args:
      - .offset:         0
        .size:           128
        .value_kind:     by_value
    .group_segment_fixed_size: 0
    .kernarg_segment_align: 16
    .kernarg_segment_size: 128
    .language:       OpenCL C
    .language_version:
      - 2
      - 0
    .max_flat_workgroup_size: 64
    .name:           _ZN7rocprim17ROCPRIM_400000_NS6detail17trampoline_kernelINS0_14default_configENS1_20scan_config_selectorIN3c107complexIdEEEEZZNS1_9scan_implILNS1_25lookback_scan_determinismE0ELb0ELb0ES3_PKS7_PS7_S7_ZZZN2at6native31launch_logcumsumexp_cuda_kernelERKNSE_10TensorBaseESI_lENKUlvE_clEvENKUlvE1_clEvEUlS7_S7_E_S7_EEDaPvRmT3_T4_T5_mT6_P12ihipStream_tbENKUlT_T0_E_clISt17integral_constantIbLb1EESY_IbLb0EEEEDaSU_SV_EUlSU_E_NS1_11comp_targetILNS1_3genE2ELNS1_11target_archE906ELNS1_3gpuE6ELNS1_3repE0EEENS1_30default_config_static_selectorELNS0_4arch9wavefront6targetE0EEEvT1_
    .private_segment_fixed_size: 0
    .sgpr_count:     0
    .sgpr_spill_count: 0
    .symbol:         _ZN7rocprim17ROCPRIM_400000_NS6detail17trampoline_kernelINS0_14default_configENS1_20scan_config_selectorIN3c107complexIdEEEEZZNS1_9scan_implILNS1_25lookback_scan_determinismE0ELb0ELb0ES3_PKS7_PS7_S7_ZZZN2at6native31launch_logcumsumexp_cuda_kernelERKNSE_10TensorBaseESI_lENKUlvE_clEvENKUlvE1_clEvEUlS7_S7_E_S7_EEDaPvRmT3_T4_T5_mT6_P12ihipStream_tbENKUlT_T0_E_clISt17integral_constantIbLb1EESY_IbLb0EEEEDaSU_SV_EUlSU_E_NS1_11comp_targetILNS1_3genE2ELNS1_11target_archE906ELNS1_3gpuE6ELNS1_3repE0EEENS1_30default_config_static_selectorELNS0_4arch9wavefront6targetE0EEEvT1_.kd
    .uniform_work_group_size: 1
    .uses_dynamic_stack: false
    .vgpr_count:     0
    .vgpr_spill_count: 0
    .wavefront_size: 32
    .workgroup_processor_mode: 1
  - .args:
      - .offset:         0
        .size:           128
        .value_kind:     by_value
    .group_segment_fixed_size: 0
    .kernarg_segment_align: 16
    .kernarg_segment_size: 128
    .language:       OpenCL C
    .language_version:
      - 2
      - 0
    .max_flat_workgroup_size: 256
    .name:           _ZN7rocprim17ROCPRIM_400000_NS6detail17trampoline_kernelINS0_14default_configENS1_20scan_config_selectorIN3c107complexIdEEEEZZNS1_9scan_implILNS1_25lookback_scan_determinismE0ELb0ELb0ES3_PKS7_PS7_S7_ZZZN2at6native31launch_logcumsumexp_cuda_kernelERKNSE_10TensorBaseESI_lENKUlvE_clEvENKUlvE1_clEvEUlS7_S7_E_S7_EEDaPvRmT3_T4_T5_mT6_P12ihipStream_tbENKUlT_T0_E_clISt17integral_constantIbLb1EESY_IbLb0EEEEDaSU_SV_EUlSU_E_NS1_11comp_targetILNS1_3genE10ELNS1_11target_archE1201ELNS1_3gpuE5ELNS1_3repE0EEENS1_30default_config_static_selectorELNS0_4arch9wavefront6targetE0EEEvT1_
    .private_segment_fixed_size: 0
    .sgpr_count:     0
    .sgpr_spill_count: 0
    .symbol:         _ZN7rocprim17ROCPRIM_400000_NS6detail17trampoline_kernelINS0_14default_configENS1_20scan_config_selectorIN3c107complexIdEEEEZZNS1_9scan_implILNS1_25lookback_scan_determinismE0ELb0ELb0ES3_PKS7_PS7_S7_ZZZN2at6native31launch_logcumsumexp_cuda_kernelERKNSE_10TensorBaseESI_lENKUlvE_clEvENKUlvE1_clEvEUlS7_S7_E_S7_EEDaPvRmT3_T4_T5_mT6_P12ihipStream_tbENKUlT_T0_E_clISt17integral_constantIbLb1EESY_IbLb0EEEEDaSU_SV_EUlSU_E_NS1_11comp_targetILNS1_3genE10ELNS1_11target_archE1201ELNS1_3gpuE5ELNS1_3repE0EEENS1_30default_config_static_selectorELNS0_4arch9wavefront6targetE0EEEvT1_.kd
    .uniform_work_group_size: 1
    .uses_dynamic_stack: false
    .vgpr_count:     0
    .vgpr_spill_count: 0
    .wavefront_size: 32
    .workgroup_processor_mode: 1
  - .args:
      - .offset:         0
        .size:           128
        .value_kind:     by_value
    .group_segment_fixed_size: 0
    .kernarg_segment_align: 16
    .kernarg_segment_size: 128
    .language:       OpenCL C
    .language_version:
      - 2
      - 0
    .max_flat_workgroup_size: 256
    .name:           _ZN7rocprim17ROCPRIM_400000_NS6detail17trampoline_kernelINS0_14default_configENS1_20scan_config_selectorIN3c107complexIdEEEEZZNS1_9scan_implILNS1_25lookback_scan_determinismE0ELb0ELb0ES3_PKS7_PS7_S7_ZZZN2at6native31launch_logcumsumexp_cuda_kernelERKNSE_10TensorBaseESI_lENKUlvE_clEvENKUlvE1_clEvEUlS7_S7_E_S7_EEDaPvRmT3_T4_T5_mT6_P12ihipStream_tbENKUlT_T0_E_clISt17integral_constantIbLb1EESY_IbLb0EEEEDaSU_SV_EUlSU_E_NS1_11comp_targetILNS1_3genE10ELNS1_11target_archE1200ELNS1_3gpuE4ELNS1_3repE0EEENS1_30default_config_static_selectorELNS0_4arch9wavefront6targetE0EEEvT1_
    .private_segment_fixed_size: 0
    .sgpr_count:     0
    .sgpr_spill_count: 0
    .symbol:         _ZN7rocprim17ROCPRIM_400000_NS6detail17trampoline_kernelINS0_14default_configENS1_20scan_config_selectorIN3c107complexIdEEEEZZNS1_9scan_implILNS1_25lookback_scan_determinismE0ELb0ELb0ES3_PKS7_PS7_S7_ZZZN2at6native31launch_logcumsumexp_cuda_kernelERKNSE_10TensorBaseESI_lENKUlvE_clEvENKUlvE1_clEvEUlS7_S7_E_S7_EEDaPvRmT3_T4_T5_mT6_P12ihipStream_tbENKUlT_T0_E_clISt17integral_constantIbLb1EESY_IbLb0EEEEDaSU_SV_EUlSU_E_NS1_11comp_targetILNS1_3genE10ELNS1_11target_archE1200ELNS1_3gpuE4ELNS1_3repE0EEENS1_30default_config_static_selectorELNS0_4arch9wavefront6targetE0EEEvT1_.kd
    .uniform_work_group_size: 1
    .uses_dynamic_stack: false
    .vgpr_count:     0
    .vgpr_spill_count: 0
    .wavefront_size: 32
    .workgroup_processor_mode: 1
  - .args:
      - .offset:         0
        .size:           128
        .value_kind:     by_value
    .group_segment_fixed_size: 0
    .kernarg_segment_align: 16
    .kernarg_segment_size: 128
    .language:       OpenCL C
    .language_version:
      - 2
      - 0
    .max_flat_workgroup_size: 256
    .name:           _ZN7rocprim17ROCPRIM_400000_NS6detail17trampoline_kernelINS0_14default_configENS1_20scan_config_selectorIN3c107complexIdEEEEZZNS1_9scan_implILNS1_25lookback_scan_determinismE0ELb0ELb0ES3_PKS7_PS7_S7_ZZZN2at6native31launch_logcumsumexp_cuda_kernelERKNSE_10TensorBaseESI_lENKUlvE_clEvENKUlvE1_clEvEUlS7_S7_E_S7_EEDaPvRmT3_T4_T5_mT6_P12ihipStream_tbENKUlT_T0_E_clISt17integral_constantIbLb1EESY_IbLb0EEEEDaSU_SV_EUlSU_E_NS1_11comp_targetILNS1_3genE9ELNS1_11target_archE1100ELNS1_3gpuE3ELNS1_3repE0EEENS1_30default_config_static_selectorELNS0_4arch9wavefront6targetE0EEEvT1_
    .private_segment_fixed_size: 0
    .sgpr_count:     0
    .sgpr_spill_count: 0
    .symbol:         _ZN7rocprim17ROCPRIM_400000_NS6detail17trampoline_kernelINS0_14default_configENS1_20scan_config_selectorIN3c107complexIdEEEEZZNS1_9scan_implILNS1_25lookback_scan_determinismE0ELb0ELb0ES3_PKS7_PS7_S7_ZZZN2at6native31launch_logcumsumexp_cuda_kernelERKNSE_10TensorBaseESI_lENKUlvE_clEvENKUlvE1_clEvEUlS7_S7_E_S7_EEDaPvRmT3_T4_T5_mT6_P12ihipStream_tbENKUlT_T0_E_clISt17integral_constantIbLb1EESY_IbLb0EEEEDaSU_SV_EUlSU_E_NS1_11comp_targetILNS1_3genE9ELNS1_11target_archE1100ELNS1_3gpuE3ELNS1_3repE0EEENS1_30default_config_static_selectorELNS0_4arch9wavefront6targetE0EEEvT1_.kd
    .uniform_work_group_size: 1
    .uses_dynamic_stack: false
    .vgpr_count:     0
    .vgpr_spill_count: 0
    .wavefront_size: 32
    .workgroup_processor_mode: 1
  - .args:
      - .offset:         0
        .size:           128
        .value_kind:     by_value
    .group_segment_fixed_size: 0
    .kernarg_segment_align: 16
    .kernarg_segment_size: 128
    .language:       OpenCL C
    .language_version:
      - 2
      - 0
    .max_flat_workgroup_size: 256
    .name:           _ZN7rocprim17ROCPRIM_400000_NS6detail17trampoline_kernelINS0_14default_configENS1_20scan_config_selectorIN3c107complexIdEEEEZZNS1_9scan_implILNS1_25lookback_scan_determinismE0ELb0ELb0ES3_PKS7_PS7_S7_ZZZN2at6native31launch_logcumsumexp_cuda_kernelERKNSE_10TensorBaseESI_lENKUlvE_clEvENKUlvE1_clEvEUlS7_S7_E_S7_EEDaPvRmT3_T4_T5_mT6_P12ihipStream_tbENKUlT_T0_E_clISt17integral_constantIbLb1EESY_IbLb0EEEEDaSU_SV_EUlSU_E_NS1_11comp_targetILNS1_3genE8ELNS1_11target_archE1030ELNS1_3gpuE2ELNS1_3repE0EEENS1_30default_config_static_selectorELNS0_4arch9wavefront6targetE0EEEvT1_
    .private_segment_fixed_size: 0
    .sgpr_count:     0
    .sgpr_spill_count: 0
    .symbol:         _ZN7rocprim17ROCPRIM_400000_NS6detail17trampoline_kernelINS0_14default_configENS1_20scan_config_selectorIN3c107complexIdEEEEZZNS1_9scan_implILNS1_25lookback_scan_determinismE0ELb0ELb0ES3_PKS7_PS7_S7_ZZZN2at6native31launch_logcumsumexp_cuda_kernelERKNSE_10TensorBaseESI_lENKUlvE_clEvENKUlvE1_clEvEUlS7_S7_E_S7_EEDaPvRmT3_T4_T5_mT6_P12ihipStream_tbENKUlT_T0_E_clISt17integral_constantIbLb1EESY_IbLb0EEEEDaSU_SV_EUlSU_E_NS1_11comp_targetILNS1_3genE8ELNS1_11target_archE1030ELNS1_3gpuE2ELNS1_3repE0EEENS1_30default_config_static_selectorELNS0_4arch9wavefront6targetE0EEEvT1_.kd
    .uniform_work_group_size: 1
    .uses_dynamic_stack: false
    .vgpr_count:     0
    .vgpr_spill_count: 0
    .wavefront_size: 32
    .workgroup_processor_mode: 1
  - .args:
      - .offset:         0
        .size:           48
        .value_kind:     by_value
    .group_segment_fixed_size: 0
    .kernarg_segment_align: 16
    .kernarg_segment_size: 48
    .language:       OpenCL C
    .language_version:
      - 2
      - 0
    .max_flat_workgroup_size: 128
    .name:           _ZN7rocprim17ROCPRIM_400000_NS6detail17trampoline_kernelINS0_14default_configENS1_20scan_config_selectorIN3c107complexIdEEEEZZNS1_9scan_implILNS1_25lookback_scan_determinismE0ELb0ELb0ES3_PKS7_PS7_S7_ZZZN2at6native31launch_logcumsumexp_cuda_kernelERKNSE_10TensorBaseESI_lENKUlvE_clEvENKUlvE1_clEvEUlS7_S7_E_S7_EEDaPvRmT3_T4_T5_mT6_P12ihipStream_tbENKUlT_T0_E_clISt17integral_constantIbLb1EESY_IbLb0EEEEDaSU_SV_EUlSU_E0_NS1_11comp_targetILNS1_3genE0ELNS1_11target_archE4294967295ELNS1_3gpuE0ELNS1_3repE0EEENS1_30default_config_static_selectorELNS0_4arch9wavefront6targetE0EEEvT1_
    .private_segment_fixed_size: 0
    .sgpr_count:     0
    .sgpr_spill_count: 0
    .symbol:         _ZN7rocprim17ROCPRIM_400000_NS6detail17trampoline_kernelINS0_14default_configENS1_20scan_config_selectorIN3c107complexIdEEEEZZNS1_9scan_implILNS1_25lookback_scan_determinismE0ELb0ELb0ES3_PKS7_PS7_S7_ZZZN2at6native31launch_logcumsumexp_cuda_kernelERKNSE_10TensorBaseESI_lENKUlvE_clEvENKUlvE1_clEvEUlS7_S7_E_S7_EEDaPvRmT3_T4_T5_mT6_P12ihipStream_tbENKUlT_T0_E_clISt17integral_constantIbLb1EESY_IbLb0EEEEDaSU_SV_EUlSU_E0_NS1_11comp_targetILNS1_3genE0ELNS1_11target_archE4294967295ELNS1_3gpuE0ELNS1_3repE0EEENS1_30default_config_static_selectorELNS0_4arch9wavefront6targetE0EEEvT1_.kd
    .uniform_work_group_size: 1
    .uses_dynamic_stack: false
    .vgpr_count:     0
    .vgpr_spill_count: 0
    .wavefront_size: 32
    .workgroup_processor_mode: 1
  - .args:
      - .offset:         0
        .size:           48
        .value_kind:     by_value
    .group_segment_fixed_size: 0
    .kernarg_segment_align: 16
    .kernarg_segment_size: 48
    .language:       OpenCL C
    .language_version:
      - 2
      - 0
    .max_flat_workgroup_size: 256
    .name:           _ZN7rocprim17ROCPRIM_400000_NS6detail17trampoline_kernelINS0_14default_configENS1_20scan_config_selectorIN3c107complexIdEEEEZZNS1_9scan_implILNS1_25lookback_scan_determinismE0ELb0ELb0ES3_PKS7_PS7_S7_ZZZN2at6native31launch_logcumsumexp_cuda_kernelERKNSE_10TensorBaseESI_lENKUlvE_clEvENKUlvE1_clEvEUlS7_S7_E_S7_EEDaPvRmT3_T4_T5_mT6_P12ihipStream_tbENKUlT_T0_E_clISt17integral_constantIbLb1EESY_IbLb0EEEEDaSU_SV_EUlSU_E0_NS1_11comp_targetILNS1_3genE5ELNS1_11target_archE942ELNS1_3gpuE9ELNS1_3repE0EEENS1_30default_config_static_selectorELNS0_4arch9wavefront6targetE0EEEvT1_
    .private_segment_fixed_size: 0
    .sgpr_count:     0
    .sgpr_spill_count: 0
    .symbol:         _ZN7rocprim17ROCPRIM_400000_NS6detail17trampoline_kernelINS0_14default_configENS1_20scan_config_selectorIN3c107complexIdEEEEZZNS1_9scan_implILNS1_25lookback_scan_determinismE0ELb0ELb0ES3_PKS7_PS7_S7_ZZZN2at6native31launch_logcumsumexp_cuda_kernelERKNSE_10TensorBaseESI_lENKUlvE_clEvENKUlvE1_clEvEUlS7_S7_E_S7_EEDaPvRmT3_T4_T5_mT6_P12ihipStream_tbENKUlT_T0_E_clISt17integral_constantIbLb1EESY_IbLb0EEEEDaSU_SV_EUlSU_E0_NS1_11comp_targetILNS1_3genE5ELNS1_11target_archE942ELNS1_3gpuE9ELNS1_3repE0EEENS1_30default_config_static_selectorELNS0_4arch9wavefront6targetE0EEEvT1_.kd
    .uniform_work_group_size: 1
    .uses_dynamic_stack: false
    .vgpr_count:     0
    .vgpr_spill_count: 0
    .wavefront_size: 32
    .workgroup_processor_mode: 1
  - .args:
      - .offset:         0
        .size:           48
        .value_kind:     by_value
    .group_segment_fixed_size: 0
    .kernarg_segment_align: 16
    .kernarg_segment_size: 48
    .language:       OpenCL C
    .language_version:
      - 2
      - 0
    .max_flat_workgroup_size: 64
    .name:           _ZN7rocprim17ROCPRIM_400000_NS6detail17trampoline_kernelINS0_14default_configENS1_20scan_config_selectorIN3c107complexIdEEEEZZNS1_9scan_implILNS1_25lookback_scan_determinismE0ELb0ELb0ES3_PKS7_PS7_S7_ZZZN2at6native31launch_logcumsumexp_cuda_kernelERKNSE_10TensorBaseESI_lENKUlvE_clEvENKUlvE1_clEvEUlS7_S7_E_S7_EEDaPvRmT3_T4_T5_mT6_P12ihipStream_tbENKUlT_T0_E_clISt17integral_constantIbLb1EESY_IbLb0EEEEDaSU_SV_EUlSU_E0_NS1_11comp_targetILNS1_3genE4ELNS1_11target_archE910ELNS1_3gpuE8ELNS1_3repE0EEENS1_30default_config_static_selectorELNS0_4arch9wavefront6targetE0EEEvT1_
    .private_segment_fixed_size: 0
    .sgpr_count:     0
    .sgpr_spill_count: 0
    .symbol:         _ZN7rocprim17ROCPRIM_400000_NS6detail17trampoline_kernelINS0_14default_configENS1_20scan_config_selectorIN3c107complexIdEEEEZZNS1_9scan_implILNS1_25lookback_scan_determinismE0ELb0ELb0ES3_PKS7_PS7_S7_ZZZN2at6native31launch_logcumsumexp_cuda_kernelERKNSE_10TensorBaseESI_lENKUlvE_clEvENKUlvE1_clEvEUlS7_S7_E_S7_EEDaPvRmT3_T4_T5_mT6_P12ihipStream_tbENKUlT_T0_E_clISt17integral_constantIbLb1EESY_IbLb0EEEEDaSU_SV_EUlSU_E0_NS1_11comp_targetILNS1_3genE4ELNS1_11target_archE910ELNS1_3gpuE8ELNS1_3repE0EEENS1_30default_config_static_selectorELNS0_4arch9wavefront6targetE0EEEvT1_.kd
    .uniform_work_group_size: 1
    .uses_dynamic_stack: false
    .vgpr_count:     0
    .vgpr_spill_count: 0
    .wavefront_size: 32
    .workgroup_processor_mode: 1
  - .args:
      - .offset:         0
        .size:           48
        .value_kind:     by_value
    .group_segment_fixed_size: 0
    .kernarg_segment_align: 16
    .kernarg_segment_size: 48
    .language:       OpenCL C
    .language_version:
      - 2
      - 0
    .max_flat_workgroup_size: 128
    .name:           _ZN7rocprim17ROCPRIM_400000_NS6detail17trampoline_kernelINS0_14default_configENS1_20scan_config_selectorIN3c107complexIdEEEEZZNS1_9scan_implILNS1_25lookback_scan_determinismE0ELb0ELb0ES3_PKS7_PS7_S7_ZZZN2at6native31launch_logcumsumexp_cuda_kernelERKNSE_10TensorBaseESI_lENKUlvE_clEvENKUlvE1_clEvEUlS7_S7_E_S7_EEDaPvRmT3_T4_T5_mT6_P12ihipStream_tbENKUlT_T0_E_clISt17integral_constantIbLb1EESY_IbLb0EEEEDaSU_SV_EUlSU_E0_NS1_11comp_targetILNS1_3genE3ELNS1_11target_archE908ELNS1_3gpuE7ELNS1_3repE0EEENS1_30default_config_static_selectorELNS0_4arch9wavefront6targetE0EEEvT1_
    .private_segment_fixed_size: 0
    .sgpr_count:     0
    .sgpr_spill_count: 0
    .symbol:         _ZN7rocprim17ROCPRIM_400000_NS6detail17trampoline_kernelINS0_14default_configENS1_20scan_config_selectorIN3c107complexIdEEEEZZNS1_9scan_implILNS1_25lookback_scan_determinismE0ELb0ELb0ES3_PKS7_PS7_S7_ZZZN2at6native31launch_logcumsumexp_cuda_kernelERKNSE_10TensorBaseESI_lENKUlvE_clEvENKUlvE1_clEvEUlS7_S7_E_S7_EEDaPvRmT3_T4_T5_mT6_P12ihipStream_tbENKUlT_T0_E_clISt17integral_constantIbLb1EESY_IbLb0EEEEDaSU_SV_EUlSU_E0_NS1_11comp_targetILNS1_3genE3ELNS1_11target_archE908ELNS1_3gpuE7ELNS1_3repE0EEENS1_30default_config_static_selectorELNS0_4arch9wavefront6targetE0EEEvT1_.kd
    .uniform_work_group_size: 1
    .uses_dynamic_stack: false
    .vgpr_count:     0
    .vgpr_spill_count: 0
    .wavefront_size: 32
    .workgroup_processor_mode: 1
  - .args:
      - .offset:         0
        .size:           48
        .value_kind:     by_value
    .group_segment_fixed_size: 0
    .kernarg_segment_align: 16
    .kernarg_segment_size: 48
    .language:       OpenCL C
    .language_version:
      - 2
      - 0
    .max_flat_workgroup_size: 64
    .name:           _ZN7rocprim17ROCPRIM_400000_NS6detail17trampoline_kernelINS0_14default_configENS1_20scan_config_selectorIN3c107complexIdEEEEZZNS1_9scan_implILNS1_25lookback_scan_determinismE0ELb0ELb0ES3_PKS7_PS7_S7_ZZZN2at6native31launch_logcumsumexp_cuda_kernelERKNSE_10TensorBaseESI_lENKUlvE_clEvENKUlvE1_clEvEUlS7_S7_E_S7_EEDaPvRmT3_T4_T5_mT6_P12ihipStream_tbENKUlT_T0_E_clISt17integral_constantIbLb1EESY_IbLb0EEEEDaSU_SV_EUlSU_E0_NS1_11comp_targetILNS1_3genE2ELNS1_11target_archE906ELNS1_3gpuE6ELNS1_3repE0EEENS1_30default_config_static_selectorELNS0_4arch9wavefront6targetE0EEEvT1_
    .private_segment_fixed_size: 0
    .sgpr_count:     0
    .sgpr_spill_count: 0
    .symbol:         _ZN7rocprim17ROCPRIM_400000_NS6detail17trampoline_kernelINS0_14default_configENS1_20scan_config_selectorIN3c107complexIdEEEEZZNS1_9scan_implILNS1_25lookback_scan_determinismE0ELb0ELb0ES3_PKS7_PS7_S7_ZZZN2at6native31launch_logcumsumexp_cuda_kernelERKNSE_10TensorBaseESI_lENKUlvE_clEvENKUlvE1_clEvEUlS7_S7_E_S7_EEDaPvRmT3_T4_T5_mT6_P12ihipStream_tbENKUlT_T0_E_clISt17integral_constantIbLb1EESY_IbLb0EEEEDaSU_SV_EUlSU_E0_NS1_11comp_targetILNS1_3genE2ELNS1_11target_archE906ELNS1_3gpuE6ELNS1_3repE0EEENS1_30default_config_static_selectorELNS0_4arch9wavefront6targetE0EEEvT1_.kd
    .uniform_work_group_size: 1
    .uses_dynamic_stack: false
    .vgpr_count:     0
    .vgpr_spill_count: 0
    .wavefront_size: 32
    .workgroup_processor_mode: 1
  - .args:
      - .offset:         0
        .size:           48
        .value_kind:     by_value
    .group_segment_fixed_size: 45056
    .kernarg_segment_align: 16
    .kernarg_segment_size: 48
    .language:       OpenCL C
    .language_version:
      - 2
      - 0
    .max_flat_workgroup_size: 256
    .name:           _ZN7rocprim17ROCPRIM_400000_NS6detail17trampoline_kernelINS0_14default_configENS1_20scan_config_selectorIN3c107complexIdEEEEZZNS1_9scan_implILNS1_25lookback_scan_determinismE0ELb0ELb0ES3_PKS7_PS7_S7_ZZZN2at6native31launch_logcumsumexp_cuda_kernelERKNSE_10TensorBaseESI_lENKUlvE_clEvENKUlvE1_clEvEUlS7_S7_E_S7_EEDaPvRmT3_T4_T5_mT6_P12ihipStream_tbENKUlT_T0_E_clISt17integral_constantIbLb1EESY_IbLb0EEEEDaSU_SV_EUlSU_E0_NS1_11comp_targetILNS1_3genE10ELNS1_11target_archE1201ELNS1_3gpuE5ELNS1_3repE0EEENS1_30default_config_static_selectorELNS0_4arch9wavefront6targetE0EEEvT1_
    .private_segment_fixed_size: 0
    .sgpr_count:     39
    .sgpr_spill_count: 0
    .symbol:         _ZN7rocprim17ROCPRIM_400000_NS6detail17trampoline_kernelINS0_14default_configENS1_20scan_config_selectorIN3c107complexIdEEEEZZNS1_9scan_implILNS1_25lookback_scan_determinismE0ELb0ELb0ES3_PKS7_PS7_S7_ZZZN2at6native31launch_logcumsumexp_cuda_kernelERKNSE_10TensorBaseESI_lENKUlvE_clEvENKUlvE1_clEvEUlS7_S7_E_S7_EEDaPvRmT3_T4_T5_mT6_P12ihipStream_tbENKUlT_T0_E_clISt17integral_constantIbLb1EESY_IbLb0EEEEDaSU_SV_EUlSU_E0_NS1_11comp_targetILNS1_3genE10ELNS1_11target_archE1201ELNS1_3gpuE5ELNS1_3repE0EEENS1_30default_config_static_selectorELNS0_4arch9wavefront6targetE0EEEvT1_.kd
    .uniform_work_group_size: 1
    .uses_dynamic_stack: false
    .vgpr_count:     185
    .vgpr_spill_count: 0
    .wavefront_size: 32
    .workgroup_processor_mode: 1
  - .args:
      - .offset:         0
        .size:           48
        .value_kind:     by_value
    .group_segment_fixed_size: 0
    .kernarg_segment_align: 16
    .kernarg_segment_size: 48
    .language:       OpenCL C
    .language_version:
      - 2
      - 0
    .max_flat_workgroup_size: 256
    .name:           _ZN7rocprim17ROCPRIM_400000_NS6detail17trampoline_kernelINS0_14default_configENS1_20scan_config_selectorIN3c107complexIdEEEEZZNS1_9scan_implILNS1_25lookback_scan_determinismE0ELb0ELb0ES3_PKS7_PS7_S7_ZZZN2at6native31launch_logcumsumexp_cuda_kernelERKNSE_10TensorBaseESI_lENKUlvE_clEvENKUlvE1_clEvEUlS7_S7_E_S7_EEDaPvRmT3_T4_T5_mT6_P12ihipStream_tbENKUlT_T0_E_clISt17integral_constantIbLb1EESY_IbLb0EEEEDaSU_SV_EUlSU_E0_NS1_11comp_targetILNS1_3genE10ELNS1_11target_archE1200ELNS1_3gpuE4ELNS1_3repE0EEENS1_30default_config_static_selectorELNS0_4arch9wavefront6targetE0EEEvT1_
    .private_segment_fixed_size: 0
    .sgpr_count:     0
    .sgpr_spill_count: 0
    .symbol:         _ZN7rocprim17ROCPRIM_400000_NS6detail17trampoline_kernelINS0_14default_configENS1_20scan_config_selectorIN3c107complexIdEEEEZZNS1_9scan_implILNS1_25lookback_scan_determinismE0ELb0ELb0ES3_PKS7_PS7_S7_ZZZN2at6native31launch_logcumsumexp_cuda_kernelERKNSE_10TensorBaseESI_lENKUlvE_clEvENKUlvE1_clEvEUlS7_S7_E_S7_EEDaPvRmT3_T4_T5_mT6_P12ihipStream_tbENKUlT_T0_E_clISt17integral_constantIbLb1EESY_IbLb0EEEEDaSU_SV_EUlSU_E0_NS1_11comp_targetILNS1_3genE10ELNS1_11target_archE1200ELNS1_3gpuE4ELNS1_3repE0EEENS1_30default_config_static_selectorELNS0_4arch9wavefront6targetE0EEEvT1_.kd
    .uniform_work_group_size: 1
    .uses_dynamic_stack: false
    .vgpr_count:     0
    .vgpr_spill_count: 0
    .wavefront_size: 32
    .workgroup_processor_mode: 1
  - .args:
      - .offset:         0
        .size:           48
        .value_kind:     by_value
    .group_segment_fixed_size: 0
    .kernarg_segment_align: 16
    .kernarg_segment_size: 48
    .language:       OpenCL C
    .language_version:
      - 2
      - 0
    .max_flat_workgroup_size: 256
    .name:           _ZN7rocprim17ROCPRIM_400000_NS6detail17trampoline_kernelINS0_14default_configENS1_20scan_config_selectorIN3c107complexIdEEEEZZNS1_9scan_implILNS1_25lookback_scan_determinismE0ELb0ELb0ES3_PKS7_PS7_S7_ZZZN2at6native31launch_logcumsumexp_cuda_kernelERKNSE_10TensorBaseESI_lENKUlvE_clEvENKUlvE1_clEvEUlS7_S7_E_S7_EEDaPvRmT3_T4_T5_mT6_P12ihipStream_tbENKUlT_T0_E_clISt17integral_constantIbLb1EESY_IbLb0EEEEDaSU_SV_EUlSU_E0_NS1_11comp_targetILNS1_3genE9ELNS1_11target_archE1100ELNS1_3gpuE3ELNS1_3repE0EEENS1_30default_config_static_selectorELNS0_4arch9wavefront6targetE0EEEvT1_
    .private_segment_fixed_size: 0
    .sgpr_count:     0
    .sgpr_spill_count: 0
    .symbol:         _ZN7rocprim17ROCPRIM_400000_NS6detail17trampoline_kernelINS0_14default_configENS1_20scan_config_selectorIN3c107complexIdEEEEZZNS1_9scan_implILNS1_25lookback_scan_determinismE0ELb0ELb0ES3_PKS7_PS7_S7_ZZZN2at6native31launch_logcumsumexp_cuda_kernelERKNSE_10TensorBaseESI_lENKUlvE_clEvENKUlvE1_clEvEUlS7_S7_E_S7_EEDaPvRmT3_T4_T5_mT6_P12ihipStream_tbENKUlT_T0_E_clISt17integral_constantIbLb1EESY_IbLb0EEEEDaSU_SV_EUlSU_E0_NS1_11comp_targetILNS1_3genE9ELNS1_11target_archE1100ELNS1_3gpuE3ELNS1_3repE0EEENS1_30default_config_static_selectorELNS0_4arch9wavefront6targetE0EEEvT1_.kd
    .uniform_work_group_size: 1
    .uses_dynamic_stack: false
    .vgpr_count:     0
    .vgpr_spill_count: 0
    .wavefront_size: 32
    .workgroup_processor_mode: 1
  - .args:
      - .offset:         0
        .size:           48
        .value_kind:     by_value
    .group_segment_fixed_size: 0
    .kernarg_segment_align: 16
    .kernarg_segment_size: 48
    .language:       OpenCL C
    .language_version:
      - 2
      - 0
    .max_flat_workgroup_size: 256
    .name:           _ZN7rocprim17ROCPRIM_400000_NS6detail17trampoline_kernelINS0_14default_configENS1_20scan_config_selectorIN3c107complexIdEEEEZZNS1_9scan_implILNS1_25lookback_scan_determinismE0ELb0ELb0ES3_PKS7_PS7_S7_ZZZN2at6native31launch_logcumsumexp_cuda_kernelERKNSE_10TensorBaseESI_lENKUlvE_clEvENKUlvE1_clEvEUlS7_S7_E_S7_EEDaPvRmT3_T4_T5_mT6_P12ihipStream_tbENKUlT_T0_E_clISt17integral_constantIbLb1EESY_IbLb0EEEEDaSU_SV_EUlSU_E0_NS1_11comp_targetILNS1_3genE8ELNS1_11target_archE1030ELNS1_3gpuE2ELNS1_3repE0EEENS1_30default_config_static_selectorELNS0_4arch9wavefront6targetE0EEEvT1_
    .private_segment_fixed_size: 0
    .sgpr_count:     0
    .sgpr_spill_count: 0
    .symbol:         _ZN7rocprim17ROCPRIM_400000_NS6detail17trampoline_kernelINS0_14default_configENS1_20scan_config_selectorIN3c107complexIdEEEEZZNS1_9scan_implILNS1_25lookback_scan_determinismE0ELb0ELb0ES3_PKS7_PS7_S7_ZZZN2at6native31launch_logcumsumexp_cuda_kernelERKNSE_10TensorBaseESI_lENKUlvE_clEvENKUlvE1_clEvEUlS7_S7_E_S7_EEDaPvRmT3_T4_T5_mT6_P12ihipStream_tbENKUlT_T0_E_clISt17integral_constantIbLb1EESY_IbLb0EEEEDaSU_SV_EUlSU_E0_NS1_11comp_targetILNS1_3genE8ELNS1_11target_archE1030ELNS1_3gpuE2ELNS1_3repE0EEENS1_30default_config_static_selectorELNS0_4arch9wavefront6targetE0EEEvT1_.kd
    .uniform_work_group_size: 1
    .uses_dynamic_stack: false
    .vgpr_count:     0
    .vgpr_spill_count: 0
    .wavefront_size: 32
    .workgroup_processor_mode: 1
  - .args:
      - .offset:         0
        .size:           24
        .value_kind:     by_value
      - .offset:         24
        .size:           4
        .value_kind:     by_value
      - .address_space:  global
        .offset:         32
        .size:           8
        .value_kind:     global_buffer
      - .offset:         40
        .size:           4
        .value_kind:     by_value
      - .address_space:  global
        .offset:         48
        .size:           8
        .value_kind:     global_buffer
      - .offset:         56
        .size:           4
        .value_kind:     hidden_block_count_x
      - .offset:         60
        .size:           4
        .value_kind:     hidden_block_count_y
      - .offset:         64
        .size:           4
        .value_kind:     hidden_block_count_z
      - .offset:         68
        .size:           2
        .value_kind:     hidden_group_size_x
      - .offset:         70
        .size:           2
        .value_kind:     hidden_group_size_y
      - .offset:         72
        .size:           2
        .value_kind:     hidden_group_size_z
      - .offset:         74
        .size:           2
        .value_kind:     hidden_remainder_x
      - .offset:         76
        .size:           2
        .value_kind:     hidden_remainder_y
      - .offset:         78
        .size:           2
        .value_kind:     hidden_remainder_z
      - .offset:         96
        .size:           8
        .value_kind:     hidden_global_offset_x
      - .offset:         104
        .size:           8
        .value_kind:     hidden_global_offset_y
      - .offset:         112
        .size:           8
        .value_kind:     hidden_global_offset_z
      - .offset:         120
        .size:           2
        .value_kind:     hidden_grid_dims
    .group_segment_fixed_size: 0
    .kernarg_segment_align: 8
    .kernarg_segment_size: 312
    .language:       OpenCL C
    .language_version:
      - 2
      - 0
    .max_flat_workgroup_size: 256
    .name:           _ZN7rocprim17ROCPRIM_400000_NS6detail31init_lookback_scan_state_kernelINS1_19lookback_scan_stateIN3c107complexIdEELb0ELb0EEENS1_16block_id_wrapperIjLb1EEEEEvT_jT0_jPNSA_10value_typeE
    .private_segment_fixed_size: 0
    .sgpr_count:     19
    .sgpr_spill_count: 0
    .symbol:         _ZN7rocprim17ROCPRIM_400000_NS6detail31init_lookback_scan_state_kernelINS1_19lookback_scan_stateIN3c107complexIdEELb0ELb0EEENS1_16block_id_wrapperIjLb1EEEEEvT_jT0_jPNSA_10value_typeE.kd
    .uniform_work_group_size: 1
    .uses_dynamic_stack: false
    .vgpr_count:     6
    .vgpr_spill_count: 0
    .wavefront_size: 32
    .workgroup_processor_mode: 1
  - .args:
      - .offset:         0
        .size:           128
        .value_kind:     by_value
    .group_segment_fixed_size: 0
    .kernarg_segment_align: 16
    .kernarg_segment_size: 128
    .language:       OpenCL C
    .language_version:
      - 2
      - 0
    .max_flat_workgroup_size: 128
    .name:           _ZN7rocprim17ROCPRIM_400000_NS6detail17trampoline_kernelINS0_14default_configENS1_20scan_config_selectorIN3c107complexIdEEEEZZNS1_9scan_implILNS1_25lookback_scan_determinismE0ELb0ELb0ES3_PKS7_PS7_S7_ZZZN2at6native31launch_logcumsumexp_cuda_kernelERKNSE_10TensorBaseESI_lENKUlvE_clEvENKUlvE1_clEvEUlS7_S7_E_S7_EEDaPvRmT3_T4_T5_mT6_P12ihipStream_tbENKUlT_T0_E_clISt17integral_constantIbLb0EESY_IbLb1EEEEDaSU_SV_EUlSU_E_NS1_11comp_targetILNS1_3genE0ELNS1_11target_archE4294967295ELNS1_3gpuE0ELNS1_3repE0EEENS1_30default_config_static_selectorELNS0_4arch9wavefront6targetE0EEEvT1_
    .private_segment_fixed_size: 0
    .sgpr_count:     0
    .sgpr_spill_count: 0
    .symbol:         _ZN7rocprim17ROCPRIM_400000_NS6detail17trampoline_kernelINS0_14default_configENS1_20scan_config_selectorIN3c107complexIdEEEEZZNS1_9scan_implILNS1_25lookback_scan_determinismE0ELb0ELb0ES3_PKS7_PS7_S7_ZZZN2at6native31launch_logcumsumexp_cuda_kernelERKNSE_10TensorBaseESI_lENKUlvE_clEvENKUlvE1_clEvEUlS7_S7_E_S7_EEDaPvRmT3_T4_T5_mT6_P12ihipStream_tbENKUlT_T0_E_clISt17integral_constantIbLb0EESY_IbLb1EEEEDaSU_SV_EUlSU_E_NS1_11comp_targetILNS1_3genE0ELNS1_11target_archE4294967295ELNS1_3gpuE0ELNS1_3repE0EEENS1_30default_config_static_selectorELNS0_4arch9wavefront6targetE0EEEvT1_.kd
    .uniform_work_group_size: 1
    .uses_dynamic_stack: false
    .vgpr_count:     0
    .vgpr_spill_count: 0
    .wavefront_size: 32
    .workgroup_processor_mode: 1
  - .args:
      - .offset:         0
        .size:           128
        .value_kind:     by_value
    .group_segment_fixed_size: 0
    .kernarg_segment_align: 16
    .kernarg_segment_size: 128
    .language:       OpenCL C
    .language_version:
      - 2
      - 0
    .max_flat_workgroup_size: 256
    .name:           _ZN7rocprim17ROCPRIM_400000_NS6detail17trampoline_kernelINS0_14default_configENS1_20scan_config_selectorIN3c107complexIdEEEEZZNS1_9scan_implILNS1_25lookback_scan_determinismE0ELb0ELb0ES3_PKS7_PS7_S7_ZZZN2at6native31launch_logcumsumexp_cuda_kernelERKNSE_10TensorBaseESI_lENKUlvE_clEvENKUlvE1_clEvEUlS7_S7_E_S7_EEDaPvRmT3_T4_T5_mT6_P12ihipStream_tbENKUlT_T0_E_clISt17integral_constantIbLb0EESY_IbLb1EEEEDaSU_SV_EUlSU_E_NS1_11comp_targetILNS1_3genE5ELNS1_11target_archE942ELNS1_3gpuE9ELNS1_3repE0EEENS1_30default_config_static_selectorELNS0_4arch9wavefront6targetE0EEEvT1_
    .private_segment_fixed_size: 0
    .sgpr_count:     0
    .sgpr_spill_count: 0
    .symbol:         _ZN7rocprim17ROCPRIM_400000_NS6detail17trampoline_kernelINS0_14default_configENS1_20scan_config_selectorIN3c107complexIdEEEEZZNS1_9scan_implILNS1_25lookback_scan_determinismE0ELb0ELb0ES3_PKS7_PS7_S7_ZZZN2at6native31launch_logcumsumexp_cuda_kernelERKNSE_10TensorBaseESI_lENKUlvE_clEvENKUlvE1_clEvEUlS7_S7_E_S7_EEDaPvRmT3_T4_T5_mT6_P12ihipStream_tbENKUlT_T0_E_clISt17integral_constantIbLb0EESY_IbLb1EEEEDaSU_SV_EUlSU_E_NS1_11comp_targetILNS1_3genE5ELNS1_11target_archE942ELNS1_3gpuE9ELNS1_3repE0EEENS1_30default_config_static_selectorELNS0_4arch9wavefront6targetE0EEEvT1_.kd
    .uniform_work_group_size: 1
    .uses_dynamic_stack: false
    .vgpr_count:     0
    .vgpr_spill_count: 0
    .wavefront_size: 32
    .workgroup_processor_mode: 1
  - .args:
      - .offset:         0
        .size:           128
        .value_kind:     by_value
    .group_segment_fixed_size: 0
    .kernarg_segment_align: 16
    .kernarg_segment_size: 128
    .language:       OpenCL C
    .language_version:
      - 2
      - 0
    .max_flat_workgroup_size: 64
    .name:           _ZN7rocprim17ROCPRIM_400000_NS6detail17trampoline_kernelINS0_14default_configENS1_20scan_config_selectorIN3c107complexIdEEEEZZNS1_9scan_implILNS1_25lookback_scan_determinismE0ELb0ELb0ES3_PKS7_PS7_S7_ZZZN2at6native31launch_logcumsumexp_cuda_kernelERKNSE_10TensorBaseESI_lENKUlvE_clEvENKUlvE1_clEvEUlS7_S7_E_S7_EEDaPvRmT3_T4_T5_mT6_P12ihipStream_tbENKUlT_T0_E_clISt17integral_constantIbLb0EESY_IbLb1EEEEDaSU_SV_EUlSU_E_NS1_11comp_targetILNS1_3genE4ELNS1_11target_archE910ELNS1_3gpuE8ELNS1_3repE0EEENS1_30default_config_static_selectorELNS0_4arch9wavefront6targetE0EEEvT1_
    .private_segment_fixed_size: 0
    .sgpr_count:     0
    .sgpr_spill_count: 0
    .symbol:         _ZN7rocprim17ROCPRIM_400000_NS6detail17trampoline_kernelINS0_14default_configENS1_20scan_config_selectorIN3c107complexIdEEEEZZNS1_9scan_implILNS1_25lookback_scan_determinismE0ELb0ELb0ES3_PKS7_PS7_S7_ZZZN2at6native31launch_logcumsumexp_cuda_kernelERKNSE_10TensorBaseESI_lENKUlvE_clEvENKUlvE1_clEvEUlS7_S7_E_S7_EEDaPvRmT3_T4_T5_mT6_P12ihipStream_tbENKUlT_T0_E_clISt17integral_constantIbLb0EESY_IbLb1EEEEDaSU_SV_EUlSU_E_NS1_11comp_targetILNS1_3genE4ELNS1_11target_archE910ELNS1_3gpuE8ELNS1_3repE0EEENS1_30default_config_static_selectorELNS0_4arch9wavefront6targetE0EEEvT1_.kd
    .uniform_work_group_size: 1
    .uses_dynamic_stack: false
    .vgpr_count:     0
    .vgpr_spill_count: 0
    .wavefront_size: 32
    .workgroup_processor_mode: 1
  - .args:
      - .offset:         0
        .size:           128
        .value_kind:     by_value
    .group_segment_fixed_size: 0
    .kernarg_segment_align: 16
    .kernarg_segment_size: 128
    .language:       OpenCL C
    .language_version:
      - 2
      - 0
    .max_flat_workgroup_size: 128
    .name:           _ZN7rocprim17ROCPRIM_400000_NS6detail17trampoline_kernelINS0_14default_configENS1_20scan_config_selectorIN3c107complexIdEEEEZZNS1_9scan_implILNS1_25lookback_scan_determinismE0ELb0ELb0ES3_PKS7_PS7_S7_ZZZN2at6native31launch_logcumsumexp_cuda_kernelERKNSE_10TensorBaseESI_lENKUlvE_clEvENKUlvE1_clEvEUlS7_S7_E_S7_EEDaPvRmT3_T4_T5_mT6_P12ihipStream_tbENKUlT_T0_E_clISt17integral_constantIbLb0EESY_IbLb1EEEEDaSU_SV_EUlSU_E_NS1_11comp_targetILNS1_3genE3ELNS1_11target_archE908ELNS1_3gpuE7ELNS1_3repE0EEENS1_30default_config_static_selectorELNS0_4arch9wavefront6targetE0EEEvT1_
    .private_segment_fixed_size: 0
    .sgpr_count:     0
    .sgpr_spill_count: 0
    .symbol:         _ZN7rocprim17ROCPRIM_400000_NS6detail17trampoline_kernelINS0_14default_configENS1_20scan_config_selectorIN3c107complexIdEEEEZZNS1_9scan_implILNS1_25lookback_scan_determinismE0ELb0ELb0ES3_PKS7_PS7_S7_ZZZN2at6native31launch_logcumsumexp_cuda_kernelERKNSE_10TensorBaseESI_lENKUlvE_clEvENKUlvE1_clEvEUlS7_S7_E_S7_EEDaPvRmT3_T4_T5_mT6_P12ihipStream_tbENKUlT_T0_E_clISt17integral_constantIbLb0EESY_IbLb1EEEEDaSU_SV_EUlSU_E_NS1_11comp_targetILNS1_3genE3ELNS1_11target_archE908ELNS1_3gpuE7ELNS1_3repE0EEENS1_30default_config_static_selectorELNS0_4arch9wavefront6targetE0EEEvT1_.kd
    .uniform_work_group_size: 1
    .uses_dynamic_stack: false
    .vgpr_count:     0
    .vgpr_spill_count: 0
    .wavefront_size: 32
    .workgroup_processor_mode: 1
  - .args:
      - .offset:         0
        .size:           128
        .value_kind:     by_value
    .group_segment_fixed_size: 0
    .kernarg_segment_align: 16
    .kernarg_segment_size: 128
    .language:       OpenCL C
    .language_version:
      - 2
      - 0
    .max_flat_workgroup_size: 64
    .name:           _ZN7rocprim17ROCPRIM_400000_NS6detail17trampoline_kernelINS0_14default_configENS1_20scan_config_selectorIN3c107complexIdEEEEZZNS1_9scan_implILNS1_25lookback_scan_determinismE0ELb0ELb0ES3_PKS7_PS7_S7_ZZZN2at6native31launch_logcumsumexp_cuda_kernelERKNSE_10TensorBaseESI_lENKUlvE_clEvENKUlvE1_clEvEUlS7_S7_E_S7_EEDaPvRmT3_T4_T5_mT6_P12ihipStream_tbENKUlT_T0_E_clISt17integral_constantIbLb0EESY_IbLb1EEEEDaSU_SV_EUlSU_E_NS1_11comp_targetILNS1_3genE2ELNS1_11target_archE906ELNS1_3gpuE6ELNS1_3repE0EEENS1_30default_config_static_selectorELNS0_4arch9wavefront6targetE0EEEvT1_
    .private_segment_fixed_size: 0
    .sgpr_count:     0
    .sgpr_spill_count: 0
    .symbol:         _ZN7rocprim17ROCPRIM_400000_NS6detail17trampoline_kernelINS0_14default_configENS1_20scan_config_selectorIN3c107complexIdEEEEZZNS1_9scan_implILNS1_25lookback_scan_determinismE0ELb0ELb0ES3_PKS7_PS7_S7_ZZZN2at6native31launch_logcumsumexp_cuda_kernelERKNSE_10TensorBaseESI_lENKUlvE_clEvENKUlvE1_clEvEUlS7_S7_E_S7_EEDaPvRmT3_T4_T5_mT6_P12ihipStream_tbENKUlT_T0_E_clISt17integral_constantIbLb0EESY_IbLb1EEEEDaSU_SV_EUlSU_E_NS1_11comp_targetILNS1_3genE2ELNS1_11target_archE906ELNS1_3gpuE6ELNS1_3repE0EEENS1_30default_config_static_selectorELNS0_4arch9wavefront6targetE0EEEvT1_.kd
    .uniform_work_group_size: 1
    .uses_dynamic_stack: false
    .vgpr_count:     0
    .vgpr_spill_count: 0
    .wavefront_size: 32
    .workgroup_processor_mode: 1
  - .args:
      - .offset:         0
        .size:           128
        .value_kind:     by_value
    .group_segment_fixed_size: 45056
    .kernarg_segment_align: 16
    .kernarg_segment_size: 128
    .language:       OpenCL C
    .language_version:
      - 2
      - 0
    .max_flat_workgroup_size: 256
    .name:           _ZN7rocprim17ROCPRIM_400000_NS6detail17trampoline_kernelINS0_14default_configENS1_20scan_config_selectorIN3c107complexIdEEEEZZNS1_9scan_implILNS1_25lookback_scan_determinismE0ELb0ELb0ES3_PKS7_PS7_S7_ZZZN2at6native31launch_logcumsumexp_cuda_kernelERKNSE_10TensorBaseESI_lENKUlvE_clEvENKUlvE1_clEvEUlS7_S7_E_S7_EEDaPvRmT3_T4_T5_mT6_P12ihipStream_tbENKUlT_T0_E_clISt17integral_constantIbLb0EESY_IbLb1EEEEDaSU_SV_EUlSU_E_NS1_11comp_targetILNS1_3genE10ELNS1_11target_archE1201ELNS1_3gpuE5ELNS1_3repE0EEENS1_30default_config_static_selectorELNS0_4arch9wavefront6targetE0EEEvT1_
    .private_segment_fixed_size: 0
    .sgpr_count:     52
    .sgpr_spill_count: 0
    .symbol:         _ZN7rocprim17ROCPRIM_400000_NS6detail17trampoline_kernelINS0_14default_configENS1_20scan_config_selectorIN3c107complexIdEEEEZZNS1_9scan_implILNS1_25lookback_scan_determinismE0ELb0ELb0ES3_PKS7_PS7_S7_ZZZN2at6native31launch_logcumsumexp_cuda_kernelERKNSE_10TensorBaseESI_lENKUlvE_clEvENKUlvE1_clEvEUlS7_S7_E_S7_EEDaPvRmT3_T4_T5_mT6_P12ihipStream_tbENKUlT_T0_E_clISt17integral_constantIbLb0EESY_IbLb1EEEEDaSU_SV_EUlSU_E_NS1_11comp_targetILNS1_3genE10ELNS1_11target_archE1201ELNS1_3gpuE5ELNS1_3repE0EEENS1_30default_config_static_selectorELNS0_4arch9wavefront6targetE0EEEvT1_.kd
    .uniform_work_group_size: 1
    .uses_dynamic_stack: false
    .vgpr_count:     185
    .vgpr_spill_count: 0
    .wavefront_size: 32
    .workgroup_processor_mode: 1
  - .args:
      - .offset:         0
        .size:           128
        .value_kind:     by_value
    .group_segment_fixed_size: 0
    .kernarg_segment_align: 16
    .kernarg_segment_size: 128
    .language:       OpenCL C
    .language_version:
      - 2
      - 0
    .max_flat_workgroup_size: 256
    .name:           _ZN7rocprim17ROCPRIM_400000_NS6detail17trampoline_kernelINS0_14default_configENS1_20scan_config_selectorIN3c107complexIdEEEEZZNS1_9scan_implILNS1_25lookback_scan_determinismE0ELb0ELb0ES3_PKS7_PS7_S7_ZZZN2at6native31launch_logcumsumexp_cuda_kernelERKNSE_10TensorBaseESI_lENKUlvE_clEvENKUlvE1_clEvEUlS7_S7_E_S7_EEDaPvRmT3_T4_T5_mT6_P12ihipStream_tbENKUlT_T0_E_clISt17integral_constantIbLb0EESY_IbLb1EEEEDaSU_SV_EUlSU_E_NS1_11comp_targetILNS1_3genE10ELNS1_11target_archE1200ELNS1_3gpuE4ELNS1_3repE0EEENS1_30default_config_static_selectorELNS0_4arch9wavefront6targetE0EEEvT1_
    .private_segment_fixed_size: 0
    .sgpr_count:     0
    .sgpr_spill_count: 0
    .symbol:         _ZN7rocprim17ROCPRIM_400000_NS6detail17trampoline_kernelINS0_14default_configENS1_20scan_config_selectorIN3c107complexIdEEEEZZNS1_9scan_implILNS1_25lookback_scan_determinismE0ELb0ELb0ES3_PKS7_PS7_S7_ZZZN2at6native31launch_logcumsumexp_cuda_kernelERKNSE_10TensorBaseESI_lENKUlvE_clEvENKUlvE1_clEvEUlS7_S7_E_S7_EEDaPvRmT3_T4_T5_mT6_P12ihipStream_tbENKUlT_T0_E_clISt17integral_constantIbLb0EESY_IbLb1EEEEDaSU_SV_EUlSU_E_NS1_11comp_targetILNS1_3genE10ELNS1_11target_archE1200ELNS1_3gpuE4ELNS1_3repE0EEENS1_30default_config_static_selectorELNS0_4arch9wavefront6targetE0EEEvT1_.kd
    .uniform_work_group_size: 1
    .uses_dynamic_stack: false
    .vgpr_count:     0
    .vgpr_spill_count: 0
    .wavefront_size: 32
    .workgroup_processor_mode: 1
  - .args:
      - .offset:         0
        .size:           128
        .value_kind:     by_value
    .group_segment_fixed_size: 0
    .kernarg_segment_align: 16
    .kernarg_segment_size: 128
    .language:       OpenCL C
    .language_version:
      - 2
      - 0
    .max_flat_workgroup_size: 256
    .name:           _ZN7rocprim17ROCPRIM_400000_NS6detail17trampoline_kernelINS0_14default_configENS1_20scan_config_selectorIN3c107complexIdEEEEZZNS1_9scan_implILNS1_25lookback_scan_determinismE0ELb0ELb0ES3_PKS7_PS7_S7_ZZZN2at6native31launch_logcumsumexp_cuda_kernelERKNSE_10TensorBaseESI_lENKUlvE_clEvENKUlvE1_clEvEUlS7_S7_E_S7_EEDaPvRmT3_T4_T5_mT6_P12ihipStream_tbENKUlT_T0_E_clISt17integral_constantIbLb0EESY_IbLb1EEEEDaSU_SV_EUlSU_E_NS1_11comp_targetILNS1_3genE9ELNS1_11target_archE1100ELNS1_3gpuE3ELNS1_3repE0EEENS1_30default_config_static_selectorELNS0_4arch9wavefront6targetE0EEEvT1_
    .private_segment_fixed_size: 0
    .sgpr_count:     0
    .sgpr_spill_count: 0
    .symbol:         _ZN7rocprim17ROCPRIM_400000_NS6detail17trampoline_kernelINS0_14default_configENS1_20scan_config_selectorIN3c107complexIdEEEEZZNS1_9scan_implILNS1_25lookback_scan_determinismE0ELb0ELb0ES3_PKS7_PS7_S7_ZZZN2at6native31launch_logcumsumexp_cuda_kernelERKNSE_10TensorBaseESI_lENKUlvE_clEvENKUlvE1_clEvEUlS7_S7_E_S7_EEDaPvRmT3_T4_T5_mT6_P12ihipStream_tbENKUlT_T0_E_clISt17integral_constantIbLb0EESY_IbLb1EEEEDaSU_SV_EUlSU_E_NS1_11comp_targetILNS1_3genE9ELNS1_11target_archE1100ELNS1_3gpuE3ELNS1_3repE0EEENS1_30default_config_static_selectorELNS0_4arch9wavefront6targetE0EEEvT1_.kd
    .uniform_work_group_size: 1
    .uses_dynamic_stack: false
    .vgpr_count:     0
    .vgpr_spill_count: 0
    .wavefront_size: 32
    .workgroup_processor_mode: 1
  - .args:
      - .offset:         0
        .size:           128
        .value_kind:     by_value
    .group_segment_fixed_size: 0
    .kernarg_segment_align: 16
    .kernarg_segment_size: 128
    .language:       OpenCL C
    .language_version:
      - 2
      - 0
    .max_flat_workgroup_size: 256
    .name:           _ZN7rocprim17ROCPRIM_400000_NS6detail17trampoline_kernelINS0_14default_configENS1_20scan_config_selectorIN3c107complexIdEEEEZZNS1_9scan_implILNS1_25lookback_scan_determinismE0ELb0ELb0ES3_PKS7_PS7_S7_ZZZN2at6native31launch_logcumsumexp_cuda_kernelERKNSE_10TensorBaseESI_lENKUlvE_clEvENKUlvE1_clEvEUlS7_S7_E_S7_EEDaPvRmT3_T4_T5_mT6_P12ihipStream_tbENKUlT_T0_E_clISt17integral_constantIbLb0EESY_IbLb1EEEEDaSU_SV_EUlSU_E_NS1_11comp_targetILNS1_3genE8ELNS1_11target_archE1030ELNS1_3gpuE2ELNS1_3repE0EEENS1_30default_config_static_selectorELNS0_4arch9wavefront6targetE0EEEvT1_
    .private_segment_fixed_size: 0
    .sgpr_count:     0
    .sgpr_spill_count: 0
    .symbol:         _ZN7rocprim17ROCPRIM_400000_NS6detail17trampoline_kernelINS0_14default_configENS1_20scan_config_selectorIN3c107complexIdEEEEZZNS1_9scan_implILNS1_25lookback_scan_determinismE0ELb0ELb0ES3_PKS7_PS7_S7_ZZZN2at6native31launch_logcumsumexp_cuda_kernelERKNSE_10TensorBaseESI_lENKUlvE_clEvENKUlvE1_clEvEUlS7_S7_E_S7_EEDaPvRmT3_T4_T5_mT6_P12ihipStream_tbENKUlT_T0_E_clISt17integral_constantIbLb0EESY_IbLb1EEEEDaSU_SV_EUlSU_E_NS1_11comp_targetILNS1_3genE8ELNS1_11target_archE1030ELNS1_3gpuE2ELNS1_3repE0EEENS1_30default_config_static_selectorELNS0_4arch9wavefront6targetE0EEEvT1_.kd
    .uniform_work_group_size: 1
    .uses_dynamic_stack: false
    .vgpr_count:     0
    .vgpr_spill_count: 0
    .wavefront_size: 32
    .workgroup_processor_mode: 1
  - .args:
      - .offset:         0
        .size:           48
        .value_kind:     by_value
    .group_segment_fixed_size: 0
    .kernarg_segment_align: 16
    .kernarg_segment_size: 48
    .language:       OpenCL C
    .language_version:
      - 2
      - 0
    .max_flat_workgroup_size: 128
    .name:           _ZN7rocprim17ROCPRIM_400000_NS6detail17trampoline_kernelINS0_14default_configENS1_20scan_config_selectorIN3c107complexIdEEEEZZNS1_9scan_implILNS1_25lookback_scan_determinismE0ELb0ELb0ES3_PKS7_PS7_S7_ZZZN2at6native31launch_logcumsumexp_cuda_kernelERKNSE_10TensorBaseESI_lENKUlvE_clEvENKUlvE1_clEvEUlS7_S7_E_S7_EEDaPvRmT3_T4_T5_mT6_P12ihipStream_tbENKUlT_T0_E_clISt17integral_constantIbLb0EESY_IbLb1EEEEDaSU_SV_EUlSU_E0_NS1_11comp_targetILNS1_3genE0ELNS1_11target_archE4294967295ELNS1_3gpuE0ELNS1_3repE0EEENS1_30default_config_static_selectorELNS0_4arch9wavefront6targetE0EEEvT1_
    .private_segment_fixed_size: 0
    .sgpr_count:     0
    .sgpr_spill_count: 0
    .symbol:         _ZN7rocprim17ROCPRIM_400000_NS6detail17trampoline_kernelINS0_14default_configENS1_20scan_config_selectorIN3c107complexIdEEEEZZNS1_9scan_implILNS1_25lookback_scan_determinismE0ELb0ELb0ES3_PKS7_PS7_S7_ZZZN2at6native31launch_logcumsumexp_cuda_kernelERKNSE_10TensorBaseESI_lENKUlvE_clEvENKUlvE1_clEvEUlS7_S7_E_S7_EEDaPvRmT3_T4_T5_mT6_P12ihipStream_tbENKUlT_T0_E_clISt17integral_constantIbLb0EESY_IbLb1EEEEDaSU_SV_EUlSU_E0_NS1_11comp_targetILNS1_3genE0ELNS1_11target_archE4294967295ELNS1_3gpuE0ELNS1_3repE0EEENS1_30default_config_static_selectorELNS0_4arch9wavefront6targetE0EEEvT1_.kd
    .uniform_work_group_size: 1
    .uses_dynamic_stack: false
    .vgpr_count:     0
    .vgpr_spill_count: 0
    .wavefront_size: 32
    .workgroup_processor_mode: 1
  - .args:
      - .offset:         0
        .size:           48
        .value_kind:     by_value
    .group_segment_fixed_size: 0
    .kernarg_segment_align: 16
    .kernarg_segment_size: 48
    .language:       OpenCL C
    .language_version:
      - 2
      - 0
    .max_flat_workgroup_size: 256
    .name:           _ZN7rocprim17ROCPRIM_400000_NS6detail17trampoline_kernelINS0_14default_configENS1_20scan_config_selectorIN3c107complexIdEEEEZZNS1_9scan_implILNS1_25lookback_scan_determinismE0ELb0ELb0ES3_PKS7_PS7_S7_ZZZN2at6native31launch_logcumsumexp_cuda_kernelERKNSE_10TensorBaseESI_lENKUlvE_clEvENKUlvE1_clEvEUlS7_S7_E_S7_EEDaPvRmT3_T4_T5_mT6_P12ihipStream_tbENKUlT_T0_E_clISt17integral_constantIbLb0EESY_IbLb1EEEEDaSU_SV_EUlSU_E0_NS1_11comp_targetILNS1_3genE5ELNS1_11target_archE942ELNS1_3gpuE9ELNS1_3repE0EEENS1_30default_config_static_selectorELNS0_4arch9wavefront6targetE0EEEvT1_
    .private_segment_fixed_size: 0
    .sgpr_count:     0
    .sgpr_spill_count: 0
    .symbol:         _ZN7rocprim17ROCPRIM_400000_NS6detail17trampoline_kernelINS0_14default_configENS1_20scan_config_selectorIN3c107complexIdEEEEZZNS1_9scan_implILNS1_25lookback_scan_determinismE0ELb0ELb0ES3_PKS7_PS7_S7_ZZZN2at6native31launch_logcumsumexp_cuda_kernelERKNSE_10TensorBaseESI_lENKUlvE_clEvENKUlvE1_clEvEUlS7_S7_E_S7_EEDaPvRmT3_T4_T5_mT6_P12ihipStream_tbENKUlT_T0_E_clISt17integral_constantIbLb0EESY_IbLb1EEEEDaSU_SV_EUlSU_E0_NS1_11comp_targetILNS1_3genE5ELNS1_11target_archE942ELNS1_3gpuE9ELNS1_3repE0EEENS1_30default_config_static_selectorELNS0_4arch9wavefront6targetE0EEEvT1_.kd
    .uniform_work_group_size: 1
    .uses_dynamic_stack: false
    .vgpr_count:     0
    .vgpr_spill_count: 0
    .wavefront_size: 32
    .workgroup_processor_mode: 1
  - .args:
      - .offset:         0
        .size:           48
        .value_kind:     by_value
    .group_segment_fixed_size: 0
    .kernarg_segment_align: 16
    .kernarg_segment_size: 48
    .language:       OpenCL C
    .language_version:
      - 2
      - 0
    .max_flat_workgroup_size: 64
    .name:           _ZN7rocprim17ROCPRIM_400000_NS6detail17trampoline_kernelINS0_14default_configENS1_20scan_config_selectorIN3c107complexIdEEEEZZNS1_9scan_implILNS1_25lookback_scan_determinismE0ELb0ELb0ES3_PKS7_PS7_S7_ZZZN2at6native31launch_logcumsumexp_cuda_kernelERKNSE_10TensorBaseESI_lENKUlvE_clEvENKUlvE1_clEvEUlS7_S7_E_S7_EEDaPvRmT3_T4_T5_mT6_P12ihipStream_tbENKUlT_T0_E_clISt17integral_constantIbLb0EESY_IbLb1EEEEDaSU_SV_EUlSU_E0_NS1_11comp_targetILNS1_3genE4ELNS1_11target_archE910ELNS1_3gpuE8ELNS1_3repE0EEENS1_30default_config_static_selectorELNS0_4arch9wavefront6targetE0EEEvT1_
    .private_segment_fixed_size: 0
    .sgpr_count:     0
    .sgpr_spill_count: 0
    .symbol:         _ZN7rocprim17ROCPRIM_400000_NS6detail17trampoline_kernelINS0_14default_configENS1_20scan_config_selectorIN3c107complexIdEEEEZZNS1_9scan_implILNS1_25lookback_scan_determinismE0ELb0ELb0ES3_PKS7_PS7_S7_ZZZN2at6native31launch_logcumsumexp_cuda_kernelERKNSE_10TensorBaseESI_lENKUlvE_clEvENKUlvE1_clEvEUlS7_S7_E_S7_EEDaPvRmT3_T4_T5_mT6_P12ihipStream_tbENKUlT_T0_E_clISt17integral_constantIbLb0EESY_IbLb1EEEEDaSU_SV_EUlSU_E0_NS1_11comp_targetILNS1_3genE4ELNS1_11target_archE910ELNS1_3gpuE8ELNS1_3repE0EEENS1_30default_config_static_selectorELNS0_4arch9wavefront6targetE0EEEvT1_.kd
    .uniform_work_group_size: 1
    .uses_dynamic_stack: false
    .vgpr_count:     0
    .vgpr_spill_count: 0
    .wavefront_size: 32
    .workgroup_processor_mode: 1
  - .args:
      - .offset:         0
        .size:           48
        .value_kind:     by_value
    .group_segment_fixed_size: 0
    .kernarg_segment_align: 16
    .kernarg_segment_size: 48
    .language:       OpenCL C
    .language_version:
      - 2
      - 0
    .max_flat_workgroup_size: 128
    .name:           _ZN7rocprim17ROCPRIM_400000_NS6detail17trampoline_kernelINS0_14default_configENS1_20scan_config_selectorIN3c107complexIdEEEEZZNS1_9scan_implILNS1_25lookback_scan_determinismE0ELb0ELb0ES3_PKS7_PS7_S7_ZZZN2at6native31launch_logcumsumexp_cuda_kernelERKNSE_10TensorBaseESI_lENKUlvE_clEvENKUlvE1_clEvEUlS7_S7_E_S7_EEDaPvRmT3_T4_T5_mT6_P12ihipStream_tbENKUlT_T0_E_clISt17integral_constantIbLb0EESY_IbLb1EEEEDaSU_SV_EUlSU_E0_NS1_11comp_targetILNS1_3genE3ELNS1_11target_archE908ELNS1_3gpuE7ELNS1_3repE0EEENS1_30default_config_static_selectorELNS0_4arch9wavefront6targetE0EEEvT1_
    .private_segment_fixed_size: 0
    .sgpr_count:     0
    .sgpr_spill_count: 0
    .symbol:         _ZN7rocprim17ROCPRIM_400000_NS6detail17trampoline_kernelINS0_14default_configENS1_20scan_config_selectorIN3c107complexIdEEEEZZNS1_9scan_implILNS1_25lookback_scan_determinismE0ELb0ELb0ES3_PKS7_PS7_S7_ZZZN2at6native31launch_logcumsumexp_cuda_kernelERKNSE_10TensorBaseESI_lENKUlvE_clEvENKUlvE1_clEvEUlS7_S7_E_S7_EEDaPvRmT3_T4_T5_mT6_P12ihipStream_tbENKUlT_T0_E_clISt17integral_constantIbLb0EESY_IbLb1EEEEDaSU_SV_EUlSU_E0_NS1_11comp_targetILNS1_3genE3ELNS1_11target_archE908ELNS1_3gpuE7ELNS1_3repE0EEENS1_30default_config_static_selectorELNS0_4arch9wavefront6targetE0EEEvT1_.kd
    .uniform_work_group_size: 1
    .uses_dynamic_stack: false
    .vgpr_count:     0
    .vgpr_spill_count: 0
    .wavefront_size: 32
    .workgroup_processor_mode: 1
  - .args:
      - .offset:         0
        .size:           48
        .value_kind:     by_value
    .group_segment_fixed_size: 0
    .kernarg_segment_align: 16
    .kernarg_segment_size: 48
    .language:       OpenCL C
    .language_version:
      - 2
      - 0
    .max_flat_workgroup_size: 64
    .name:           _ZN7rocprim17ROCPRIM_400000_NS6detail17trampoline_kernelINS0_14default_configENS1_20scan_config_selectorIN3c107complexIdEEEEZZNS1_9scan_implILNS1_25lookback_scan_determinismE0ELb0ELb0ES3_PKS7_PS7_S7_ZZZN2at6native31launch_logcumsumexp_cuda_kernelERKNSE_10TensorBaseESI_lENKUlvE_clEvENKUlvE1_clEvEUlS7_S7_E_S7_EEDaPvRmT3_T4_T5_mT6_P12ihipStream_tbENKUlT_T0_E_clISt17integral_constantIbLb0EESY_IbLb1EEEEDaSU_SV_EUlSU_E0_NS1_11comp_targetILNS1_3genE2ELNS1_11target_archE906ELNS1_3gpuE6ELNS1_3repE0EEENS1_30default_config_static_selectorELNS0_4arch9wavefront6targetE0EEEvT1_
    .private_segment_fixed_size: 0
    .sgpr_count:     0
    .sgpr_spill_count: 0
    .symbol:         _ZN7rocprim17ROCPRIM_400000_NS6detail17trampoline_kernelINS0_14default_configENS1_20scan_config_selectorIN3c107complexIdEEEEZZNS1_9scan_implILNS1_25lookback_scan_determinismE0ELb0ELb0ES3_PKS7_PS7_S7_ZZZN2at6native31launch_logcumsumexp_cuda_kernelERKNSE_10TensorBaseESI_lENKUlvE_clEvENKUlvE1_clEvEUlS7_S7_E_S7_EEDaPvRmT3_T4_T5_mT6_P12ihipStream_tbENKUlT_T0_E_clISt17integral_constantIbLb0EESY_IbLb1EEEEDaSU_SV_EUlSU_E0_NS1_11comp_targetILNS1_3genE2ELNS1_11target_archE906ELNS1_3gpuE6ELNS1_3repE0EEENS1_30default_config_static_selectorELNS0_4arch9wavefront6targetE0EEEvT1_.kd
    .uniform_work_group_size: 1
    .uses_dynamic_stack: false
    .vgpr_count:     0
    .vgpr_spill_count: 0
    .wavefront_size: 32
    .workgroup_processor_mode: 1
  - .args:
      - .offset:         0
        .size:           48
        .value_kind:     by_value
    .group_segment_fixed_size: 45056
    .kernarg_segment_align: 16
    .kernarg_segment_size: 48
    .language:       OpenCL C
    .language_version:
      - 2
      - 0
    .max_flat_workgroup_size: 256
    .name:           _ZN7rocprim17ROCPRIM_400000_NS6detail17trampoline_kernelINS0_14default_configENS1_20scan_config_selectorIN3c107complexIdEEEEZZNS1_9scan_implILNS1_25lookback_scan_determinismE0ELb0ELb0ES3_PKS7_PS7_S7_ZZZN2at6native31launch_logcumsumexp_cuda_kernelERKNSE_10TensorBaseESI_lENKUlvE_clEvENKUlvE1_clEvEUlS7_S7_E_S7_EEDaPvRmT3_T4_T5_mT6_P12ihipStream_tbENKUlT_T0_E_clISt17integral_constantIbLb0EESY_IbLb1EEEEDaSU_SV_EUlSU_E0_NS1_11comp_targetILNS1_3genE10ELNS1_11target_archE1201ELNS1_3gpuE5ELNS1_3repE0EEENS1_30default_config_static_selectorELNS0_4arch9wavefront6targetE0EEEvT1_
    .private_segment_fixed_size: 0
    .sgpr_count:     39
    .sgpr_spill_count: 0
    .symbol:         _ZN7rocprim17ROCPRIM_400000_NS6detail17trampoline_kernelINS0_14default_configENS1_20scan_config_selectorIN3c107complexIdEEEEZZNS1_9scan_implILNS1_25lookback_scan_determinismE0ELb0ELb0ES3_PKS7_PS7_S7_ZZZN2at6native31launch_logcumsumexp_cuda_kernelERKNSE_10TensorBaseESI_lENKUlvE_clEvENKUlvE1_clEvEUlS7_S7_E_S7_EEDaPvRmT3_T4_T5_mT6_P12ihipStream_tbENKUlT_T0_E_clISt17integral_constantIbLb0EESY_IbLb1EEEEDaSU_SV_EUlSU_E0_NS1_11comp_targetILNS1_3genE10ELNS1_11target_archE1201ELNS1_3gpuE5ELNS1_3repE0EEENS1_30default_config_static_selectorELNS0_4arch9wavefront6targetE0EEEvT1_.kd
    .uniform_work_group_size: 1
    .uses_dynamic_stack: false
    .vgpr_count:     185
    .vgpr_spill_count: 0
    .wavefront_size: 32
    .workgroup_processor_mode: 1
  - .args:
      - .offset:         0
        .size:           48
        .value_kind:     by_value
    .group_segment_fixed_size: 0
    .kernarg_segment_align: 16
    .kernarg_segment_size: 48
    .language:       OpenCL C
    .language_version:
      - 2
      - 0
    .max_flat_workgroup_size: 256
    .name:           _ZN7rocprim17ROCPRIM_400000_NS6detail17trampoline_kernelINS0_14default_configENS1_20scan_config_selectorIN3c107complexIdEEEEZZNS1_9scan_implILNS1_25lookback_scan_determinismE0ELb0ELb0ES3_PKS7_PS7_S7_ZZZN2at6native31launch_logcumsumexp_cuda_kernelERKNSE_10TensorBaseESI_lENKUlvE_clEvENKUlvE1_clEvEUlS7_S7_E_S7_EEDaPvRmT3_T4_T5_mT6_P12ihipStream_tbENKUlT_T0_E_clISt17integral_constantIbLb0EESY_IbLb1EEEEDaSU_SV_EUlSU_E0_NS1_11comp_targetILNS1_3genE10ELNS1_11target_archE1200ELNS1_3gpuE4ELNS1_3repE0EEENS1_30default_config_static_selectorELNS0_4arch9wavefront6targetE0EEEvT1_
    .private_segment_fixed_size: 0
    .sgpr_count:     0
    .sgpr_spill_count: 0
    .symbol:         _ZN7rocprim17ROCPRIM_400000_NS6detail17trampoline_kernelINS0_14default_configENS1_20scan_config_selectorIN3c107complexIdEEEEZZNS1_9scan_implILNS1_25lookback_scan_determinismE0ELb0ELb0ES3_PKS7_PS7_S7_ZZZN2at6native31launch_logcumsumexp_cuda_kernelERKNSE_10TensorBaseESI_lENKUlvE_clEvENKUlvE1_clEvEUlS7_S7_E_S7_EEDaPvRmT3_T4_T5_mT6_P12ihipStream_tbENKUlT_T0_E_clISt17integral_constantIbLb0EESY_IbLb1EEEEDaSU_SV_EUlSU_E0_NS1_11comp_targetILNS1_3genE10ELNS1_11target_archE1200ELNS1_3gpuE4ELNS1_3repE0EEENS1_30default_config_static_selectorELNS0_4arch9wavefront6targetE0EEEvT1_.kd
    .uniform_work_group_size: 1
    .uses_dynamic_stack: false
    .vgpr_count:     0
    .vgpr_spill_count: 0
    .wavefront_size: 32
    .workgroup_processor_mode: 1
  - .args:
      - .offset:         0
        .size:           48
        .value_kind:     by_value
    .group_segment_fixed_size: 0
    .kernarg_segment_align: 16
    .kernarg_segment_size: 48
    .language:       OpenCL C
    .language_version:
      - 2
      - 0
    .max_flat_workgroup_size: 256
    .name:           _ZN7rocprim17ROCPRIM_400000_NS6detail17trampoline_kernelINS0_14default_configENS1_20scan_config_selectorIN3c107complexIdEEEEZZNS1_9scan_implILNS1_25lookback_scan_determinismE0ELb0ELb0ES3_PKS7_PS7_S7_ZZZN2at6native31launch_logcumsumexp_cuda_kernelERKNSE_10TensorBaseESI_lENKUlvE_clEvENKUlvE1_clEvEUlS7_S7_E_S7_EEDaPvRmT3_T4_T5_mT6_P12ihipStream_tbENKUlT_T0_E_clISt17integral_constantIbLb0EESY_IbLb1EEEEDaSU_SV_EUlSU_E0_NS1_11comp_targetILNS1_3genE9ELNS1_11target_archE1100ELNS1_3gpuE3ELNS1_3repE0EEENS1_30default_config_static_selectorELNS0_4arch9wavefront6targetE0EEEvT1_
    .private_segment_fixed_size: 0
    .sgpr_count:     0
    .sgpr_spill_count: 0
    .symbol:         _ZN7rocprim17ROCPRIM_400000_NS6detail17trampoline_kernelINS0_14default_configENS1_20scan_config_selectorIN3c107complexIdEEEEZZNS1_9scan_implILNS1_25lookback_scan_determinismE0ELb0ELb0ES3_PKS7_PS7_S7_ZZZN2at6native31launch_logcumsumexp_cuda_kernelERKNSE_10TensorBaseESI_lENKUlvE_clEvENKUlvE1_clEvEUlS7_S7_E_S7_EEDaPvRmT3_T4_T5_mT6_P12ihipStream_tbENKUlT_T0_E_clISt17integral_constantIbLb0EESY_IbLb1EEEEDaSU_SV_EUlSU_E0_NS1_11comp_targetILNS1_3genE9ELNS1_11target_archE1100ELNS1_3gpuE3ELNS1_3repE0EEENS1_30default_config_static_selectorELNS0_4arch9wavefront6targetE0EEEvT1_.kd
    .uniform_work_group_size: 1
    .uses_dynamic_stack: false
    .vgpr_count:     0
    .vgpr_spill_count: 0
    .wavefront_size: 32
    .workgroup_processor_mode: 1
  - .args:
      - .offset:         0
        .size:           48
        .value_kind:     by_value
    .group_segment_fixed_size: 0
    .kernarg_segment_align: 16
    .kernarg_segment_size: 48
    .language:       OpenCL C
    .language_version:
      - 2
      - 0
    .max_flat_workgroup_size: 256
    .name:           _ZN7rocprim17ROCPRIM_400000_NS6detail17trampoline_kernelINS0_14default_configENS1_20scan_config_selectorIN3c107complexIdEEEEZZNS1_9scan_implILNS1_25lookback_scan_determinismE0ELb0ELb0ES3_PKS7_PS7_S7_ZZZN2at6native31launch_logcumsumexp_cuda_kernelERKNSE_10TensorBaseESI_lENKUlvE_clEvENKUlvE1_clEvEUlS7_S7_E_S7_EEDaPvRmT3_T4_T5_mT6_P12ihipStream_tbENKUlT_T0_E_clISt17integral_constantIbLb0EESY_IbLb1EEEEDaSU_SV_EUlSU_E0_NS1_11comp_targetILNS1_3genE8ELNS1_11target_archE1030ELNS1_3gpuE2ELNS1_3repE0EEENS1_30default_config_static_selectorELNS0_4arch9wavefront6targetE0EEEvT1_
    .private_segment_fixed_size: 0
    .sgpr_count:     0
    .sgpr_spill_count: 0
    .symbol:         _ZN7rocprim17ROCPRIM_400000_NS6detail17trampoline_kernelINS0_14default_configENS1_20scan_config_selectorIN3c107complexIdEEEEZZNS1_9scan_implILNS1_25lookback_scan_determinismE0ELb0ELb0ES3_PKS7_PS7_S7_ZZZN2at6native31launch_logcumsumexp_cuda_kernelERKNSE_10TensorBaseESI_lENKUlvE_clEvENKUlvE1_clEvEUlS7_S7_E_S7_EEDaPvRmT3_T4_T5_mT6_P12ihipStream_tbENKUlT_T0_E_clISt17integral_constantIbLb0EESY_IbLb1EEEEDaSU_SV_EUlSU_E0_NS1_11comp_targetILNS1_3genE8ELNS1_11target_archE1030ELNS1_3gpuE2ELNS1_3repE0EEENS1_30default_config_static_selectorELNS0_4arch9wavefront6targetE0EEEvT1_.kd
    .uniform_work_group_size: 1
    .uses_dynamic_stack: false
    .vgpr_count:     0
    .vgpr_spill_count: 0
    .wavefront_size: 32
    .workgroup_processor_mode: 1
  - .args:
      - .address_space:  global
        .offset:         0
        .size:           8
        .value_kind:     global_buffer
      - .address_space:  global
        .offset:         8
        .size:           8
        .value_kind:     global_buffer
      - .offset:         16
        .size:           4
        .value_kind:     by_value
      - .offset:         20
        .size:           4
        .value_kind:     by_value
      - .offset:         24
        .size:           4
        .value_kind:     by_value
      - .offset:         32
        .size:           16
        .value_kind:     by_value
      - .offset:         48
        .size:           1
        .value_kind:     by_value
      - .offset:         56
        .size:           4
        .value_kind:     hidden_block_count_x
      - .offset:         60
        .size:           4
        .value_kind:     hidden_block_count_y
      - .offset:         64
        .size:           4
        .value_kind:     hidden_block_count_z
      - .offset:         68
        .size:           2
        .value_kind:     hidden_group_size_x
      - .offset:         70
        .size:           2
        .value_kind:     hidden_group_size_y
      - .offset:         72
        .size:           2
        .value_kind:     hidden_group_size_z
      - .offset:         74
        .size:           2
        .value_kind:     hidden_remainder_x
      - .offset:         76
        .size:           2
        .value_kind:     hidden_remainder_y
      - .offset:         78
        .size:           2
        .value_kind:     hidden_remainder_z
      - .offset:         96
        .size:           8
        .value_kind:     hidden_global_offset_x
      - .offset:         104
        .size:           8
        .value_kind:     hidden_global_offset_y
      - .offset:         112
        .size:           8
        .value_kind:     hidden_global_offset_z
      - .offset:         120
        .size:           2
        .value_kind:     hidden_grid_dims
      - .offset:         176
        .size:           4
        .value_kind:     hidden_dynamic_lds_size
    .group_segment_fixed_size: 0
    .kernarg_segment_align: 16
    .kernarg_segment_size: 312
    .language:       OpenCL C
    .language_version:
      - 2
      - 0
    .max_flat_workgroup_size: 1024
    .name:           _ZN2at6native32tensor_kernel_scan_innermost_dimIN3c107complexIdEEZZZNS0_31launch_logcumsumexp_cuda_kernelERKNS_10TensorBaseES7_lENKUlvE_clEvENKUlvE1_clEvEUlS4_S4_E_EEvPT_PKSB_jjjSB_T0_
    .private_segment_fixed_size: 0
    .sgpr_count:     48
    .sgpr_spill_count: 0
    .symbol:         _ZN2at6native32tensor_kernel_scan_innermost_dimIN3c107complexIdEEZZZNS0_31launch_logcumsumexp_cuda_kernelERKNS_10TensorBaseES7_lENKUlvE_clEvENKUlvE1_clEvEUlS4_S4_E_EEvPT_PKSB_jjjSB_T0_.kd
    .uniform_work_group_size: 1
    .uses_dynamic_stack: false
    .vgpr_count:     136
    .vgpr_spill_count: 0
    .wavefront_size: 32
    .workgroup_processor_mode: 1
  - .args:
      - .address_space:  global
        .offset:         0
        .size:           8
        .value_kind:     global_buffer
      - .address_space:  global
        .offset:         8
        .size:           8
        .value_kind:     global_buffer
      - .offset:         16
        .size:           4
        .value_kind:     by_value
      - .offset:         20
        .size:           4
        .value_kind:     by_value
      - .offset:         24
        .size:           4
        .value_kind:     by_value
      - .offset:         32
        .size:           16
        .value_kind:     by_value
      - .offset:         48
        .size:           1
        .value_kind:     by_value
      - .offset:         56
        .size:           4
        .value_kind:     hidden_block_count_x
      - .offset:         60
        .size:           4
        .value_kind:     hidden_block_count_y
      - .offset:         64
        .size:           4
        .value_kind:     hidden_block_count_z
      - .offset:         68
        .size:           2
        .value_kind:     hidden_group_size_x
      - .offset:         70
        .size:           2
        .value_kind:     hidden_group_size_y
      - .offset:         72
        .size:           2
        .value_kind:     hidden_group_size_z
      - .offset:         74
        .size:           2
        .value_kind:     hidden_remainder_x
      - .offset:         76
        .size:           2
        .value_kind:     hidden_remainder_y
      - .offset:         78
        .size:           2
        .value_kind:     hidden_remainder_z
      - .offset:         96
        .size:           8
        .value_kind:     hidden_global_offset_x
      - .offset:         104
        .size:           8
        .value_kind:     hidden_global_offset_y
      - .offset:         112
        .size:           8
        .value_kind:     hidden_global_offset_z
      - .offset:         120
        .size:           2
        .value_kind:     hidden_grid_dims
    .group_segment_fixed_size: 0
    .kernarg_segment_align: 16
    .kernarg_segment_size: 312
    .language:       OpenCL C
    .language_version:
      - 2
      - 0
    .max_flat_workgroup_size: 1024
    .name:           _ZN2at6native28tensor_kernel_scan_outer_dimIN3c107complexIdEEjZZZNS0_31launch_logcumsumexp_cuda_kernelERKNS_10TensorBaseES7_lENKUlvE_clEvENKUlvE1_clEvEUlS4_S4_E_EEvPT_PKSB_jjjSB_T1_
    .private_segment_fixed_size: 0
    .sgpr_count:     52
    .sgpr_spill_count: 0
    .symbol:         _ZN2at6native28tensor_kernel_scan_outer_dimIN3c107complexIdEEjZZZNS0_31launch_logcumsumexp_cuda_kernelERKNS_10TensorBaseES7_lENKUlvE_clEvENKUlvE1_clEvEUlS4_S4_E_EEvPT_PKSB_jjjSB_T1_.kd
    .uniform_work_group_size: 1
    .uses_dynamic_stack: false
    .vgpr_count:     136
    .vgpr_spill_count: 0
    .wavefront_size: 32
    .workgroup_processor_mode: 1
  - .args:
      - .address_space:  global
        .offset:         0
        .size:           8
        .value_kind:     global_buffer
      - .address_space:  global
        .offset:         8
        .size:           8
        .value_kind:     global_buffer
      - .offset:         16
        .size:           4
        .value_kind:     by_value
      - .offset:         20
        .size:           4
        .value_kind:     by_value
      - .offset:         24
        .size:           4
        .value_kind:     by_value
      - .offset:         32
        .size:           16
        .value_kind:     by_value
      - .offset:         48
        .size:           1
        .value_kind:     by_value
      - .offset:         56
        .size:           4
        .value_kind:     hidden_block_count_x
      - .offset:         60
        .size:           4
        .value_kind:     hidden_block_count_y
      - .offset:         64
        .size:           4
        .value_kind:     hidden_block_count_z
      - .offset:         68
        .size:           2
        .value_kind:     hidden_group_size_x
      - .offset:         70
        .size:           2
        .value_kind:     hidden_group_size_y
      - .offset:         72
        .size:           2
        .value_kind:     hidden_group_size_z
      - .offset:         74
        .size:           2
        .value_kind:     hidden_remainder_x
      - .offset:         76
        .size:           2
        .value_kind:     hidden_remainder_y
      - .offset:         78
        .size:           2
        .value_kind:     hidden_remainder_z
      - .offset:         96
        .size:           8
        .value_kind:     hidden_global_offset_x
      - .offset:         104
        .size:           8
        .value_kind:     hidden_global_offset_y
      - .offset:         112
        .size:           8
        .value_kind:     hidden_global_offset_z
      - .offset:         120
        .size:           2
        .value_kind:     hidden_grid_dims
    .group_segment_fixed_size: 0
    .kernarg_segment_align: 16
    .kernarg_segment_size: 312
    .language:       OpenCL C
    .language_version:
      - 2
      - 0
    .max_flat_workgroup_size: 1024
    .name:           _ZN2at6native28tensor_kernel_scan_outer_dimIN3c107complexIdEEmZZZNS0_31launch_logcumsumexp_cuda_kernelERKNS_10TensorBaseES7_lENKUlvE_clEvENKUlvE1_clEvEUlS4_S4_E_EEvPT_PKSB_jjjSB_T1_
    .private_segment_fixed_size: 0
    .sgpr_count:     52
    .sgpr_spill_count: 0
    .symbol:         _ZN2at6native28tensor_kernel_scan_outer_dimIN3c107complexIdEEmZZZNS0_31launch_logcumsumexp_cuda_kernelERKNS_10TensorBaseES7_lENKUlvE_clEvENKUlvE1_clEvEUlS4_S4_E_EEvPT_PKSB_jjjSB_T1_.kd
    .uniform_work_group_size: 1
    .uses_dynamic_stack: false
    .vgpr_count:     136
    .vgpr_spill_count: 0
    .wavefront_size: 32
    .workgroup_processor_mode: 1
  - .args:
      - .address_space:  global
        .offset:         0
        .size:           8
        .value_kind:     global_buffer
      - .offset:         8
        .size:           4
        .value_kind:     by_value
      - .offset:         12
        .size:           1
        .value_kind:     by_value
      - .offset:         16
        .size:           4
        .value_kind:     by_value
      - .address_space:  global
        .offset:         24
        .size:           8
        .value_kind:     global_buffer
      - .offset:         32
        .size:           4
        .value_kind:     hidden_block_count_x
      - .offset:         36
        .size:           4
        .value_kind:     hidden_block_count_y
      - .offset:         40
        .size:           4
        .value_kind:     hidden_block_count_z
      - .offset:         44
        .size:           2
        .value_kind:     hidden_group_size_x
      - .offset:         46
        .size:           2
        .value_kind:     hidden_group_size_y
      - .offset:         48
        .size:           2
        .value_kind:     hidden_group_size_z
      - .offset:         50
        .size:           2
        .value_kind:     hidden_remainder_x
      - .offset:         52
        .size:           2
        .value_kind:     hidden_remainder_y
      - .offset:         54
        .size:           2
        .value_kind:     hidden_remainder_z
      - .offset:         72
        .size:           8
        .value_kind:     hidden_global_offset_x
      - .offset:         80
        .size:           8
        .value_kind:     hidden_global_offset_y
      - .offset:         88
        .size:           8
        .value_kind:     hidden_global_offset_z
      - .offset:         96
        .size:           2
        .value_kind:     hidden_grid_dims
    .group_segment_fixed_size: 0
    .kernarg_segment_align: 8
    .kernarg_segment_size: 288
    .language:       OpenCL C
    .language_version:
      - 2
      - 0
    .max_flat_workgroup_size: 256
    .name:           _ZN7rocprim17ROCPRIM_400000_NS6detail31init_lookback_scan_state_kernelINS1_19lookback_scan_stateIN3c107complexIfEELb0ELb1EEENS1_16block_id_wrapperIjLb0EEEEEvT_jT0_jPNSA_10value_typeE
    .private_segment_fixed_size: 0
    .sgpr_count:     11
    .sgpr_spill_count: 0
    .symbol:         _ZN7rocprim17ROCPRIM_400000_NS6detail31init_lookback_scan_state_kernelINS1_19lookback_scan_stateIN3c107complexIfEELb0ELb1EEENS1_16block_id_wrapperIjLb0EEEEEvT_jT0_jPNSA_10value_typeE.kd
    .uniform_work_group_size: 1
    .uses_dynamic_stack: false
    .vgpr_count:     8
    .vgpr_spill_count: 0
    .wavefront_size: 32
    .workgroup_processor_mode: 1
  - .args:
      - .offset:         0
        .size:           104
        .value_kind:     by_value
    .group_segment_fixed_size: 0
    .kernarg_segment_align: 8
    .kernarg_segment_size: 104
    .language:       OpenCL C
    .language_version:
      - 2
      - 0
    .max_flat_workgroup_size: 256
    .name:           _ZN7rocprim17ROCPRIM_400000_NS6detail17trampoline_kernelINS0_14default_configENS1_20scan_config_selectorIN3c107complexIfEEEEZZNS1_9scan_implILNS1_25lookback_scan_determinismE0ELb0ELb0ES3_PKS7_PS7_S7_ZZZN2at6native31launch_logcumsumexp_cuda_kernelERKNSE_10TensorBaseESI_lENKUlvE_clEvENKUlvE2_clEvEUlS7_S7_E_S7_EEDaPvRmT3_T4_T5_mT6_P12ihipStream_tbENKUlT_T0_E_clISt17integral_constantIbLb0EESZ_EEDaSU_SV_EUlSU_E_NS1_11comp_targetILNS1_3genE0ELNS1_11target_archE4294967295ELNS1_3gpuE0ELNS1_3repE0EEENS1_30default_config_static_selectorELNS0_4arch9wavefront6targetE0EEEvT1_
    .private_segment_fixed_size: 0
    .sgpr_count:     0
    .sgpr_spill_count: 0
    .symbol:         _ZN7rocprim17ROCPRIM_400000_NS6detail17trampoline_kernelINS0_14default_configENS1_20scan_config_selectorIN3c107complexIfEEEEZZNS1_9scan_implILNS1_25lookback_scan_determinismE0ELb0ELb0ES3_PKS7_PS7_S7_ZZZN2at6native31launch_logcumsumexp_cuda_kernelERKNSE_10TensorBaseESI_lENKUlvE_clEvENKUlvE2_clEvEUlS7_S7_E_S7_EEDaPvRmT3_T4_T5_mT6_P12ihipStream_tbENKUlT_T0_E_clISt17integral_constantIbLb0EESZ_EEDaSU_SV_EUlSU_E_NS1_11comp_targetILNS1_3genE0ELNS1_11target_archE4294967295ELNS1_3gpuE0ELNS1_3repE0EEENS1_30default_config_static_selectorELNS0_4arch9wavefront6targetE0EEEvT1_.kd
    .uniform_work_group_size: 1
    .uses_dynamic_stack: false
    .vgpr_count:     0
    .vgpr_spill_count: 0
    .wavefront_size: 32
    .workgroup_processor_mode: 1
  - .args:
      - .offset:         0
        .size:           104
        .value_kind:     by_value
    .group_segment_fixed_size: 0
    .kernarg_segment_align: 8
    .kernarg_segment_size: 104
    .language:       OpenCL C
    .language_version:
      - 2
      - 0
    .max_flat_workgroup_size: 256
    .name:           _ZN7rocprim17ROCPRIM_400000_NS6detail17trampoline_kernelINS0_14default_configENS1_20scan_config_selectorIN3c107complexIfEEEEZZNS1_9scan_implILNS1_25lookback_scan_determinismE0ELb0ELb0ES3_PKS7_PS7_S7_ZZZN2at6native31launch_logcumsumexp_cuda_kernelERKNSE_10TensorBaseESI_lENKUlvE_clEvENKUlvE2_clEvEUlS7_S7_E_S7_EEDaPvRmT3_T4_T5_mT6_P12ihipStream_tbENKUlT_T0_E_clISt17integral_constantIbLb0EESZ_EEDaSU_SV_EUlSU_E_NS1_11comp_targetILNS1_3genE5ELNS1_11target_archE942ELNS1_3gpuE9ELNS1_3repE0EEENS1_30default_config_static_selectorELNS0_4arch9wavefront6targetE0EEEvT1_
    .private_segment_fixed_size: 0
    .sgpr_count:     0
    .sgpr_spill_count: 0
    .symbol:         _ZN7rocprim17ROCPRIM_400000_NS6detail17trampoline_kernelINS0_14default_configENS1_20scan_config_selectorIN3c107complexIfEEEEZZNS1_9scan_implILNS1_25lookback_scan_determinismE0ELb0ELb0ES3_PKS7_PS7_S7_ZZZN2at6native31launch_logcumsumexp_cuda_kernelERKNSE_10TensorBaseESI_lENKUlvE_clEvENKUlvE2_clEvEUlS7_S7_E_S7_EEDaPvRmT3_T4_T5_mT6_P12ihipStream_tbENKUlT_T0_E_clISt17integral_constantIbLb0EESZ_EEDaSU_SV_EUlSU_E_NS1_11comp_targetILNS1_3genE5ELNS1_11target_archE942ELNS1_3gpuE9ELNS1_3repE0EEENS1_30default_config_static_selectorELNS0_4arch9wavefront6targetE0EEEvT1_.kd
    .uniform_work_group_size: 1
    .uses_dynamic_stack: false
    .vgpr_count:     0
    .vgpr_spill_count: 0
    .wavefront_size: 32
    .workgroup_processor_mode: 1
  - .args:
      - .offset:         0
        .size:           104
        .value_kind:     by_value
    .group_segment_fixed_size: 0
    .kernarg_segment_align: 8
    .kernarg_segment_size: 104
    .language:       OpenCL C
    .language_version:
      - 2
      - 0
    .max_flat_workgroup_size: 128
    .name:           _ZN7rocprim17ROCPRIM_400000_NS6detail17trampoline_kernelINS0_14default_configENS1_20scan_config_selectorIN3c107complexIfEEEEZZNS1_9scan_implILNS1_25lookback_scan_determinismE0ELb0ELb0ES3_PKS7_PS7_S7_ZZZN2at6native31launch_logcumsumexp_cuda_kernelERKNSE_10TensorBaseESI_lENKUlvE_clEvENKUlvE2_clEvEUlS7_S7_E_S7_EEDaPvRmT3_T4_T5_mT6_P12ihipStream_tbENKUlT_T0_E_clISt17integral_constantIbLb0EESZ_EEDaSU_SV_EUlSU_E_NS1_11comp_targetILNS1_3genE4ELNS1_11target_archE910ELNS1_3gpuE8ELNS1_3repE0EEENS1_30default_config_static_selectorELNS0_4arch9wavefront6targetE0EEEvT1_
    .private_segment_fixed_size: 0
    .sgpr_count:     0
    .sgpr_spill_count: 0
    .symbol:         _ZN7rocprim17ROCPRIM_400000_NS6detail17trampoline_kernelINS0_14default_configENS1_20scan_config_selectorIN3c107complexIfEEEEZZNS1_9scan_implILNS1_25lookback_scan_determinismE0ELb0ELb0ES3_PKS7_PS7_S7_ZZZN2at6native31launch_logcumsumexp_cuda_kernelERKNSE_10TensorBaseESI_lENKUlvE_clEvENKUlvE2_clEvEUlS7_S7_E_S7_EEDaPvRmT3_T4_T5_mT6_P12ihipStream_tbENKUlT_T0_E_clISt17integral_constantIbLb0EESZ_EEDaSU_SV_EUlSU_E_NS1_11comp_targetILNS1_3genE4ELNS1_11target_archE910ELNS1_3gpuE8ELNS1_3repE0EEENS1_30default_config_static_selectorELNS0_4arch9wavefront6targetE0EEEvT1_.kd
    .uniform_work_group_size: 1
    .uses_dynamic_stack: false
    .vgpr_count:     0
    .vgpr_spill_count: 0
    .wavefront_size: 32
    .workgroup_processor_mode: 1
  - .args:
      - .offset:         0
        .size:           104
        .value_kind:     by_value
    .group_segment_fixed_size: 0
    .kernarg_segment_align: 8
    .kernarg_segment_size: 104
    .language:       OpenCL C
    .language_version:
      - 2
      - 0
    .max_flat_workgroup_size: 256
    .name:           _ZN7rocprim17ROCPRIM_400000_NS6detail17trampoline_kernelINS0_14default_configENS1_20scan_config_selectorIN3c107complexIfEEEEZZNS1_9scan_implILNS1_25lookback_scan_determinismE0ELb0ELb0ES3_PKS7_PS7_S7_ZZZN2at6native31launch_logcumsumexp_cuda_kernelERKNSE_10TensorBaseESI_lENKUlvE_clEvENKUlvE2_clEvEUlS7_S7_E_S7_EEDaPvRmT3_T4_T5_mT6_P12ihipStream_tbENKUlT_T0_E_clISt17integral_constantIbLb0EESZ_EEDaSU_SV_EUlSU_E_NS1_11comp_targetILNS1_3genE3ELNS1_11target_archE908ELNS1_3gpuE7ELNS1_3repE0EEENS1_30default_config_static_selectorELNS0_4arch9wavefront6targetE0EEEvT1_
    .private_segment_fixed_size: 0
    .sgpr_count:     0
    .sgpr_spill_count: 0
    .symbol:         _ZN7rocprim17ROCPRIM_400000_NS6detail17trampoline_kernelINS0_14default_configENS1_20scan_config_selectorIN3c107complexIfEEEEZZNS1_9scan_implILNS1_25lookback_scan_determinismE0ELb0ELb0ES3_PKS7_PS7_S7_ZZZN2at6native31launch_logcumsumexp_cuda_kernelERKNSE_10TensorBaseESI_lENKUlvE_clEvENKUlvE2_clEvEUlS7_S7_E_S7_EEDaPvRmT3_T4_T5_mT6_P12ihipStream_tbENKUlT_T0_E_clISt17integral_constantIbLb0EESZ_EEDaSU_SV_EUlSU_E_NS1_11comp_targetILNS1_3genE3ELNS1_11target_archE908ELNS1_3gpuE7ELNS1_3repE0EEENS1_30default_config_static_selectorELNS0_4arch9wavefront6targetE0EEEvT1_.kd
    .uniform_work_group_size: 1
    .uses_dynamic_stack: false
    .vgpr_count:     0
    .vgpr_spill_count: 0
    .wavefront_size: 32
    .workgroup_processor_mode: 1
  - .args:
      - .offset:         0
        .size:           104
        .value_kind:     by_value
    .group_segment_fixed_size: 0
    .kernarg_segment_align: 8
    .kernarg_segment_size: 104
    .language:       OpenCL C
    .language_version:
      - 2
      - 0
    .max_flat_workgroup_size: 64
    .name:           _ZN7rocprim17ROCPRIM_400000_NS6detail17trampoline_kernelINS0_14default_configENS1_20scan_config_selectorIN3c107complexIfEEEEZZNS1_9scan_implILNS1_25lookback_scan_determinismE0ELb0ELb0ES3_PKS7_PS7_S7_ZZZN2at6native31launch_logcumsumexp_cuda_kernelERKNSE_10TensorBaseESI_lENKUlvE_clEvENKUlvE2_clEvEUlS7_S7_E_S7_EEDaPvRmT3_T4_T5_mT6_P12ihipStream_tbENKUlT_T0_E_clISt17integral_constantIbLb0EESZ_EEDaSU_SV_EUlSU_E_NS1_11comp_targetILNS1_3genE2ELNS1_11target_archE906ELNS1_3gpuE6ELNS1_3repE0EEENS1_30default_config_static_selectorELNS0_4arch9wavefront6targetE0EEEvT1_
    .private_segment_fixed_size: 0
    .sgpr_count:     0
    .sgpr_spill_count: 0
    .symbol:         _ZN7rocprim17ROCPRIM_400000_NS6detail17trampoline_kernelINS0_14default_configENS1_20scan_config_selectorIN3c107complexIfEEEEZZNS1_9scan_implILNS1_25lookback_scan_determinismE0ELb0ELb0ES3_PKS7_PS7_S7_ZZZN2at6native31launch_logcumsumexp_cuda_kernelERKNSE_10TensorBaseESI_lENKUlvE_clEvENKUlvE2_clEvEUlS7_S7_E_S7_EEDaPvRmT3_T4_T5_mT6_P12ihipStream_tbENKUlT_T0_E_clISt17integral_constantIbLb0EESZ_EEDaSU_SV_EUlSU_E_NS1_11comp_targetILNS1_3genE2ELNS1_11target_archE906ELNS1_3gpuE6ELNS1_3repE0EEENS1_30default_config_static_selectorELNS0_4arch9wavefront6targetE0EEEvT1_.kd
    .uniform_work_group_size: 1
    .uses_dynamic_stack: false
    .vgpr_count:     0
    .vgpr_spill_count: 0
    .wavefront_size: 32
    .workgroup_processor_mode: 1
  - .args:
      - .offset:         0
        .size:           104
        .value_kind:     by_value
    .group_segment_fixed_size: 33792
    .kernarg_segment_align: 8
    .kernarg_segment_size: 104
    .language:       OpenCL C
    .language_version:
      - 2
      - 0
    .max_flat_workgroup_size: 256
    .name:           _ZN7rocprim17ROCPRIM_400000_NS6detail17trampoline_kernelINS0_14default_configENS1_20scan_config_selectorIN3c107complexIfEEEEZZNS1_9scan_implILNS1_25lookback_scan_determinismE0ELb0ELb0ES3_PKS7_PS7_S7_ZZZN2at6native31launch_logcumsumexp_cuda_kernelERKNSE_10TensorBaseESI_lENKUlvE_clEvENKUlvE2_clEvEUlS7_S7_E_S7_EEDaPvRmT3_T4_T5_mT6_P12ihipStream_tbENKUlT_T0_E_clISt17integral_constantIbLb0EESZ_EEDaSU_SV_EUlSU_E_NS1_11comp_targetILNS1_3genE10ELNS1_11target_archE1201ELNS1_3gpuE5ELNS1_3repE0EEENS1_30default_config_static_selectorELNS0_4arch9wavefront6targetE0EEEvT1_
    .private_segment_fixed_size: 0
    .sgpr_count:     36
    .sgpr_spill_count: 0
    .symbol:         _ZN7rocprim17ROCPRIM_400000_NS6detail17trampoline_kernelINS0_14default_configENS1_20scan_config_selectorIN3c107complexIfEEEEZZNS1_9scan_implILNS1_25lookback_scan_determinismE0ELb0ELb0ES3_PKS7_PS7_S7_ZZZN2at6native31launch_logcumsumexp_cuda_kernelERKNSE_10TensorBaseESI_lENKUlvE_clEvENKUlvE2_clEvEUlS7_S7_E_S7_EEDaPvRmT3_T4_T5_mT6_P12ihipStream_tbENKUlT_T0_E_clISt17integral_constantIbLb0EESZ_EEDaSU_SV_EUlSU_E_NS1_11comp_targetILNS1_3genE10ELNS1_11target_archE1201ELNS1_3gpuE5ELNS1_3repE0EEENS1_30default_config_static_selectorELNS0_4arch9wavefront6targetE0EEEvT1_.kd
    .uniform_work_group_size: 1
    .uses_dynamic_stack: false
    .vgpr_count:     110
    .vgpr_spill_count: 0
    .wavefront_size: 32
    .workgroup_processor_mode: 1
  - .args:
      - .offset:         0
        .size:           104
        .value_kind:     by_value
    .group_segment_fixed_size: 0
    .kernarg_segment_align: 8
    .kernarg_segment_size: 104
    .language:       OpenCL C
    .language_version:
      - 2
      - 0
    .max_flat_workgroup_size: 256
    .name:           _ZN7rocprim17ROCPRIM_400000_NS6detail17trampoline_kernelINS0_14default_configENS1_20scan_config_selectorIN3c107complexIfEEEEZZNS1_9scan_implILNS1_25lookback_scan_determinismE0ELb0ELb0ES3_PKS7_PS7_S7_ZZZN2at6native31launch_logcumsumexp_cuda_kernelERKNSE_10TensorBaseESI_lENKUlvE_clEvENKUlvE2_clEvEUlS7_S7_E_S7_EEDaPvRmT3_T4_T5_mT6_P12ihipStream_tbENKUlT_T0_E_clISt17integral_constantIbLb0EESZ_EEDaSU_SV_EUlSU_E_NS1_11comp_targetILNS1_3genE10ELNS1_11target_archE1200ELNS1_3gpuE4ELNS1_3repE0EEENS1_30default_config_static_selectorELNS0_4arch9wavefront6targetE0EEEvT1_
    .private_segment_fixed_size: 0
    .sgpr_count:     0
    .sgpr_spill_count: 0
    .symbol:         _ZN7rocprim17ROCPRIM_400000_NS6detail17trampoline_kernelINS0_14default_configENS1_20scan_config_selectorIN3c107complexIfEEEEZZNS1_9scan_implILNS1_25lookback_scan_determinismE0ELb0ELb0ES3_PKS7_PS7_S7_ZZZN2at6native31launch_logcumsumexp_cuda_kernelERKNSE_10TensorBaseESI_lENKUlvE_clEvENKUlvE2_clEvEUlS7_S7_E_S7_EEDaPvRmT3_T4_T5_mT6_P12ihipStream_tbENKUlT_T0_E_clISt17integral_constantIbLb0EESZ_EEDaSU_SV_EUlSU_E_NS1_11comp_targetILNS1_3genE10ELNS1_11target_archE1200ELNS1_3gpuE4ELNS1_3repE0EEENS1_30default_config_static_selectorELNS0_4arch9wavefront6targetE0EEEvT1_.kd
    .uniform_work_group_size: 1
    .uses_dynamic_stack: false
    .vgpr_count:     0
    .vgpr_spill_count: 0
    .wavefront_size: 32
    .workgroup_processor_mode: 1
  - .args:
      - .offset:         0
        .size:           104
        .value_kind:     by_value
    .group_segment_fixed_size: 0
    .kernarg_segment_align: 8
    .kernarg_segment_size: 104
    .language:       OpenCL C
    .language_version:
      - 2
      - 0
    .max_flat_workgroup_size: 256
    .name:           _ZN7rocprim17ROCPRIM_400000_NS6detail17trampoline_kernelINS0_14default_configENS1_20scan_config_selectorIN3c107complexIfEEEEZZNS1_9scan_implILNS1_25lookback_scan_determinismE0ELb0ELb0ES3_PKS7_PS7_S7_ZZZN2at6native31launch_logcumsumexp_cuda_kernelERKNSE_10TensorBaseESI_lENKUlvE_clEvENKUlvE2_clEvEUlS7_S7_E_S7_EEDaPvRmT3_T4_T5_mT6_P12ihipStream_tbENKUlT_T0_E_clISt17integral_constantIbLb0EESZ_EEDaSU_SV_EUlSU_E_NS1_11comp_targetILNS1_3genE9ELNS1_11target_archE1100ELNS1_3gpuE3ELNS1_3repE0EEENS1_30default_config_static_selectorELNS0_4arch9wavefront6targetE0EEEvT1_
    .private_segment_fixed_size: 0
    .sgpr_count:     0
    .sgpr_spill_count: 0
    .symbol:         _ZN7rocprim17ROCPRIM_400000_NS6detail17trampoline_kernelINS0_14default_configENS1_20scan_config_selectorIN3c107complexIfEEEEZZNS1_9scan_implILNS1_25lookback_scan_determinismE0ELb0ELb0ES3_PKS7_PS7_S7_ZZZN2at6native31launch_logcumsumexp_cuda_kernelERKNSE_10TensorBaseESI_lENKUlvE_clEvENKUlvE2_clEvEUlS7_S7_E_S7_EEDaPvRmT3_T4_T5_mT6_P12ihipStream_tbENKUlT_T0_E_clISt17integral_constantIbLb0EESZ_EEDaSU_SV_EUlSU_E_NS1_11comp_targetILNS1_3genE9ELNS1_11target_archE1100ELNS1_3gpuE3ELNS1_3repE0EEENS1_30default_config_static_selectorELNS0_4arch9wavefront6targetE0EEEvT1_.kd
    .uniform_work_group_size: 1
    .uses_dynamic_stack: false
    .vgpr_count:     0
    .vgpr_spill_count: 0
    .wavefront_size: 32
    .workgroup_processor_mode: 1
  - .args:
      - .offset:         0
        .size:           104
        .value_kind:     by_value
    .group_segment_fixed_size: 0
    .kernarg_segment_align: 8
    .kernarg_segment_size: 104
    .language:       OpenCL C
    .language_version:
      - 2
      - 0
    .max_flat_workgroup_size: 256
    .name:           _ZN7rocprim17ROCPRIM_400000_NS6detail17trampoline_kernelINS0_14default_configENS1_20scan_config_selectorIN3c107complexIfEEEEZZNS1_9scan_implILNS1_25lookback_scan_determinismE0ELb0ELb0ES3_PKS7_PS7_S7_ZZZN2at6native31launch_logcumsumexp_cuda_kernelERKNSE_10TensorBaseESI_lENKUlvE_clEvENKUlvE2_clEvEUlS7_S7_E_S7_EEDaPvRmT3_T4_T5_mT6_P12ihipStream_tbENKUlT_T0_E_clISt17integral_constantIbLb0EESZ_EEDaSU_SV_EUlSU_E_NS1_11comp_targetILNS1_3genE8ELNS1_11target_archE1030ELNS1_3gpuE2ELNS1_3repE0EEENS1_30default_config_static_selectorELNS0_4arch9wavefront6targetE0EEEvT1_
    .private_segment_fixed_size: 0
    .sgpr_count:     0
    .sgpr_spill_count: 0
    .symbol:         _ZN7rocprim17ROCPRIM_400000_NS6detail17trampoline_kernelINS0_14default_configENS1_20scan_config_selectorIN3c107complexIfEEEEZZNS1_9scan_implILNS1_25lookback_scan_determinismE0ELb0ELb0ES3_PKS7_PS7_S7_ZZZN2at6native31launch_logcumsumexp_cuda_kernelERKNSE_10TensorBaseESI_lENKUlvE_clEvENKUlvE2_clEvEUlS7_S7_E_S7_EEDaPvRmT3_T4_T5_mT6_P12ihipStream_tbENKUlT_T0_E_clISt17integral_constantIbLb0EESZ_EEDaSU_SV_EUlSU_E_NS1_11comp_targetILNS1_3genE8ELNS1_11target_archE1030ELNS1_3gpuE2ELNS1_3repE0EEENS1_30default_config_static_selectorELNS0_4arch9wavefront6targetE0EEEvT1_.kd
    .uniform_work_group_size: 1
    .uses_dynamic_stack: false
    .vgpr_count:     0
    .vgpr_spill_count: 0
    .wavefront_size: 32
    .workgroup_processor_mode: 1
  - .args:
      - .offset:         0
        .size:           40
        .value_kind:     by_value
    .group_segment_fixed_size: 0
    .kernarg_segment_align: 8
    .kernarg_segment_size: 40
    .language:       OpenCL C
    .language_version:
      - 2
      - 0
    .max_flat_workgroup_size: 128
    .name:           _ZN7rocprim17ROCPRIM_400000_NS6detail17trampoline_kernelINS0_14default_configENS1_25transform_config_selectorIN3c107complexIfEELb1EEEZNS1_14transform_implILb1ES3_S8_PS7_SA_NS0_8identityIS7_EEEE10hipError_tT2_T3_mT4_P12ihipStream_tbEUlT_E_NS1_11comp_targetILNS1_3genE0ELNS1_11target_archE4294967295ELNS1_3gpuE0ELNS1_3repE0EEENS1_30default_config_static_selectorELNS0_4arch9wavefront6targetE0EEEvT1_
    .private_segment_fixed_size: 0
    .sgpr_count:     0
    .sgpr_spill_count: 0
    .symbol:         _ZN7rocprim17ROCPRIM_400000_NS6detail17trampoline_kernelINS0_14default_configENS1_25transform_config_selectorIN3c107complexIfEELb1EEEZNS1_14transform_implILb1ES3_S8_PS7_SA_NS0_8identityIS7_EEEE10hipError_tT2_T3_mT4_P12ihipStream_tbEUlT_E_NS1_11comp_targetILNS1_3genE0ELNS1_11target_archE4294967295ELNS1_3gpuE0ELNS1_3repE0EEENS1_30default_config_static_selectorELNS0_4arch9wavefront6targetE0EEEvT1_.kd
    .uniform_work_group_size: 1
    .uses_dynamic_stack: false
    .vgpr_count:     0
    .vgpr_spill_count: 0
    .wavefront_size: 32
    .workgroup_processor_mode: 1
  - .args:
      - .offset:         0
        .size:           40
        .value_kind:     by_value
      - .offset:         40
        .size:           4
        .value_kind:     hidden_block_count_x
      - .offset:         44
        .size:           4
        .value_kind:     hidden_block_count_y
      - .offset:         48
        .size:           4
        .value_kind:     hidden_block_count_z
      - .offset:         52
        .size:           2
        .value_kind:     hidden_group_size_x
      - .offset:         54
        .size:           2
        .value_kind:     hidden_group_size_y
      - .offset:         56
        .size:           2
        .value_kind:     hidden_group_size_z
      - .offset:         58
        .size:           2
        .value_kind:     hidden_remainder_x
      - .offset:         60
        .size:           2
        .value_kind:     hidden_remainder_y
      - .offset:         62
        .size:           2
        .value_kind:     hidden_remainder_z
      - .offset:         80
        .size:           8
        .value_kind:     hidden_global_offset_x
      - .offset:         88
        .size:           8
        .value_kind:     hidden_global_offset_y
      - .offset:         96
        .size:           8
        .value_kind:     hidden_global_offset_z
      - .offset:         104
        .size:           2
        .value_kind:     hidden_grid_dims
    .group_segment_fixed_size: 0
    .kernarg_segment_align: 8
    .kernarg_segment_size: 296
    .language:       OpenCL C
    .language_version:
      - 2
      - 0
    .max_flat_workgroup_size: 1024
    .name:           _ZN7rocprim17ROCPRIM_400000_NS6detail17trampoline_kernelINS0_14default_configENS1_25transform_config_selectorIN3c107complexIfEELb1EEEZNS1_14transform_implILb1ES3_S8_PS7_SA_NS0_8identityIS7_EEEE10hipError_tT2_T3_mT4_P12ihipStream_tbEUlT_E_NS1_11comp_targetILNS1_3genE10ELNS1_11target_archE1201ELNS1_3gpuE5ELNS1_3repE0EEENS1_30default_config_static_selectorELNS0_4arch9wavefront6targetE0EEEvT1_
    .private_segment_fixed_size: 0
    .sgpr_count:     15
    .sgpr_spill_count: 0
    .symbol:         _ZN7rocprim17ROCPRIM_400000_NS6detail17trampoline_kernelINS0_14default_configENS1_25transform_config_selectorIN3c107complexIfEELb1EEEZNS1_14transform_implILb1ES3_S8_PS7_SA_NS0_8identityIS7_EEEE10hipError_tT2_T3_mT4_P12ihipStream_tbEUlT_E_NS1_11comp_targetILNS1_3genE10ELNS1_11target_archE1201ELNS1_3gpuE5ELNS1_3repE0EEENS1_30default_config_static_selectorELNS0_4arch9wavefront6targetE0EEEvT1_.kd
    .uniform_work_group_size: 1
    .uses_dynamic_stack: false
    .vgpr_count:     7
    .vgpr_spill_count: 0
    .wavefront_size: 32
    .workgroup_processor_mode: 1
  - .args:
      - .offset:         0
        .size:           40
        .value_kind:     by_value
    .group_segment_fixed_size: 0
    .kernarg_segment_align: 8
    .kernarg_segment_size: 40
    .language:       OpenCL C
    .language_version:
      - 2
      - 0
    .max_flat_workgroup_size: 512
    .name:           _ZN7rocprim17ROCPRIM_400000_NS6detail17trampoline_kernelINS0_14default_configENS1_25transform_config_selectorIN3c107complexIfEELb1EEEZNS1_14transform_implILb1ES3_S8_PS7_SA_NS0_8identityIS7_EEEE10hipError_tT2_T3_mT4_P12ihipStream_tbEUlT_E_NS1_11comp_targetILNS1_3genE5ELNS1_11target_archE942ELNS1_3gpuE9ELNS1_3repE0EEENS1_30default_config_static_selectorELNS0_4arch9wavefront6targetE0EEEvT1_
    .private_segment_fixed_size: 0
    .sgpr_count:     0
    .sgpr_spill_count: 0
    .symbol:         _ZN7rocprim17ROCPRIM_400000_NS6detail17trampoline_kernelINS0_14default_configENS1_25transform_config_selectorIN3c107complexIfEELb1EEEZNS1_14transform_implILb1ES3_S8_PS7_SA_NS0_8identityIS7_EEEE10hipError_tT2_T3_mT4_P12ihipStream_tbEUlT_E_NS1_11comp_targetILNS1_3genE5ELNS1_11target_archE942ELNS1_3gpuE9ELNS1_3repE0EEENS1_30default_config_static_selectorELNS0_4arch9wavefront6targetE0EEEvT1_.kd
    .uniform_work_group_size: 1
    .uses_dynamic_stack: false
    .vgpr_count:     0
    .vgpr_spill_count: 0
    .wavefront_size: 32
    .workgroup_processor_mode: 1
  - .args:
      - .offset:         0
        .size:           40
        .value_kind:     by_value
    .group_segment_fixed_size: 0
    .kernarg_segment_align: 8
    .kernarg_segment_size: 40
    .language:       OpenCL C
    .language_version:
      - 2
      - 0
    .max_flat_workgroup_size: 1024
    .name:           _ZN7rocprim17ROCPRIM_400000_NS6detail17trampoline_kernelINS0_14default_configENS1_25transform_config_selectorIN3c107complexIfEELb1EEEZNS1_14transform_implILb1ES3_S8_PS7_SA_NS0_8identityIS7_EEEE10hipError_tT2_T3_mT4_P12ihipStream_tbEUlT_E_NS1_11comp_targetILNS1_3genE4ELNS1_11target_archE910ELNS1_3gpuE8ELNS1_3repE0EEENS1_30default_config_static_selectorELNS0_4arch9wavefront6targetE0EEEvT1_
    .private_segment_fixed_size: 0
    .sgpr_count:     0
    .sgpr_spill_count: 0
    .symbol:         _ZN7rocprim17ROCPRIM_400000_NS6detail17trampoline_kernelINS0_14default_configENS1_25transform_config_selectorIN3c107complexIfEELb1EEEZNS1_14transform_implILb1ES3_S8_PS7_SA_NS0_8identityIS7_EEEE10hipError_tT2_T3_mT4_P12ihipStream_tbEUlT_E_NS1_11comp_targetILNS1_3genE4ELNS1_11target_archE910ELNS1_3gpuE8ELNS1_3repE0EEENS1_30default_config_static_selectorELNS0_4arch9wavefront6targetE0EEEvT1_.kd
    .uniform_work_group_size: 1
    .uses_dynamic_stack: false
    .vgpr_count:     0
    .vgpr_spill_count: 0
    .wavefront_size: 32
    .workgroup_processor_mode: 1
  - .args:
      - .offset:         0
        .size:           40
        .value_kind:     by_value
    .group_segment_fixed_size: 0
    .kernarg_segment_align: 8
    .kernarg_segment_size: 40
    .language:       OpenCL C
    .language_version:
      - 2
      - 0
    .max_flat_workgroup_size: 128
    .name:           _ZN7rocprim17ROCPRIM_400000_NS6detail17trampoline_kernelINS0_14default_configENS1_25transform_config_selectorIN3c107complexIfEELb1EEEZNS1_14transform_implILb1ES3_S8_PS7_SA_NS0_8identityIS7_EEEE10hipError_tT2_T3_mT4_P12ihipStream_tbEUlT_E_NS1_11comp_targetILNS1_3genE3ELNS1_11target_archE908ELNS1_3gpuE7ELNS1_3repE0EEENS1_30default_config_static_selectorELNS0_4arch9wavefront6targetE0EEEvT1_
    .private_segment_fixed_size: 0
    .sgpr_count:     0
    .sgpr_spill_count: 0
    .symbol:         _ZN7rocprim17ROCPRIM_400000_NS6detail17trampoline_kernelINS0_14default_configENS1_25transform_config_selectorIN3c107complexIfEELb1EEEZNS1_14transform_implILb1ES3_S8_PS7_SA_NS0_8identityIS7_EEEE10hipError_tT2_T3_mT4_P12ihipStream_tbEUlT_E_NS1_11comp_targetILNS1_3genE3ELNS1_11target_archE908ELNS1_3gpuE7ELNS1_3repE0EEENS1_30default_config_static_selectorELNS0_4arch9wavefront6targetE0EEEvT1_.kd
    .uniform_work_group_size: 1
    .uses_dynamic_stack: false
    .vgpr_count:     0
    .vgpr_spill_count: 0
    .wavefront_size: 32
    .workgroup_processor_mode: 1
  - .args:
      - .offset:         0
        .size:           40
        .value_kind:     by_value
    .group_segment_fixed_size: 0
    .kernarg_segment_align: 8
    .kernarg_segment_size: 40
    .language:       OpenCL C
    .language_version:
      - 2
      - 0
    .max_flat_workgroup_size: 512
    .name:           _ZN7rocprim17ROCPRIM_400000_NS6detail17trampoline_kernelINS0_14default_configENS1_25transform_config_selectorIN3c107complexIfEELb1EEEZNS1_14transform_implILb1ES3_S8_PS7_SA_NS0_8identityIS7_EEEE10hipError_tT2_T3_mT4_P12ihipStream_tbEUlT_E_NS1_11comp_targetILNS1_3genE2ELNS1_11target_archE906ELNS1_3gpuE6ELNS1_3repE0EEENS1_30default_config_static_selectorELNS0_4arch9wavefront6targetE0EEEvT1_
    .private_segment_fixed_size: 0
    .sgpr_count:     0
    .sgpr_spill_count: 0
    .symbol:         _ZN7rocprim17ROCPRIM_400000_NS6detail17trampoline_kernelINS0_14default_configENS1_25transform_config_selectorIN3c107complexIfEELb1EEEZNS1_14transform_implILb1ES3_S8_PS7_SA_NS0_8identityIS7_EEEE10hipError_tT2_T3_mT4_P12ihipStream_tbEUlT_E_NS1_11comp_targetILNS1_3genE2ELNS1_11target_archE906ELNS1_3gpuE6ELNS1_3repE0EEENS1_30default_config_static_selectorELNS0_4arch9wavefront6targetE0EEEvT1_.kd
    .uniform_work_group_size: 1
    .uses_dynamic_stack: false
    .vgpr_count:     0
    .vgpr_spill_count: 0
    .wavefront_size: 32
    .workgroup_processor_mode: 1
  - .args:
      - .offset:         0
        .size:           40
        .value_kind:     by_value
    .group_segment_fixed_size: 0
    .kernarg_segment_align: 8
    .kernarg_segment_size: 40
    .language:       OpenCL C
    .language_version:
      - 2
      - 0
    .max_flat_workgroup_size: 1024
    .name:           _ZN7rocprim17ROCPRIM_400000_NS6detail17trampoline_kernelINS0_14default_configENS1_25transform_config_selectorIN3c107complexIfEELb1EEEZNS1_14transform_implILb1ES3_S8_PS7_SA_NS0_8identityIS7_EEEE10hipError_tT2_T3_mT4_P12ihipStream_tbEUlT_E_NS1_11comp_targetILNS1_3genE9ELNS1_11target_archE1100ELNS1_3gpuE3ELNS1_3repE0EEENS1_30default_config_static_selectorELNS0_4arch9wavefront6targetE0EEEvT1_
    .private_segment_fixed_size: 0
    .sgpr_count:     0
    .sgpr_spill_count: 0
    .symbol:         _ZN7rocprim17ROCPRIM_400000_NS6detail17trampoline_kernelINS0_14default_configENS1_25transform_config_selectorIN3c107complexIfEELb1EEEZNS1_14transform_implILb1ES3_S8_PS7_SA_NS0_8identityIS7_EEEE10hipError_tT2_T3_mT4_P12ihipStream_tbEUlT_E_NS1_11comp_targetILNS1_3genE9ELNS1_11target_archE1100ELNS1_3gpuE3ELNS1_3repE0EEENS1_30default_config_static_selectorELNS0_4arch9wavefront6targetE0EEEvT1_.kd
    .uniform_work_group_size: 1
    .uses_dynamic_stack: false
    .vgpr_count:     0
    .vgpr_spill_count: 0
    .wavefront_size: 32
    .workgroup_processor_mode: 1
  - .args:
      - .offset:         0
        .size:           40
        .value_kind:     by_value
    .group_segment_fixed_size: 0
    .kernarg_segment_align: 8
    .kernarg_segment_size: 40
    .language:       OpenCL C
    .language_version:
      - 2
      - 0
    .max_flat_workgroup_size: 1024
    .name:           _ZN7rocprim17ROCPRIM_400000_NS6detail17trampoline_kernelINS0_14default_configENS1_25transform_config_selectorIN3c107complexIfEELb1EEEZNS1_14transform_implILb1ES3_S8_PS7_SA_NS0_8identityIS7_EEEE10hipError_tT2_T3_mT4_P12ihipStream_tbEUlT_E_NS1_11comp_targetILNS1_3genE8ELNS1_11target_archE1030ELNS1_3gpuE2ELNS1_3repE0EEENS1_30default_config_static_selectorELNS0_4arch9wavefront6targetE0EEEvT1_
    .private_segment_fixed_size: 0
    .sgpr_count:     0
    .sgpr_spill_count: 0
    .symbol:         _ZN7rocprim17ROCPRIM_400000_NS6detail17trampoline_kernelINS0_14default_configENS1_25transform_config_selectorIN3c107complexIfEELb1EEEZNS1_14transform_implILb1ES3_S8_PS7_SA_NS0_8identityIS7_EEEE10hipError_tT2_T3_mT4_P12ihipStream_tbEUlT_E_NS1_11comp_targetILNS1_3genE8ELNS1_11target_archE1030ELNS1_3gpuE2ELNS1_3repE0EEENS1_30default_config_static_selectorELNS0_4arch9wavefront6targetE0EEEvT1_.kd
    .uniform_work_group_size: 1
    .uses_dynamic_stack: false
    .vgpr_count:     0
    .vgpr_spill_count: 0
    .wavefront_size: 32
    .workgroup_processor_mode: 1
  - .args:
      - .offset:         0
        .size:           40
        .value_kind:     by_value
    .group_segment_fixed_size: 0
    .kernarg_segment_align: 8
    .kernarg_segment_size: 40
    .language:       OpenCL C
    .language_version:
      - 2
      - 0
    .max_flat_workgroup_size: 256
    .name:           _ZN7rocprim17ROCPRIM_400000_NS6detail17trampoline_kernelINS0_14default_configENS1_20scan_config_selectorIN3c107complexIfEEEEZZNS1_9scan_implILNS1_25lookback_scan_determinismE0ELb0ELb0ES3_PKS7_PS7_S7_ZZZN2at6native31launch_logcumsumexp_cuda_kernelERKNSE_10TensorBaseESI_lENKUlvE_clEvENKUlvE2_clEvEUlS7_S7_E_S7_EEDaPvRmT3_T4_T5_mT6_P12ihipStream_tbENKUlT_T0_E_clISt17integral_constantIbLb0EESZ_EEDaSU_SV_EUlSU_E0_NS1_11comp_targetILNS1_3genE0ELNS1_11target_archE4294967295ELNS1_3gpuE0ELNS1_3repE0EEENS1_30default_config_static_selectorELNS0_4arch9wavefront6targetE0EEEvT1_
    .private_segment_fixed_size: 0
    .sgpr_count:     0
    .sgpr_spill_count: 0
    .symbol:         _ZN7rocprim17ROCPRIM_400000_NS6detail17trampoline_kernelINS0_14default_configENS1_20scan_config_selectorIN3c107complexIfEEEEZZNS1_9scan_implILNS1_25lookback_scan_determinismE0ELb0ELb0ES3_PKS7_PS7_S7_ZZZN2at6native31launch_logcumsumexp_cuda_kernelERKNSE_10TensorBaseESI_lENKUlvE_clEvENKUlvE2_clEvEUlS7_S7_E_S7_EEDaPvRmT3_T4_T5_mT6_P12ihipStream_tbENKUlT_T0_E_clISt17integral_constantIbLb0EESZ_EEDaSU_SV_EUlSU_E0_NS1_11comp_targetILNS1_3genE0ELNS1_11target_archE4294967295ELNS1_3gpuE0ELNS1_3repE0EEENS1_30default_config_static_selectorELNS0_4arch9wavefront6targetE0EEEvT1_.kd
    .uniform_work_group_size: 1
    .uses_dynamic_stack: false
    .vgpr_count:     0
    .vgpr_spill_count: 0
    .wavefront_size: 32
    .workgroup_processor_mode: 1
  - .args:
      - .offset:         0
        .size:           40
        .value_kind:     by_value
    .group_segment_fixed_size: 0
    .kernarg_segment_align: 8
    .kernarg_segment_size: 40
    .language:       OpenCL C
    .language_version:
      - 2
      - 0
    .max_flat_workgroup_size: 256
    .name:           _ZN7rocprim17ROCPRIM_400000_NS6detail17trampoline_kernelINS0_14default_configENS1_20scan_config_selectorIN3c107complexIfEEEEZZNS1_9scan_implILNS1_25lookback_scan_determinismE0ELb0ELb0ES3_PKS7_PS7_S7_ZZZN2at6native31launch_logcumsumexp_cuda_kernelERKNSE_10TensorBaseESI_lENKUlvE_clEvENKUlvE2_clEvEUlS7_S7_E_S7_EEDaPvRmT3_T4_T5_mT6_P12ihipStream_tbENKUlT_T0_E_clISt17integral_constantIbLb0EESZ_EEDaSU_SV_EUlSU_E0_NS1_11comp_targetILNS1_3genE5ELNS1_11target_archE942ELNS1_3gpuE9ELNS1_3repE0EEENS1_30default_config_static_selectorELNS0_4arch9wavefront6targetE0EEEvT1_
    .private_segment_fixed_size: 0
    .sgpr_count:     0
    .sgpr_spill_count: 0
    .symbol:         _ZN7rocprim17ROCPRIM_400000_NS6detail17trampoline_kernelINS0_14default_configENS1_20scan_config_selectorIN3c107complexIfEEEEZZNS1_9scan_implILNS1_25lookback_scan_determinismE0ELb0ELb0ES3_PKS7_PS7_S7_ZZZN2at6native31launch_logcumsumexp_cuda_kernelERKNSE_10TensorBaseESI_lENKUlvE_clEvENKUlvE2_clEvEUlS7_S7_E_S7_EEDaPvRmT3_T4_T5_mT6_P12ihipStream_tbENKUlT_T0_E_clISt17integral_constantIbLb0EESZ_EEDaSU_SV_EUlSU_E0_NS1_11comp_targetILNS1_3genE5ELNS1_11target_archE942ELNS1_3gpuE9ELNS1_3repE0EEENS1_30default_config_static_selectorELNS0_4arch9wavefront6targetE0EEEvT1_.kd
    .uniform_work_group_size: 1
    .uses_dynamic_stack: false
    .vgpr_count:     0
    .vgpr_spill_count: 0
    .wavefront_size: 32
    .workgroup_processor_mode: 1
  - .args:
      - .offset:         0
        .size:           40
        .value_kind:     by_value
    .group_segment_fixed_size: 0
    .kernarg_segment_align: 8
    .kernarg_segment_size: 40
    .language:       OpenCL C
    .language_version:
      - 2
      - 0
    .max_flat_workgroup_size: 128
    .name:           _ZN7rocprim17ROCPRIM_400000_NS6detail17trampoline_kernelINS0_14default_configENS1_20scan_config_selectorIN3c107complexIfEEEEZZNS1_9scan_implILNS1_25lookback_scan_determinismE0ELb0ELb0ES3_PKS7_PS7_S7_ZZZN2at6native31launch_logcumsumexp_cuda_kernelERKNSE_10TensorBaseESI_lENKUlvE_clEvENKUlvE2_clEvEUlS7_S7_E_S7_EEDaPvRmT3_T4_T5_mT6_P12ihipStream_tbENKUlT_T0_E_clISt17integral_constantIbLb0EESZ_EEDaSU_SV_EUlSU_E0_NS1_11comp_targetILNS1_3genE4ELNS1_11target_archE910ELNS1_3gpuE8ELNS1_3repE0EEENS1_30default_config_static_selectorELNS0_4arch9wavefront6targetE0EEEvT1_
    .private_segment_fixed_size: 0
    .sgpr_count:     0
    .sgpr_spill_count: 0
    .symbol:         _ZN7rocprim17ROCPRIM_400000_NS6detail17trampoline_kernelINS0_14default_configENS1_20scan_config_selectorIN3c107complexIfEEEEZZNS1_9scan_implILNS1_25lookback_scan_determinismE0ELb0ELb0ES3_PKS7_PS7_S7_ZZZN2at6native31launch_logcumsumexp_cuda_kernelERKNSE_10TensorBaseESI_lENKUlvE_clEvENKUlvE2_clEvEUlS7_S7_E_S7_EEDaPvRmT3_T4_T5_mT6_P12ihipStream_tbENKUlT_T0_E_clISt17integral_constantIbLb0EESZ_EEDaSU_SV_EUlSU_E0_NS1_11comp_targetILNS1_3genE4ELNS1_11target_archE910ELNS1_3gpuE8ELNS1_3repE0EEENS1_30default_config_static_selectorELNS0_4arch9wavefront6targetE0EEEvT1_.kd
    .uniform_work_group_size: 1
    .uses_dynamic_stack: false
    .vgpr_count:     0
    .vgpr_spill_count: 0
    .wavefront_size: 32
    .workgroup_processor_mode: 1
  - .args:
      - .offset:         0
        .size:           40
        .value_kind:     by_value
    .group_segment_fixed_size: 0
    .kernarg_segment_align: 8
    .kernarg_segment_size: 40
    .language:       OpenCL C
    .language_version:
      - 2
      - 0
    .max_flat_workgroup_size: 256
    .name:           _ZN7rocprim17ROCPRIM_400000_NS6detail17trampoline_kernelINS0_14default_configENS1_20scan_config_selectorIN3c107complexIfEEEEZZNS1_9scan_implILNS1_25lookback_scan_determinismE0ELb0ELb0ES3_PKS7_PS7_S7_ZZZN2at6native31launch_logcumsumexp_cuda_kernelERKNSE_10TensorBaseESI_lENKUlvE_clEvENKUlvE2_clEvEUlS7_S7_E_S7_EEDaPvRmT3_T4_T5_mT6_P12ihipStream_tbENKUlT_T0_E_clISt17integral_constantIbLb0EESZ_EEDaSU_SV_EUlSU_E0_NS1_11comp_targetILNS1_3genE3ELNS1_11target_archE908ELNS1_3gpuE7ELNS1_3repE0EEENS1_30default_config_static_selectorELNS0_4arch9wavefront6targetE0EEEvT1_
    .private_segment_fixed_size: 0
    .sgpr_count:     0
    .sgpr_spill_count: 0
    .symbol:         _ZN7rocprim17ROCPRIM_400000_NS6detail17trampoline_kernelINS0_14default_configENS1_20scan_config_selectorIN3c107complexIfEEEEZZNS1_9scan_implILNS1_25lookback_scan_determinismE0ELb0ELb0ES3_PKS7_PS7_S7_ZZZN2at6native31launch_logcumsumexp_cuda_kernelERKNSE_10TensorBaseESI_lENKUlvE_clEvENKUlvE2_clEvEUlS7_S7_E_S7_EEDaPvRmT3_T4_T5_mT6_P12ihipStream_tbENKUlT_T0_E_clISt17integral_constantIbLb0EESZ_EEDaSU_SV_EUlSU_E0_NS1_11comp_targetILNS1_3genE3ELNS1_11target_archE908ELNS1_3gpuE7ELNS1_3repE0EEENS1_30default_config_static_selectorELNS0_4arch9wavefront6targetE0EEEvT1_.kd
    .uniform_work_group_size: 1
    .uses_dynamic_stack: false
    .vgpr_count:     0
    .vgpr_spill_count: 0
    .wavefront_size: 32
    .workgroup_processor_mode: 1
  - .args:
      - .offset:         0
        .size:           40
        .value_kind:     by_value
    .group_segment_fixed_size: 0
    .kernarg_segment_align: 8
    .kernarg_segment_size: 40
    .language:       OpenCL C
    .language_version:
      - 2
      - 0
    .max_flat_workgroup_size: 64
    .name:           _ZN7rocprim17ROCPRIM_400000_NS6detail17trampoline_kernelINS0_14default_configENS1_20scan_config_selectorIN3c107complexIfEEEEZZNS1_9scan_implILNS1_25lookback_scan_determinismE0ELb0ELb0ES3_PKS7_PS7_S7_ZZZN2at6native31launch_logcumsumexp_cuda_kernelERKNSE_10TensorBaseESI_lENKUlvE_clEvENKUlvE2_clEvEUlS7_S7_E_S7_EEDaPvRmT3_T4_T5_mT6_P12ihipStream_tbENKUlT_T0_E_clISt17integral_constantIbLb0EESZ_EEDaSU_SV_EUlSU_E0_NS1_11comp_targetILNS1_3genE2ELNS1_11target_archE906ELNS1_3gpuE6ELNS1_3repE0EEENS1_30default_config_static_selectorELNS0_4arch9wavefront6targetE0EEEvT1_
    .private_segment_fixed_size: 0
    .sgpr_count:     0
    .sgpr_spill_count: 0
    .symbol:         _ZN7rocprim17ROCPRIM_400000_NS6detail17trampoline_kernelINS0_14default_configENS1_20scan_config_selectorIN3c107complexIfEEEEZZNS1_9scan_implILNS1_25lookback_scan_determinismE0ELb0ELb0ES3_PKS7_PS7_S7_ZZZN2at6native31launch_logcumsumexp_cuda_kernelERKNSE_10TensorBaseESI_lENKUlvE_clEvENKUlvE2_clEvEUlS7_S7_E_S7_EEDaPvRmT3_T4_T5_mT6_P12ihipStream_tbENKUlT_T0_E_clISt17integral_constantIbLb0EESZ_EEDaSU_SV_EUlSU_E0_NS1_11comp_targetILNS1_3genE2ELNS1_11target_archE906ELNS1_3gpuE6ELNS1_3repE0EEENS1_30default_config_static_selectorELNS0_4arch9wavefront6targetE0EEEvT1_.kd
    .uniform_work_group_size: 1
    .uses_dynamic_stack: false
    .vgpr_count:     0
    .vgpr_spill_count: 0
    .wavefront_size: 32
    .workgroup_processor_mode: 1
  - .args:
      - .offset:         0
        .size:           40
        .value_kind:     by_value
    .group_segment_fixed_size: 33792
    .kernarg_segment_align: 8
    .kernarg_segment_size: 40
    .language:       OpenCL C
    .language_version:
      - 2
      - 0
    .max_flat_workgroup_size: 256
    .name:           _ZN7rocprim17ROCPRIM_400000_NS6detail17trampoline_kernelINS0_14default_configENS1_20scan_config_selectorIN3c107complexIfEEEEZZNS1_9scan_implILNS1_25lookback_scan_determinismE0ELb0ELb0ES3_PKS7_PS7_S7_ZZZN2at6native31launch_logcumsumexp_cuda_kernelERKNSE_10TensorBaseESI_lENKUlvE_clEvENKUlvE2_clEvEUlS7_S7_E_S7_EEDaPvRmT3_T4_T5_mT6_P12ihipStream_tbENKUlT_T0_E_clISt17integral_constantIbLb0EESZ_EEDaSU_SV_EUlSU_E0_NS1_11comp_targetILNS1_3genE10ELNS1_11target_archE1201ELNS1_3gpuE5ELNS1_3repE0EEENS1_30default_config_static_selectorELNS0_4arch9wavefront6targetE0EEEvT1_
    .private_segment_fixed_size: 0
    .sgpr_count:     35
    .sgpr_spill_count: 0
    .symbol:         _ZN7rocprim17ROCPRIM_400000_NS6detail17trampoline_kernelINS0_14default_configENS1_20scan_config_selectorIN3c107complexIfEEEEZZNS1_9scan_implILNS1_25lookback_scan_determinismE0ELb0ELb0ES3_PKS7_PS7_S7_ZZZN2at6native31launch_logcumsumexp_cuda_kernelERKNSE_10TensorBaseESI_lENKUlvE_clEvENKUlvE2_clEvEUlS7_S7_E_S7_EEDaPvRmT3_T4_T5_mT6_P12ihipStream_tbENKUlT_T0_E_clISt17integral_constantIbLb0EESZ_EEDaSU_SV_EUlSU_E0_NS1_11comp_targetILNS1_3genE10ELNS1_11target_archE1201ELNS1_3gpuE5ELNS1_3repE0EEENS1_30default_config_static_selectorELNS0_4arch9wavefront6targetE0EEEvT1_.kd
    .uniform_work_group_size: 1
    .uses_dynamic_stack: false
    .vgpr_count:     110
    .vgpr_spill_count: 0
    .wavefront_size: 32
    .workgroup_processor_mode: 1
  - .args:
      - .offset:         0
        .size:           40
        .value_kind:     by_value
    .group_segment_fixed_size: 0
    .kernarg_segment_align: 8
    .kernarg_segment_size: 40
    .language:       OpenCL C
    .language_version:
      - 2
      - 0
    .max_flat_workgroup_size: 256
    .name:           _ZN7rocprim17ROCPRIM_400000_NS6detail17trampoline_kernelINS0_14default_configENS1_20scan_config_selectorIN3c107complexIfEEEEZZNS1_9scan_implILNS1_25lookback_scan_determinismE0ELb0ELb0ES3_PKS7_PS7_S7_ZZZN2at6native31launch_logcumsumexp_cuda_kernelERKNSE_10TensorBaseESI_lENKUlvE_clEvENKUlvE2_clEvEUlS7_S7_E_S7_EEDaPvRmT3_T4_T5_mT6_P12ihipStream_tbENKUlT_T0_E_clISt17integral_constantIbLb0EESZ_EEDaSU_SV_EUlSU_E0_NS1_11comp_targetILNS1_3genE10ELNS1_11target_archE1200ELNS1_3gpuE4ELNS1_3repE0EEENS1_30default_config_static_selectorELNS0_4arch9wavefront6targetE0EEEvT1_
    .private_segment_fixed_size: 0
    .sgpr_count:     0
    .sgpr_spill_count: 0
    .symbol:         _ZN7rocprim17ROCPRIM_400000_NS6detail17trampoline_kernelINS0_14default_configENS1_20scan_config_selectorIN3c107complexIfEEEEZZNS1_9scan_implILNS1_25lookback_scan_determinismE0ELb0ELb0ES3_PKS7_PS7_S7_ZZZN2at6native31launch_logcumsumexp_cuda_kernelERKNSE_10TensorBaseESI_lENKUlvE_clEvENKUlvE2_clEvEUlS7_S7_E_S7_EEDaPvRmT3_T4_T5_mT6_P12ihipStream_tbENKUlT_T0_E_clISt17integral_constantIbLb0EESZ_EEDaSU_SV_EUlSU_E0_NS1_11comp_targetILNS1_3genE10ELNS1_11target_archE1200ELNS1_3gpuE4ELNS1_3repE0EEENS1_30default_config_static_selectorELNS0_4arch9wavefront6targetE0EEEvT1_.kd
    .uniform_work_group_size: 1
    .uses_dynamic_stack: false
    .vgpr_count:     0
    .vgpr_spill_count: 0
    .wavefront_size: 32
    .workgroup_processor_mode: 1
  - .args:
      - .offset:         0
        .size:           40
        .value_kind:     by_value
    .group_segment_fixed_size: 0
    .kernarg_segment_align: 8
    .kernarg_segment_size: 40
    .language:       OpenCL C
    .language_version:
      - 2
      - 0
    .max_flat_workgroup_size: 256
    .name:           _ZN7rocprim17ROCPRIM_400000_NS6detail17trampoline_kernelINS0_14default_configENS1_20scan_config_selectorIN3c107complexIfEEEEZZNS1_9scan_implILNS1_25lookback_scan_determinismE0ELb0ELb0ES3_PKS7_PS7_S7_ZZZN2at6native31launch_logcumsumexp_cuda_kernelERKNSE_10TensorBaseESI_lENKUlvE_clEvENKUlvE2_clEvEUlS7_S7_E_S7_EEDaPvRmT3_T4_T5_mT6_P12ihipStream_tbENKUlT_T0_E_clISt17integral_constantIbLb0EESZ_EEDaSU_SV_EUlSU_E0_NS1_11comp_targetILNS1_3genE9ELNS1_11target_archE1100ELNS1_3gpuE3ELNS1_3repE0EEENS1_30default_config_static_selectorELNS0_4arch9wavefront6targetE0EEEvT1_
    .private_segment_fixed_size: 0
    .sgpr_count:     0
    .sgpr_spill_count: 0
    .symbol:         _ZN7rocprim17ROCPRIM_400000_NS6detail17trampoline_kernelINS0_14default_configENS1_20scan_config_selectorIN3c107complexIfEEEEZZNS1_9scan_implILNS1_25lookback_scan_determinismE0ELb0ELb0ES3_PKS7_PS7_S7_ZZZN2at6native31launch_logcumsumexp_cuda_kernelERKNSE_10TensorBaseESI_lENKUlvE_clEvENKUlvE2_clEvEUlS7_S7_E_S7_EEDaPvRmT3_T4_T5_mT6_P12ihipStream_tbENKUlT_T0_E_clISt17integral_constantIbLb0EESZ_EEDaSU_SV_EUlSU_E0_NS1_11comp_targetILNS1_3genE9ELNS1_11target_archE1100ELNS1_3gpuE3ELNS1_3repE0EEENS1_30default_config_static_selectorELNS0_4arch9wavefront6targetE0EEEvT1_.kd
    .uniform_work_group_size: 1
    .uses_dynamic_stack: false
    .vgpr_count:     0
    .vgpr_spill_count: 0
    .wavefront_size: 32
    .workgroup_processor_mode: 1
  - .args:
      - .offset:         0
        .size:           40
        .value_kind:     by_value
    .group_segment_fixed_size: 0
    .kernarg_segment_align: 8
    .kernarg_segment_size: 40
    .language:       OpenCL C
    .language_version:
      - 2
      - 0
    .max_flat_workgroup_size: 256
    .name:           _ZN7rocprim17ROCPRIM_400000_NS6detail17trampoline_kernelINS0_14default_configENS1_20scan_config_selectorIN3c107complexIfEEEEZZNS1_9scan_implILNS1_25lookback_scan_determinismE0ELb0ELb0ES3_PKS7_PS7_S7_ZZZN2at6native31launch_logcumsumexp_cuda_kernelERKNSE_10TensorBaseESI_lENKUlvE_clEvENKUlvE2_clEvEUlS7_S7_E_S7_EEDaPvRmT3_T4_T5_mT6_P12ihipStream_tbENKUlT_T0_E_clISt17integral_constantIbLb0EESZ_EEDaSU_SV_EUlSU_E0_NS1_11comp_targetILNS1_3genE8ELNS1_11target_archE1030ELNS1_3gpuE2ELNS1_3repE0EEENS1_30default_config_static_selectorELNS0_4arch9wavefront6targetE0EEEvT1_
    .private_segment_fixed_size: 0
    .sgpr_count:     0
    .sgpr_spill_count: 0
    .symbol:         _ZN7rocprim17ROCPRIM_400000_NS6detail17trampoline_kernelINS0_14default_configENS1_20scan_config_selectorIN3c107complexIfEEEEZZNS1_9scan_implILNS1_25lookback_scan_determinismE0ELb0ELb0ES3_PKS7_PS7_S7_ZZZN2at6native31launch_logcumsumexp_cuda_kernelERKNSE_10TensorBaseESI_lENKUlvE_clEvENKUlvE2_clEvEUlS7_S7_E_S7_EEDaPvRmT3_T4_T5_mT6_P12ihipStream_tbENKUlT_T0_E_clISt17integral_constantIbLb0EESZ_EEDaSU_SV_EUlSU_E0_NS1_11comp_targetILNS1_3genE8ELNS1_11target_archE1030ELNS1_3gpuE2ELNS1_3repE0EEENS1_30default_config_static_selectorELNS0_4arch9wavefront6targetE0EEEvT1_.kd
    .uniform_work_group_size: 1
    .uses_dynamic_stack: false
    .vgpr_count:     0
    .vgpr_spill_count: 0
    .wavefront_size: 32
    .workgroup_processor_mode: 1
  - .args:
      - .address_space:  global
        .offset:         0
        .size:           8
        .value_kind:     global_buffer
      - .offset:         8
        .size:           4
        .value_kind:     by_value
      - .address_space:  global
        .offset:         16
        .size:           8
        .value_kind:     global_buffer
      - .offset:         24
        .size:           4
        .value_kind:     by_value
      - .address_space:  global
        .offset:         32
        .size:           8
        .value_kind:     global_buffer
      - .offset:         40
        .size:           4
        .value_kind:     hidden_block_count_x
      - .offset:         44
        .size:           4
        .value_kind:     hidden_block_count_y
      - .offset:         48
        .size:           4
        .value_kind:     hidden_block_count_z
      - .offset:         52
        .size:           2
        .value_kind:     hidden_group_size_x
      - .offset:         54
        .size:           2
        .value_kind:     hidden_group_size_y
      - .offset:         56
        .size:           2
        .value_kind:     hidden_group_size_z
      - .offset:         58
        .size:           2
        .value_kind:     hidden_remainder_x
      - .offset:         60
        .size:           2
        .value_kind:     hidden_remainder_y
      - .offset:         62
        .size:           2
        .value_kind:     hidden_remainder_z
      - .offset:         80
        .size:           8
        .value_kind:     hidden_global_offset_x
      - .offset:         88
        .size:           8
        .value_kind:     hidden_global_offset_y
      - .offset:         96
        .size:           8
        .value_kind:     hidden_global_offset_z
      - .offset:         104
        .size:           2
        .value_kind:     hidden_grid_dims
    .group_segment_fixed_size: 0
    .kernarg_segment_align: 8
    .kernarg_segment_size: 296
    .language:       OpenCL C
    .language_version:
      - 2
      - 0
    .max_flat_workgroup_size: 256
    .name:           _ZN7rocprim17ROCPRIM_400000_NS6detail31init_lookback_scan_state_kernelINS1_19lookback_scan_stateIN3c107complexIfEELb1ELb1EEENS1_16block_id_wrapperIjLb1EEEEEvT_jT0_jPNSA_10value_typeE
    .private_segment_fixed_size: 0
    .sgpr_count:     14
    .sgpr_spill_count: 0
    .symbol:         _ZN7rocprim17ROCPRIM_400000_NS6detail31init_lookback_scan_state_kernelINS1_19lookback_scan_stateIN3c107complexIfEELb1ELb1EEENS1_16block_id_wrapperIjLb1EEEEEvT_jT0_jPNSA_10value_typeE.kd
    .uniform_work_group_size: 1
    .uses_dynamic_stack: false
    .vgpr_count:     8
    .vgpr_spill_count: 0
    .wavefront_size: 32
    .workgroup_processor_mode: 1
  - .args:
      - .offset:         0
        .size:           104
        .value_kind:     by_value
    .group_segment_fixed_size: 0
    .kernarg_segment_align: 8
    .kernarg_segment_size: 104
    .language:       OpenCL C
    .language_version:
      - 2
      - 0
    .max_flat_workgroup_size: 256
    .name:           _ZN7rocprim17ROCPRIM_400000_NS6detail17trampoline_kernelINS0_14default_configENS1_20scan_config_selectorIN3c107complexIfEEEEZZNS1_9scan_implILNS1_25lookback_scan_determinismE0ELb0ELb0ES3_PKS7_PS7_S7_ZZZN2at6native31launch_logcumsumexp_cuda_kernelERKNSE_10TensorBaseESI_lENKUlvE_clEvENKUlvE2_clEvEUlS7_S7_E_S7_EEDaPvRmT3_T4_T5_mT6_P12ihipStream_tbENKUlT_T0_E_clISt17integral_constantIbLb1EESZ_EEDaSU_SV_EUlSU_E_NS1_11comp_targetILNS1_3genE0ELNS1_11target_archE4294967295ELNS1_3gpuE0ELNS1_3repE0EEENS1_30default_config_static_selectorELNS0_4arch9wavefront6targetE0EEEvT1_
    .private_segment_fixed_size: 0
    .sgpr_count:     0
    .sgpr_spill_count: 0
    .symbol:         _ZN7rocprim17ROCPRIM_400000_NS6detail17trampoline_kernelINS0_14default_configENS1_20scan_config_selectorIN3c107complexIfEEEEZZNS1_9scan_implILNS1_25lookback_scan_determinismE0ELb0ELb0ES3_PKS7_PS7_S7_ZZZN2at6native31launch_logcumsumexp_cuda_kernelERKNSE_10TensorBaseESI_lENKUlvE_clEvENKUlvE2_clEvEUlS7_S7_E_S7_EEDaPvRmT3_T4_T5_mT6_P12ihipStream_tbENKUlT_T0_E_clISt17integral_constantIbLb1EESZ_EEDaSU_SV_EUlSU_E_NS1_11comp_targetILNS1_3genE0ELNS1_11target_archE4294967295ELNS1_3gpuE0ELNS1_3repE0EEENS1_30default_config_static_selectorELNS0_4arch9wavefront6targetE0EEEvT1_.kd
    .uniform_work_group_size: 1
    .uses_dynamic_stack: false
    .vgpr_count:     0
    .vgpr_spill_count: 0
    .wavefront_size: 32
    .workgroup_processor_mode: 1
  - .args:
      - .offset:         0
        .size:           104
        .value_kind:     by_value
    .group_segment_fixed_size: 0
    .kernarg_segment_align: 8
    .kernarg_segment_size: 104
    .language:       OpenCL C
    .language_version:
      - 2
      - 0
    .max_flat_workgroup_size: 256
    .name:           _ZN7rocprim17ROCPRIM_400000_NS6detail17trampoline_kernelINS0_14default_configENS1_20scan_config_selectorIN3c107complexIfEEEEZZNS1_9scan_implILNS1_25lookback_scan_determinismE0ELb0ELb0ES3_PKS7_PS7_S7_ZZZN2at6native31launch_logcumsumexp_cuda_kernelERKNSE_10TensorBaseESI_lENKUlvE_clEvENKUlvE2_clEvEUlS7_S7_E_S7_EEDaPvRmT3_T4_T5_mT6_P12ihipStream_tbENKUlT_T0_E_clISt17integral_constantIbLb1EESZ_EEDaSU_SV_EUlSU_E_NS1_11comp_targetILNS1_3genE5ELNS1_11target_archE942ELNS1_3gpuE9ELNS1_3repE0EEENS1_30default_config_static_selectorELNS0_4arch9wavefront6targetE0EEEvT1_
    .private_segment_fixed_size: 0
    .sgpr_count:     0
    .sgpr_spill_count: 0
    .symbol:         _ZN7rocprim17ROCPRIM_400000_NS6detail17trampoline_kernelINS0_14default_configENS1_20scan_config_selectorIN3c107complexIfEEEEZZNS1_9scan_implILNS1_25lookback_scan_determinismE0ELb0ELb0ES3_PKS7_PS7_S7_ZZZN2at6native31launch_logcumsumexp_cuda_kernelERKNSE_10TensorBaseESI_lENKUlvE_clEvENKUlvE2_clEvEUlS7_S7_E_S7_EEDaPvRmT3_T4_T5_mT6_P12ihipStream_tbENKUlT_T0_E_clISt17integral_constantIbLb1EESZ_EEDaSU_SV_EUlSU_E_NS1_11comp_targetILNS1_3genE5ELNS1_11target_archE942ELNS1_3gpuE9ELNS1_3repE0EEENS1_30default_config_static_selectorELNS0_4arch9wavefront6targetE0EEEvT1_.kd
    .uniform_work_group_size: 1
    .uses_dynamic_stack: false
    .vgpr_count:     0
    .vgpr_spill_count: 0
    .wavefront_size: 32
    .workgroup_processor_mode: 1
  - .args:
      - .offset:         0
        .size:           104
        .value_kind:     by_value
    .group_segment_fixed_size: 0
    .kernarg_segment_align: 8
    .kernarg_segment_size: 104
    .language:       OpenCL C
    .language_version:
      - 2
      - 0
    .max_flat_workgroup_size: 128
    .name:           _ZN7rocprim17ROCPRIM_400000_NS6detail17trampoline_kernelINS0_14default_configENS1_20scan_config_selectorIN3c107complexIfEEEEZZNS1_9scan_implILNS1_25lookback_scan_determinismE0ELb0ELb0ES3_PKS7_PS7_S7_ZZZN2at6native31launch_logcumsumexp_cuda_kernelERKNSE_10TensorBaseESI_lENKUlvE_clEvENKUlvE2_clEvEUlS7_S7_E_S7_EEDaPvRmT3_T4_T5_mT6_P12ihipStream_tbENKUlT_T0_E_clISt17integral_constantIbLb1EESZ_EEDaSU_SV_EUlSU_E_NS1_11comp_targetILNS1_3genE4ELNS1_11target_archE910ELNS1_3gpuE8ELNS1_3repE0EEENS1_30default_config_static_selectorELNS0_4arch9wavefront6targetE0EEEvT1_
    .private_segment_fixed_size: 0
    .sgpr_count:     0
    .sgpr_spill_count: 0
    .symbol:         _ZN7rocprim17ROCPRIM_400000_NS6detail17trampoline_kernelINS0_14default_configENS1_20scan_config_selectorIN3c107complexIfEEEEZZNS1_9scan_implILNS1_25lookback_scan_determinismE0ELb0ELb0ES3_PKS7_PS7_S7_ZZZN2at6native31launch_logcumsumexp_cuda_kernelERKNSE_10TensorBaseESI_lENKUlvE_clEvENKUlvE2_clEvEUlS7_S7_E_S7_EEDaPvRmT3_T4_T5_mT6_P12ihipStream_tbENKUlT_T0_E_clISt17integral_constantIbLb1EESZ_EEDaSU_SV_EUlSU_E_NS1_11comp_targetILNS1_3genE4ELNS1_11target_archE910ELNS1_3gpuE8ELNS1_3repE0EEENS1_30default_config_static_selectorELNS0_4arch9wavefront6targetE0EEEvT1_.kd
    .uniform_work_group_size: 1
    .uses_dynamic_stack: false
    .vgpr_count:     0
    .vgpr_spill_count: 0
    .wavefront_size: 32
    .workgroup_processor_mode: 1
  - .args:
      - .offset:         0
        .size:           104
        .value_kind:     by_value
    .group_segment_fixed_size: 0
    .kernarg_segment_align: 8
    .kernarg_segment_size: 104
    .language:       OpenCL C
    .language_version:
      - 2
      - 0
    .max_flat_workgroup_size: 256
    .name:           _ZN7rocprim17ROCPRIM_400000_NS6detail17trampoline_kernelINS0_14default_configENS1_20scan_config_selectorIN3c107complexIfEEEEZZNS1_9scan_implILNS1_25lookback_scan_determinismE0ELb0ELb0ES3_PKS7_PS7_S7_ZZZN2at6native31launch_logcumsumexp_cuda_kernelERKNSE_10TensorBaseESI_lENKUlvE_clEvENKUlvE2_clEvEUlS7_S7_E_S7_EEDaPvRmT3_T4_T5_mT6_P12ihipStream_tbENKUlT_T0_E_clISt17integral_constantIbLb1EESZ_EEDaSU_SV_EUlSU_E_NS1_11comp_targetILNS1_3genE3ELNS1_11target_archE908ELNS1_3gpuE7ELNS1_3repE0EEENS1_30default_config_static_selectorELNS0_4arch9wavefront6targetE0EEEvT1_
    .private_segment_fixed_size: 0
    .sgpr_count:     0
    .sgpr_spill_count: 0
    .symbol:         _ZN7rocprim17ROCPRIM_400000_NS6detail17trampoline_kernelINS0_14default_configENS1_20scan_config_selectorIN3c107complexIfEEEEZZNS1_9scan_implILNS1_25lookback_scan_determinismE0ELb0ELb0ES3_PKS7_PS7_S7_ZZZN2at6native31launch_logcumsumexp_cuda_kernelERKNSE_10TensorBaseESI_lENKUlvE_clEvENKUlvE2_clEvEUlS7_S7_E_S7_EEDaPvRmT3_T4_T5_mT6_P12ihipStream_tbENKUlT_T0_E_clISt17integral_constantIbLb1EESZ_EEDaSU_SV_EUlSU_E_NS1_11comp_targetILNS1_3genE3ELNS1_11target_archE908ELNS1_3gpuE7ELNS1_3repE0EEENS1_30default_config_static_selectorELNS0_4arch9wavefront6targetE0EEEvT1_.kd
    .uniform_work_group_size: 1
    .uses_dynamic_stack: false
    .vgpr_count:     0
    .vgpr_spill_count: 0
    .wavefront_size: 32
    .workgroup_processor_mode: 1
  - .args:
      - .offset:         0
        .size:           104
        .value_kind:     by_value
    .group_segment_fixed_size: 0
    .kernarg_segment_align: 8
    .kernarg_segment_size: 104
    .language:       OpenCL C
    .language_version:
      - 2
      - 0
    .max_flat_workgroup_size: 64
    .name:           _ZN7rocprim17ROCPRIM_400000_NS6detail17trampoline_kernelINS0_14default_configENS1_20scan_config_selectorIN3c107complexIfEEEEZZNS1_9scan_implILNS1_25lookback_scan_determinismE0ELb0ELb0ES3_PKS7_PS7_S7_ZZZN2at6native31launch_logcumsumexp_cuda_kernelERKNSE_10TensorBaseESI_lENKUlvE_clEvENKUlvE2_clEvEUlS7_S7_E_S7_EEDaPvRmT3_T4_T5_mT6_P12ihipStream_tbENKUlT_T0_E_clISt17integral_constantIbLb1EESZ_EEDaSU_SV_EUlSU_E_NS1_11comp_targetILNS1_3genE2ELNS1_11target_archE906ELNS1_3gpuE6ELNS1_3repE0EEENS1_30default_config_static_selectorELNS0_4arch9wavefront6targetE0EEEvT1_
    .private_segment_fixed_size: 0
    .sgpr_count:     0
    .sgpr_spill_count: 0
    .symbol:         _ZN7rocprim17ROCPRIM_400000_NS6detail17trampoline_kernelINS0_14default_configENS1_20scan_config_selectorIN3c107complexIfEEEEZZNS1_9scan_implILNS1_25lookback_scan_determinismE0ELb0ELb0ES3_PKS7_PS7_S7_ZZZN2at6native31launch_logcumsumexp_cuda_kernelERKNSE_10TensorBaseESI_lENKUlvE_clEvENKUlvE2_clEvEUlS7_S7_E_S7_EEDaPvRmT3_T4_T5_mT6_P12ihipStream_tbENKUlT_T0_E_clISt17integral_constantIbLb1EESZ_EEDaSU_SV_EUlSU_E_NS1_11comp_targetILNS1_3genE2ELNS1_11target_archE906ELNS1_3gpuE6ELNS1_3repE0EEENS1_30default_config_static_selectorELNS0_4arch9wavefront6targetE0EEEvT1_.kd
    .uniform_work_group_size: 1
    .uses_dynamic_stack: false
    .vgpr_count:     0
    .vgpr_spill_count: 0
    .wavefront_size: 32
    .workgroup_processor_mode: 1
  - .args:
      - .offset:         0
        .size:           104
        .value_kind:     by_value
    .group_segment_fixed_size: 0
    .kernarg_segment_align: 8
    .kernarg_segment_size: 104
    .language:       OpenCL C
    .language_version:
      - 2
      - 0
    .max_flat_workgroup_size: 256
    .name:           _ZN7rocprim17ROCPRIM_400000_NS6detail17trampoline_kernelINS0_14default_configENS1_20scan_config_selectorIN3c107complexIfEEEEZZNS1_9scan_implILNS1_25lookback_scan_determinismE0ELb0ELb0ES3_PKS7_PS7_S7_ZZZN2at6native31launch_logcumsumexp_cuda_kernelERKNSE_10TensorBaseESI_lENKUlvE_clEvENKUlvE2_clEvEUlS7_S7_E_S7_EEDaPvRmT3_T4_T5_mT6_P12ihipStream_tbENKUlT_T0_E_clISt17integral_constantIbLb1EESZ_EEDaSU_SV_EUlSU_E_NS1_11comp_targetILNS1_3genE10ELNS1_11target_archE1201ELNS1_3gpuE5ELNS1_3repE0EEENS1_30default_config_static_selectorELNS0_4arch9wavefront6targetE0EEEvT1_
    .private_segment_fixed_size: 0
    .sgpr_count:     0
    .sgpr_spill_count: 0
    .symbol:         _ZN7rocprim17ROCPRIM_400000_NS6detail17trampoline_kernelINS0_14default_configENS1_20scan_config_selectorIN3c107complexIfEEEEZZNS1_9scan_implILNS1_25lookback_scan_determinismE0ELb0ELb0ES3_PKS7_PS7_S7_ZZZN2at6native31launch_logcumsumexp_cuda_kernelERKNSE_10TensorBaseESI_lENKUlvE_clEvENKUlvE2_clEvEUlS7_S7_E_S7_EEDaPvRmT3_T4_T5_mT6_P12ihipStream_tbENKUlT_T0_E_clISt17integral_constantIbLb1EESZ_EEDaSU_SV_EUlSU_E_NS1_11comp_targetILNS1_3genE10ELNS1_11target_archE1201ELNS1_3gpuE5ELNS1_3repE0EEENS1_30default_config_static_selectorELNS0_4arch9wavefront6targetE0EEEvT1_.kd
    .uniform_work_group_size: 1
    .uses_dynamic_stack: false
    .vgpr_count:     0
    .vgpr_spill_count: 0
    .wavefront_size: 32
    .workgroup_processor_mode: 1
  - .args:
      - .offset:         0
        .size:           104
        .value_kind:     by_value
    .group_segment_fixed_size: 0
    .kernarg_segment_align: 8
    .kernarg_segment_size: 104
    .language:       OpenCL C
    .language_version:
      - 2
      - 0
    .max_flat_workgroup_size: 256
    .name:           _ZN7rocprim17ROCPRIM_400000_NS6detail17trampoline_kernelINS0_14default_configENS1_20scan_config_selectorIN3c107complexIfEEEEZZNS1_9scan_implILNS1_25lookback_scan_determinismE0ELb0ELb0ES3_PKS7_PS7_S7_ZZZN2at6native31launch_logcumsumexp_cuda_kernelERKNSE_10TensorBaseESI_lENKUlvE_clEvENKUlvE2_clEvEUlS7_S7_E_S7_EEDaPvRmT3_T4_T5_mT6_P12ihipStream_tbENKUlT_T0_E_clISt17integral_constantIbLb1EESZ_EEDaSU_SV_EUlSU_E_NS1_11comp_targetILNS1_3genE10ELNS1_11target_archE1200ELNS1_3gpuE4ELNS1_3repE0EEENS1_30default_config_static_selectorELNS0_4arch9wavefront6targetE0EEEvT1_
    .private_segment_fixed_size: 0
    .sgpr_count:     0
    .sgpr_spill_count: 0
    .symbol:         _ZN7rocprim17ROCPRIM_400000_NS6detail17trampoline_kernelINS0_14default_configENS1_20scan_config_selectorIN3c107complexIfEEEEZZNS1_9scan_implILNS1_25lookback_scan_determinismE0ELb0ELb0ES3_PKS7_PS7_S7_ZZZN2at6native31launch_logcumsumexp_cuda_kernelERKNSE_10TensorBaseESI_lENKUlvE_clEvENKUlvE2_clEvEUlS7_S7_E_S7_EEDaPvRmT3_T4_T5_mT6_P12ihipStream_tbENKUlT_T0_E_clISt17integral_constantIbLb1EESZ_EEDaSU_SV_EUlSU_E_NS1_11comp_targetILNS1_3genE10ELNS1_11target_archE1200ELNS1_3gpuE4ELNS1_3repE0EEENS1_30default_config_static_selectorELNS0_4arch9wavefront6targetE0EEEvT1_.kd
    .uniform_work_group_size: 1
    .uses_dynamic_stack: false
    .vgpr_count:     0
    .vgpr_spill_count: 0
    .wavefront_size: 32
    .workgroup_processor_mode: 1
  - .args:
      - .offset:         0
        .size:           104
        .value_kind:     by_value
    .group_segment_fixed_size: 0
    .kernarg_segment_align: 8
    .kernarg_segment_size: 104
    .language:       OpenCL C
    .language_version:
      - 2
      - 0
    .max_flat_workgroup_size: 256
    .name:           _ZN7rocprim17ROCPRIM_400000_NS6detail17trampoline_kernelINS0_14default_configENS1_20scan_config_selectorIN3c107complexIfEEEEZZNS1_9scan_implILNS1_25lookback_scan_determinismE0ELb0ELb0ES3_PKS7_PS7_S7_ZZZN2at6native31launch_logcumsumexp_cuda_kernelERKNSE_10TensorBaseESI_lENKUlvE_clEvENKUlvE2_clEvEUlS7_S7_E_S7_EEDaPvRmT3_T4_T5_mT6_P12ihipStream_tbENKUlT_T0_E_clISt17integral_constantIbLb1EESZ_EEDaSU_SV_EUlSU_E_NS1_11comp_targetILNS1_3genE9ELNS1_11target_archE1100ELNS1_3gpuE3ELNS1_3repE0EEENS1_30default_config_static_selectorELNS0_4arch9wavefront6targetE0EEEvT1_
    .private_segment_fixed_size: 0
    .sgpr_count:     0
    .sgpr_spill_count: 0
    .symbol:         _ZN7rocprim17ROCPRIM_400000_NS6detail17trampoline_kernelINS0_14default_configENS1_20scan_config_selectorIN3c107complexIfEEEEZZNS1_9scan_implILNS1_25lookback_scan_determinismE0ELb0ELb0ES3_PKS7_PS7_S7_ZZZN2at6native31launch_logcumsumexp_cuda_kernelERKNSE_10TensorBaseESI_lENKUlvE_clEvENKUlvE2_clEvEUlS7_S7_E_S7_EEDaPvRmT3_T4_T5_mT6_P12ihipStream_tbENKUlT_T0_E_clISt17integral_constantIbLb1EESZ_EEDaSU_SV_EUlSU_E_NS1_11comp_targetILNS1_3genE9ELNS1_11target_archE1100ELNS1_3gpuE3ELNS1_3repE0EEENS1_30default_config_static_selectorELNS0_4arch9wavefront6targetE0EEEvT1_.kd
    .uniform_work_group_size: 1
    .uses_dynamic_stack: false
    .vgpr_count:     0
    .vgpr_spill_count: 0
    .wavefront_size: 32
    .workgroup_processor_mode: 1
  - .args:
      - .offset:         0
        .size:           104
        .value_kind:     by_value
    .group_segment_fixed_size: 0
    .kernarg_segment_align: 8
    .kernarg_segment_size: 104
    .language:       OpenCL C
    .language_version:
      - 2
      - 0
    .max_flat_workgroup_size: 256
    .name:           _ZN7rocprim17ROCPRIM_400000_NS6detail17trampoline_kernelINS0_14default_configENS1_20scan_config_selectorIN3c107complexIfEEEEZZNS1_9scan_implILNS1_25lookback_scan_determinismE0ELb0ELb0ES3_PKS7_PS7_S7_ZZZN2at6native31launch_logcumsumexp_cuda_kernelERKNSE_10TensorBaseESI_lENKUlvE_clEvENKUlvE2_clEvEUlS7_S7_E_S7_EEDaPvRmT3_T4_T5_mT6_P12ihipStream_tbENKUlT_T0_E_clISt17integral_constantIbLb1EESZ_EEDaSU_SV_EUlSU_E_NS1_11comp_targetILNS1_3genE8ELNS1_11target_archE1030ELNS1_3gpuE2ELNS1_3repE0EEENS1_30default_config_static_selectorELNS0_4arch9wavefront6targetE0EEEvT1_
    .private_segment_fixed_size: 0
    .sgpr_count:     0
    .sgpr_spill_count: 0
    .symbol:         _ZN7rocprim17ROCPRIM_400000_NS6detail17trampoline_kernelINS0_14default_configENS1_20scan_config_selectorIN3c107complexIfEEEEZZNS1_9scan_implILNS1_25lookback_scan_determinismE0ELb0ELb0ES3_PKS7_PS7_S7_ZZZN2at6native31launch_logcumsumexp_cuda_kernelERKNSE_10TensorBaseESI_lENKUlvE_clEvENKUlvE2_clEvEUlS7_S7_E_S7_EEDaPvRmT3_T4_T5_mT6_P12ihipStream_tbENKUlT_T0_E_clISt17integral_constantIbLb1EESZ_EEDaSU_SV_EUlSU_E_NS1_11comp_targetILNS1_3genE8ELNS1_11target_archE1030ELNS1_3gpuE2ELNS1_3repE0EEENS1_30default_config_static_selectorELNS0_4arch9wavefront6targetE0EEEvT1_.kd
    .uniform_work_group_size: 1
    .uses_dynamic_stack: false
    .vgpr_count:     0
    .vgpr_spill_count: 0
    .wavefront_size: 32
    .workgroup_processor_mode: 1
  - .args:
      - .offset:         0
        .size:           40
        .value_kind:     by_value
    .group_segment_fixed_size: 0
    .kernarg_segment_align: 8
    .kernarg_segment_size: 40
    .language:       OpenCL C
    .language_version:
      - 2
      - 0
    .max_flat_workgroup_size: 256
    .name:           _ZN7rocprim17ROCPRIM_400000_NS6detail17trampoline_kernelINS0_14default_configENS1_20scan_config_selectorIN3c107complexIfEEEEZZNS1_9scan_implILNS1_25lookback_scan_determinismE0ELb0ELb0ES3_PKS7_PS7_S7_ZZZN2at6native31launch_logcumsumexp_cuda_kernelERKNSE_10TensorBaseESI_lENKUlvE_clEvENKUlvE2_clEvEUlS7_S7_E_S7_EEDaPvRmT3_T4_T5_mT6_P12ihipStream_tbENKUlT_T0_E_clISt17integral_constantIbLb1EESZ_EEDaSU_SV_EUlSU_E0_NS1_11comp_targetILNS1_3genE0ELNS1_11target_archE4294967295ELNS1_3gpuE0ELNS1_3repE0EEENS1_30default_config_static_selectorELNS0_4arch9wavefront6targetE0EEEvT1_
    .private_segment_fixed_size: 0
    .sgpr_count:     0
    .sgpr_spill_count: 0
    .symbol:         _ZN7rocprim17ROCPRIM_400000_NS6detail17trampoline_kernelINS0_14default_configENS1_20scan_config_selectorIN3c107complexIfEEEEZZNS1_9scan_implILNS1_25lookback_scan_determinismE0ELb0ELb0ES3_PKS7_PS7_S7_ZZZN2at6native31launch_logcumsumexp_cuda_kernelERKNSE_10TensorBaseESI_lENKUlvE_clEvENKUlvE2_clEvEUlS7_S7_E_S7_EEDaPvRmT3_T4_T5_mT6_P12ihipStream_tbENKUlT_T0_E_clISt17integral_constantIbLb1EESZ_EEDaSU_SV_EUlSU_E0_NS1_11comp_targetILNS1_3genE0ELNS1_11target_archE4294967295ELNS1_3gpuE0ELNS1_3repE0EEENS1_30default_config_static_selectorELNS0_4arch9wavefront6targetE0EEEvT1_.kd
    .uniform_work_group_size: 1
    .uses_dynamic_stack: false
    .vgpr_count:     0
    .vgpr_spill_count: 0
    .wavefront_size: 32
    .workgroup_processor_mode: 1
  - .args:
      - .offset:         0
        .size:           40
        .value_kind:     by_value
    .group_segment_fixed_size: 0
    .kernarg_segment_align: 8
    .kernarg_segment_size: 40
    .language:       OpenCL C
    .language_version:
      - 2
      - 0
    .max_flat_workgroup_size: 256
    .name:           _ZN7rocprim17ROCPRIM_400000_NS6detail17trampoline_kernelINS0_14default_configENS1_20scan_config_selectorIN3c107complexIfEEEEZZNS1_9scan_implILNS1_25lookback_scan_determinismE0ELb0ELb0ES3_PKS7_PS7_S7_ZZZN2at6native31launch_logcumsumexp_cuda_kernelERKNSE_10TensorBaseESI_lENKUlvE_clEvENKUlvE2_clEvEUlS7_S7_E_S7_EEDaPvRmT3_T4_T5_mT6_P12ihipStream_tbENKUlT_T0_E_clISt17integral_constantIbLb1EESZ_EEDaSU_SV_EUlSU_E0_NS1_11comp_targetILNS1_3genE5ELNS1_11target_archE942ELNS1_3gpuE9ELNS1_3repE0EEENS1_30default_config_static_selectorELNS0_4arch9wavefront6targetE0EEEvT1_
    .private_segment_fixed_size: 0
    .sgpr_count:     0
    .sgpr_spill_count: 0
    .symbol:         _ZN7rocprim17ROCPRIM_400000_NS6detail17trampoline_kernelINS0_14default_configENS1_20scan_config_selectorIN3c107complexIfEEEEZZNS1_9scan_implILNS1_25lookback_scan_determinismE0ELb0ELb0ES3_PKS7_PS7_S7_ZZZN2at6native31launch_logcumsumexp_cuda_kernelERKNSE_10TensorBaseESI_lENKUlvE_clEvENKUlvE2_clEvEUlS7_S7_E_S7_EEDaPvRmT3_T4_T5_mT6_P12ihipStream_tbENKUlT_T0_E_clISt17integral_constantIbLb1EESZ_EEDaSU_SV_EUlSU_E0_NS1_11comp_targetILNS1_3genE5ELNS1_11target_archE942ELNS1_3gpuE9ELNS1_3repE0EEENS1_30default_config_static_selectorELNS0_4arch9wavefront6targetE0EEEvT1_.kd
    .uniform_work_group_size: 1
    .uses_dynamic_stack: false
    .vgpr_count:     0
    .vgpr_spill_count: 0
    .wavefront_size: 32
    .workgroup_processor_mode: 1
  - .args:
      - .offset:         0
        .size:           40
        .value_kind:     by_value
    .group_segment_fixed_size: 0
    .kernarg_segment_align: 8
    .kernarg_segment_size: 40
    .language:       OpenCL C
    .language_version:
      - 2
      - 0
    .max_flat_workgroup_size: 128
    .name:           _ZN7rocprim17ROCPRIM_400000_NS6detail17trampoline_kernelINS0_14default_configENS1_20scan_config_selectorIN3c107complexIfEEEEZZNS1_9scan_implILNS1_25lookback_scan_determinismE0ELb0ELb0ES3_PKS7_PS7_S7_ZZZN2at6native31launch_logcumsumexp_cuda_kernelERKNSE_10TensorBaseESI_lENKUlvE_clEvENKUlvE2_clEvEUlS7_S7_E_S7_EEDaPvRmT3_T4_T5_mT6_P12ihipStream_tbENKUlT_T0_E_clISt17integral_constantIbLb1EESZ_EEDaSU_SV_EUlSU_E0_NS1_11comp_targetILNS1_3genE4ELNS1_11target_archE910ELNS1_3gpuE8ELNS1_3repE0EEENS1_30default_config_static_selectorELNS0_4arch9wavefront6targetE0EEEvT1_
    .private_segment_fixed_size: 0
    .sgpr_count:     0
    .sgpr_spill_count: 0
    .symbol:         _ZN7rocprim17ROCPRIM_400000_NS6detail17trampoline_kernelINS0_14default_configENS1_20scan_config_selectorIN3c107complexIfEEEEZZNS1_9scan_implILNS1_25lookback_scan_determinismE0ELb0ELb0ES3_PKS7_PS7_S7_ZZZN2at6native31launch_logcumsumexp_cuda_kernelERKNSE_10TensorBaseESI_lENKUlvE_clEvENKUlvE2_clEvEUlS7_S7_E_S7_EEDaPvRmT3_T4_T5_mT6_P12ihipStream_tbENKUlT_T0_E_clISt17integral_constantIbLb1EESZ_EEDaSU_SV_EUlSU_E0_NS1_11comp_targetILNS1_3genE4ELNS1_11target_archE910ELNS1_3gpuE8ELNS1_3repE0EEENS1_30default_config_static_selectorELNS0_4arch9wavefront6targetE0EEEvT1_.kd
    .uniform_work_group_size: 1
    .uses_dynamic_stack: false
    .vgpr_count:     0
    .vgpr_spill_count: 0
    .wavefront_size: 32
    .workgroup_processor_mode: 1
  - .args:
      - .offset:         0
        .size:           40
        .value_kind:     by_value
    .group_segment_fixed_size: 0
    .kernarg_segment_align: 8
    .kernarg_segment_size: 40
    .language:       OpenCL C
    .language_version:
      - 2
      - 0
    .max_flat_workgroup_size: 256
    .name:           _ZN7rocprim17ROCPRIM_400000_NS6detail17trampoline_kernelINS0_14default_configENS1_20scan_config_selectorIN3c107complexIfEEEEZZNS1_9scan_implILNS1_25lookback_scan_determinismE0ELb0ELb0ES3_PKS7_PS7_S7_ZZZN2at6native31launch_logcumsumexp_cuda_kernelERKNSE_10TensorBaseESI_lENKUlvE_clEvENKUlvE2_clEvEUlS7_S7_E_S7_EEDaPvRmT3_T4_T5_mT6_P12ihipStream_tbENKUlT_T0_E_clISt17integral_constantIbLb1EESZ_EEDaSU_SV_EUlSU_E0_NS1_11comp_targetILNS1_3genE3ELNS1_11target_archE908ELNS1_3gpuE7ELNS1_3repE0EEENS1_30default_config_static_selectorELNS0_4arch9wavefront6targetE0EEEvT1_
    .private_segment_fixed_size: 0
    .sgpr_count:     0
    .sgpr_spill_count: 0
    .symbol:         _ZN7rocprim17ROCPRIM_400000_NS6detail17trampoline_kernelINS0_14default_configENS1_20scan_config_selectorIN3c107complexIfEEEEZZNS1_9scan_implILNS1_25lookback_scan_determinismE0ELb0ELb0ES3_PKS7_PS7_S7_ZZZN2at6native31launch_logcumsumexp_cuda_kernelERKNSE_10TensorBaseESI_lENKUlvE_clEvENKUlvE2_clEvEUlS7_S7_E_S7_EEDaPvRmT3_T4_T5_mT6_P12ihipStream_tbENKUlT_T0_E_clISt17integral_constantIbLb1EESZ_EEDaSU_SV_EUlSU_E0_NS1_11comp_targetILNS1_3genE3ELNS1_11target_archE908ELNS1_3gpuE7ELNS1_3repE0EEENS1_30default_config_static_selectorELNS0_4arch9wavefront6targetE0EEEvT1_.kd
    .uniform_work_group_size: 1
    .uses_dynamic_stack: false
    .vgpr_count:     0
    .vgpr_spill_count: 0
    .wavefront_size: 32
    .workgroup_processor_mode: 1
  - .args:
      - .offset:         0
        .size:           40
        .value_kind:     by_value
    .group_segment_fixed_size: 0
    .kernarg_segment_align: 8
    .kernarg_segment_size: 40
    .language:       OpenCL C
    .language_version:
      - 2
      - 0
    .max_flat_workgroup_size: 64
    .name:           _ZN7rocprim17ROCPRIM_400000_NS6detail17trampoline_kernelINS0_14default_configENS1_20scan_config_selectorIN3c107complexIfEEEEZZNS1_9scan_implILNS1_25lookback_scan_determinismE0ELb0ELb0ES3_PKS7_PS7_S7_ZZZN2at6native31launch_logcumsumexp_cuda_kernelERKNSE_10TensorBaseESI_lENKUlvE_clEvENKUlvE2_clEvEUlS7_S7_E_S7_EEDaPvRmT3_T4_T5_mT6_P12ihipStream_tbENKUlT_T0_E_clISt17integral_constantIbLb1EESZ_EEDaSU_SV_EUlSU_E0_NS1_11comp_targetILNS1_3genE2ELNS1_11target_archE906ELNS1_3gpuE6ELNS1_3repE0EEENS1_30default_config_static_selectorELNS0_4arch9wavefront6targetE0EEEvT1_
    .private_segment_fixed_size: 0
    .sgpr_count:     0
    .sgpr_spill_count: 0
    .symbol:         _ZN7rocprim17ROCPRIM_400000_NS6detail17trampoline_kernelINS0_14default_configENS1_20scan_config_selectorIN3c107complexIfEEEEZZNS1_9scan_implILNS1_25lookback_scan_determinismE0ELb0ELb0ES3_PKS7_PS7_S7_ZZZN2at6native31launch_logcumsumexp_cuda_kernelERKNSE_10TensorBaseESI_lENKUlvE_clEvENKUlvE2_clEvEUlS7_S7_E_S7_EEDaPvRmT3_T4_T5_mT6_P12ihipStream_tbENKUlT_T0_E_clISt17integral_constantIbLb1EESZ_EEDaSU_SV_EUlSU_E0_NS1_11comp_targetILNS1_3genE2ELNS1_11target_archE906ELNS1_3gpuE6ELNS1_3repE0EEENS1_30default_config_static_selectorELNS0_4arch9wavefront6targetE0EEEvT1_.kd
    .uniform_work_group_size: 1
    .uses_dynamic_stack: false
    .vgpr_count:     0
    .vgpr_spill_count: 0
    .wavefront_size: 32
    .workgroup_processor_mode: 1
  - .args:
      - .offset:         0
        .size:           40
        .value_kind:     by_value
    .group_segment_fixed_size: 33792
    .kernarg_segment_align: 8
    .kernarg_segment_size: 40
    .language:       OpenCL C
    .language_version:
      - 2
      - 0
    .max_flat_workgroup_size: 256
    .name:           _ZN7rocprim17ROCPRIM_400000_NS6detail17trampoline_kernelINS0_14default_configENS1_20scan_config_selectorIN3c107complexIfEEEEZZNS1_9scan_implILNS1_25lookback_scan_determinismE0ELb0ELb0ES3_PKS7_PS7_S7_ZZZN2at6native31launch_logcumsumexp_cuda_kernelERKNSE_10TensorBaseESI_lENKUlvE_clEvENKUlvE2_clEvEUlS7_S7_E_S7_EEDaPvRmT3_T4_T5_mT6_P12ihipStream_tbENKUlT_T0_E_clISt17integral_constantIbLb1EESZ_EEDaSU_SV_EUlSU_E0_NS1_11comp_targetILNS1_3genE10ELNS1_11target_archE1201ELNS1_3gpuE5ELNS1_3repE0EEENS1_30default_config_static_selectorELNS0_4arch9wavefront6targetE0EEEvT1_
    .private_segment_fixed_size: 0
    .sgpr_count:     35
    .sgpr_spill_count: 0
    .symbol:         _ZN7rocprim17ROCPRIM_400000_NS6detail17trampoline_kernelINS0_14default_configENS1_20scan_config_selectorIN3c107complexIfEEEEZZNS1_9scan_implILNS1_25lookback_scan_determinismE0ELb0ELb0ES3_PKS7_PS7_S7_ZZZN2at6native31launch_logcumsumexp_cuda_kernelERKNSE_10TensorBaseESI_lENKUlvE_clEvENKUlvE2_clEvEUlS7_S7_E_S7_EEDaPvRmT3_T4_T5_mT6_P12ihipStream_tbENKUlT_T0_E_clISt17integral_constantIbLb1EESZ_EEDaSU_SV_EUlSU_E0_NS1_11comp_targetILNS1_3genE10ELNS1_11target_archE1201ELNS1_3gpuE5ELNS1_3repE0EEENS1_30default_config_static_selectorELNS0_4arch9wavefront6targetE0EEEvT1_.kd
    .uniform_work_group_size: 1
    .uses_dynamic_stack: false
    .vgpr_count:     110
    .vgpr_spill_count: 0
    .wavefront_size: 32
    .workgroup_processor_mode: 1
  - .args:
      - .offset:         0
        .size:           40
        .value_kind:     by_value
    .group_segment_fixed_size: 0
    .kernarg_segment_align: 8
    .kernarg_segment_size: 40
    .language:       OpenCL C
    .language_version:
      - 2
      - 0
    .max_flat_workgroup_size: 256
    .name:           _ZN7rocprim17ROCPRIM_400000_NS6detail17trampoline_kernelINS0_14default_configENS1_20scan_config_selectorIN3c107complexIfEEEEZZNS1_9scan_implILNS1_25lookback_scan_determinismE0ELb0ELb0ES3_PKS7_PS7_S7_ZZZN2at6native31launch_logcumsumexp_cuda_kernelERKNSE_10TensorBaseESI_lENKUlvE_clEvENKUlvE2_clEvEUlS7_S7_E_S7_EEDaPvRmT3_T4_T5_mT6_P12ihipStream_tbENKUlT_T0_E_clISt17integral_constantIbLb1EESZ_EEDaSU_SV_EUlSU_E0_NS1_11comp_targetILNS1_3genE10ELNS1_11target_archE1200ELNS1_3gpuE4ELNS1_3repE0EEENS1_30default_config_static_selectorELNS0_4arch9wavefront6targetE0EEEvT1_
    .private_segment_fixed_size: 0
    .sgpr_count:     0
    .sgpr_spill_count: 0
    .symbol:         _ZN7rocprim17ROCPRIM_400000_NS6detail17trampoline_kernelINS0_14default_configENS1_20scan_config_selectorIN3c107complexIfEEEEZZNS1_9scan_implILNS1_25lookback_scan_determinismE0ELb0ELb0ES3_PKS7_PS7_S7_ZZZN2at6native31launch_logcumsumexp_cuda_kernelERKNSE_10TensorBaseESI_lENKUlvE_clEvENKUlvE2_clEvEUlS7_S7_E_S7_EEDaPvRmT3_T4_T5_mT6_P12ihipStream_tbENKUlT_T0_E_clISt17integral_constantIbLb1EESZ_EEDaSU_SV_EUlSU_E0_NS1_11comp_targetILNS1_3genE10ELNS1_11target_archE1200ELNS1_3gpuE4ELNS1_3repE0EEENS1_30default_config_static_selectorELNS0_4arch9wavefront6targetE0EEEvT1_.kd
    .uniform_work_group_size: 1
    .uses_dynamic_stack: false
    .vgpr_count:     0
    .vgpr_spill_count: 0
    .wavefront_size: 32
    .workgroup_processor_mode: 1
  - .args:
      - .offset:         0
        .size:           40
        .value_kind:     by_value
    .group_segment_fixed_size: 0
    .kernarg_segment_align: 8
    .kernarg_segment_size: 40
    .language:       OpenCL C
    .language_version:
      - 2
      - 0
    .max_flat_workgroup_size: 256
    .name:           _ZN7rocprim17ROCPRIM_400000_NS6detail17trampoline_kernelINS0_14default_configENS1_20scan_config_selectorIN3c107complexIfEEEEZZNS1_9scan_implILNS1_25lookback_scan_determinismE0ELb0ELb0ES3_PKS7_PS7_S7_ZZZN2at6native31launch_logcumsumexp_cuda_kernelERKNSE_10TensorBaseESI_lENKUlvE_clEvENKUlvE2_clEvEUlS7_S7_E_S7_EEDaPvRmT3_T4_T5_mT6_P12ihipStream_tbENKUlT_T0_E_clISt17integral_constantIbLb1EESZ_EEDaSU_SV_EUlSU_E0_NS1_11comp_targetILNS1_3genE9ELNS1_11target_archE1100ELNS1_3gpuE3ELNS1_3repE0EEENS1_30default_config_static_selectorELNS0_4arch9wavefront6targetE0EEEvT1_
    .private_segment_fixed_size: 0
    .sgpr_count:     0
    .sgpr_spill_count: 0
    .symbol:         _ZN7rocprim17ROCPRIM_400000_NS6detail17trampoline_kernelINS0_14default_configENS1_20scan_config_selectorIN3c107complexIfEEEEZZNS1_9scan_implILNS1_25lookback_scan_determinismE0ELb0ELb0ES3_PKS7_PS7_S7_ZZZN2at6native31launch_logcumsumexp_cuda_kernelERKNSE_10TensorBaseESI_lENKUlvE_clEvENKUlvE2_clEvEUlS7_S7_E_S7_EEDaPvRmT3_T4_T5_mT6_P12ihipStream_tbENKUlT_T0_E_clISt17integral_constantIbLb1EESZ_EEDaSU_SV_EUlSU_E0_NS1_11comp_targetILNS1_3genE9ELNS1_11target_archE1100ELNS1_3gpuE3ELNS1_3repE0EEENS1_30default_config_static_selectorELNS0_4arch9wavefront6targetE0EEEvT1_.kd
    .uniform_work_group_size: 1
    .uses_dynamic_stack: false
    .vgpr_count:     0
    .vgpr_spill_count: 0
    .wavefront_size: 32
    .workgroup_processor_mode: 1
  - .args:
      - .offset:         0
        .size:           40
        .value_kind:     by_value
    .group_segment_fixed_size: 0
    .kernarg_segment_align: 8
    .kernarg_segment_size: 40
    .language:       OpenCL C
    .language_version:
      - 2
      - 0
    .max_flat_workgroup_size: 256
    .name:           _ZN7rocprim17ROCPRIM_400000_NS6detail17trampoline_kernelINS0_14default_configENS1_20scan_config_selectorIN3c107complexIfEEEEZZNS1_9scan_implILNS1_25lookback_scan_determinismE0ELb0ELb0ES3_PKS7_PS7_S7_ZZZN2at6native31launch_logcumsumexp_cuda_kernelERKNSE_10TensorBaseESI_lENKUlvE_clEvENKUlvE2_clEvEUlS7_S7_E_S7_EEDaPvRmT3_T4_T5_mT6_P12ihipStream_tbENKUlT_T0_E_clISt17integral_constantIbLb1EESZ_EEDaSU_SV_EUlSU_E0_NS1_11comp_targetILNS1_3genE8ELNS1_11target_archE1030ELNS1_3gpuE2ELNS1_3repE0EEENS1_30default_config_static_selectorELNS0_4arch9wavefront6targetE0EEEvT1_
    .private_segment_fixed_size: 0
    .sgpr_count:     0
    .sgpr_spill_count: 0
    .symbol:         _ZN7rocprim17ROCPRIM_400000_NS6detail17trampoline_kernelINS0_14default_configENS1_20scan_config_selectorIN3c107complexIfEEEEZZNS1_9scan_implILNS1_25lookback_scan_determinismE0ELb0ELb0ES3_PKS7_PS7_S7_ZZZN2at6native31launch_logcumsumexp_cuda_kernelERKNSE_10TensorBaseESI_lENKUlvE_clEvENKUlvE2_clEvEUlS7_S7_E_S7_EEDaPvRmT3_T4_T5_mT6_P12ihipStream_tbENKUlT_T0_E_clISt17integral_constantIbLb1EESZ_EEDaSU_SV_EUlSU_E0_NS1_11comp_targetILNS1_3genE8ELNS1_11target_archE1030ELNS1_3gpuE2ELNS1_3repE0EEENS1_30default_config_static_selectorELNS0_4arch9wavefront6targetE0EEEvT1_.kd
    .uniform_work_group_size: 1
    .uses_dynamic_stack: false
    .vgpr_count:     0
    .vgpr_spill_count: 0
    .wavefront_size: 32
    .workgroup_processor_mode: 1
  - .args:
      - .address_space:  global
        .offset:         0
        .size:           8
        .value_kind:     global_buffer
      - .offset:         8
        .size:           4
        .value_kind:     by_value
      - .offset:         12
        .size:           1
        .value_kind:     by_value
      - .offset:         16
        .size:           4
        .value_kind:     by_value
      - .address_space:  global
        .offset:         24
        .size:           8
        .value_kind:     global_buffer
      - .offset:         32
        .size:           4
        .value_kind:     hidden_block_count_x
      - .offset:         36
        .size:           4
        .value_kind:     hidden_block_count_y
      - .offset:         40
        .size:           4
        .value_kind:     hidden_block_count_z
      - .offset:         44
        .size:           2
        .value_kind:     hidden_group_size_x
      - .offset:         46
        .size:           2
        .value_kind:     hidden_group_size_y
      - .offset:         48
        .size:           2
        .value_kind:     hidden_group_size_z
      - .offset:         50
        .size:           2
        .value_kind:     hidden_remainder_x
      - .offset:         52
        .size:           2
        .value_kind:     hidden_remainder_y
      - .offset:         54
        .size:           2
        .value_kind:     hidden_remainder_z
      - .offset:         72
        .size:           8
        .value_kind:     hidden_global_offset_x
      - .offset:         80
        .size:           8
        .value_kind:     hidden_global_offset_y
      - .offset:         88
        .size:           8
        .value_kind:     hidden_global_offset_z
      - .offset:         96
        .size:           2
        .value_kind:     hidden_grid_dims
    .group_segment_fixed_size: 0
    .kernarg_segment_align: 8
    .kernarg_segment_size: 288
    .language:       OpenCL C
    .language_version:
      - 2
      - 0
    .max_flat_workgroup_size: 256
    .name:           _ZN7rocprim17ROCPRIM_400000_NS6detail31init_lookback_scan_state_kernelINS1_19lookback_scan_stateIN3c107complexIfEELb1ELb1EEENS1_16block_id_wrapperIjLb0EEEEEvT_jT0_jPNSA_10value_typeE
    .private_segment_fixed_size: 0
    .sgpr_count:     12
    .sgpr_spill_count: 0
    .symbol:         _ZN7rocprim17ROCPRIM_400000_NS6detail31init_lookback_scan_state_kernelINS1_19lookback_scan_stateIN3c107complexIfEELb1ELb1EEENS1_16block_id_wrapperIjLb0EEEEEvT_jT0_jPNSA_10value_typeE.kd
    .uniform_work_group_size: 1
    .uses_dynamic_stack: false
    .vgpr_count:     8
    .vgpr_spill_count: 0
    .wavefront_size: 32
    .workgroup_processor_mode: 1
  - .args:
      - .offset:         0
        .size:           104
        .value_kind:     by_value
    .group_segment_fixed_size: 0
    .kernarg_segment_align: 8
    .kernarg_segment_size: 104
    .language:       OpenCL C
    .language_version:
      - 2
      - 0
    .max_flat_workgroup_size: 256
    .name:           _ZN7rocprim17ROCPRIM_400000_NS6detail17trampoline_kernelINS0_14default_configENS1_20scan_config_selectorIN3c107complexIfEEEEZZNS1_9scan_implILNS1_25lookback_scan_determinismE0ELb0ELb0ES3_PKS7_PS7_S7_ZZZN2at6native31launch_logcumsumexp_cuda_kernelERKNSE_10TensorBaseESI_lENKUlvE_clEvENKUlvE2_clEvEUlS7_S7_E_S7_EEDaPvRmT3_T4_T5_mT6_P12ihipStream_tbENKUlT_T0_E_clISt17integral_constantIbLb1EESY_IbLb0EEEEDaSU_SV_EUlSU_E_NS1_11comp_targetILNS1_3genE0ELNS1_11target_archE4294967295ELNS1_3gpuE0ELNS1_3repE0EEENS1_30default_config_static_selectorELNS0_4arch9wavefront6targetE0EEEvT1_
    .private_segment_fixed_size: 0
    .sgpr_count:     0
    .sgpr_spill_count: 0
    .symbol:         _ZN7rocprim17ROCPRIM_400000_NS6detail17trampoline_kernelINS0_14default_configENS1_20scan_config_selectorIN3c107complexIfEEEEZZNS1_9scan_implILNS1_25lookback_scan_determinismE0ELb0ELb0ES3_PKS7_PS7_S7_ZZZN2at6native31launch_logcumsumexp_cuda_kernelERKNSE_10TensorBaseESI_lENKUlvE_clEvENKUlvE2_clEvEUlS7_S7_E_S7_EEDaPvRmT3_T4_T5_mT6_P12ihipStream_tbENKUlT_T0_E_clISt17integral_constantIbLb1EESY_IbLb0EEEEDaSU_SV_EUlSU_E_NS1_11comp_targetILNS1_3genE0ELNS1_11target_archE4294967295ELNS1_3gpuE0ELNS1_3repE0EEENS1_30default_config_static_selectorELNS0_4arch9wavefront6targetE0EEEvT1_.kd
    .uniform_work_group_size: 1
    .uses_dynamic_stack: false
    .vgpr_count:     0
    .vgpr_spill_count: 0
    .wavefront_size: 32
    .workgroup_processor_mode: 1
  - .args:
      - .offset:         0
        .size:           104
        .value_kind:     by_value
    .group_segment_fixed_size: 0
    .kernarg_segment_align: 8
    .kernarg_segment_size: 104
    .language:       OpenCL C
    .language_version:
      - 2
      - 0
    .max_flat_workgroup_size: 256
    .name:           _ZN7rocprim17ROCPRIM_400000_NS6detail17trampoline_kernelINS0_14default_configENS1_20scan_config_selectorIN3c107complexIfEEEEZZNS1_9scan_implILNS1_25lookback_scan_determinismE0ELb0ELb0ES3_PKS7_PS7_S7_ZZZN2at6native31launch_logcumsumexp_cuda_kernelERKNSE_10TensorBaseESI_lENKUlvE_clEvENKUlvE2_clEvEUlS7_S7_E_S7_EEDaPvRmT3_T4_T5_mT6_P12ihipStream_tbENKUlT_T0_E_clISt17integral_constantIbLb1EESY_IbLb0EEEEDaSU_SV_EUlSU_E_NS1_11comp_targetILNS1_3genE5ELNS1_11target_archE942ELNS1_3gpuE9ELNS1_3repE0EEENS1_30default_config_static_selectorELNS0_4arch9wavefront6targetE0EEEvT1_
    .private_segment_fixed_size: 0
    .sgpr_count:     0
    .sgpr_spill_count: 0
    .symbol:         _ZN7rocprim17ROCPRIM_400000_NS6detail17trampoline_kernelINS0_14default_configENS1_20scan_config_selectorIN3c107complexIfEEEEZZNS1_9scan_implILNS1_25lookback_scan_determinismE0ELb0ELb0ES3_PKS7_PS7_S7_ZZZN2at6native31launch_logcumsumexp_cuda_kernelERKNSE_10TensorBaseESI_lENKUlvE_clEvENKUlvE2_clEvEUlS7_S7_E_S7_EEDaPvRmT3_T4_T5_mT6_P12ihipStream_tbENKUlT_T0_E_clISt17integral_constantIbLb1EESY_IbLb0EEEEDaSU_SV_EUlSU_E_NS1_11comp_targetILNS1_3genE5ELNS1_11target_archE942ELNS1_3gpuE9ELNS1_3repE0EEENS1_30default_config_static_selectorELNS0_4arch9wavefront6targetE0EEEvT1_.kd
    .uniform_work_group_size: 1
    .uses_dynamic_stack: false
    .vgpr_count:     0
    .vgpr_spill_count: 0
    .wavefront_size: 32
    .workgroup_processor_mode: 1
  - .args:
      - .offset:         0
        .size:           104
        .value_kind:     by_value
    .group_segment_fixed_size: 0
    .kernarg_segment_align: 8
    .kernarg_segment_size: 104
    .language:       OpenCL C
    .language_version:
      - 2
      - 0
    .max_flat_workgroup_size: 128
    .name:           _ZN7rocprim17ROCPRIM_400000_NS6detail17trampoline_kernelINS0_14default_configENS1_20scan_config_selectorIN3c107complexIfEEEEZZNS1_9scan_implILNS1_25lookback_scan_determinismE0ELb0ELb0ES3_PKS7_PS7_S7_ZZZN2at6native31launch_logcumsumexp_cuda_kernelERKNSE_10TensorBaseESI_lENKUlvE_clEvENKUlvE2_clEvEUlS7_S7_E_S7_EEDaPvRmT3_T4_T5_mT6_P12ihipStream_tbENKUlT_T0_E_clISt17integral_constantIbLb1EESY_IbLb0EEEEDaSU_SV_EUlSU_E_NS1_11comp_targetILNS1_3genE4ELNS1_11target_archE910ELNS1_3gpuE8ELNS1_3repE0EEENS1_30default_config_static_selectorELNS0_4arch9wavefront6targetE0EEEvT1_
    .private_segment_fixed_size: 0
    .sgpr_count:     0
    .sgpr_spill_count: 0
    .symbol:         _ZN7rocprim17ROCPRIM_400000_NS6detail17trampoline_kernelINS0_14default_configENS1_20scan_config_selectorIN3c107complexIfEEEEZZNS1_9scan_implILNS1_25lookback_scan_determinismE0ELb0ELb0ES3_PKS7_PS7_S7_ZZZN2at6native31launch_logcumsumexp_cuda_kernelERKNSE_10TensorBaseESI_lENKUlvE_clEvENKUlvE2_clEvEUlS7_S7_E_S7_EEDaPvRmT3_T4_T5_mT6_P12ihipStream_tbENKUlT_T0_E_clISt17integral_constantIbLb1EESY_IbLb0EEEEDaSU_SV_EUlSU_E_NS1_11comp_targetILNS1_3genE4ELNS1_11target_archE910ELNS1_3gpuE8ELNS1_3repE0EEENS1_30default_config_static_selectorELNS0_4arch9wavefront6targetE0EEEvT1_.kd
    .uniform_work_group_size: 1
    .uses_dynamic_stack: false
    .vgpr_count:     0
    .vgpr_spill_count: 0
    .wavefront_size: 32
    .workgroup_processor_mode: 1
  - .args:
      - .offset:         0
        .size:           104
        .value_kind:     by_value
    .group_segment_fixed_size: 0
    .kernarg_segment_align: 8
    .kernarg_segment_size: 104
    .language:       OpenCL C
    .language_version:
      - 2
      - 0
    .max_flat_workgroup_size: 256
    .name:           _ZN7rocprim17ROCPRIM_400000_NS6detail17trampoline_kernelINS0_14default_configENS1_20scan_config_selectorIN3c107complexIfEEEEZZNS1_9scan_implILNS1_25lookback_scan_determinismE0ELb0ELb0ES3_PKS7_PS7_S7_ZZZN2at6native31launch_logcumsumexp_cuda_kernelERKNSE_10TensorBaseESI_lENKUlvE_clEvENKUlvE2_clEvEUlS7_S7_E_S7_EEDaPvRmT3_T4_T5_mT6_P12ihipStream_tbENKUlT_T0_E_clISt17integral_constantIbLb1EESY_IbLb0EEEEDaSU_SV_EUlSU_E_NS1_11comp_targetILNS1_3genE3ELNS1_11target_archE908ELNS1_3gpuE7ELNS1_3repE0EEENS1_30default_config_static_selectorELNS0_4arch9wavefront6targetE0EEEvT1_
    .private_segment_fixed_size: 0
    .sgpr_count:     0
    .sgpr_spill_count: 0
    .symbol:         _ZN7rocprim17ROCPRIM_400000_NS6detail17trampoline_kernelINS0_14default_configENS1_20scan_config_selectorIN3c107complexIfEEEEZZNS1_9scan_implILNS1_25lookback_scan_determinismE0ELb0ELb0ES3_PKS7_PS7_S7_ZZZN2at6native31launch_logcumsumexp_cuda_kernelERKNSE_10TensorBaseESI_lENKUlvE_clEvENKUlvE2_clEvEUlS7_S7_E_S7_EEDaPvRmT3_T4_T5_mT6_P12ihipStream_tbENKUlT_T0_E_clISt17integral_constantIbLb1EESY_IbLb0EEEEDaSU_SV_EUlSU_E_NS1_11comp_targetILNS1_3genE3ELNS1_11target_archE908ELNS1_3gpuE7ELNS1_3repE0EEENS1_30default_config_static_selectorELNS0_4arch9wavefront6targetE0EEEvT1_.kd
    .uniform_work_group_size: 1
    .uses_dynamic_stack: false
    .vgpr_count:     0
    .vgpr_spill_count: 0
    .wavefront_size: 32
    .workgroup_processor_mode: 1
  - .args:
      - .offset:         0
        .size:           104
        .value_kind:     by_value
    .group_segment_fixed_size: 0
    .kernarg_segment_align: 8
    .kernarg_segment_size: 104
    .language:       OpenCL C
    .language_version:
      - 2
      - 0
    .max_flat_workgroup_size: 64
    .name:           _ZN7rocprim17ROCPRIM_400000_NS6detail17trampoline_kernelINS0_14default_configENS1_20scan_config_selectorIN3c107complexIfEEEEZZNS1_9scan_implILNS1_25lookback_scan_determinismE0ELb0ELb0ES3_PKS7_PS7_S7_ZZZN2at6native31launch_logcumsumexp_cuda_kernelERKNSE_10TensorBaseESI_lENKUlvE_clEvENKUlvE2_clEvEUlS7_S7_E_S7_EEDaPvRmT3_T4_T5_mT6_P12ihipStream_tbENKUlT_T0_E_clISt17integral_constantIbLb1EESY_IbLb0EEEEDaSU_SV_EUlSU_E_NS1_11comp_targetILNS1_3genE2ELNS1_11target_archE906ELNS1_3gpuE6ELNS1_3repE0EEENS1_30default_config_static_selectorELNS0_4arch9wavefront6targetE0EEEvT1_
    .private_segment_fixed_size: 0
    .sgpr_count:     0
    .sgpr_spill_count: 0
    .symbol:         _ZN7rocprim17ROCPRIM_400000_NS6detail17trampoline_kernelINS0_14default_configENS1_20scan_config_selectorIN3c107complexIfEEEEZZNS1_9scan_implILNS1_25lookback_scan_determinismE0ELb0ELb0ES3_PKS7_PS7_S7_ZZZN2at6native31launch_logcumsumexp_cuda_kernelERKNSE_10TensorBaseESI_lENKUlvE_clEvENKUlvE2_clEvEUlS7_S7_E_S7_EEDaPvRmT3_T4_T5_mT6_P12ihipStream_tbENKUlT_T0_E_clISt17integral_constantIbLb1EESY_IbLb0EEEEDaSU_SV_EUlSU_E_NS1_11comp_targetILNS1_3genE2ELNS1_11target_archE906ELNS1_3gpuE6ELNS1_3repE0EEENS1_30default_config_static_selectorELNS0_4arch9wavefront6targetE0EEEvT1_.kd
    .uniform_work_group_size: 1
    .uses_dynamic_stack: false
    .vgpr_count:     0
    .vgpr_spill_count: 0
    .wavefront_size: 32
    .workgroup_processor_mode: 1
  - .args:
      - .offset:         0
        .size:           104
        .value_kind:     by_value
    .group_segment_fixed_size: 0
    .kernarg_segment_align: 8
    .kernarg_segment_size: 104
    .language:       OpenCL C
    .language_version:
      - 2
      - 0
    .max_flat_workgroup_size: 256
    .name:           _ZN7rocprim17ROCPRIM_400000_NS6detail17trampoline_kernelINS0_14default_configENS1_20scan_config_selectorIN3c107complexIfEEEEZZNS1_9scan_implILNS1_25lookback_scan_determinismE0ELb0ELb0ES3_PKS7_PS7_S7_ZZZN2at6native31launch_logcumsumexp_cuda_kernelERKNSE_10TensorBaseESI_lENKUlvE_clEvENKUlvE2_clEvEUlS7_S7_E_S7_EEDaPvRmT3_T4_T5_mT6_P12ihipStream_tbENKUlT_T0_E_clISt17integral_constantIbLb1EESY_IbLb0EEEEDaSU_SV_EUlSU_E_NS1_11comp_targetILNS1_3genE10ELNS1_11target_archE1201ELNS1_3gpuE5ELNS1_3repE0EEENS1_30default_config_static_selectorELNS0_4arch9wavefront6targetE0EEEvT1_
    .private_segment_fixed_size: 0
    .sgpr_count:     0
    .sgpr_spill_count: 0
    .symbol:         _ZN7rocprim17ROCPRIM_400000_NS6detail17trampoline_kernelINS0_14default_configENS1_20scan_config_selectorIN3c107complexIfEEEEZZNS1_9scan_implILNS1_25lookback_scan_determinismE0ELb0ELb0ES3_PKS7_PS7_S7_ZZZN2at6native31launch_logcumsumexp_cuda_kernelERKNSE_10TensorBaseESI_lENKUlvE_clEvENKUlvE2_clEvEUlS7_S7_E_S7_EEDaPvRmT3_T4_T5_mT6_P12ihipStream_tbENKUlT_T0_E_clISt17integral_constantIbLb1EESY_IbLb0EEEEDaSU_SV_EUlSU_E_NS1_11comp_targetILNS1_3genE10ELNS1_11target_archE1201ELNS1_3gpuE5ELNS1_3repE0EEENS1_30default_config_static_selectorELNS0_4arch9wavefront6targetE0EEEvT1_.kd
    .uniform_work_group_size: 1
    .uses_dynamic_stack: false
    .vgpr_count:     0
    .vgpr_spill_count: 0
    .wavefront_size: 32
    .workgroup_processor_mode: 1
  - .args:
      - .offset:         0
        .size:           104
        .value_kind:     by_value
    .group_segment_fixed_size: 0
    .kernarg_segment_align: 8
    .kernarg_segment_size: 104
    .language:       OpenCL C
    .language_version:
      - 2
      - 0
    .max_flat_workgroup_size: 256
    .name:           _ZN7rocprim17ROCPRIM_400000_NS6detail17trampoline_kernelINS0_14default_configENS1_20scan_config_selectorIN3c107complexIfEEEEZZNS1_9scan_implILNS1_25lookback_scan_determinismE0ELb0ELb0ES3_PKS7_PS7_S7_ZZZN2at6native31launch_logcumsumexp_cuda_kernelERKNSE_10TensorBaseESI_lENKUlvE_clEvENKUlvE2_clEvEUlS7_S7_E_S7_EEDaPvRmT3_T4_T5_mT6_P12ihipStream_tbENKUlT_T0_E_clISt17integral_constantIbLb1EESY_IbLb0EEEEDaSU_SV_EUlSU_E_NS1_11comp_targetILNS1_3genE10ELNS1_11target_archE1200ELNS1_3gpuE4ELNS1_3repE0EEENS1_30default_config_static_selectorELNS0_4arch9wavefront6targetE0EEEvT1_
    .private_segment_fixed_size: 0
    .sgpr_count:     0
    .sgpr_spill_count: 0
    .symbol:         _ZN7rocprim17ROCPRIM_400000_NS6detail17trampoline_kernelINS0_14default_configENS1_20scan_config_selectorIN3c107complexIfEEEEZZNS1_9scan_implILNS1_25lookback_scan_determinismE0ELb0ELb0ES3_PKS7_PS7_S7_ZZZN2at6native31launch_logcumsumexp_cuda_kernelERKNSE_10TensorBaseESI_lENKUlvE_clEvENKUlvE2_clEvEUlS7_S7_E_S7_EEDaPvRmT3_T4_T5_mT6_P12ihipStream_tbENKUlT_T0_E_clISt17integral_constantIbLb1EESY_IbLb0EEEEDaSU_SV_EUlSU_E_NS1_11comp_targetILNS1_3genE10ELNS1_11target_archE1200ELNS1_3gpuE4ELNS1_3repE0EEENS1_30default_config_static_selectorELNS0_4arch9wavefront6targetE0EEEvT1_.kd
    .uniform_work_group_size: 1
    .uses_dynamic_stack: false
    .vgpr_count:     0
    .vgpr_spill_count: 0
    .wavefront_size: 32
    .workgroup_processor_mode: 1
  - .args:
      - .offset:         0
        .size:           104
        .value_kind:     by_value
    .group_segment_fixed_size: 0
    .kernarg_segment_align: 8
    .kernarg_segment_size: 104
    .language:       OpenCL C
    .language_version:
      - 2
      - 0
    .max_flat_workgroup_size: 256
    .name:           _ZN7rocprim17ROCPRIM_400000_NS6detail17trampoline_kernelINS0_14default_configENS1_20scan_config_selectorIN3c107complexIfEEEEZZNS1_9scan_implILNS1_25lookback_scan_determinismE0ELb0ELb0ES3_PKS7_PS7_S7_ZZZN2at6native31launch_logcumsumexp_cuda_kernelERKNSE_10TensorBaseESI_lENKUlvE_clEvENKUlvE2_clEvEUlS7_S7_E_S7_EEDaPvRmT3_T4_T5_mT6_P12ihipStream_tbENKUlT_T0_E_clISt17integral_constantIbLb1EESY_IbLb0EEEEDaSU_SV_EUlSU_E_NS1_11comp_targetILNS1_3genE9ELNS1_11target_archE1100ELNS1_3gpuE3ELNS1_3repE0EEENS1_30default_config_static_selectorELNS0_4arch9wavefront6targetE0EEEvT1_
    .private_segment_fixed_size: 0
    .sgpr_count:     0
    .sgpr_spill_count: 0
    .symbol:         _ZN7rocprim17ROCPRIM_400000_NS6detail17trampoline_kernelINS0_14default_configENS1_20scan_config_selectorIN3c107complexIfEEEEZZNS1_9scan_implILNS1_25lookback_scan_determinismE0ELb0ELb0ES3_PKS7_PS7_S7_ZZZN2at6native31launch_logcumsumexp_cuda_kernelERKNSE_10TensorBaseESI_lENKUlvE_clEvENKUlvE2_clEvEUlS7_S7_E_S7_EEDaPvRmT3_T4_T5_mT6_P12ihipStream_tbENKUlT_T0_E_clISt17integral_constantIbLb1EESY_IbLb0EEEEDaSU_SV_EUlSU_E_NS1_11comp_targetILNS1_3genE9ELNS1_11target_archE1100ELNS1_3gpuE3ELNS1_3repE0EEENS1_30default_config_static_selectorELNS0_4arch9wavefront6targetE0EEEvT1_.kd
    .uniform_work_group_size: 1
    .uses_dynamic_stack: false
    .vgpr_count:     0
    .vgpr_spill_count: 0
    .wavefront_size: 32
    .workgroup_processor_mode: 1
  - .args:
      - .offset:         0
        .size:           104
        .value_kind:     by_value
    .group_segment_fixed_size: 0
    .kernarg_segment_align: 8
    .kernarg_segment_size: 104
    .language:       OpenCL C
    .language_version:
      - 2
      - 0
    .max_flat_workgroup_size: 256
    .name:           _ZN7rocprim17ROCPRIM_400000_NS6detail17trampoline_kernelINS0_14default_configENS1_20scan_config_selectorIN3c107complexIfEEEEZZNS1_9scan_implILNS1_25lookback_scan_determinismE0ELb0ELb0ES3_PKS7_PS7_S7_ZZZN2at6native31launch_logcumsumexp_cuda_kernelERKNSE_10TensorBaseESI_lENKUlvE_clEvENKUlvE2_clEvEUlS7_S7_E_S7_EEDaPvRmT3_T4_T5_mT6_P12ihipStream_tbENKUlT_T0_E_clISt17integral_constantIbLb1EESY_IbLb0EEEEDaSU_SV_EUlSU_E_NS1_11comp_targetILNS1_3genE8ELNS1_11target_archE1030ELNS1_3gpuE2ELNS1_3repE0EEENS1_30default_config_static_selectorELNS0_4arch9wavefront6targetE0EEEvT1_
    .private_segment_fixed_size: 0
    .sgpr_count:     0
    .sgpr_spill_count: 0
    .symbol:         _ZN7rocprim17ROCPRIM_400000_NS6detail17trampoline_kernelINS0_14default_configENS1_20scan_config_selectorIN3c107complexIfEEEEZZNS1_9scan_implILNS1_25lookback_scan_determinismE0ELb0ELb0ES3_PKS7_PS7_S7_ZZZN2at6native31launch_logcumsumexp_cuda_kernelERKNSE_10TensorBaseESI_lENKUlvE_clEvENKUlvE2_clEvEUlS7_S7_E_S7_EEDaPvRmT3_T4_T5_mT6_P12ihipStream_tbENKUlT_T0_E_clISt17integral_constantIbLb1EESY_IbLb0EEEEDaSU_SV_EUlSU_E_NS1_11comp_targetILNS1_3genE8ELNS1_11target_archE1030ELNS1_3gpuE2ELNS1_3repE0EEENS1_30default_config_static_selectorELNS0_4arch9wavefront6targetE0EEEvT1_.kd
    .uniform_work_group_size: 1
    .uses_dynamic_stack: false
    .vgpr_count:     0
    .vgpr_spill_count: 0
    .wavefront_size: 32
    .workgroup_processor_mode: 1
  - .args:
      - .offset:         0
        .size:           40
        .value_kind:     by_value
    .group_segment_fixed_size: 0
    .kernarg_segment_align: 8
    .kernarg_segment_size: 40
    .language:       OpenCL C
    .language_version:
      - 2
      - 0
    .max_flat_workgroup_size: 256
    .name:           _ZN7rocprim17ROCPRIM_400000_NS6detail17trampoline_kernelINS0_14default_configENS1_20scan_config_selectorIN3c107complexIfEEEEZZNS1_9scan_implILNS1_25lookback_scan_determinismE0ELb0ELb0ES3_PKS7_PS7_S7_ZZZN2at6native31launch_logcumsumexp_cuda_kernelERKNSE_10TensorBaseESI_lENKUlvE_clEvENKUlvE2_clEvEUlS7_S7_E_S7_EEDaPvRmT3_T4_T5_mT6_P12ihipStream_tbENKUlT_T0_E_clISt17integral_constantIbLb1EESY_IbLb0EEEEDaSU_SV_EUlSU_E0_NS1_11comp_targetILNS1_3genE0ELNS1_11target_archE4294967295ELNS1_3gpuE0ELNS1_3repE0EEENS1_30default_config_static_selectorELNS0_4arch9wavefront6targetE0EEEvT1_
    .private_segment_fixed_size: 0
    .sgpr_count:     0
    .sgpr_spill_count: 0
    .symbol:         _ZN7rocprim17ROCPRIM_400000_NS6detail17trampoline_kernelINS0_14default_configENS1_20scan_config_selectorIN3c107complexIfEEEEZZNS1_9scan_implILNS1_25lookback_scan_determinismE0ELb0ELb0ES3_PKS7_PS7_S7_ZZZN2at6native31launch_logcumsumexp_cuda_kernelERKNSE_10TensorBaseESI_lENKUlvE_clEvENKUlvE2_clEvEUlS7_S7_E_S7_EEDaPvRmT3_T4_T5_mT6_P12ihipStream_tbENKUlT_T0_E_clISt17integral_constantIbLb1EESY_IbLb0EEEEDaSU_SV_EUlSU_E0_NS1_11comp_targetILNS1_3genE0ELNS1_11target_archE4294967295ELNS1_3gpuE0ELNS1_3repE0EEENS1_30default_config_static_selectorELNS0_4arch9wavefront6targetE0EEEvT1_.kd
    .uniform_work_group_size: 1
    .uses_dynamic_stack: false
    .vgpr_count:     0
    .vgpr_spill_count: 0
    .wavefront_size: 32
    .workgroup_processor_mode: 1
  - .args:
      - .offset:         0
        .size:           40
        .value_kind:     by_value
    .group_segment_fixed_size: 0
    .kernarg_segment_align: 8
    .kernarg_segment_size: 40
    .language:       OpenCL C
    .language_version:
      - 2
      - 0
    .max_flat_workgroup_size: 256
    .name:           _ZN7rocprim17ROCPRIM_400000_NS6detail17trampoline_kernelINS0_14default_configENS1_20scan_config_selectorIN3c107complexIfEEEEZZNS1_9scan_implILNS1_25lookback_scan_determinismE0ELb0ELb0ES3_PKS7_PS7_S7_ZZZN2at6native31launch_logcumsumexp_cuda_kernelERKNSE_10TensorBaseESI_lENKUlvE_clEvENKUlvE2_clEvEUlS7_S7_E_S7_EEDaPvRmT3_T4_T5_mT6_P12ihipStream_tbENKUlT_T0_E_clISt17integral_constantIbLb1EESY_IbLb0EEEEDaSU_SV_EUlSU_E0_NS1_11comp_targetILNS1_3genE5ELNS1_11target_archE942ELNS1_3gpuE9ELNS1_3repE0EEENS1_30default_config_static_selectorELNS0_4arch9wavefront6targetE0EEEvT1_
    .private_segment_fixed_size: 0
    .sgpr_count:     0
    .sgpr_spill_count: 0
    .symbol:         _ZN7rocprim17ROCPRIM_400000_NS6detail17trampoline_kernelINS0_14default_configENS1_20scan_config_selectorIN3c107complexIfEEEEZZNS1_9scan_implILNS1_25lookback_scan_determinismE0ELb0ELb0ES3_PKS7_PS7_S7_ZZZN2at6native31launch_logcumsumexp_cuda_kernelERKNSE_10TensorBaseESI_lENKUlvE_clEvENKUlvE2_clEvEUlS7_S7_E_S7_EEDaPvRmT3_T4_T5_mT6_P12ihipStream_tbENKUlT_T0_E_clISt17integral_constantIbLb1EESY_IbLb0EEEEDaSU_SV_EUlSU_E0_NS1_11comp_targetILNS1_3genE5ELNS1_11target_archE942ELNS1_3gpuE9ELNS1_3repE0EEENS1_30default_config_static_selectorELNS0_4arch9wavefront6targetE0EEEvT1_.kd
    .uniform_work_group_size: 1
    .uses_dynamic_stack: false
    .vgpr_count:     0
    .vgpr_spill_count: 0
    .wavefront_size: 32
    .workgroup_processor_mode: 1
  - .args:
      - .offset:         0
        .size:           40
        .value_kind:     by_value
    .group_segment_fixed_size: 0
    .kernarg_segment_align: 8
    .kernarg_segment_size: 40
    .language:       OpenCL C
    .language_version:
      - 2
      - 0
    .max_flat_workgroup_size: 128
    .name:           _ZN7rocprim17ROCPRIM_400000_NS6detail17trampoline_kernelINS0_14default_configENS1_20scan_config_selectorIN3c107complexIfEEEEZZNS1_9scan_implILNS1_25lookback_scan_determinismE0ELb0ELb0ES3_PKS7_PS7_S7_ZZZN2at6native31launch_logcumsumexp_cuda_kernelERKNSE_10TensorBaseESI_lENKUlvE_clEvENKUlvE2_clEvEUlS7_S7_E_S7_EEDaPvRmT3_T4_T5_mT6_P12ihipStream_tbENKUlT_T0_E_clISt17integral_constantIbLb1EESY_IbLb0EEEEDaSU_SV_EUlSU_E0_NS1_11comp_targetILNS1_3genE4ELNS1_11target_archE910ELNS1_3gpuE8ELNS1_3repE0EEENS1_30default_config_static_selectorELNS0_4arch9wavefront6targetE0EEEvT1_
    .private_segment_fixed_size: 0
    .sgpr_count:     0
    .sgpr_spill_count: 0
    .symbol:         _ZN7rocprim17ROCPRIM_400000_NS6detail17trampoline_kernelINS0_14default_configENS1_20scan_config_selectorIN3c107complexIfEEEEZZNS1_9scan_implILNS1_25lookback_scan_determinismE0ELb0ELb0ES3_PKS7_PS7_S7_ZZZN2at6native31launch_logcumsumexp_cuda_kernelERKNSE_10TensorBaseESI_lENKUlvE_clEvENKUlvE2_clEvEUlS7_S7_E_S7_EEDaPvRmT3_T4_T5_mT6_P12ihipStream_tbENKUlT_T0_E_clISt17integral_constantIbLb1EESY_IbLb0EEEEDaSU_SV_EUlSU_E0_NS1_11comp_targetILNS1_3genE4ELNS1_11target_archE910ELNS1_3gpuE8ELNS1_3repE0EEENS1_30default_config_static_selectorELNS0_4arch9wavefront6targetE0EEEvT1_.kd
    .uniform_work_group_size: 1
    .uses_dynamic_stack: false
    .vgpr_count:     0
    .vgpr_spill_count: 0
    .wavefront_size: 32
    .workgroup_processor_mode: 1
  - .args:
      - .offset:         0
        .size:           40
        .value_kind:     by_value
    .group_segment_fixed_size: 0
    .kernarg_segment_align: 8
    .kernarg_segment_size: 40
    .language:       OpenCL C
    .language_version:
      - 2
      - 0
    .max_flat_workgroup_size: 256
    .name:           _ZN7rocprim17ROCPRIM_400000_NS6detail17trampoline_kernelINS0_14default_configENS1_20scan_config_selectorIN3c107complexIfEEEEZZNS1_9scan_implILNS1_25lookback_scan_determinismE0ELb0ELb0ES3_PKS7_PS7_S7_ZZZN2at6native31launch_logcumsumexp_cuda_kernelERKNSE_10TensorBaseESI_lENKUlvE_clEvENKUlvE2_clEvEUlS7_S7_E_S7_EEDaPvRmT3_T4_T5_mT6_P12ihipStream_tbENKUlT_T0_E_clISt17integral_constantIbLb1EESY_IbLb0EEEEDaSU_SV_EUlSU_E0_NS1_11comp_targetILNS1_3genE3ELNS1_11target_archE908ELNS1_3gpuE7ELNS1_3repE0EEENS1_30default_config_static_selectorELNS0_4arch9wavefront6targetE0EEEvT1_
    .private_segment_fixed_size: 0
    .sgpr_count:     0
    .sgpr_spill_count: 0
    .symbol:         _ZN7rocprim17ROCPRIM_400000_NS6detail17trampoline_kernelINS0_14default_configENS1_20scan_config_selectorIN3c107complexIfEEEEZZNS1_9scan_implILNS1_25lookback_scan_determinismE0ELb0ELb0ES3_PKS7_PS7_S7_ZZZN2at6native31launch_logcumsumexp_cuda_kernelERKNSE_10TensorBaseESI_lENKUlvE_clEvENKUlvE2_clEvEUlS7_S7_E_S7_EEDaPvRmT3_T4_T5_mT6_P12ihipStream_tbENKUlT_T0_E_clISt17integral_constantIbLb1EESY_IbLb0EEEEDaSU_SV_EUlSU_E0_NS1_11comp_targetILNS1_3genE3ELNS1_11target_archE908ELNS1_3gpuE7ELNS1_3repE0EEENS1_30default_config_static_selectorELNS0_4arch9wavefront6targetE0EEEvT1_.kd
    .uniform_work_group_size: 1
    .uses_dynamic_stack: false
    .vgpr_count:     0
    .vgpr_spill_count: 0
    .wavefront_size: 32
    .workgroup_processor_mode: 1
  - .args:
      - .offset:         0
        .size:           40
        .value_kind:     by_value
    .group_segment_fixed_size: 0
    .kernarg_segment_align: 8
    .kernarg_segment_size: 40
    .language:       OpenCL C
    .language_version:
      - 2
      - 0
    .max_flat_workgroup_size: 64
    .name:           _ZN7rocprim17ROCPRIM_400000_NS6detail17trampoline_kernelINS0_14default_configENS1_20scan_config_selectorIN3c107complexIfEEEEZZNS1_9scan_implILNS1_25lookback_scan_determinismE0ELb0ELb0ES3_PKS7_PS7_S7_ZZZN2at6native31launch_logcumsumexp_cuda_kernelERKNSE_10TensorBaseESI_lENKUlvE_clEvENKUlvE2_clEvEUlS7_S7_E_S7_EEDaPvRmT3_T4_T5_mT6_P12ihipStream_tbENKUlT_T0_E_clISt17integral_constantIbLb1EESY_IbLb0EEEEDaSU_SV_EUlSU_E0_NS1_11comp_targetILNS1_3genE2ELNS1_11target_archE906ELNS1_3gpuE6ELNS1_3repE0EEENS1_30default_config_static_selectorELNS0_4arch9wavefront6targetE0EEEvT1_
    .private_segment_fixed_size: 0
    .sgpr_count:     0
    .sgpr_spill_count: 0
    .symbol:         _ZN7rocprim17ROCPRIM_400000_NS6detail17trampoline_kernelINS0_14default_configENS1_20scan_config_selectorIN3c107complexIfEEEEZZNS1_9scan_implILNS1_25lookback_scan_determinismE0ELb0ELb0ES3_PKS7_PS7_S7_ZZZN2at6native31launch_logcumsumexp_cuda_kernelERKNSE_10TensorBaseESI_lENKUlvE_clEvENKUlvE2_clEvEUlS7_S7_E_S7_EEDaPvRmT3_T4_T5_mT6_P12ihipStream_tbENKUlT_T0_E_clISt17integral_constantIbLb1EESY_IbLb0EEEEDaSU_SV_EUlSU_E0_NS1_11comp_targetILNS1_3genE2ELNS1_11target_archE906ELNS1_3gpuE6ELNS1_3repE0EEENS1_30default_config_static_selectorELNS0_4arch9wavefront6targetE0EEEvT1_.kd
    .uniform_work_group_size: 1
    .uses_dynamic_stack: false
    .vgpr_count:     0
    .vgpr_spill_count: 0
    .wavefront_size: 32
    .workgroup_processor_mode: 1
  - .args:
      - .offset:         0
        .size:           40
        .value_kind:     by_value
    .group_segment_fixed_size: 33792
    .kernarg_segment_align: 8
    .kernarg_segment_size: 40
    .language:       OpenCL C
    .language_version:
      - 2
      - 0
    .max_flat_workgroup_size: 256
    .name:           _ZN7rocprim17ROCPRIM_400000_NS6detail17trampoline_kernelINS0_14default_configENS1_20scan_config_selectorIN3c107complexIfEEEEZZNS1_9scan_implILNS1_25lookback_scan_determinismE0ELb0ELb0ES3_PKS7_PS7_S7_ZZZN2at6native31launch_logcumsumexp_cuda_kernelERKNSE_10TensorBaseESI_lENKUlvE_clEvENKUlvE2_clEvEUlS7_S7_E_S7_EEDaPvRmT3_T4_T5_mT6_P12ihipStream_tbENKUlT_T0_E_clISt17integral_constantIbLb1EESY_IbLb0EEEEDaSU_SV_EUlSU_E0_NS1_11comp_targetILNS1_3genE10ELNS1_11target_archE1201ELNS1_3gpuE5ELNS1_3repE0EEENS1_30default_config_static_selectorELNS0_4arch9wavefront6targetE0EEEvT1_
    .private_segment_fixed_size: 0
    .sgpr_count:     35
    .sgpr_spill_count: 0
    .symbol:         _ZN7rocprim17ROCPRIM_400000_NS6detail17trampoline_kernelINS0_14default_configENS1_20scan_config_selectorIN3c107complexIfEEEEZZNS1_9scan_implILNS1_25lookback_scan_determinismE0ELb0ELb0ES3_PKS7_PS7_S7_ZZZN2at6native31launch_logcumsumexp_cuda_kernelERKNSE_10TensorBaseESI_lENKUlvE_clEvENKUlvE2_clEvEUlS7_S7_E_S7_EEDaPvRmT3_T4_T5_mT6_P12ihipStream_tbENKUlT_T0_E_clISt17integral_constantIbLb1EESY_IbLb0EEEEDaSU_SV_EUlSU_E0_NS1_11comp_targetILNS1_3genE10ELNS1_11target_archE1201ELNS1_3gpuE5ELNS1_3repE0EEENS1_30default_config_static_selectorELNS0_4arch9wavefront6targetE0EEEvT1_.kd
    .uniform_work_group_size: 1
    .uses_dynamic_stack: false
    .vgpr_count:     110
    .vgpr_spill_count: 0
    .wavefront_size: 32
    .workgroup_processor_mode: 1
  - .args:
      - .offset:         0
        .size:           40
        .value_kind:     by_value
    .group_segment_fixed_size: 0
    .kernarg_segment_align: 8
    .kernarg_segment_size: 40
    .language:       OpenCL C
    .language_version:
      - 2
      - 0
    .max_flat_workgroup_size: 256
    .name:           _ZN7rocprim17ROCPRIM_400000_NS6detail17trampoline_kernelINS0_14default_configENS1_20scan_config_selectorIN3c107complexIfEEEEZZNS1_9scan_implILNS1_25lookback_scan_determinismE0ELb0ELb0ES3_PKS7_PS7_S7_ZZZN2at6native31launch_logcumsumexp_cuda_kernelERKNSE_10TensorBaseESI_lENKUlvE_clEvENKUlvE2_clEvEUlS7_S7_E_S7_EEDaPvRmT3_T4_T5_mT6_P12ihipStream_tbENKUlT_T0_E_clISt17integral_constantIbLb1EESY_IbLb0EEEEDaSU_SV_EUlSU_E0_NS1_11comp_targetILNS1_3genE10ELNS1_11target_archE1200ELNS1_3gpuE4ELNS1_3repE0EEENS1_30default_config_static_selectorELNS0_4arch9wavefront6targetE0EEEvT1_
    .private_segment_fixed_size: 0
    .sgpr_count:     0
    .sgpr_spill_count: 0
    .symbol:         _ZN7rocprim17ROCPRIM_400000_NS6detail17trampoline_kernelINS0_14default_configENS1_20scan_config_selectorIN3c107complexIfEEEEZZNS1_9scan_implILNS1_25lookback_scan_determinismE0ELb0ELb0ES3_PKS7_PS7_S7_ZZZN2at6native31launch_logcumsumexp_cuda_kernelERKNSE_10TensorBaseESI_lENKUlvE_clEvENKUlvE2_clEvEUlS7_S7_E_S7_EEDaPvRmT3_T4_T5_mT6_P12ihipStream_tbENKUlT_T0_E_clISt17integral_constantIbLb1EESY_IbLb0EEEEDaSU_SV_EUlSU_E0_NS1_11comp_targetILNS1_3genE10ELNS1_11target_archE1200ELNS1_3gpuE4ELNS1_3repE0EEENS1_30default_config_static_selectorELNS0_4arch9wavefront6targetE0EEEvT1_.kd
    .uniform_work_group_size: 1
    .uses_dynamic_stack: false
    .vgpr_count:     0
    .vgpr_spill_count: 0
    .wavefront_size: 32
    .workgroup_processor_mode: 1
  - .args:
      - .offset:         0
        .size:           40
        .value_kind:     by_value
    .group_segment_fixed_size: 0
    .kernarg_segment_align: 8
    .kernarg_segment_size: 40
    .language:       OpenCL C
    .language_version:
      - 2
      - 0
    .max_flat_workgroup_size: 256
    .name:           _ZN7rocprim17ROCPRIM_400000_NS6detail17trampoline_kernelINS0_14default_configENS1_20scan_config_selectorIN3c107complexIfEEEEZZNS1_9scan_implILNS1_25lookback_scan_determinismE0ELb0ELb0ES3_PKS7_PS7_S7_ZZZN2at6native31launch_logcumsumexp_cuda_kernelERKNSE_10TensorBaseESI_lENKUlvE_clEvENKUlvE2_clEvEUlS7_S7_E_S7_EEDaPvRmT3_T4_T5_mT6_P12ihipStream_tbENKUlT_T0_E_clISt17integral_constantIbLb1EESY_IbLb0EEEEDaSU_SV_EUlSU_E0_NS1_11comp_targetILNS1_3genE9ELNS1_11target_archE1100ELNS1_3gpuE3ELNS1_3repE0EEENS1_30default_config_static_selectorELNS0_4arch9wavefront6targetE0EEEvT1_
    .private_segment_fixed_size: 0
    .sgpr_count:     0
    .sgpr_spill_count: 0
    .symbol:         _ZN7rocprim17ROCPRIM_400000_NS6detail17trampoline_kernelINS0_14default_configENS1_20scan_config_selectorIN3c107complexIfEEEEZZNS1_9scan_implILNS1_25lookback_scan_determinismE0ELb0ELb0ES3_PKS7_PS7_S7_ZZZN2at6native31launch_logcumsumexp_cuda_kernelERKNSE_10TensorBaseESI_lENKUlvE_clEvENKUlvE2_clEvEUlS7_S7_E_S7_EEDaPvRmT3_T4_T5_mT6_P12ihipStream_tbENKUlT_T0_E_clISt17integral_constantIbLb1EESY_IbLb0EEEEDaSU_SV_EUlSU_E0_NS1_11comp_targetILNS1_3genE9ELNS1_11target_archE1100ELNS1_3gpuE3ELNS1_3repE0EEENS1_30default_config_static_selectorELNS0_4arch9wavefront6targetE0EEEvT1_.kd
    .uniform_work_group_size: 1
    .uses_dynamic_stack: false
    .vgpr_count:     0
    .vgpr_spill_count: 0
    .wavefront_size: 32
    .workgroup_processor_mode: 1
  - .args:
      - .offset:         0
        .size:           40
        .value_kind:     by_value
    .group_segment_fixed_size: 0
    .kernarg_segment_align: 8
    .kernarg_segment_size: 40
    .language:       OpenCL C
    .language_version:
      - 2
      - 0
    .max_flat_workgroup_size: 256
    .name:           _ZN7rocprim17ROCPRIM_400000_NS6detail17trampoline_kernelINS0_14default_configENS1_20scan_config_selectorIN3c107complexIfEEEEZZNS1_9scan_implILNS1_25lookback_scan_determinismE0ELb0ELb0ES3_PKS7_PS7_S7_ZZZN2at6native31launch_logcumsumexp_cuda_kernelERKNSE_10TensorBaseESI_lENKUlvE_clEvENKUlvE2_clEvEUlS7_S7_E_S7_EEDaPvRmT3_T4_T5_mT6_P12ihipStream_tbENKUlT_T0_E_clISt17integral_constantIbLb1EESY_IbLb0EEEEDaSU_SV_EUlSU_E0_NS1_11comp_targetILNS1_3genE8ELNS1_11target_archE1030ELNS1_3gpuE2ELNS1_3repE0EEENS1_30default_config_static_selectorELNS0_4arch9wavefront6targetE0EEEvT1_
    .private_segment_fixed_size: 0
    .sgpr_count:     0
    .sgpr_spill_count: 0
    .symbol:         _ZN7rocprim17ROCPRIM_400000_NS6detail17trampoline_kernelINS0_14default_configENS1_20scan_config_selectorIN3c107complexIfEEEEZZNS1_9scan_implILNS1_25lookback_scan_determinismE0ELb0ELb0ES3_PKS7_PS7_S7_ZZZN2at6native31launch_logcumsumexp_cuda_kernelERKNSE_10TensorBaseESI_lENKUlvE_clEvENKUlvE2_clEvEUlS7_S7_E_S7_EEDaPvRmT3_T4_T5_mT6_P12ihipStream_tbENKUlT_T0_E_clISt17integral_constantIbLb1EESY_IbLb0EEEEDaSU_SV_EUlSU_E0_NS1_11comp_targetILNS1_3genE8ELNS1_11target_archE1030ELNS1_3gpuE2ELNS1_3repE0EEENS1_30default_config_static_selectorELNS0_4arch9wavefront6targetE0EEEvT1_.kd
    .uniform_work_group_size: 1
    .uses_dynamic_stack: false
    .vgpr_count:     0
    .vgpr_spill_count: 0
    .wavefront_size: 32
    .workgroup_processor_mode: 1
  - .args:
      - .address_space:  global
        .offset:         0
        .size:           8
        .value_kind:     global_buffer
      - .offset:         8
        .size:           4
        .value_kind:     by_value
      - .address_space:  global
        .offset:         16
        .size:           8
        .value_kind:     global_buffer
      - .offset:         24
        .size:           4
        .value_kind:     by_value
      - .address_space:  global
        .offset:         32
        .size:           8
        .value_kind:     global_buffer
      - .offset:         40
        .size:           4
        .value_kind:     hidden_block_count_x
      - .offset:         44
        .size:           4
        .value_kind:     hidden_block_count_y
      - .offset:         48
        .size:           4
        .value_kind:     hidden_block_count_z
      - .offset:         52
        .size:           2
        .value_kind:     hidden_group_size_x
      - .offset:         54
        .size:           2
        .value_kind:     hidden_group_size_y
      - .offset:         56
        .size:           2
        .value_kind:     hidden_group_size_z
      - .offset:         58
        .size:           2
        .value_kind:     hidden_remainder_x
      - .offset:         60
        .size:           2
        .value_kind:     hidden_remainder_y
      - .offset:         62
        .size:           2
        .value_kind:     hidden_remainder_z
      - .offset:         80
        .size:           8
        .value_kind:     hidden_global_offset_x
      - .offset:         88
        .size:           8
        .value_kind:     hidden_global_offset_y
      - .offset:         96
        .size:           8
        .value_kind:     hidden_global_offset_z
      - .offset:         104
        .size:           2
        .value_kind:     hidden_grid_dims
    .group_segment_fixed_size: 0
    .kernarg_segment_align: 8
    .kernarg_segment_size: 296
    .language:       OpenCL C
    .language_version:
      - 2
      - 0
    .max_flat_workgroup_size: 256
    .name:           _ZN7rocprim17ROCPRIM_400000_NS6detail31init_lookback_scan_state_kernelINS1_19lookback_scan_stateIN3c107complexIfEELb0ELb1EEENS1_16block_id_wrapperIjLb1EEEEEvT_jT0_jPNSA_10value_typeE
    .private_segment_fixed_size: 0
    .sgpr_count:     13
    .sgpr_spill_count: 0
    .symbol:         _ZN7rocprim17ROCPRIM_400000_NS6detail31init_lookback_scan_state_kernelINS1_19lookback_scan_stateIN3c107complexIfEELb0ELb1EEENS1_16block_id_wrapperIjLb1EEEEEvT_jT0_jPNSA_10value_typeE.kd
    .uniform_work_group_size: 1
    .uses_dynamic_stack: false
    .vgpr_count:     8
    .vgpr_spill_count: 0
    .wavefront_size: 32
    .workgroup_processor_mode: 1
  - .args:
      - .offset:         0
        .size:           104
        .value_kind:     by_value
    .group_segment_fixed_size: 0
    .kernarg_segment_align: 8
    .kernarg_segment_size: 104
    .language:       OpenCL C
    .language_version:
      - 2
      - 0
    .max_flat_workgroup_size: 256
    .name:           _ZN7rocprim17ROCPRIM_400000_NS6detail17trampoline_kernelINS0_14default_configENS1_20scan_config_selectorIN3c107complexIfEEEEZZNS1_9scan_implILNS1_25lookback_scan_determinismE0ELb0ELb0ES3_PKS7_PS7_S7_ZZZN2at6native31launch_logcumsumexp_cuda_kernelERKNSE_10TensorBaseESI_lENKUlvE_clEvENKUlvE2_clEvEUlS7_S7_E_S7_EEDaPvRmT3_T4_T5_mT6_P12ihipStream_tbENKUlT_T0_E_clISt17integral_constantIbLb0EESY_IbLb1EEEEDaSU_SV_EUlSU_E_NS1_11comp_targetILNS1_3genE0ELNS1_11target_archE4294967295ELNS1_3gpuE0ELNS1_3repE0EEENS1_30default_config_static_selectorELNS0_4arch9wavefront6targetE0EEEvT1_
    .private_segment_fixed_size: 0
    .sgpr_count:     0
    .sgpr_spill_count: 0
    .symbol:         _ZN7rocprim17ROCPRIM_400000_NS6detail17trampoline_kernelINS0_14default_configENS1_20scan_config_selectorIN3c107complexIfEEEEZZNS1_9scan_implILNS1_25lookback_scan_determinismE0ELb0ELb0ES3_PKS7_PS7_S7_ZZZN2at6native31launch_logcumsumexp_cuda_kernelERKNSE_10TensorBaseESI_lENKUlvE_clEvENKUlvE2_clEvEUlS7_S7_E_S7_EEDaPvRmT3_T4_T5_mT6_P12ihipStream_tbENKUlT_T0_E_clISt17integral_constantIbLb0EESY_IbLb1EEEEDaSU_SV_EUlSU_E_NS1_11comp_targetILNS1_3genE0ELNS1_11target_archE4294967295ELNS1_3gpuE0ELNS1_3repE0EEENS1_30default_config_static_selectorELNS0_4arch9wavefront6targetE0EEEvT1_.kd
    .uniform_work_group_size: 1
    .uses_dynamic_stack: false
    .vgpr_count:     0
    .vgpr_spill_count: 0
    .wavefront_size: 32
    .workgroup_processor_mode: 1
  - .args:
      - .offset:         0
        .size:           104
        .value_kind:     by_value
    .group_segment_fixed_size: 0
    .kernarg_segment_align: 8
    .kernarg_segment_size: 104
    .language:       OpenCL C
    .language_version:
      - 2
      - 0
    .max_flat_workgroup_size: 256
    .name:           _ZN7rocprim17ROCPRIM_400000_NS6detail17trampoline_kernelINS0_14default_configENS1_20scan_config_selectorIN3c107complexIfEEEEZZNS1_9scan_implILNS1_25lookback_scan_determinismE0ELb0ELb0ES3_PKS7_PS7_S7_ZZZN2at6native31launch_logcumsumexp_cuda_kernelERKNSE_10TensorBaseESI_lENKUlvE_clEvENKUlvE2_clEvEUlS7_S7_E_S7_EEDaPvRmT3_T4_T5_mT6_P12ihipStream_tbENKUlT_T0_E_clISt17integral_constantIbLb0EESY_IbLb1EEEEDaSU_SV_EUlSU_E_NS1_11comp_targetILNS1_3genE5ELNS1_11target_archE942ELNS1_3gpuE9ELNS1_3repE0EEENS1_30default_config_static_selectorELNS0_4arch9wavefront6targetE0EEEvT1_
    .private_segment_fixed_size: 0
    .sgpr_count:     0
    .sgpr_spill_count: 0
    .symbol:         _ZN7rocprim17ROCPRIM_400000_NS6detail17trampoline_kernelINS0_14default_configENS1_20scan_config_selectorIN3c107complexIfEEEEZZNS1_9scan_implILNS1_25lookback_scan_determinismE0ELb0ELb0ES3_PKS7_PS7_S7_ZZZN2at6native31launch_logcumsumexp_cuda_kernelERKNSE_10TensorBaseESI_lENKUlvE_clEvENKUlvE2_clEvEUlS7_S7_E_S7_EEDaPvRmT3_T4_T5_mT6_P12ihipStream_tbENKUlT_T0_E_clISt17integral_constantIbLb0EESY_IbLb1EEEEDaSU_SV_EUlSU_E_NS1_11comp_targetILNS1_3genE5ELNS1_11target_archE942ELNS1_3gpuE9ELNS1_3repE0EEENS1_30default_config_static_selectorELNS0_4arch9wavefront6targetE0EEEvT1_.kd
    .uniform_work_group_size: 1
    .uses_dynamic_stack: false
    .vgpr_count:     0
    .vgpr_spill_count: 0
    .wavefront_size: 32
    .workgroup_processor_mode: 1
  - .args:
      - .offset:         0
        .size:           104
        .value_kind:     by_value
    .group_segment_fixed_size: 0
    .kernarg_segment_align: 8
    .kernarg_segment_size: 104
    .language:       OpenCL C
    .language_version:
      - 2
      - 0
    .max_flat_workgroup_size: 128
    .name:           _ZN7rocprim17ROCPRIM_400000_NS6detail17trampoline_kernelINS0_14default_configENS1_20scan_config_selectorIN3c107complexIfEEEEZZNS1_9scan_implILNS1_25lookback_scan_determinismE0ELb0ELb0ES3_PKS7_PS7_S7_ZZZN2at6native31launch_logcumsumexp_cuda_kernelERKNSE_10TensorBaseESI_lENKUlvE_clEvENKUlvE2_clEvEUlS7_S7_E_S7_EEDaPvRmT3_T4_T5_mT6_P12ihipStream_tbENKUlT_T0_E_clISt17integral_constantIbLb0EESY_IbLb1EEEEDaSU_SV_EUlSU_E_NS1_11comp_targetILNS1_3genE4ELNS1_11target_archE910ELNS1_3gpuE8ELNS1_3repE0EEENS1_30default_config_static_selectorELNS0_4arch9wavefront6targetE0EEEvT1_
    .private_segment_fixed_size: 0
    .sgpr_count:     0
    .sgpr_spill_count: 0
    .symbol:         _ZN7rocprim17ROCPRIM_400000_NS6detail17trampoline_kernelINS0_14default_configENS1_20scan_config_selectorIN3c107complexIfEEEEZZNS1_9scan_implILNS1_25lookback_scan_determinismE0ELb0ELb0ES3_PKS7_PS7_S7_ZZZN2at6native31launch_logcumsumexp_cuda_kernelERKNSE_10TensorBaseESI_lENKUlvE_clEvENKUlvE2_clEvEUlS7_S7_E_S7_EEDaPvRmT3_T4_T5_mT6_P12ihipStream_tbENKUlT_T0_E_clISt17integral_constantIbLb0EESY_IbLb1EEEEDaSU_SV_EUlSU_E_NS1_11comp_targetILNS1_3genE4ELNS1_11target_archE910ELNS1_3gpuE8ELNS1_3repE0EEENS1_30default_config_static_selectorELNS0_4arch9wavefront6targetE0EEEvT1_.kd
    .uniform_work_group_size: 1
    .uses_dynamic_stack: false
    .vgpr_count:     0
    .vgpr_spill_count: 0
    .wavefront_size: 32
    .workgroup_processor_mode: 1
  - .args:
      - .offset:         0
        .size:           104
        .value_kind:     by_value
    .group_segment_fixed_size: 0
    .kernarg_segment_align: 8
    .kernarg_segment_size: 104
    .language:       OpenCL C
    .language_version:
      - 2
      - 0
    .max_flat_workgroup_size: 256
    .name:           _ZN7rocprim17ROCPRIM_400000_NS6detail17trampoline_kernelINS0_14default_configENS1_20scan_config_selectorIN3c107complexIfEEEEZZNS1_9scan_implILNS1_25lookback_scan_determinismE0ELb0ELb0ES3_PKS7_PS7_S7_ZZZN2at6native31launch_logcumsumexp_cuda_kernelERKNSE_10TensorBaseESI_lENKUlvE_clEvENKUlvE2_clEvEUlS7_S7_E_S7_EEDaPvRmT3_T4_T5_mT6_P12ihipStream_tbENKUlT_T0_E_clISt17integral_constantIbLb0EESY_IbLb1EEEEDaSU_SV_EUlSU_E_NS1_11comp_targetILNS1_3genE3ELNS1_11target_archE908ELNS1_3gpuE7ELNS1_3repE0EEENS1_30default_config_static_selectorELNS0_4arch9wavefront6targetE0EEEvT1_
    .private_segment_fixed_size: 0
    .sgpr_count:     0
    .sgpr_spill_count: 0
    .symbol:         _ZN7rocprim17ROCPRIM_400000_NS6detail17trampoline_kernelINS0_14default_configENS1_20scan_config_selectorIN3c107complexIfEEEEZZNS1_9scan_implILNS1_25lookback_scan_determinismE0ELb0ELb0ES3_PKS7_PS7_S7_ZZZN2at6native31launch_logcumsumexp_cuda_kernelERKNSE_10TensorBaseESI_lENKUlvE_clEvENKUlvE2_clEvEUlS7_S7_E_S7_EEDaPvRmT3_T4_T5_mT6_P12ihipStream_tbENKUlT_T0_E_clISt17integral_constantIbLb0EESY_IbLb1EEEEDaSU_SV_EUlSU_E_NS1_11comp_targetILNS1_3genE3ELNS1_11target_archE908ELNS1_3gpuE7ELNS1_3repE0EEENS1_30default_config_static_selectorELNS0_4arch9wavefront6targetE0EEEvT1_.kd
    .uniform_work_group_size: 1
    .uses_dynamic_stack: false
    .vgpr_count:     0
    .vgpr_spill_count: 0
    .wavefront_size: 32
    .workgroup_processor_mode: 1
  - .args:
      - .offset:         0
        .size:           104
        .value_kind:     by_value
    .group_segment_fixed_size: 0
    .kernarg_segment_align: 8
    .kernarg_segment_size: 104
    .language:       OpenCL C
    .language_version:
      - 2
      - 0
    .max_flat_workgroup_size: 64
    .name:           _ZN7rocprim17ROCPRIM_400000_NS6detail17trampoline_kernelINS0_14default_configENS1_20scan_config_selectorIN3c107complexIfEEEEZZNS1_9scan_implILNS1_25lookback_scan_determinismE0ELb0ELb0ES3_PKS7_PS7_S7_ZZZN2at6native31launch_logcumsumexp_cuda_kernelERKNSE_10TensorBaseESI_lENKUlvE_clEvENKUlvE2_clEvEUlS7_S7_E_S7_EEDaPvRmT3_T4_T5_mT6_P12ihipStream_tbENKUlT_T0_E_clISt17integral_constantIbLb0EESY_IbLb1EEEEDaSU_SV_EUlSU_E_NS1_11comp_targetILNS1_3genE2ELNS1_11target_archE906ELNS1_3gpuE6ELNS1_3repE0EEENS1_30default_config_static_selectorELNS0_4arch9wavefront6targetE0EEEvT1_
    .private_segment_fixed_size: 0
    .sgpr_count:     0
    .sgpr_spill_count: 0
    .symbol:         _ZN7rocprim17ROCPRIM_400000_NS6detail17trampoline_kernelINS0_14default_configENS1_20scan_config_selectorIN3c107complexIfEEEEZZNS1_9scan_implILNS1_25lookback_scan_determinismE0ELb0ELb0ES3_PKS7_PS7_S7_ZZZN2at6native31launch_logcumsumexp_cuda_kernelERKNSE_10TensorBaseESI_lENKUlvE_clEvENKUlvE2_clEvEUlS7_S7_E_S7_EEDaPvRmT3_T4_T5_mT6_P12ihipStream_tbENKUlT_T0_E_clISt17integral_constantIbLb0EESY_IbLb1EEEEDaSU_SV_EUlSU_E_NS1_11comp_targetILNS1_3genE2ELNS1_11target_archE906ELNS1_3gpuE6ELNS1_3repE0EEENS1_30default_config_static_selectorELNS0_4arch9wavefront6targetE0EEEvT1_.kd
    .uniform_work_group_size: 1
    .uses_dynamic_stack: false
    .vgpr_count:     0
    .vgpr_spill_count: 0
    .wavefront_size: 32
    .workgroup_processor_mode: 1
  - .args:
      - .offset:         0
        .size:           104
        .value_kind:     by_value
    .group_segment_fixed_size: 33792
    .kernarg_segment_align: 8
    .kernarg_segment_size: 104
    .language:       OpenCL C
    .language_version:
      - 2
      - 0
    .max_flat_workgroup_size: 256
    .name:           _ZN7rocprim17ROCPRIM_400000_NS6detail17trampoline_kernelINS0_14default_configENS1_20scan_config_selectorIN3c107complexIfEEEEZZNS1_9scan_implILNS1_25lookback_scan_determinismE0ELb0ELb0ES3_PKS7_PS7_S7_ZZZN2at6native31launch_logcumsumexp_cuda_kernelERKNSE_10TensorBaseESI_lENKUlvE_clEvENKUlvE2_clEvEUlS7_S7_E_S7_EEDaPvRmT3_T4_T5_mT6_P12ihipStream_tbENKUlT_T0_E_clISt17integral_constantIbLb0EESY_IbLb1EEEEDaSU_SV_EUlSU_E_NS1_11comp_targetILNS1_3genE10ELNS1_11target_archE1201ELNS1_3gpuE5ELNS1_3repE0EEENS1_30default_config_static_selectorELNS0_4arch9wavefront6targetE0EEEvT1_
    .private_segment_fixed_size: 0
    .sgpr_count:     38
    .sgpr_spill_count: 0
    .symbol:         _ZN7rocprim17ROCPRIM_400000_NS6detail17trampoline_kernelINS0_14default_configENS1_20scan_config_selectorIN3c107complexIfEEEEZZNS1_9scan_implILNS1_25lookback_scan_determinismE0ELb0ELb0ES3_PKS7_PS7_S7_ZZZN2at6native31launch_logcumsumexp_cuda_kernelERKNSE_10TensorBaseESI_lENKUlvE_clEvENKUlvE2_clEvEUlS7_S7_E_S7_EEDaPvRmT3_T4_T5_mT6_P12ihipStream_tbENKUlT_T0_E_clISt17integral_constantIbLb0EESY_IbLb1EEEEDaSU_SV_EUlSU_E_NS1_11comp_targetILNS1_3genE10ELNS1_11target_archE1201ELNS1_3gpuE5ELNS1_3repE0EEENS1_30default_config_static_selectorELNS0_4arch9wavefront6targetE0EEEvT1_.kd
    .uniform_work_group_size: 1
    .uses_dynamic_stack: false
    .vgpr_count:     110
    .vgpr_spill_count: 0
    .wavefront_size: 32
    .workgroup_processor_mode: 1
  - .args:
      - .offset:         0
        .size:           104
        .value_kind:     by_value
    .group_segment_fixed_size: 0
    .kernarg_segment_align: 8
    .kernarg_segment_size: 104
    .language:       OpenCL C
    .language_version:
      - 2
      - 0
    .max_flat_workgroup_size: 256
    .name:           _ZN7rocprim17ROCPRIM_400000_NS6detail17trampoline_kernelINS0_14default_configENS1_20scan_config_selectorIN3c107complexIfEEEEZZNS1_9scan_implILNS1_25lookback_scan_determinismE0ELb0ELb0ES3_PKS7_PS7_S7_ZZZN2at6native31launch_logcumsumexp_cuda_kernelERKNSE_10TensorBaseESI_lENKUlvE_clEvENKUlvE2_clEvEUlS7_S7_E_S7_EEDaPvRmT3_T4_T5_mT6_P12ihipStream_tbENKUlT_T0_E_clISt17integral_constantIbLb0EESY_IbLb1EEEEDaSU_SV_EUlSU_E_NS1_11comp_targetILNS1_3genE10ELNS1_11target_archE1200ELNS1_3gpuE4ELNS1_3repE0EEENS1_30default_config_static_selectorELNS0_4arch9wavefront6targetE0EEEvT1_
    .private_segment_fixed_size: 0
    .sgpr_count:     0
    .sgpr_spill_count: 0
    .symbol:         _ZN7rocprim17ROCPRIM_400000_NS6detail17trampoline_kernelINS0_14default_configENS1_20scan_config_selectorIN3c107complexIfEEEEZZNS1_9scan_implILNS1_25lookback_scan_determinismE0ELb0ELb0ES3_PKS7_PS7_S7_ZZZN2at6native31launch_logcumsumexp_cuda_kernelERKNSE_10TensorBaseESI_lENKUlvE_clEvENKUlvE2_clEvEUlS7_S7_E_S7_EEDaPvRmT3_T4_T5_mT6_P12ihipStream_tbENKUlT_T0_E_clISt17integral_constantIbLb0EESY_IbLb1EEEEDaSU_SV_EUlSU_E_NS1_11comp_targetILNS1_3genE10ELNS1_11target_archE1200ELNS1_3gpuE4ELNS1_3repE0EEENS1_30default_config_static_selectorELNS0_4arch9wavefront6targetE0EEEvT1_.kd
    .uniform_work_group_size: 1
    .uses_dynamic_stack: false
    .vgpr_count:     0
    .vgpr_spill_count: 0
    .wavefront_size: 32
    .workgroup_processor_mode: 1
  - .args:
      - .offset:         0
        .size:           104
        .value_kind:     by_value
    .group_segment_fixed_size: 0
    .kernarg_segment_align: 8
    .kernarg_segment_size: 104
    .language:       OpenCL C
    .language_version:
      - 2
      - 0
    .max_flat_workgroup_size: 256
    .name:           _ZN7rocprim17ROCPRIM_400000_NS6detail17trampoline_kernelINS0_14default_configENS1_20scan_config_selectorIN3c107complexIfEEEEZZNS1_9scan_implILNS1_25lookback_scan_determinismE0ELb0ELb0ES3_PKS7_PS7_S7_ZZZN2at6native31launch_logcumsumexp_cuda_kernelERKNSE_10TensorBaseESI_lENKUlvE_clEvENKUlvE2_clEvEUlS7_S7_E_S7_EEDaPvRmT3_T4_T5_mT6_P12ihipStream_tbENKUlT_T0_E_clISt17integral_constantIbLb0EESY_IbLb1EEEEDaSU_SV_EUlSU_E_NS1_11comp_targetILNS1_3genE9ELNS1_11target_archE1100ELNS1_3gpuE3ELNS1_3repE0EEENS1_30default_config_static_selectorELNS0_4arch9wavefront6targetE0EEEvT1_
    .private_segment_fixed_size: 0
    .sgpr_count:     0
    .sgpr_spill_count: 0
    .symbol:         _ZN7rocprim17ROCPRIM_400000_NS6detail17trampoline_kernelINS0_14default_configENS1_20scan_config_selectorIN3c107complexIfEEEEZZNS1_9scan_implILNS1_25lookback_scan_determinismE0ELb0ELb0ES3_PKS7_PS7_S7_ZZZN2at6native31launch_logcumsumexp_cuda_kernelERKNSE_10TensorBaseESI_lENKUlvE_clEvENKUlvE2_clEvEUlS7_S7_E_S7_EEDaPvRmT3_T4_T5_mT6_P12ihipStream_tbENKUlT_T0_E_clISt17integral_constantIbLb0EESY_IbLb1EEEEDaSU_SV_EUlSU_E_NS1_11comp_targetILNS1_3genE9ELNS1_11target_archE1100ELNS1_3gpuE3ELNS1_3repE0EEENS1_30default_config_static_selectorELNS0_4arch9wavefront6targetE0EEEvT1_.kd
    .uniform_work_group_size: 1
    .uses_dynamic_stack: false
    .vgpr_count:     0
    .vgpr_spill_count: 0
    .wavefront_size: 32
    .workgroup_processor_mode: 1
  - .args:
      - .offset:         0
        .size:           104
        .value_kind:     by_value
    .group_segment_fixed_size: 0
    .kernarg_segment_align: 8
    .kernarg_segment_size: 104
    .language:       OpenCL C
    .language_version:
      - 2
      - 0
    .max_flat_workgroup_size: 256
    .name:           _ZN7rocprim17ROCPRIM_400000_NS6detail17trampoline_kernelINS0_14default_configENS1_20scan_config_selectorIN3c107complexIfEEEEZZNS1_9scan_implILNS1_25lookback_scan_determinismE0ELb0ELb0ES3_PKS7_PS7_S7_ZZZN2at6native31launch_logcumsumexp_cuda_kernelERKNSE_10TensorBaseESI_lENKUlvE_clEvENKUlvE2_clEvEUlS7_S7_E_S7_EEDaPvRmT3_T4_T5_mT6_P12ihipStream_tbENKUlT_T0_E_clISt17integral_constantIbLb0EESY_IbLb1EEEEDaSU_SV_EUlSU_E_NS1_11comp_targetILNS1_3genE8ELNS1_11target_archE1030ELNS1_3gpuE2ELNS1_3repE0EEENS1_30default_config_static_selectorELNS0_4arch9wavefront6targetE0EEEvT1_
    .private_segment_fixed_size: 0
    .sgpr_count:     0
    .sgpr_spill_count: 0
    .symbol:         _ZN7rocprim17ROCPRIM_400000_NS6detail17trampoline_kernelINS0_14default_configENS1_20scan_config_selectorIN3c107complexIfEEEEZZNS1_9scan_implILNS1_25lookback_scan_determinismE0ELb0ELb0ES3_PKS7_PS7_S7_ZZZN2at6native31launch_logcumsumexp_cuda_kernelERKNSE_10TensorBaseESI_lENKUlvE_clEvENKUlvE2_clEvEUlS7_S7_E_S7_EEDaPvRmT3_T4_T5_mT6_P12ihipStream_tbENKUlT_T0_E_clISt17integral_constantIbLb0EESY_IbLb1EEEEDaSU_SV_EUlSU_E_NS1_11comp_targetILNS1_3genE8ELNS1_11target_archE1030ELNS1_3gpuE2ELNS1_3repE0EEENS1_30default_config_static_selectorELNS0_4arch9wavefront6targetE0EEEvT1_.kd
    .uniform_work_group_size: 1
    .uses_dynamic_stack: false
    .vgpr_count:     0
    .vgpr_spill_count: 0
    .wavefront_size: 32
    .workgroup_processor_mode: 1
  - .args:
      - .offset:         0
        .size:           40
        .value_kind:     by_value
    .group_segment_fixed_size: 0
    .kernarg_segment_align: 8
    .kernarg_segment_size: 40
    .language:       OpenCL C
    .language_version:
      - 2
      - 0
    .max_flat_workgroup_size: 256
    .name:           _ZN7rocprim17ROCPRIM_400000_NS6detail17trampoline_kernelINS0_14default_configENS1_20scan_config_selectorIN3c107complexIfEEEEZZNS1_9scan_implILNS1_25lookback_scan_determinismE0ELb0ELb0ES3_PKS7_PS7_S7_ZZZN2at6native31launch_logcumsumexp_cuda_kernelERKNSE_10TensorBaseESI_lENKUlvE_clEvENKUlvE2_clEvEUlS7_S7_E_S7_EEDaPvRmT3_T4_T5_mT6_P12ihipStream_tbENKUlT_T0_E_clISt17integral_constantIbLb0EESY_IbLb1EEEEDaSU_SV_EUlSU_E0_NS1_11comp_targetILNS1_3genE0ELNS1_11target_archE4294967295ELNS1_3gpuE0ELNS1_3repE0EEENS1_30default_config_static_selectorELNS0_4arch9wavefront6targetE0EEEvT1_
    .private_segment_fixed_size: 0
    .sgpr_count:     0
    .sgpr_spill_count: 0
    .symbol:         _ZN7rocprim17ROCPRIM_400000_NS6detail17trampoline_kernelINS0_14default_configENS1_20scan_config_selectorIN3c107complexIfEEEEZZNS1_9scan_implILNS1_25lookback_scan_determinismE0ELb0ELb0ES3_PKS7_PS7_S7_ZZZN2at6native31launch_logcumsumexp_cuda_kernelERKNSE_10TensorBaseESI_lENKUlvE_clEvENKUlvE2_clEvEUlS7_S7_E_S7_EEDaPvRmT3_T4_T5_mT6_P12ihipStream_tbENKUlT_T0_E_clISt17integral_constantIbLb0EESY_IbLb1EEEEDaSU_SV_EUlSU_E0_NS1_11comp_targetILNS1_3genE0ELNS1_11target_archE4294967295ELNS1_3gpuE0ELNS1_3repE0EEENS1_30default_config_static_selectorELNS0_4arch9wavefront6targetE0EEEvT1_.kd
    .uniform_work_group_size: 1
    .uses_dynamic_stack: false
    .vgpr_count:     0
    .vgpr_spill_count: 0
    .wavefront_size: 32
    .workgroup_processor_mode: 1
  - .args:
      - .offset:         0
        .size:           40
        .value_kind:     by_value
    .group_segment_fixed_size: 0
    .kernarg_segment_align: 8
    .kernarg_segment_size: 40
    .language:       OpenCL C
    .language_version:
      - 2
      - 0
    .max_flat_workgroup_size: 256
    .name:           _ZN7rocprim17ROCPRIM_400000_NS6detail17trampoline_kernelINS0_14default_configENS1_20scan_config_selectorIN3c107complexIfEEEEZZNS1_9scan_implILNS1_25lookback_scan_determinismE0ELb0ELb0ES3_PKS7_PS7_S7_ZZZN2at6native31launch_logcumsumexp_cuda_kernelERKNSE_10TensorBaseESI_lENKUlvE_clEvENKUlvE2_clEvEUlS7_S7_E_S7_EEDaPvRmT3_T4_T5_mT6_P12ihipStream_tbENKUlT_T0_E_clISt17integral_constantIbLb0EESY_IbLb1EEEEDaSU_SV_EUlSU_E0_NS1_11comp_targetILNS1_3genE5ELNS1_11target_archE942ELNS1_3gpuE9ELNS1_3repE0EEENS1_30default_config_static_selectorELNS0_4arch9wavefront6targetE0EEEvT1_
    .private_segment_fixed_size: 0
    .sgpr_count:     0
    .sgpr_spill_count: 0
    .symbol:         _ZN7rocprim17ROCPRIM_400000_NS6detail17trampoline_kernelINS0_14default_configENS1_20scan_config_selectorIN3c107complexIfEEEEZZNS1_9scan_implILNS1_25lookback_scan_determinismE0ELb0ELb0ES3_PKS7_PS7_S7_ZZZN2at6native31launch_logcumsumexp_cuda_kernelERKNSE_10TensorBaseESI_lENKUlvE_clEvENKUlvE2_clEvEUlS7_S7_E_S7_EEDaPvRmT3_T4_T5_mT6_P12ihipStream_tbENKUlT_T0_E_clISt17integral_constantIbLb0EESY_IbLb1EEEEDaSU_SV_EUlSU_E0_NS1_11comp_targetILNS1_3genE5ELNS1_11target_archE942ELNS1_3gpuE9ELNS1_3repE0EEENS1_30default_config_static_selectorELNS0_4arch9wavefront6targetE0EEEvT1_.kd
    .uniform_work_group_size: 1
    .uses_dynamic_stack: false
    .vgpr_count:     0
    .vgpr_spill_count: 0
    .wavefront_size: 32
    .workgroup_processor_mode: 1
  - .args:
      - .offset:         0
        .size:           40
        .value_kind:     by_value
    .group_segment_fixed_size: 0
    .kernarg_segment_align: 8
    .kernarg_segment_size: 40
    .language:       OpenCL C
    .language_version:
      - 2
      - 0
    .max_flat_workgroup_size: 128
    .name:           _ZN7rocprim17ROCPRIM_400000_NS6detail17trampoline_kernelINS0_14default_configENS1_20scan_config_selectorIN3c107complexIfEEEEZZNS1_9scan_implILNS1_25lookback_scan_determinismE0ELb0ELb0ES3_PKS7_PS7_S7_ZZZN2at6native31launch_logcumsumexp_cuda_kernelERKNSE_10TensorBaseESI_lENKUlvE_clEvENKUlvE2_clEvEUlS7_S7_E_S7_EEDaPvRmT3_T4_T5_mT6_P12ihipStream_tbENKUlT_T0_E_clISt17integral_constantIbLb0EESY_IbLb1EEEEDaSU_SV_EUlSU_E0_NS1_11comp_targetILNS1_3genE4ELNS1_11target_archE910ELNS1_3gpuE8ELNS1_3repE0EEENS1_30default_config_static_selectorELNS0_4arch9wavefront6targetE0EEEvT1_
    .private_segment_fixed_size: 0
    .sgpr_count:     0
    .sgpr_spill_count: 0
    .symbol:         _ZN7rocprim17ROCPRIM_400000_NS6detail17trampoline_kernelINS0_14default_configENS1_20scan_config_selectorIN3c107complexIfEEEEZZNS1_9scan_implILNS1_25lookback_scan_determinismE0ELb0ELb0ES3_PKS7_PS7_S7_ZZZN2at6native31launch_logcumsumexp_cuda_kernelERKNSE_10TensorBaseESI_lENKUlvE_clEvENKUlvE2_clEvEUlS7_S7_E_S7_EEDaPvRmT3_T4_T5_mT6_P12ihipStream_tbENKUlT_T0_E_clISt17integral_constantIbLb0EESY_IbLb1EEEEDaSU_SV_EUlSU_E0_NS1_11comp_targetILNS1_3genE4ELNS1_11target_archE910ELNS1_3gpuE8ELNS1_3repE0EEENS1_30default_config_static_selectorELNS0_4arch9wavefront6targetE0EEEvT1_.kd
    .uniform_work_group_size: 1
    .uses_dynamic_stack: false
    .vgpr_count:     0
    .vgpr_spill_count: 0
    .wavefront_size: 32
    .workgroup_processor_mode: 1
  - .args:
      - .offset:         0
        .size:           40
        .value_kind:     by_value
    .group_segment_fixed_size: 0
    .kernarg_segment_align: 8
    .kernarg_segment_size: 40
    .language:       OpenCL C
    .language_version:
      - 2
      - 0
    .max_flat_workgroup_size: 256
    .name:           _ZN7rocprim17ROCPRIM_400000_NS6detail17trampoline_kernelINS0_14default_configENS1_20scan_config_selectorIN3c107complexIfEEEEZZNS1_9scan_implILNS1_25lookback_scan_determinismE0ELb0ELb0ES3_PKS7_PS7_S7_ZZZN2at6native31launch_logcumsumexp_cuda_kernelERKNSE_10TensorBaseESI_lENKUlvE_clEvENKUlvE2_clEvEUlS7_S7_E_S7_EEDaPvRmT3_T4_T5_mT6_P12ihipStream_tbENKUlT_T0_E_clISt17integral_constantIbLb0EESY_IbLb1EEEEDaSU_SV_EUlSU_E0_NS1_11comp_targetILNS1_3genE3ELNS1_11target_archE908ELNS1_3gpuE7ELNS1_3repE0EEENS1_30default_config_static_selectorELNS0_4arch9wavefront6targetE0EEEvT1_
    .private_segment_fixed_size: 0
    .sgpr_count:     0
    .sgpr_spill_count: 0
    .symbol:         _ZN7rocprim17ROCPRIM_400000_NS6detail17trampoline_kernelINS0_14default_configENS1_20scan_config_selectorIN3c107complexIfEEEEZZNS1_9scan_implILNS1_25lookback_scan_determinismE0ELb0ELb0ES3_PKS7_PS7_S7_ZZZN2at6native31launch_logcumsumexp_cuda_kernelERKNSE_10TensorBaseESI_lENKUlvE_clEvENKUlvE2_clEvEUlS7_S7_E_S7_EEDaPvRmT3_T4_T5_mT6_P12ihipStream_tbENKUlT_T0_E_clISt17integral_constantIbLb0EESY_IbLb1EEEEDaSU_SV_EUlSU_E0_NS1_11comp_targetILNS1_3genE3ELNS1_11target_archE908ELNS1_3gpuE7ELNS1_3repE0EEENS1_30default_config_static_selectorELNS0_4arch9wavefront6targetE0EEEvT1_.kd
    .uniform_work_group_size: 1
    .uses_dynamic_stack: false
    .vgpr_count:     0
    .vgpr_spill_count: 0
    .wavefront_size: 32
    .workgroup_processor_mode: 1
  - .args:
      - .offset:         0
        .size:           40
        .value_kind:     by_value
    .group_segment_fixed_size: 0
    .kernarg_segment_align: 8
    .kernarg_segment_size: 40
    .language:       OpenCL C
    .language_version:
      - 2
      - 0
    .max_flat_workgroup_size: 64
    .name:           _ZN7rocprim17ROCPRIM_400000_NS6detail17trampoline_kernelINS0_14default_configENS1_20scan_config_selectorIN3c107complexIfEEEEZZNS1_9scan_implILNS1_25lookback_scan_determinismE0ELb0ELb0ES3_PKS7_PS7_S7_ZZZN2at6native31launch_logcumsumexp_cuda_kernelERKNSE_10TensorBaseESI_lENKUlvE_clEvENKUlvE2_clEvEUlS7_S7_E_S7_EEDaPvRmT3_T4_T5_mT6_P12ihipStream_tbENKUlT_T0_E_clISt17integral_constantIbLb0EESY_IbLb1EEEEDaSU_SV_EUlSU_E0_NS1_11comp_targetILNS1_3genE2ELNS1_11target_archE906ELNS1_3gpuE6ELNS1_3repE0EEENS1_30default_config_static_selectorELNS0_4arch9wavefront6targetE0EEEvT1_
    .private_segment_fixed_size: 0
    .sgpr_count:     0
    .sgpr_spill_count: 0
    .symbol:         _ZN7rocprim17ROCPRIM_400000_NS6detail17trampoline_kernelINS0_14default_configENS1_20scan_config_selectorIN3c107complexIfEEEEZZNS1_9scan_implILNS1_25lookback_scan_determinismE0ELb0ELb0ES3_PKS7_PS7_S7_ZZZN2at6native31launch_logcumsumexp_cuda_kernelERKNSE_10TensorBaseESI_lENKUlvE_clEvENKUlvE2_clEvEUlS7_S7_E_S7_EEDaPvRmT3_T4_T5_mT6_P12ihipStream_tbENKUlT_T0_E_clISt17integral_constantIbLb0EESY_IbLb1EEEEDaSU_SV_EUlSU_E0_NS1_11comp_targetILNS1_3genE2ELNS1_11target_archE906ELNS1_3gpuE6ELNS1_3repE0EEENS1_30default_config_static_selectorELNS0_4arch9wavefront6targetE0EEEvT1_.kd
    .uniform_work_group_size: 1
    .uses_dynamic_stack: false
    .vgpr_count:     0
    .vgpr_spill_count: 0
    .wavefront_size: 32
    .workgroup_processor_mode: 1
  - .args:
      - .offset:         0
        .size:           40
        .value_kind:     by_value
    .group_segment_fixed_size: 33792
    .kernarg_segment_align: 8
    .kernarg_segment_size: 40
    .language:       OpenCL C
    .language_version:
      - 2
      - 0
    .max_flat_workgroup_size: 256
    .name:           _ZN7rocprim17ROCPRIM_400000_NS6detail17trampoline_kernelINS0_14default_configENS1_20scan_config_selectorIN3c107complexIfEEEEZZNS1_9scan_implILNS1_25lookback_scan_determinismE0ELb0ELb0ES3_PKS7_PS7_S7_ZZZN2at6native31launch_logcumsumexp_cuda_kernelERKNSE_10TensorBaseESI_lENKUlvE_clEvENKUlvE2_clEvEUlS7_S7_E_S7_EEDaPvRmT3_T4_T5_mT6_P12ihipStream_tbENKUlT_T0_E_clISt17integral_constantIbLb0EESY_IbLb1EEEEDaSU_SV_EUlSU_E0_NS1_11comp_targetILNS1_3genE10ELNS1_11target_archE1201ELNS1_3gpuE5ELNS1_3repE0EEENS1_30default_config_static_selectorELNS0_4arch9wavefront6targetE0EEEvT1_
    .private_segment_fixed_size: 0
    .sgpr_count:     35
    .sgpr_spill_count: 0
    .symbol:         _ZN7rocprim17ROCPRIM_400000_NS6detail17trampoline_kernelINS0_14default_configENS1_20scan_config_selectorIN3c107complexIfEEEEZZNS1_9scan_implILNS1_25lookback_scan_determinismE0ELb0ELb0ES3_PKS7_PS7_S7_ZZZN2at6native31launch_logcumsumexp_cuda_kernelERKNSE_10TensorBaseESI_lENKUlvE_clEvENKUlvE2_clEvEUlS7_S7_E_S7_EEDaPvRmT3_T4_T5_mT6_P12ihipStream_tbENKUlT_T0_E_clISt17integral_constantIbLb0EESY_IbLb1EEEEDaSU_SV_EUlSU_E0_NS1_11comp_targetILNS1_3genE10ELNS1_11target_archE1201ELNS1_3gpuE5ELNS1_3repE0EEENS1_30default_config_static_selectorELNS0_4arch9wavefront6targetE0EEEvT1_.kd
    .uniform_work_group_size: 1
    .uses_dynamic_stack: false
    .vgpr_count:     110
    .vgpr_spill_count: 0
    .wavefront_size: 32
    .workgroup_processor_mode: 1
  - .args:
      - .offset:         0
        .size:           40
        .value_kind:     by_value
    .group_segment_fixed_size: 0
    .kernarg_segment_align: 8
    .kernarg_segment_size: 40
    .language:       OpenCL C
    .language_version:
      - 2
      - 0
    .max_flat_workgroup_size: 256
    .name:           _ZN7rocprim17ROCPRIM_400000_NS6detail17trampoline_kernelINS0_14default_configENS1_20scan_config_selectorIN3c107complexIfEEEEZZNS1_9scan_implILNS1_25lookback_scan_determinismE0ELb0ELb0ES3_PKS7_PS7_S7_ZZZN2at6native31launch_logcumsumexp_cuda_kernelERKNSE_10TensorBaseESI_lENKUlvE_clEvENKUlvE2_clEvEUlS7_S7_E_S7_EEDaPvRmT3_T4_T5_mT6_P12ihipStream_tbENKUlT_T0_E_clISt17integral_constantIbLb0EESY_IbLb1EEEEDaSU_SV_EUlSU_E0_NS1_11comp_targetILNS1_3genE10ELNS1_11target_archE1200ELNS1_3gpuE4ELNS1_3repE0EEENS1_30default_config_static_selectorELNS0_4arch9wavefront6targetE0EEEvT1_
    .private_segment_fixed_size: 0
    .sgpr_count:     0
    .sgpr_spill_count: 0
    .symbol:         _ZN7rocprim17ROCPRIM_400000_NS6detail17trampoline_kernelINS0_14default_configENS1_20scan_config_selectorIN3c107complexIfEEEEZZNS1_9scan_implILNS1_25lookback_scan_determinismE0ELb0ELb0ES3_PKS7_PS7_S7_ZZZN2at6native31launch_logcumsumexp_cuda_kernelERKNSE_10TensorBaseESI_lENKUlvE_clEvENKUlvE2_clEvEUlS7_S7_E_S7_EEDaPvRmT3_T4_T5_mT6_P12ihipStream_tbENKUlT_T0_E_clISt17integral_constantIbLb0EESY_IbLb1EEEEDaSU_SV_EUlSU_E0_NS1_11comp_targetILNS1_3genE10ELNS1_11target_archE1200ELNS1_3gpuE4ELNS1_3repE0EEENS1_30default_config_static_selectorELNS0_4arch9wavefront6targetE0EEEvT1_.kd
    .uniform_work_group_size: 1
    .uses_dynamic_stack: false
    .vgpr_count:     0
    .vgpr_spill_count: 0
    .wavefront_size: 32
    .workgroup_processor_mode: 1
  - .args:
      - .offset:         0
        .size:           40
        .value_kind:     by_value
    .group_segment_fixed_size: 0
    .kernarg_segment_align: 8
    .kernarg_segment_size: 40
    .language:       OpenCL C
    .language_version:
      - 2
      - 0
    .max_flat_workgroup_size: 256
    .name:           _ZN7rocprim17ROCPRIM_400000_NS6detail17trampoline_kernelINS0_14default_configENS1_20scan_config_selectorIN3c107complexIfEEEEZZNS1_9scan_implILNS1_25lookback_scan_determinismE0ELb0ELb0ES3_PKS7_PS7_S7_ZZZN2at6native31launch_logcumsumexp_cuda_kernelERKNSE_10TensorBaseESI_lENKUlvE_clEvENKUlvE2_clEvEUlS7_S7_E_S7_EEDaPvRmT3_T4_T5_mT6_P12ihipStream_tbENKUlT_T0_E_clISt17integral_constantIbLb0EESY_IbLb1EEEEDaSU_SV_EUlSU_E0_NS1_11comp_targetILNS1_3genE9ELNS1_11target_archE1100ELNS1_3gpuE3ELNS1_3repE0EEENS1_30default_config_static_selectorELNS0_4arch9wavefront6targetE0EEEvT1_
    .private_segment_fixed_size: 0
    .sgpr_count:     0
    .sgpr_spill_count: 0
    .symbol:         _ZN7rocprim17ROCPRIM_400000_NS6detail17trampoline_kernelINS0_14default_configENS1_20scan_config_selectorIN3c107complexIfEEEEZZNS1_9scan_implILNS1_25lookback_scan_determinismE0ELb0ELb0ES3_PKS7_PS7_S7_ZZZN2at6native31launch_logcumsumexp_cuda_kernelERKNSE_10TensorBaseESI_lENKUlvE_clEvENKUlvE2_clEvEUlS7_S7_E_S7_EEDaPvRmT3_T4_T5_mT6_P12ihipStream_tbENKUlT_T0_E_clISt17integral_constantIbLb0EESY_IbLb1EEEEDaSU_SV_EUlSU_E0_NS1_11comp_targetILNS1_3genE9ELNS1_11target_archE1100ELNS1_3gpuE3ELNS1_3repE0EEENS1_30default_config_static_selectorELNS0_4arch9wavefront6targetE0EEEvT1_.kd
    .uniform_work_group_size: 1
    .uses_dynamic_stack: false
    .vgpr_count:     0
    .vgpr_spill_count: 0
    .wavefront_size: 32
    .workgroup_processor_mode: 1
  - .args:
      - .offset:         0
        .size:           40
        .value_kind:     by_value
    .group_segment_fixed_size: 0
    .kernarg_segment_align: 8
    .kernarg_segment_size: 40
    .language:       OpenCL C
    .language_version:
      - 2
      - 0
    .max_flat_workgroup_size: 256
    .name:           _ZN7rocprim17ROCPRIM_400000_NS6detail17trampoline_kernelINS0_14default_configENS1_20scan_config_selectorIN3c107complexIfEEEEZZNS1_9scan_implILNS1_25lookback_scan_determinismE0ELb0ELb0ES3_PKS7_PS7_S7_ZZZN2at6native31launch_logcumsumexp_cuda_kernelERKNSE_10TensorBaseESI_lENKUlvE_clEvENKUlvE2_clEvEUlS7_S7_E_S7_EEDaPvRmT3_T4_T5_mT6_P12ihipStream_tbENKUlT_T0_E_clISt17integral_constantIbLb0EESY_IbLb1EEEEDaSU_SV_EUlSU_E0_NS1_11comp_targetILNS1_3genE8ELNS1_11target_archE1030ELNS1_3gpuE2ELNS1_3repE0EEENS1_30default_config_static_selectorELNS0_4arch9wavefront6targetE0EEEvT1_
    .private_segment_fixed_size: 0
    .sgpr_count:     0
    .sgpr_spill_count: 0
    .symbol:         _ZN7rocprim17ROCPRIM_400000_NS6detail17trampoline_kernelINS0_14default_configENS1_20scan_config_selectorIN3c107complexIfEEEEZZNS1_9scan_implILNS1_25lookback_scan_determinismE0ELb0ELb0ES3_PKS7_PS7_S7_ZZZN2at6native31launch_logcumsumexp_cuda_kernelERKNSE_10TensorBaseESI_lENKUlvE_clEvENKUlvE2_clEvEUlS7_S7_E_S7_EEDaPvRmT3_T4_T5_mT6_P12ihipStream_tbENKUlT_T0_E_clISt17integral_constantIbLb0EESY_IbLb1EEEEDaSU_SV_EUlSU_E0_NS1_11comp_targetILNS1_3genE8ELNS1_11target_archE1030ELNS1_3gpuE2ELNS1_3repE0EEENS1_30default_config_static_selectorELNS0_4arch9wavefront6targetE0EEEvT1_.kd
    .uniform_work_group_size: 1
    .uses_dynamic_stack: false
    .vgpr_count:     0
    .vgpr_spill_count: 0
    .wavefront_size: 32
    .workgroup_processor_mode: 1
  - .args:
      - .address_space:  global
        .offset:         0
        .size:           8
        .value_kind:     global_buffer
      - .address_space:  global
        .offset:         8
        .size:           8
        .value_kind:     global_buffer
      - .offset:         16
        .size:           4
        .value_kind:     by_value
      - .offset:         20
        .size:           4
        .value_kind:     by_value
      - .offset:         24
        .size:           4
        .value_kind:     by_value
      - .offset:         32
        .size:           8
        .value_kind:     by_value
      - .offset:         40
        .size:           1
        .value_kind:     by_value
      - .offset:         48
        .size:           4
        .value_kind:     hidden_block_count_x
      - .offset:         52
        .size:           4
        .value_kind:     hidden_block_count_y
      - .offset:         56
        .size:           4
        .value_kind:     hidden_block_count_z
      - .offset:         60
        .size:           2
        .value_kind:     hidden_group_size_x
      - .offset:         62
        .size:           2
        .value_kind:     hidden_group_size_y
      - .offset:         64
        .size:           2
        .value_kind:     hidden_group_size_z
      - .offset:         66
        .size:           2
        .value_kind:     hidden_remainder_x
      - .offset:         68
        .size:           2
        .value_kind:     hidden_remainder_y
      - .offset:         70
        .size:           2
        .value_kind:     hidden_remainder_z
      - .offset:         88
        .size:           8
        .value_kind:     hidden_global_offset_x
      - .offset:         96
        .size:           8
        .value_kind:     hidden_global_offset_y
      - .offset:         104
        .size:           8
        .value_kind:     hidden_global_offset_z
      - .offset:         112
        .size:           2
        .value_kind:     hidden_grid_dims
      - .offset:         168
        .size:           4
        .value_kind:     hidden_dynamic_lds_size
    .group_segment_fixed_size: 0
    .kernarg_segment_align: 8
    .kernarg_segment_size: 304
    .language:       OpenCL C
    .language_version:
      - 2
      - 0
    .max_flat_workgroup_size: 1024
    .name:           _ZN2at6native32tensor_kernel_scan_innermost_dimIN3c107complexIfEEZZZNS0_31launch_logcumsumexp_cuda_kernelERKNS_10TensorBaseES7_lENKUlvE_clEvENKUlvE2_clEvEUlS4_S4_E_EEvPT_PKSB_jjjSB_T0_
    .private_segment_fixed_size: 0
    .sgpr_count:     38
    .sgpr_spill_count: 0
    .symbol:         _ZN2at6native32tensor_kernel_scan_innermost_dimIN3c107complexIfEEZZZNS0_31launch_logcumsumexp_cuda_kernelERKNS_10TensorBaseES7_lENKUlvE_clEvENKUlvE2_clEvEUlS4_S4_E_EEvPT_PKSB_jjjSB_T0_.kd
    .uniform_work_group_size: 1
    .uses_dynamic_stack: false
    .vgpr_count:     44
    .vgpr_spill_count: 0
    .wavefront_size: 32
    .workgroup_processor_mode: 1
  - .args:
      - .address_space:  global
        .offset:         0
        .size:           8
        .value_kind:     global_buffer
      - .address_space:  global
        .offset:         8
        .size:           8
        .value_kind:     global_buffer
      - .offset:         16
        .size:           4
        .value_kind:     by_value
      - .offset:         20
        .size:           4
        .value_kind:     by_value
      - .offset:         24
        .size:           4
        .value_kind:     by_value
      - .offset:         32
        .size:           8
        .value_kind:     by_value
      - .offset:         40
        .size:           1
        .value_kind:     by_value
      - .offset:         48
        .size:           4
        .value_kind:     hidden_block_count_x
      - .offset:         52
        .size:           4
        .value_kind:     hidden_block_count_y
      - .offset:         56
        .size:           4
        .value_kind:     hidden_block_count_z
      - .offset:         60
        .size:           2
        .value_kind:     hidden_group_size_x
      - .offset:         62
        .size:           2
        .value_kind:     hidden_group_size_y
      - .offset:         64
        .size:           2
        .value_kind:     hidden_group_size_z
      - .offset:         66
        .size:           2
        .value_kind:     hidden_remainder_x
      - .offset:         68
        .size:           2
        .value_kind:     hidden_remainder_y
      - .offset:         70
        .size:           2
        .value_kind:     hidden_remainder_z
      - .offset:         88
        .size:           8
        .value_kind:     hidden_global_offset_x
      - .offset:         96
        .size:           8
        .value_kind:     hidden_global_offset_y
      - .offset:         104
        .size:           8
        .value_kind:     hidden_global_offset_z
      - .offset:         112
        .size:           2
        .value_kind:     hidden_grid_dims
    .group_segment_fixed_size: 0
    .kernarg_segment_align: 8
    .kernarg_segment_size: 304
    .language:       OpenCL C
    .language_version:
      - 2
      - 0
    .max_flat_workgroup_size: 1024
    .name:           _ZN2at6native28tensor_kernel_scan_outer_dimIN3c107complexIfEEjZZZNS0_31launch_logcumsumexp_cuda_kernelERKNS_10TensorBaseES7_lENKUlvE_clEvENKUlvE2_clEvEUlS4_S4_E_EEvPT_PKSB_jjjSB_T1_
    .private_segment_fixed_size: 0
    .sgpr_count:     42
    .sgpr_spill_count: 0
    .symbol:         _ZN2at6native28tensor_kernel_scan_outer_dimIN3c107complexIfEEjZZZNS0_31launch_logcumsumexp_cuda_kernelERKNS_10TensorBaseES7_lENKUlvE_clEvENKUlvE2_clEvEUlS4_S4_E_EEvPT_PKSB_jjjSB_T1_.kd
    .uniform_work_group_size: 1
    .uses_dynamic_stack: false
    .vgpr_count:     28
    .vgpr_spill_count: 0
    .wavefront_size: 32
    .workgroup_processor_mode: 1
  - .args:
      - .address_space:  global
        .offset:         0
        .size:           8
        .value_kind:     global_buffer
      - .address_space:  global
        .offset:         8
        .size:           8
        .value_kind:     global_buffer
      - .offset:         16
        .size:           4
        .value_kind:     by_value
      - .offset:         20
        .size:           4
        .value_kind:     by_value
      - .offset:         24
        .size:           4
        .value_kind:     by_value
      - .offset:         32
        .size:           8
        .value_kind:     by_value
      - .offset:         40
        .size:           1
        .value_kind:     by_value
      - .offset:         48
        .size:           4
        .value_kind:     hidden_block_count_x
      - .offset:         52
        .size:           4
        .value_kind:     hidden_block_count_y
      - .offset:         56
        .size:           4
        .value_kind:     hidden_block_count_z
      - .offset:         60
        .size:           2
        .value_kind:     hidden_group_size_x
      - .offset:         62
        .size:           2
        .value_kind:     hidden_group_size_y
      - .offset:         64
        .size:           2
        .value_kind:     hidden_group_size_z
      - .offset:         66
        .size:           2
        .value_kind:     hidden_remainder_x
      - .offset:         68
        .size:           2
        .value_kind:     hidden_remainder_y
      - .offset:         70
        .size:           2
        .value_kind:     hidden_remainder_z
      - .offset:         88
        .size:           8
        .value_kind:     hidden_global_offset_x
      - .offset:         96
        .size:           8
        .value_kind:     hidden_global_offset_y
      - .offset:         104
        .size:           8
        .value_kind:     hidden_global_offset_z
      - .offset:         112
        .size:           2
        .value_kind:     hidden_grid_dims
    .group_segment_fixed_size: 0
    .kernarg_segment_align: 8
    .kernarg_segment_size: 304
    .language:       OpenCL C
    .language_version:
      - 2
      - 0
    .max_flat_workgroup_size: 1024
    .name:           _ZN2at6native28tensor_kernel_scan_outer_dimIN3c107complexIfEEmZZZNS0_31launch_logcumsumexp_cuda_kernelERKNS_10TensorBaseES7_lENKUlvE_clEvENKUlvE2_clEvEUlS4_S4_E_EEvPT_PKSB_jjjSB_T1_
    .private_segment_fixed_size: 0
    .sgpr_count:     42
    .sgpr_spill_count: 0
    .symbol:         _ZN2at6native28tensor_kernel_scan_outer_dimIN3c107complexIfEEmZZZNS0_31launch_logcumsumexp_cuda_kernelERKNS_10TensorBaseES7_lENKUlvE_clEvENKUlvE2_clEvEUlS4_S4_E_EEvPT_PKSB_jjjSB_T1_.kd
    .uniform_work_group_size: 1
    .uses_dynamic_stack: false
    .vgpr_count:     28
    .vgpr_spill_count: 0
    .wavefront_size: 32
    .workgroup_processor_mode: 1
  - .args:
      - .address_space:  global
        .offset:         0
        .size:           8
        .value_kind:     global_buffer
      - .offset:         8
        .size:           4
        .value_kind:     by_value
      - .offset:         12
        .size:           1
        .value_kind:     by_value
      - .offset:         16
        .size:           4
        .value_kind:     by_value
      - .address_space:  global
        .offset:         24
        .size:           8
        .value_kind:     global_buffer
      - .offset:         32
        .size:           4
        .value_kind:     hidden_block_count_x
      - .offset:         36
        .size:           4
        .value_kind:     hidden_block_count_y
      - .offset:         40
        .size:           4
        .value_kind:     hidden_block_count_z
      - .offset:         44
        .size:           2
        .value_kind:     hidden_group_size_x
      - .offset:         46
        .size:           2
        .value_kind:     hidden_group_size_y
      - .offset:         48
        .size:           2
        .value_kind:     hidden_group_size_z
      - .offset:         50
        .size:           2
        .value_kind:     hidden_remainder_x
      - .offset:         52
        .size:           2
        .value_kind:     hidden_remainder_y
      - .offset:         54
        .size:           2
        .value_kind:     hidden_remainder_z
      - .offset:         72
        .size:           8
        .value_kind:     hidden_global_offset_x
      - .offset:         80
        .size:           8
        .value_kind:     hidden_global_offset_y
      - .offset:         88
        .size:           8
        .value_kind:     hidden_global_offset_z
      - .offset:         96
        .size:           2
        .value_kind:     hidden_grid_dims
    .group_segment_fixed_size: 0
    .kernarg_segment_align: 8
    .kernarg_segment_size: 288
    .language:       OpenCL C
    .language_version:
      - 2
      - 0
    .max_flat_workgroup_size: 256
    .name:           _ZN7rocprim17ROCPRIM_400000_NS6detail31init_lookback_scan_state_kernelINS1_19lookback_scan_stateIN3c104HalfELb0ELb1EEENS1_16block_id_wrapperIjLb0EEEEEvT_jT0_jPNS9_10value_typeE
    .private_segment_fixed_size: 0
    .sgpr_count:     10
    .sgpr_spill_count: 0
    .symbol:         _ZN7rocprim17ROCPRIM_400000_NS6detail31init_lookback_scan_state_kernelINS1_19lookback_scan_stateIN3c104HalfELb0ELb1EEENS1_16block_id_wrapperIjLb0EEEEEvT_jT0_jPNS9_10value_typeE.kd
    .uniform_work_group_size: 1
    .uses_dynamic_stack: false
    .vgpr_count:     5
    .vgpr_spill_count: 0
    .wavefront_size: 32
    .workgroup_processor_mode: 1
  - .args:
      - .offset:         0
        .size:           96
        .value_kind:     by_value
    .group_segment_fixed_size: 0
    .kernarg_segment_align: 8
    .kernarg_segment_size: 96
    .language:       OpenCL C
    .language_version:
      - 2
      - 0
    .max_flat_workgroup_size: 128
    .name:           _ZN7rocprim17ROCPRIM_400000_NS6detail17trampoline_kernelINS0_14default_configENS1_20scan_config_selectorIN3c104HalfEEEZZNS1_9scan_implILNS1_25lookback_scan_determinismE0ELb0ELb0ES3_PKS6_PS6_S6_ZZZN2at6native31launch_logcumsumexp_cuda_kernelERKNSD_10TensorBaseESH_lENKUlvE_clEvENKUlvE3_clEvEUlS6_S6_E_S6_EEDaPvRmT3_T4_T5_mT6_P12ihipStream_tbENKUlT_T0_E_clISt17integral_constantIbLb0EESY_EEDaST_SU_EUlST_E_NS1_11comp_targetILNS1_3genE0ELNS1_11target_archE4294967295ELNS1_3gpuE0ELNS1_3repE0EEENS1_30default_config_static_selectorELNS0_4arch9wavefront6targetE0EEEvT1_
    .private_segment_fixed_size: 0
    .sgpr_count:     0
    .sgpr_spill_count: 0
    .symbol:         _ZN7rocprim17ROCPRIM_400000_NS6detail17trampoline_kernelINS0_14default_configENS1_20scan_config_selectorIN3c104HalfEEEZZNS1_9scan_implILNS1_25lookback_scan_determinismE0ELb0ELb0ES3_PKS6_PS6_S6_ZZZN2at6native31launch_logcumsumexp_cuda_kernelERKNSD_10TensorBaseESH_lENKUlvE_clEvENKUlvE3_clEvEUlS6_S6_E_S6_EEDaPvRmT3_T4_T5_mT6_P12ihipStream_tbENKUlT_T0_E_clISt17integral_constantIbLb0EESY_EEDaST_SU_EUlST_E_NS1_11comp_targetILNS1_3genE0ELNS1_11target_archE4294967295ELNS1_3gpuE0ELNS1_3repE0EEENS1_30default_config_static_selectorELNS0_4arch9wavefront6targetE0EEEvT1_.kd
    .uniform_work_group_size: 1
    .uses_dynamic_stack: false
    .vgpr_count:     0
    .vgpr_spill_count: 0
    .wavefront_size: 32
    .workgroup_processor_mode: 1
  - .args:
      - .offset:         0
        .size:           96
        .value_kind:     by_value
    .group_segment_fixed_size: 0
    .kernarg_segment_align: 8
    .kernarg_segment_size: 96
    .language:       OpenCL C
    .language_version:
      - 2
      - 0
    .max_flat_workgroup_size: 256
    .name:           _ZN7rocprim17ROCPRIM_400000_NS6detail17trampoline_kernelINS0_14default_configENS1_20scan_config_selectorIN3c104HalfEEEZZNS1_9scan_implILNS1_25lookback_scan_determinismE0ELb0ELb0ES3_PKS6_PS6_S6_ZZZN2at6native31launch_logcumsumexp_cuda_kernelERKNSD_10TensorBaseESH_lENKUlvE_clEvENKUlvE3_clEvEUlS6_S6_E_S6_EEDaPvRmT3_T4_T5_mT6_P12ihipStream_tbENKUlT_T0_E_clISt17integral_constantIbLb0EESY_EEDaST_SU_EUlST_E_NS1_11comp_targetILNS1_3genE5ELNS1_11target_archE942ELNS1_3gpuE9ELNS1_3repE0EEENS1_30default_config_static_selectorELNS0_4arch9wavefront6targetE0EEEvT1_
    .private_segment_fixed_size: 0
    .sgpr_count:     0
    .sgpr_spill_count: 0
    .symbol:         _ZN7rocprim17ROCPRIM_400000_NS6detail17trampoline_kernelINS0_14default_configENS1_20scan_config_selectorIN3c104HalfEEEZZNS1_9scan_implILNS1_25lookback_scan_determinismE0ELb0ELb0ES3_PKS6_PS6_S6_ZZZN2at6native31launch_logcumsumexp_cuda_kernelERKNSD_10TensorBaseESH_lENKUlvE_clEvENKUlvE3_clEvEUlS6_S6_E_S6_EEDaPvRmT3_T4_T5_mT6_P12ihipStream_tbENKUlT_T0_E_clISt17integral_constantIbLb0EESY_EEDaST_SU_EUlST_E_NS1_11comp_targetILNS1_3genE5ELNS1_11target_archE942ELNS1_3gpuE9ELNS1_3repE0EEENS1_30default_config_static_selectorELNS0_4arch9wavefront6targetE0EEEvT1_.kd
    .uniform_work_group_size: 1
    .uses_dynamic_stack: false
    .vgpr_count:     0
    .vgpr_spill_count: 0
    .wavefront_size: 32
    .workgroup_processor_mode: 1
  - .args:
      - .offset:         0
        .size:           96
        .value_kind:     by_value
    .group_segment_fixed_size: 0
    .kernarg_segment_align: 8
    .kernarg_segment_size: 96
    .language:       OpenCL C
    .language_version:
      - 2
      - 0
    .max_flat_workgroup_size: 64
    .name:           _ZN7rocprim17ROCPRIM_400000_NS6detail17trampoline_kernelINS0_14default_configENS1_20scan_config_selectorIN3c104HalfEEEZZNS1_9scan_implILNS1_25lookback_scan_determinismE0ELb0ELb0ES3_PKS6_PS6_S6_ZZZN2at6native31launch_logcumsumexp_cuda_kernelERKNSD_10TensorBaseESH_lENKUlvE_clEvENKUlvE3_clEvEUlS6_S6_E_S6_EEDaPvRmT3_T4_T5_mT6_P12ihipStream_tbENKUlT_T0_E_clISt17integral_constantIbLb0EESY_EEDaST_SU_EUlST_E_NS1_11comp_targetILNS1_3genE4ELNS1_11target_archE910ELNS1_3gpuE8ELNS1_3repE0EEENS1_30default_config_static_selectorELNS0_4arch9wavefront6targetE0EEEvT1_
    .private_segment_fixed_size: 0
    .sgpr_count:     0
    .sgpr_spill_count: 0
    .symbol:         _ZN7rocprim17ROCPRIM_400000_NS6detail17trampoline_kernelINS0_14default_configENS1_20scan_config_selectorIN3c104HalfEEEZZNS1_9scan_implILNS1_25lookback_scan_determinismE0ELb0ELb0ES3_PKS6_PS6_S6_ZZZN2at6native31launch_logcumsumexp_cuda_kernelERKNSD_10TensorBaseESH_lENKUlvE_clEvENKUlvE3_clEvEUlS6_S6_E_S6_EEDaPvRmT3_T4_T5_mT6_P12ihipStream_tbENKUlT_T0_E_clISt17integral_constantIbLb0EESY_EEDaST_SU_EUlST_E_NS1_11comp_targetILNS1_3genE4ELNS1_11target_archE910ELNS1_3gpuE8ELNS1_3repE0EEENS1_30default_config_static_selectorELNS0_4arch9wavefront6targetE0EEEvT1_.kd
    .uniform_work_group_size: 1
    .uses_dynamic_stack: false
    .vgpr_count:     0
    .vgpr_spill_count: 0
    .wavefront_size: 32
    .workgroup_processor_mode: 1
  - .args:
      - .offset:         0
        .size:           96
        .value_kind:     by_value
    .group_segment_fixed_size: 0
    .kernarg_segment_align: 8
    .kernarg_segment_size: 96
    .language:       OpenCL C
    .language_version:
      - 2
      - 0
    .max_flat_workgroup_size: 128
    .name:           _ZN7rocprim17ROCPRIM_400000_NS6detail17trampoline_kernelINS0_14default_configENS1_20scan_config_selectorIN3c104HalfEEEZZNS1_9scan_implILNS1_25lookback_scan_determinismE0ELb0ELb0ES3_PKS6_PS6_S6_ZZZN2at6native31launch_logcumsumexp_cuda_kernelERKNSD_10TensorBaseESH_lENKUlvE_clEvENKUlvE3_clEvEUlS6_S6_E_S6_EEDaPvRmT3_T4_T5_mT6_P12ihipStream_tbENKUlT_T0_E_clISt17integral_constantIbLb0EESY_EEDaST_SU_EUlST_E_NS1_11comp_targetILNS1_3genE3ELNS1_11target_archE908ELNS1_3gpuE7ELNS1_3repE0EEENS1_30default_config_static_selectorELNS0_4arch9wavefront6targetE0EEEvT1_
    .private_segment_fixed_size: 0
    .sgpr_count:     0
    .sgpr_spill_count: 0
    .symbol:         _ZN7rocprim17ROCPRIM_400000_NS6detail17trampoline_kernelINS0_14default_configENS1_20scan_config_selectorIN3c104HalfEEEZZNS1_9scan_implILNS1_25lookback_scan_determinismE0ELb0ELb0ES3_PKS6_PS6_S6_ZZZN2at6native31launch_logcumsumexp_cuda_kernelERKNSD_10TensorBaseESH_lENKUlvE_clEvENKUlvE3_clEvEUlS6_S6_E_S6_EEDaPvRmT3_T4_T5_mT6_P12ihipStream_tbENKUlT_T0_E_clISt17integral_constantIbLb0EESY_EEDaST_SU_EUlST_E_NS1_11comp_targetILNS1_3genE3ELNS1_11target_archE908ELNS1_3gpuE7ELNS1_3repE0EEENS1_30default_config_static_selectorELNS0_4arch9wavefront6targetE0EEEvT1_.kd
    .uniform_work_group_size: 1
    .uses_dynamic_stack: false
    .vgpr_count:     0
    .vgpr_spill_count: 0
    .wavefront_size: 32
    .workgroup_processor_mode: 1
  - .args:
      - .offset:         0
        .size:           96
        .value_kind:     by_value
    .group_segment_fixed_size: 0
    .kernarg_segment_align: 8
    .kernarg_segment_size: 96
    .language:       OpenCL C
    .language_version:
      - 2
      - 0
    .max_flat_workgroup_size: 256
    .name:           _ZN7rocprim17ROCPRIM_400000_NS6detail17trampoline_kernelINS0_14default_configENS1_20scan_config_selectorIN3c104HalfEEEZZNS1_9scan_implILNS1_25lookback_scan_determinismE0ELb0ELb0ES3_PKS6_PS6_S6_ZZZN2at6native31launch_logcumsumexp_cuda_kernelERKNSD_10TensorBaseESH_lENKUlvE_clEvENKUlvE3_clEvEUlS6_S6_E_S6_EEDaPvRmT3_T4_T5_mT6_P12ihipStream_tbENKUlT_T0_E_clISt17integral_constantIbLb0EESY_EEDaST_SU_EUlST_E_NS1_11comp_targetILNS1_3genE2ELNS1_11target_archE906ELNS1_3gpuE6ELNS1_3repE0EEENS1_30default_config_static_selectorELNS0_4arch9wavefront6targetE0EEEvT1_
    .private_segment_fixed_size: 0
    .sgpr_count:     0
    .sgpr_spill_count: 0
    .symbol:         _ZN7rocprim17ROCPRIM_400000_NS6detail17trampoline_kernelINS0_14default_configENS1_20scan_config_selectorIN3c104HalfEEEZZNS1_9scan_implILNS1_25lookback_scan_determinismE0ELb0ELb0ES3_PKS6_PS6_S6_ZZZN2at6native31launch_logcumsumexp_cuda_kernelERKNSD_10TensorBaseESH_lENKUlvE_clEvENKUlvE3_clEvEUlS6_S6_E_S6_EEDaPvRmT3_T4_T5_mT6_P12ihipStream_tbENKUlT_T0_E_clISt17integral_constantIbLb0EESY_EEDaST_SU_EUlST_E_NS1_11comp_targetILNS1_3genE2ELNS1_11target_archE906ELNS1_3gpuE6ELNS1_3repE0EEENS1_30default_config_static_selectorELNS0_4arch9wavefront6targetE0EEEvT1_.kd
    .uniform_work_group_size: 1
    .uses_dynamic_stack: false
    .vgpr_count:     0
    .vgpr_spill_count: 0
    .wavefront_size: 32
    .workgroup_processor_mode: 1
  - .args:
      - .offset:         0
        .size:           96
        .value_kind:     by_value
    .group_segment_fixed_size: 6144
    .kernarg_segment_align: 8
    .kernarg_segment_size: 96
    .language:       OpenCL C
    .language_version:
      - 2
      - 0
    .max_flat_workgroup_size: 256
    .name:           _ZN7rocprim17ROCPRIM_400000_NS6detail17trampoline_kernelINS0_14default_configENS1_20scan_config_selectorIN3c104HalfEEEZZNS1_9scan_implILNS1_25lookback_scan_determinismE0ELb0ELb0ES3_PKS6_PS6_S6_ZZZN2at6native31launch_logcumsumexp_cuda_kernelERKNSD_10TensorBaseESH_lENKUlvE_clEvENKUlvE3_clEvEUlS6_S6_E_S6_EEDaPvRmT3_T4_T5_mT6_P12ihipStream_tbENKUlT_T0_E_clISt17integral_constantIbLb0EESY_EEDaST_SU_EUlST_E_NS1_11comp_targetILNS1_3genE10ELNS1_11target_archE1201ELNS1_3gpuE5ELNS1_3repE0EEENS1_30default_config_static_selectorELNS0_4arch9wavefront6targetE0EEEvT1_
    .private_segment_fixed_size: 0
    .sgpr_count:     42
    .sgpr_spill_count: 0
    .symbol:         _ZN7rocprim17ROCPRIM_400000_NS6detail17trampoline_kernelINS0_14default_configENS1_20scan_config_selectorIN3c104HalfEEEZZNS1_9scan_implILNS1_25lookback_scan_determinismE0ELb0ELb0ES3_PKS6_PS6_S6_ZZZN2at6native31launch_logcumsumexp_cuda_kernelERKNSD_10TensorBaseESH_lENKUlvE_clEvENKUlvE3_clEvEUlS6_S6_E_S6_EEDaPvRmT3_T4_T5_mT6_P12ihipStream_tbENKUlT_T0_E_clISt17integral_constantIbLb0EESY_EEDaST_SU_EUlST_E_NS1_11comp_targetILNS1_3genE10ELNS1_11target_archE1201ELNS1_3gpuE5ELNS1_3repE0EEENS1_30default_config_static_selectorELNS0_4arch9wavefront6targetE0EEEvT1_.kd
    .uniform_work_group_size: 1
    .uses_dynamic_stack: false
    .vgpr_count:     59
    .vgpr_spill_count: 0
    .wavefront_size: 32
    .workgroup_processor_mode: 1
  - .args:
      - .offset:         0
        .size:           96
        .value_kind:     by_value
    .group_segment_fixed_size: 0
    .kernarg_segment_align: 8
    .kernarg_segment_size: 96
    .language:       OpenCL C
    .language_version:
      - 2
      - 0
    .max_flat_workgroup_size: 256
    .name:           _ZN7rocprim17ROCPRIM_400000_NS6detail17trampoline_kernelINS0_14default_configENS1_20scan_config_selectorIN3c104HalfEEEZZNS1_9scan_implILNS1_25lookback_scan_determinismE0ELb0ELb0ES3_PKS6_PS6_S6_ZZZN2at6native31launch_logcumsumexp_cuda_kernelERKNSD_10TensorBaseESH_lENKUlvE_clEvENKUlvE3_clEvEUlS6_S6_E_S6_EEDaPvRmT3_T4_T5_mT6_P12ihipStream_tbENKUlT_T0_E_clISt17integral_constantIbLb0EESY_EEDaST_SU_EUlST_E_NS1_11comp_targetILNS1_3genE10ELNS1_11target_archE1200ELNS1_3gpuE4ELNS1_3repE0EEENS1_30default_config_static_selectorELNS0_4arch9wavefront6targetE0EEEvT1_
    .private_segment_fixed_size: 0
    .sgpr_count:     0
    .sgpr_spill_count: 0
    .symbol:         _ZN7rocprim17ROCPRIM_400000_NS6detail17trampoline_kernelINS0_14default_configENS1_20scan_config_selectorIN3c104HalfEEEZZNS1_9scan_implILNS1_25lookback_scan_determinismE0ELb0ELb0ES3_PKS6_PS6_S6_ZZZN2at6native31launch_logcumsumexp_cuda_kernelERKNSD_10TensorBaseESH_lENKUlvE_clEvENKUlvE3_clEvEUlS6_S6_E_S6_EEDaPvRmT3_T4_T5_mT6_P12ihipStream_tbENKUlT_T0_E_clISt17integral_constantIbLb0EESY_EEDaST_SU_EUlST_E_NS1_11comp_targetILNS1_3genE10ELNS1_11target_archE1200ELNS1_3gpuE4ELNS1_3repE0EEENS1_30default_config_static_selectorELNS0_4arch9wavefront6targetE0EEEvT1_.kd
    .uniform_work_group_size: 1
    .uses_dynamic_stack: false
    .vgpr_count:     0
    .vgpr_spill_count: 0
    .wavefront_size: 32
    .workgroup_processor_mode: 1
  - .args:
      - .offset:         0
        .size:           96
        .value_kind:     by_value
    .group_segment_fixed_size: 0
    .kernarg_segment_align: 8
    .kernarg_segment_size: 96
    .language:       OpenCL C
    .language_version:
      - 2
      - 0
    .max_flat_workgroup_size: 64
    .name:           _ZN7rocprim17ROCPRIM_400000_NS6detail17trampoline_kernelINS0_14default_configENS1_20scan_config_selectorIN3c104HalfEEEZZNS1_9scan_implILNS1_25lookback_scan_determinismE0ELb0ELb0ES3_PKS6_PS6_S6_ZZZN2at6native31launch_logcumsumexp_cuda_kernelERKNSD_10TensorBaseESH_lENKUlvE_clEvENKUlvE3_clEvEUlS6_S6_E_S6_EEDaPvRmT3_T4_T5_mT6_P12ihipStream_tbENKUlT_T0_E_clISt17integral_constantIbLb0EESY_EEDaST_SU_EUlST_E_NS1_11comp_targetILNS1_3genE9ELNS1_11target_archE1100ELNS1_3gpuE3ELNS1_3repE0EEENS1_30default_config_static_selectorELNS0_4arch9wavefront6targetE0EEEvT1_
    .private_segment_fixed_size: 0
    .sgpr_count:     0
    .sgpr_spill_count: 0
    .symbol:         _ZN7rocprim17ROCPRIM_400000_NS6detail17trampoline_kernelINS0_14default_configENS1_20scan_config_selectorIN3c104HalfEEEZZNS1_9scan_implILNS1_25lookback_scan_determinismE0ELb0ELb0ES3_PKS6_PS6_S6_ZZZN2at6native31launch_logcumsumexp_cuda_kernelERKNSD_10TensorBaseESH_lENKUlvE_clEvENKUlvE3_clEvEUlS6_S6_E_S6_EEDaPvRmT3_T4_T5_mT6_P12ihipStream_tbENKUlT_T0_E_clISt17integral_constantIbLb0EESY_EEDaST_SU_EUlST_E_NS1_11comp_targetILNS1_3genE9ELNS1_11target_archE1100ELNS1_3gpuE3ELNS1_3repE0EEENS1_30default_config_static_selectorELNS0_4arch9wavefront6targetE0EEEvT1_.kd
    .uniform_work_group_size: 1
    .uses_dynamic_stack: false
    .vgpr_count:     0
    .vgpr_spill_count: 0
    .wavefront_size: 32
    .workgroup_processor_mode: 1
  - .args:
      - .offset:         0
        .size:           96
        .value_kind:     by_value
    .group_segment_fixed_size: 0
    .kernarg_segment_align: 8
    .kernarg_segment_size: 96
    .language:       OpenCL C
    .language_version:
      - 2
      - 0
    .max_flat_workgroup_size: 64
    .name:           _ZN7rocprim17ROCPRIM_400000_NS6detail17trampoline_kernelINS0_14default_configENS1_20scan_config_selectorIN3c104HalfEEEZZNS1_9scan_implILNS1_25lookback_scan_determinismE0ELb0ELb0ES3_PKS6_PS6_S6_ZZZN2at6native31launch_logcumsumexp_cuda_kernelERKNSD_10TensorBaseESH_lENKUlvE_clEvENKUlvE3_clEvEUlS6_S6_E_S6_EEDaPvRmT3_T4_T5_mT6_P12ihipStream_tbENKUlT_T0_E_clISt17integral_constantIbLb0EESY_EEDaST_SU_EUlST_E_NS1_11comp_targetILNS1_3genE8ELNS1_11target_archE1030ELNS1_3gpuE2ELNS1_3repE0EEENS1_30default_config_static_selectorELNS0_4arch9wavefront6targetE0EEEvT1_
    .private_segment_fixed_size: 0
    .sgpr_count:     0
    .sgpr_spill_count: 0
    .symbol:         _ZN7rocprim17ROCPRIM_400000_NS6detail17trampoline_kernelINS0_14default_configENS1_20scan_config_selectorIN3c104HalfEEEZZNS1_9scan_implILNS1_25lookback_scan_determinismE0ELb0ELb0ES3_PKS6_PS6_S6_ZZZN2at6native31launch_logcumsumexp_cuda_kernelERKNSD_10TensorBaseESH_lENKUlvE_clEvENKUlvE3_clEvEUlS6_S6_E_S6_EEDaPvRmT3_T4_T5_mT6_P12ihipStream_tbENKUlT_T0_E_clISt17integral_constantIbLb0EESY_EEDaST_SU_EUlST_E_NS1_11comp_targetILNS1_3genE8ELNS1_11target_archE1030ELNS1_3gpuE2ELNS1_3repE0EEENS1_30default_config_static_selectorELNS0_4arch9wavefront6targetE0EEEvT1_.kd
    .uniform_work_group_size: 1
    .uses_dynamic_stack: false
    .vgpr_count:     0
    .vgpr_spill_count: 0
    .wavefront_size: 32
    .workgroup_processor_mode: 1
  - .args:
      - .offset:         0
        .size:           40
        .value_kind:     by_value
    .group_segment_fixed_size: 0
    .kernarg_segment_align: 8
    .kernarg_segment_size: 40
    .language:       OpenCL C
    .language_version:
      - 2
      - 0
    .max_flat_workgroup_size: 128
    .name:           _ZN7rocprim17ROCPRIM_400000_NS6detail17trampoline_kernelINS0_14default_configENS1_25transform_config_selectorIN3c104HalfELb1EEEZNS1_14transform_implILb1ES3_S7_PS6_S9_NS0_8identityIS6_EEEE10hipError_tT2_T3_mT4_P12ihipStream_tbEUlT_E_NS1_11comp_targetILNS1_3genE0ELNS1_11target_archE4294967295ELNS1_3gpuE0ELNS1_3repE0EEENS1_30default_config_static_selectorELNS0_4arch9wavefront6targetE0EEEvT1_
    .private_segment_fixed_size: 0
    .sgpr_count:     0
    .sgpr_spill_count: 0
    .symbol:         _ZN7rocprim17ROCPRIM_400000_NS6detail17trampoline_kernelINS0_14default_configENS1_25transform_config_selectorIN3c104HalfELb1EEEZNS1_14transform_implILb1ES3_S7_PS6_S9_NS0_8identityIS6_EEEE10hipError_tT2_T3_mT4_P12ihipStream_tbEUlT_E_NS1_11comp_targetILNS1_3genE0ELNS1_11target_archE4294967295ELNS1_3gpuE0ELNS1_3repE0EEENS1_30default_config_static_selectorELNS0_4arch9wavefront6targetE0EEEvT1_.kd
    .uniform_work_group_size: 1
    .uses_dynamic_stack: false
    .vgpr_count:     0
    .vgpr_spill_count: 0
    .wavefront_size: 32
    .workgroup_processor_mode: 1
  - .args:
      - .offset:         0
        .size:           40
        .value_kind:     by_value
      - .offset:         40
        .size:           4
        .value_kind:     hidden_block_count_x
      - .offset:         44
        .size:           4
        .value_kind:     hidden_block_count_y
      - .offset:         48
        .size:           4
        .value_kind:     hidden_block_count_z
      - .offset:         52
        .size:           2
        .value_kind:     hidden_group_size_x
      - .offset:         54
        .size:           2
        .value_kind:     hidden_group_size_y
      - .offset:         56
        .size:           2
        .value_kind:     hidden_group_size_z
      - .offset:         58
        .size:           2
        .value_kind:     hidden_remainder_x
      - .offset:         60
        .size:           2
        .value_kind:     hidden_remainder_y
      - .offset:         62
        .size:           2
        .value_kind:     hidden_remainder_z
      - .offset:         80
        .size:           8
        .value_kind:     hidden_global_offset_x
      - .offset:         88
        .size:           8
        .value_kind:     hidden_global_offset_y
      - .offset:         96
        .size:           8
        .value_kind:     hidden_global_offset_z
      - .offset:         104
        .size:           2
        .value_kind:     hidden_grid_dims
    .group_segment_fixed_size: 0
    .kernarg_segment_align: 8
    .kernarg_segment_size: 296
    .language:       OpenCL C
    .language_version:
      - 2
      - 0
    .max_flat_workgroup_size: 64
    .name:           _ZN7rocprim17ROCPRIM_400000_NS6detail17trampoline_kernelINS0_14default_configENS1_25transform_config_selectorIN3c104HalfELb1EEEZNS1_14transform_implILb1ES3_S7_PS6_S9_NS0_8identityIS6_EEEE10hipError_tT2_T3_mT4_P12ihipStream_tbEUlT_E_NS1_11comp_targetILNS1_3genE10ELNS1_11target_archE1201ELNS1_3gpuE5ELNS1_3repE0EEENS1_30default_config_static_selectorELNS0_4arch9wavefront6targetE0EEEvT1_
    .private_segment_fixed_size: 0
    .sgpr_count:     15
    .sgpr_spill_count: 0
    .symbol:         _ZN7rocprim17ROCPRIM_400000_NS6detail17trampoline_kernelINS0_14default_configENS1_25transform_config_selectorIN3c104HalfELb1EEEZNS1_14transform_implILb1ES3_S7_PS6_S9_NS0_8identityIS6_EEEE10hipError_tT2_T3_mT4_P12ihipStream_tbEUlT_E_NS1_11comp_targetILNS1_3genE10ELNS1_11target_archE1201ELNS1_3gpuE5ELNS1_3repE0EEENS1_30default_config_static_selectorELNS0_4arch9wavefront6targetE0EEEvT1_.kd
    .uniform_work_group_size: 1
    .uses_dynamic_stack: false
    .vgpr_count:     4
    .vgpr_spill_count: 0
    .wavefront_size: 32
    .workgroup_processor_mode: 1
  - .args:
      - .offset:         0
        .size:           40
        .value_kind:     by_value
    .group_segment_fixed_size: 0
    .kernarg_segment_align: 8
    .kernarg_segment_size: 40
    .language:       OpenCL C
    .language_version:
      - 2
      - 0
    .max_flat_workgroup_size: 256
    .name:           _ZN7rocprim17ROCPRIM_400000_NS6detail17trampoline_kernelINS0_14default_configENS1_25transform_config_selectorIN3c104HalfELb1EEEZNS1_14transform_implILb1ES3_S7_PS6_S9_NS0_8identityIS6_EEEE10hipError_tT2_T3_mT4_P12ihipStream_tbEUlT_E_NS1_11comp_targetILNS1_3genE5ELNS1_11target_archE942ELNS1_3gpuE9ELNS1_3repE0EEENS1_30default_config_static_selectorELNS0_4arch9wavefront6targetE0EEEvT1_
    .private_segment_fixed_size: 0
    .sgpr_count:     0
    .sgpr_spill_count: 0
    .symbol:         _ZN7rocprim17ROCPRIM_400000_NS6detail17trampoline_kernelINS0_14default_configENS1_25transform_config_selectorIN3c104HalfELb1EEEZNS1_14transform_implILb1ES3_S7_PS6_S9_NS0_8identityIS6_EEEE10hipError_tT2_T3_mT4_P12ihipStream_tbEUlT_E_NS1_11comp_targetILNS1_3genE5ELNS1_11target_archE942ELNS1_3gpuE9ELNS1_3repE0EEENS1_30default_config_static_selectorELNS0_4arch9wavefront6targetE0EEEvT1_.kd
    .uniform_work_group_size: 1
    .uses_dynamic_stack: false
    .vgpr_count:     0
    .vgpr_spill_count: 0
    .wavefront_size: 32
    .workgroup_processor_mode: 1
  - .args:
      - .offset:         0
        .size:           40
        .value_kind:     by_value
    .group_segment_fixed_size: 0
    .kernarg_segment_align: 8
    .kernarg_segment_size: 40
    .language:       OpenCL C
    .language_version:
      - 2
      - 0
    .max_flat_workgroup_size: 1024
    .name:           _ZN7rocprim17ROCPRIM_400000_NS6detail17trampoline_kernelINS0_14default_configENS1_25transform_config_selectorIN3c104HalfELb1EEEZNS1_14transform_implILb1ES3_S7_PS6_S9_NS0_8identityIS6_EEEE10hipError_tT2_T3_mT4_P12ihipStream_tbEUlT_E_NS1_11comp_targetILNS1_3genE4ELNS1_11target_archE910ELNS1_3gpuE8ELNS1_3repE0EEENS1_30default_config_static_selectorELNS0_4arch9wavefront6targetE0EEEvT1_
    .private_segment_fixed_size: 0
    .sgpr_count:     0
    .sgpr_spill_count: 0
    .symbol:         _ZN7rocprim17ROCPRIM_400000_NS6detail17trampoline_kernelINS0_14default_configENS1_25transform_config_selectorIN3c104HalfELb1EEEZNS1_14transform_implILb1ES3_S7_PS6_S9_NS0_8identityIS6_EEEE10hipError_tT2_T3_mT4_P12ihipStream_tbEUlT_E_NS1_11comp_targetILNS1_3genE4ELNS1_11target_archE910ELNS1_3gpuE8ELNS1_3repE0EEENS1_30default_config_static_selectorELNS0_4arch9wavefront6targetE0EEEvT1_.kd
    .uniform_work_group_size: 1
    .uses_dynamic_stack: false
    .vgpr_count:     0
    .vgpr_spill_count: 0
    .wavefront_size: 32
    .workgroup_processor_mode: 1
  - .args:
      - .offset:         0
        .size:           40
        .value_kind:     by_value
    .group_segment_fixed_size: 0
    .kernarg_segment_align: 8
    .kernarg_segment_size: 40
    .language:       OpenCL C
    .language_version:
      - 2
      - 0
    .max_flat_workgroup_size: 128
    .name:           _ZN7rocprim17ROCPRIM_400000_NS6detail17trampoline_kernelINS0_14default_configENS1_25transform_config_selectorIN3c104HalfELb1EEEZNS1_14transform_implILb1ES3_S7_PS6_S9_NS0_8identityIS6_EEEE10hipError_tT2_T3_mT4_P12ihipStream_tbEUlT_E_NS1_11comp_targetILNS1_3genE3ELNS1_11target_archE908ELNS1_3gpuE7ELNS1_3repE0EEENS1_30default_config_static_selectorELNS0_4arch9wavefront6targetE0EEEvT1_
    .private_segment_fixed_size: 0
    .sgpr_count:     0
    .sgpr_spill_count: 0
    .symbol:         _ZN7rocprim17ROCPRIM_400000_NS6detail17trampoline_kernelINS0_14default_configENS1_25transform_config_selectorIN3c104HalfELb1EEEZNS1_14transform_implILb1ES3_S7_PS6_S9_NS0_8identityIS6_EEEE10hipError_tT2_T3_mT4_P12ihipStream_tbEUlT_E_NS1_11comp_targetILNS1_3genE3ELNS1_11target_archE908ELNS1_3gpuE7ELNS1_3repE0EEENS1_30default_config_static_selectorELNS0_4arch9wavefront6targetE0EEEvT1_.kd
    .uniform_work_group_size: 1
    .uses_dynamic_stack: false
    .vgpr_count:     0
    .vgpr_spill_count: 0
    .wavefront_size: 32
    .workgroup_processor_mode: 1
  - .args:
      - .offset:         0
        .size:           40
        .value_kind:     by_value
    .group_segment_fixed_size: 0
    .kernarg_segment_align: 8
    .kernarg_segment_size: 40
    .language:       OpenCL C
    .language_version:
      - 2
      - 0
    .max_flat_workgroup_size: 1024
    .name:           _ZN7rocprim17ROCPRIM_400000_NS6detail17trampoline_kernelINS0_14default_configENS1_25transform_config_selectorIN3c104HalfELb1EEEZNS1_14transform_implILb1ES3_S7_PS6_S9_NS0_8identityIS6_EEEE10hipError_tT2_T3_mT4_P12ihipStream_tbEUlT_E_NS1_11comp_targetILNS1_3genE2ELNS1_11target_archE906ELNS1_3gpuE6ELNS1_3repE0EEENS1_30default_config_static_selectorELNS0_4arch9wavefront6targetE0EEEvT1_
    .private_segment_fixed_size: 0
    .sgpr_count:     0
    .sgpr_spill_count: 0
    .symbol:         _ZN7rocprim17ROCPRIM_400000_NS6detail17trampoline_kernelINS0_14default_configENS1_25transform_config_selectorIN3c104HalfELb1EEEZNS1_14transform_implILb1ES3_S7_PS6_S9_NS0_8identityIS6_EEEE10hipError_tT2_T3_mT4_P12ihipStream_tbEUlT_E_NS1_11comp_targetILNS1_3genE2ELNS1_11target_archE906ELNS1_3gpuE6ELNS1_3repE0EEENS1_30default_config_static_selectorELNS0_4arch9wavefront6targetE0EEEvT1_.kd
    .uniform_work_group_size: 1
    .uses_dynamic_stack: false
    .vgpr_count:     0
    .vgpr_spill_count: 0
    .wavefront_size: 32
    .workgroup_processor_mode: 1
  - .args:
      - .offset:         0
        .size:           40
        .value_kind:     by_value
    .group_segment_fixed_size: 0
    .kernarg_segment_align: 8
    .kernarg_segment_size: 40
    .language:       OpenCL C
    .language_version:
      - 2
      - 0
    .max_flat_workgroup_size: 1024
    .name:           _ZN7rocprim17ROCPRIM_400000_NS6detail17trampoline_kernelINS0_14default_configENS1_25transform_config_selectorIN3c104HalfELb1EEEZNS1_14transform_implILb1ES3_S7_PS6_S9_NS0_8identityIS6_EEEE10hipError_tT2_T3_mT4_P12ihipStream_tbEUlT_E_NS1_11comp_targetILNS1_3genE9ELNS1_11target_archE1100ELNS1_3gpuE3ELNS1_3repE0EEENS1_30default_config_static_selectorELNS0_4arch9wavefront6targetE0EEEvT1_
    .private_segment_fixed_size: 0
    .sgpr_count:     0
    .sgpr_spill_count: 0
    .symbol:         _ZN7rocprim17ROCPRIM_400000_NS6detail17trampoline_kernelINS0_14default_configENS1_25transform_config_selectorIN3c104HalfELb1EEEZNS1_14transform_implILb1ES3_S7_PS6_S9_NS0_8identityIS6_EEEE10hipError_tT2_T3_mT4_P12ihipStream_tbEUlT_E_NS1_11comp_targetILNS1_3genE9ELNS1_11target_archE1100ELNS1_3gpuE3ELNS1_3repE0EEENS1_30default_config_static_selectorELNS0_4arch9wavefront6targetE0EEEvT1_.kd
    .uniform_work_group_size: 1
    .uses_dynamic_stack: false
    .vgpr_count:     0
    .vgpr_spill_count: 0
    .wavefront_size: 32
    .workgroup_processor_mode: 1
  - .args:
      - .offset:         0
        .size:           40
        .value_kind:     by_value
    .group_segment_fixed_size: 0
    .kernarg_segment_align: 8
    .kernarg_segment_size: 40
    .language:       OpenCL C
    .language_version:
      - 2
      - 0
    .max_flat_workgroup_size: 1024
    .name:           _ZN7rocprim17ROCPRIM_400000_NS6detail17trampoline_kernelINS0_14default_configENS1_25transform_config_selectorIN3c104HalfELb1EEEZNS1_14transform_implILb1ES3_S7_PS6_S9_NS0_8identityIS6_EEEE10hipError_tT2_T3_mT4_P12ihipStream_tbEUlT_E_NS1_11comp_targetILNS1_3genE8ELNS1_11target_archE1030ELNS1_3gpuE2ELNS1_3repE0EEENS1_30default_config_static_selectorELNS0_4arch9wavefront6targetE0EEEvT1_
    .private_segment_fixed_size: 0
    .sgpr_count:     0
    .sgpr_spill_count: 0
    .symbol:         _ZN7rocprim17ROCPRIM_400000_NS6detail17trampoline_kernelINS0_14default_configENS1_25transform_config_selectorIN3c104HalfELb1EEEZNS1_14transform_implILb1ES3_S7_PS6_S9_NS0_8identityIS6_EEEE10hipError_tT2_T3_mT4_P12ihipStream_tbEUlT_E_NS1_11comp_targetILNS1_3genE8ELNS1_11target_archE1030ELNS1_3gpuE2ELNS1_3repE0EEENS1_30default_config_static_selectorELNS0_4arch9wavefront6targetE0EEEvT1_.kd
    .uniform_work_group_size: 1
    .uses_dynamic_stack: false
    .vgpr_count:     0
    .vgpr_spill_count: 0
    .wavefront_size: 32
    .workgroup_processor_mode: 1
  - .args:
      - .offset:         0
        .size:           32
        .value_kind:     by_value
    .group_segment_fixed_size: 0
    .kernarg_segment_align: 8
    .kernarg_segment_size: 32
    .language:       OpenCL C
    .language_version:
      - 2
      - 0
    .max_flat_workgroup_size: 128
    .name:           _ZN7rocprim17ROCPRIM_400000_NS6detail17trampoline_kernelINS0_14default_configENS1_20scan_config_selectorIN3c104HalfEEEZZNS1_9scan_implILNS1_25lookback_scan_determinismE0ELb0ELb0ES3_PKS6_PS6_S6_ZZZN2at6native31launch_logcumsumexp_cuda_kernelERKNSD_10TensorBaseESH_lENKUlvE_clEvENKUlvE3_clEvEUlS6_S6_E_S6_EEDaPvRmT3_T4_T5_mT6_P12ihipStream_tbENKUlT_T0_E_clISt17integral_constantIbLb0EESY_EEDaST_SU_EUlST_E0_NS1_11comp_targetILNS1_3genE0ELNS1_11target_archE4294967295ELNS1_3gpuE0ELNS1_3repE0EEENS1_30default_config_static_selectorELNS0_4arch9wavefront6targetE0EEEvT1_
    .private_segment_fixed_size: 0
    .sgpr_count:     0
    .sgpr_spill_count: 0
    .symbol:         _ZN7rocprim17ROCPRIM_400000_NS6detail17trampoline_kernelINS0_14default_configENS1_20scan_config_selectorIN3c104HalfEEEZZNS1_9scan_implILNS1_25lookback_scan_determinismE0ELb0ELb0ES3_PKS6_PS6_S6_ZZZN2at6native31launch_logcumsumexp_cuda_kernelERKNSD_10TensorBaseESH_lENKUlvE_clEvENKUlvE3_clEvEUlS6_S6_E_S6_EEDaPvRmT3_T4_T5_mT6_P12ihipStream_tbENKUlT_T0_E_clISt17integral_constantIbLb0EESY_EEDaST_SU_EUlST_E0_NS1_11comp_targetILNS1_3genE0ELNS1_11target_archE4294967295ELNS1_3gpuE0ELNS1_3repE0EEENS1_30default_config_static_selectorELNS0_4arch9wavefront6targetE0EEEvT1_.kd
    .uniform_work_group_size: 1
    .uses_dynamic_stack: false
    .vgpr_count:     0
    .vgpr_spill_count: 0
    .wavefront_size: 32
    .workgroup_processor_mode: 1
  - .args:
      - .offset:         0
        .size:           32
        .value_kind:     by_value
    .group_segment_fixed_size: 0
    .kernarg_segment_align: 8
    .kernarg_segment_size: 32
    .language:       OpenCL C
    .language_version:
      - 2
      - 0
    .max_flat_workgroup_size: 256
    .name:           _ZN7rocprim17ROCPRIM_400000_NS6detail17trampoline_kernelINS0_14default_configENS1_20scan_config_selectorIN3c104HalfEEEZZNS1_9scan_implILNS1_25lookback_scan_determinismE0ELb0ELb0ES3_PKS6_PS6_S6_ZZZN2at6native31launch_logcumsumexp_cuda_kernelERKNSD_10TensorBaseESH_lENKUlvE_clEvENKUlvE3_clEvEUlS6_S6_E_S6_EEDaPvRmT3_T4_T5_mT6_P12ihipStream_tbENKUlT_T0_E_clISt17integral_constantIbLb0EESY_EEDaST_SU_EUlST_E0_NS1_11comp_targetILNS1_3genE5ELNS1_11target_archE942ELNS1_3gpuE9ELNS1_3repE0EEENS1_30default_config_static_selectorELNS0_4arch9wavefront6targetE0EEEvT1_
    .private_segment_fixed_size: 0
    .sgpr_count:     0
    .sgpr_spill_count: 0
    .symbol:         _ZN7rocprim17ROCPRIM_400000_NS6detail17trampoline_kernelINS0_14default_configENS1_20scan_config_selectorIN3c104HalfEEEZZNS1_9scan_implILNS1_25lookback_scan_determinismE0ELb0ELb0ES3_PKS6_PS6_S6_ZZZN2at6native31launch_logcumsumexp_cuda_kernelERKNSD_10TensorBaseESH_lENKUlvE_clEvENKUlvE3_clEvEUlS6_S6_E_S6_EEDaPvRmT3_T4_T5_mT6_P12ihipStream_tbENKUlT_T0_E_clISt17integral_constantIbLb0EESY_EEDaST_SU_EUlST_E0_NS1_11comp_targetILNS1_3genE5ELNS1_11target_archE942ELNS1_3gpuE9ELNS1_3repE0EEENS1_30default_config_static_selectorELNS0_4arch9wavefront6targetE0EEEvT1_.kd
    .uniform_work_group_size: 1
    .uses_dynamic_stack: false
    .vgpr_count:     0
    .vgpr_spill_count: 0
    .wavefront_size: 32
    .workgroup_processor_mode: 1
  - .args:
      - .offset:         0
        .size:           32
        .value_kind:     by_value
    .group_segment_fixed_size: 0
    .kernarg_segment_align: 8
    .kernarg_segment_size: 32
    .language:       OpenCL C
    .language_version:
      - 2
      - 0
    .max_flat_workgroup_size: 64
    .name:           _ZN7rocprim17ROCPRIM_400000_NS6detail17trampoline_kernelINS0_14default_configENS1_20scan_config_selectorIN3c104HalfEEEZZNS1_9scan_implILNS1_25lookback_scan_determinismE0ELb0ELb0ES3_PKS6_PS6_S6_ZZZN2at6native31launch_logcumsumexp_cuda_kernelERKNSD_10TensorBaseESH_lENKUlvE_clEvENKUlvE3_clEvEUlS6_S6_E_S6_EEDaPvRmT3_T4_T5_mT6_P12ihipStream_tbENKUlT_T0_E_clISt17integral_constantIbLb0EESY_EEDaST_SU_EUlST_E0_NS1_11comp_targetILNS1_3genE4ELNS1_11target_archE910ELNS1_3gpuE8ELNS1_3repE0EEENS1_30default_config_static_selectorELNS0_4arch9wavefront6targetE0EEEvT1_
    .private_segment_fixed_size: 0
    .sgpr_count:     0
    .sgpr_spill_count: 0
    .symbol:         _ZN7rocprim17ROCPRIM_400000_NS6detail17trampoline_kernelINS0_14default_configENS1_20scan_config_selectorIN3c104HalfEEEZZNS1_9scan_implILNS1_25lookback_scan_determinismE0ELb0ELb0ES3_PKS6_PS6_S6_ZZZN2at6native31launch_logcumsumexp_cuda_kernelERKNSD_10TensorBaseESH_lENKUlvE_clEvENKUlvE3_clEvEUlS6_S6_E_S6_EEDaPvRmT3_T4_T5_mT6_P12ihipStream_tbENKUlT_T0_E_clISt17integral_constantIbLb0EESY_EEDaST_SU_EUlST_E0_NS1_11comp_targetILNS1_3genE4ELNS1_11target_archE910ELNS1_3gpuE8ELNS1_3repE0EEENS1_30default_config_static_selectorELNS0_4arch9wavefront6targetE0EEEvT1_.kd
    .uniform_work_group_size: 1
    .uses_dynamic_stack: false
    .vgpr_count:     0
    .vgpr_spill_count: 0
    .wavefront_size: 32
    .workgroup_processor_mode: 1
  - .args:
      - .offset:         0
        .size:           32
        .value_kind:     by_value
    .group_segment_fixed_size: 0
    .kernarg_segment_align: 8
    .kernarg_segment_size: 32
    .language:       OpenCL C
    .language_version:
      - 2
      - 0
    .max_flat_workgroup_size: 128
    .name:           _ZN7rocprim17ROCPRIM_400000_NS6detail17trampoline_kernelINS0_14default_configENS1_20scan_config_selectorIN3c104HalfEEEZZNS1_9scan_implILNS1_25lookback_scan_determinismE0ELb0ELb0ES3_PKS6_PS6_S6_ZZZN2at6native31launch_logcumsumexp_cuda_kernelERKNSD_10TensorBaseESH_lENKUlvE_clEvENKUlvE3_clEvEUlS6_S6_E_S6_EEDaPvRmT3_T4_T5_mT6_P12ihipStream_tbENKUlT_T0_E_clISt17integral_constantIbLb0EESY_EEDaST_SU_EUlST_E0_NS1_11comp_targetILNS1_3genE3ELNS1_11target_archE908ELNS1_3gpuE7ELNS1_3repE0EEENS1_30default_config_static_selectorELNS0_4arch9wavefront6targetE0EEEvT1_
    .private_segment_fixed_size: 0
    .sgpr_count:     0
    .sgpr_spill_count: 0
    .symbol:         _ZN7rocprim17ROCPRIM_400000_NS6detail17trampoline_kernelINS0_14default_configENS1_20scan_config_selectorIN3c104HalfEEEZZNS1_9scan_implILNS1_25lookback_scan_determinismE0ELb0ELb0ES3_PKS6_PS6_S6_ZZZN2at6native31launch_logcumsumexp_cuda_kernelERKNSD_10TensorBaseESH_lENKUlvE_clEvENKUlvE3_clEvEUlS6_S6_E_S6_EEDaPvRmT3_T4_T5_mT6_P12ihipStream_tbENKUlT_T0_E_clISt17integral_constantIbLb0EESY_EEDaST_SU_EUlST_E0_NS1_11comp_targetILNS1_3genE3ELNS1_11target_archE908ELNS1_3gpuE7ELNS1_3repE0EEENS1_30default_config_static_selectorELNS0_4arch9wavefront6targetE0EEEvT1_.kd
    .uniform_work_group_size: 1
    .uses_dynamic_stack: false
    .vgpr_count:     0
    .vgpr_spill_count: 0
    .wavefront_size: 32
    .workgroup_processor_mode: 1
  - .args:
      - .offset:         0
        .size:           32
        .value_kind:     by_value
    .group_segment_fixed_size: 0
    .kernarg_segment_align: 8
    .kernarg_segment_size: 32
    .language:       OpenCL C
    .language_version:
      - 2
      - 0
    .max_flat_workgroup_size: 256
    .name:           _ZN7rocprim17ROCPRIM_400000_NS6detail17trampoline_kernelINS0_14default_configENS1_20scan_config_selectorIN3c104HalfEEEZZNS1_9scan_implILNS1_25lookback_scan_determinismE0ELb0ELb0ES3_PKS6_PS6_S6_ZZZN2at6native31launch_logcumsumexp_cuda_kernelERKNSD_10TensorBaseESH_lENKUlvE_clEvENKUlvE3_clEvEUlS6_S6_E_S6_EEDaPvRmT3_T4_T5_mT6_P12ihipStream_tbENKUlT_T0_E_clISt17integral_constantIbLb0EESY_EEDaST_SU_EUlST_E0_NS1_11comp_targetILNS1_3genE2ELNS1_11target_archE906ELNS1_3gpuE6ELNS1_3repE0EEENS1_30default_config_static_selectorELNS0_4arch9wavefront6targetE0EEEvT1_
    .private_segment_fixed_size: 0
    .sgpr_count:     0
    .sgpr_spill_count: 0
    .symbol:         _ZN7rocprim17ROCPRIM_400000_NS6detail17trampoline_kernelINS0_14default_configENS1_20scan_config_selectorIN3c104HalfEEEZZNS1_9scan_implILNS1_25lookback_scan_determinismE0ELb0ELb0ES3_PKS6_PS6_S6_ZZZN2at6native31launch_logcumsumexp_cuda_kernelERKNSD_10TensorBaseESH_lENKUlvE_clEvENKUlvE3_clEvEUlS6_S6_E_S6_EEDaPvRmT3_T4_T5_mT6_P12ihipStream_tbENKUlT_T0_E_clISt17integral_constantIbLb0EESY_EEDaST_SU_EUlST_E0_NS1_11comp_targetILNS1_3genE2ELNS1_11target_archE906ELNS1_3gpuE6ELNS1_3repE0EEENS1_30default_config_static_selectorELNS0_4arch9wavefront6targetE0EEEvT1_.kd
    .uniform_work_group_size: 1
    .uses_dynamic_stack: false
    .vgpr_count:     0
    .vgpr_spill_count: 0
    .wavefront_size: 32
    .workgroup_processor_mode: 1
  - .args:
      - .offset:         0
        .size:           32
        .value_kind:     by_value
    .group_segment_fixed_size: 6144
    .kernarg_segment_align: 8
    .kernarg_segment_size: 32
    .language:       OpenCL C
    .language_version:
      - 2
      - 0
    .max_flat_workgroup_size: 256
    .name:           _ZN7rocprim17ROCPRIM_400000_NS6detail17trampoline_kernelINS0_14default_configENS1_20scan_config_selectorIN3c104HalfEEEZZNS1_9scan_implILNS1_25lookback_scan_determinismE0ELb0ELb0ES3_PKS6_PS6_S6_ZZZN2at6native31launch_logcumsumexp_cuda_kernelERKNSD_10TensorBaseESH_lENKUlvE_clEvENKUlvE3_clEvEUlS6_S6_E_S6_EEDaPvRmT3_T4_T5_mT6_P12ihipStream_tbENKUlT_T0_E_clISt17integral_constantIbLb0EESY_EEDaST_SU_EUlST_E0_NS1_11comp_targetILNS1_3genE10ELNS1_11target_archE1201ELNS1_3gpuE5ELNS1_3repE0EEENS1_30default_config_static_selectorELNS0_4arch9wavefront6targetE0EEEvT1_
    .private_segment_fixed_size: 0
    .sgpr_count:     32
    .sgpr_spill_count: 0
    .symbol:         _ZN7rocprim17ROCPRIM_400000_NS6detail17trampoline_kernelINS0_14default_configENS1_20scan_config_selectorIN3c104HalfEEEZZNS1_9scan_implILNS1_25lookback_scan_determinismE0ELb0ELb0ES3_PKS6_PS6_S6_ZZZN2at6native31launch_logcumsumexp_cuda_kernelERKNSD_10TensorBaseESH_lENKUlvE_clEvENKUlvE3_clEvEUlS6_S6_E_S6_EEDaPvRmT3_T4_T5_mT6_P12ihipStream_tbENKUlT_T0_E_clISt17integral_constantIbLb0EESY_EEDaST_SU_EUlST_E0_NS1_11comp_targetILNS1_3genE10ELNS1_11target_archE1201ELNS1_3gpuE5ELNS1_3repE0EEENS1_30default_config_static_selectorELNS0_4arch9wavefront6targetE0EEEvT1_.kd
    .uniform_work_group_size: 1
    .uses_dynamic_stack: false
    .vgpr_count:     36
    .vgpr_spill_count: 0
    .wavefront_size: 32
    .workgroup_processor_mode: 1
  - .args:
      - .offset:         0
        .size:           32
        .value_kind:     by_value
    .group_segment_fixed_size: 0
    .kernarg_segment_align: 8
    .kernarg_segment_size: 32
    .language:       OpenCL C
    .language_version:
      - 2
      - 0
    .max_flat_workgroup_size: 256
    .name:           _ZN7rocprim17ROCPRIM_400000_NS6detail17trampoline_kernelINS0_14default_configENS1_20scan_config_selectorIN3c104HalfEEEZZNS1_9scan_implILNS1_25lookback_scan_determinismE0ELb0ELb0ES3_PKS6_PS6_S6_ZZZN2at6native31launch_logcumsumexp_cuda_kernelERKNSD_10TensorBaseESH_lENKUlvE_clEvENKUlvE3_clEvEUlS6_S6_E_S6_EEDaPvRmT3_T4_T5_mT6_P12ihipStream_tbENKUlT_T0_E_clISt17integral_constantIbLb0EESY_EEDaST_SU_EUlST_E0_NS1_11comp_targetILNS1_3genE10ELNS1_11target_archE1200ELNS1_3gpuE4ELNS1_3repE0EEENS1_30default_config_static_selectorELNS0_4arch9wavefront6targetE0EEEvT1_
    .private_segment_fixed_size: 0
    .sgpr_count:     0
    .sgpr_spill_count: 0
    .symbol:         _ZN7rocprim17ROCPRIM_400000_NS6detail17trampoline_kernelINS0_14default_configENS1_20scan_config_selectorIN3c104HalfEEEZZNS1_9scan_implILNS1_25lookback_scan_determinismE0ELb0ELb0ES3_PKS6_PS6_S6_ZZZN2at6native31launch_logcumsumexp_cuda_kernelERKNSD_10TensorBaseESH_lENKUlvE_clEvENKUlvE3_clEvEUlS6_S6_E_S6_EEDaPvRmT3_T4_T5_mT6_P12ihipStream_tbENKUlT_T0_E_clISt17integral_constantIbLb0EESY_EEDaST_SU_EUlST_E0_NS1_11comp_targetILNS1_3genE10ELNS1_11target_archE1200ELNS1_3gpuE4ELNS1_3repE0EEENS1_30default_config_static_selectorELNS0_4arch9wavefront6targetE0EEEvT1_.kd
    .uniform_work_group_size: 1
    .uses_dynamic_stack: false
    .vgpr_count:     0
    .vgpr_spill_count: 0
    .wavefront_size: 32
    .workgroup_processor_mode: 1
  - .args:
      - .offset:         0
        .size:           32
        .value_kind:     by_value
    .group_segment_fixed_size: 0
    .kernarg_segment_align: 8
    .kernarg_segment_size: 32
    .language:       OpenCL C
    .language_version:
      - 2
      - 0
    .max_flat_workgroup_size: 64
    .name:           _ZN7rocprim17ROCPRIM_400000_NS6detail17trampoline_kernelINS0_14default_configENS1_20scan_config_selectorIN3c104HalfEEEZZNS1_9scan_implILNS1_25lookback_scan_determinismE0ELb0ELb0ES3_PKS6_PS6_S6_ZZZN2at6native31launch_logcumsumexp_cuda_kernelERKNSD_10TensorBaseESH_lENKUlvE_clEvENKUlvE3_clEvEUlS6_S6_E_S6_EEDaPvRmT3_T4_T5_mT6_P12ihipStream_tbENKUlT_T0_E_clISt17integral_constantIbLb0EESY_EEDaST_SU_EUlST_E0_NS1_11comp_targetILNS1_3genE9ELNS1_11target_archE1100ELNS1_3gpuE3ELNS1_3repE0EEENS1_30default_config_static_selectorELNS0_4arch9wavefront6targetE0EEEvT1_
    .private_segment_fixed_size: 0
    .sgpr_count:     0
    .sgpr_spill_count: 0
    .symbol:         _ZN7rocprim17ROCPRIM_400000_NS6detail17trampoline_kernelINS0_14default_configENS1_20scan_config_selectorIN3c104HalfEEEZZNS1_9scan_implILNS1_25lookback_scan_determinismE0ELb0ELb0ES3_PKS6_PS6_S6_ZZZN2at6native31launch_logcumsumexp_cuda_kernelERKNSD_10TensorBaseESH_lENKUlvE_clEvENKUlvE3_clEvEUlS6_S6_E_S6_EEDaPvRmT3_T4_T5_mT6_P12ihipStream_tbENKUlT_T0_E_clISt17integral_constantIbLb0EESY_EEDaST_SU_EUlST_E0_NS1_11comp_targetILNS1_3genE9ELNS1_11target_archE1100ELNS1_3gpuE3ELNS1_3repE0EEENS1_30default_config_static_selectorELNS0_4arch9wavefront6targetE0EEEvT1_.kd
    .uniform_work_group_size: 1
    .uses_dynamic_stack: false
    .vgpr_count:     0
    .vgpr_spill_count: 0
    .wavefront_size: 32
    .workgroup_processor_mode: 1
  - .args:
      - .offset:         0
        .size:           32
        .value_kind:     by_value
    .group_segment_fixed_size: 0
    .kernarg_segment_align: 8
    .kernarg_segment_size: 32
    .language:       OpenCL C
    .language_version:
      - 2
      - 0
    .max_flat_workgroup_size: 64
    .name:           _ZN7rocprim17ROCPRIM_400000_NS6detail17trampoline_kernelINS0_14default_configENS1_20scan_config_selectorIN3c104HalfEEEZZNS1_9scan_implILNS1_25lookback_scan_determinismE0ELb0ELb0ES3_PKS6_PS6_S6_ZZZN2at6native31launch_logcumsumexp_cuda_kernelERKNSD_10TensorBaseESH_lENKUlvE_clEvENKUlvE3_clEvEUlS6_S6_E_S6_EEDaPvRmT3_T4_T5_mT6_P12ihipStream_tbENKUlT_T0_E_clISt17integral_constantIbLb0EESY_EEDaST_SU_EUlST_E0_NS1_11comp_targetILNS1_3genE8ELNS1_11target_archE1030ELNS1_3gpuE2ELNS1_3repE0EEENS1_30default_config_static_selectorELNS0_4arch9wavefront6targetE0EEEvT1_
    .private_segment_fixed_size: 0
    .sgpr_count:     0
    .sgpr_spill_count: 0
    .symbol:         _ZN7rocprim17ROCPRIM_400000_NS6detail17trampoline_kernelINS0_14default_configENS1_20scan_config_selectorIN3c104HalfEEEZZNS1_9scan_implILNS1_25lookback_scan_determinismE0ELb0ELb0ES3_PKS6_PS6_S6_ZZZN2at6native31launch_logcumsumexp_cuda_kernelERKNSD_10TensorBaseESH_lENKUlvE_clEvENKUlvE3_clEvEUlS6_S6_E_S6_EEDaPvRmT3_T4_T5_mT6_P12ihipStream_tbENKUlT_T0_E_clISt17integral_constantIbLb0EESY_EEDaST_SU_EUlST_E0_NS1_11comp_targetILNS1_3genE8ELNS1_11target_archE1030ELNS1_3gpuE2ELNS1_3repE0EEENS1_30default_config_static_selectorELNS0_4arch9wavefront6targetE0EEEvT1_.kd
    .uniform_work_group_size: 1
    .uses_dynamic_stack: false
    .vgpr_count:     0
    .vgpr_spill_count: 0
    .wavefront_size: 32
    .workgroup_processor_mode: 1
  - .args:
      - .address_space:  global
        .offset:         0
        .size:           8
        .value_kind:     global_buffer
      - .offset:         8
        .size:           4
        .value_kind:     by_value
      - .address_space:  global
        .offset:         16
        .size:           8
        .value_kind:     global_buffer
      - .offset:         24
        .size:           4
        .value_kind:     by_value
      - .address_space:  global
        .offset:         32
        .size:           8
        .value_kind:     global_buffer
      - .offset:         40
        .size:           4
        .value_kind:     hidden_block_count_x
      - .offset:         44
        .size:           4
        .value_kind:     hidden_block_count_y
      - .offset:         48
        .size:           4
        .value_kind:     hidden_block_count_z
      - .offset:         52
        .size:           2
        .value_kind:     hidden_group_size_x
      - .offset:         54
        .size:           2
        .value_kind:     hidden_group_size_y
      - .offset:         56
        .size:           2
        .value_kind:     hidden_group_size_z
      - .offset:         58
        .size:           2
        .value_kind:     hidden_remainder_x
      - .offset:         60
        .size:           2
        .value_kind:     hidden_remainder_y
      - .offset:         62
        .size:           2
        .value_kind:     hidden_remainder_z
      - .offset:         80
        .size:           8
        .value_kind:     hidden_global_offset_x
      - .offset:         88
        .size:           8
        .value_kind:     hidden_global_offset_y
      - .offset:         96
        .size:           8
        .value_kind:     hidden_global_offset_z
      - .offset:         104
        .size:           2
        .value_kind:     hidden_grid_dims
    .group_segment_fixed_size: 0
    .kernarg_segment_align: 8
    .kernarg_segment_size: 296
    .language:       OpenCL C
    .language_version:
      - 2
      - 0
    .max_flat_workgroup_size: 256
    .name:           _ZN7rocprim17ROCPRIM_400000_NS6detail31init_lookback_scan_state_kernelINS1_19lookback_scan_stateIN3c104HalfELb1ELb1EEENS1_16block_id_wrapperIjLb1EEEEEvT_jT0_jPNS9_10value_typeE
    .private_segment_fixed_size: 0
    .sgpr_count:     14
    .sgpr_spill_count: 0
    .symbol:         _ZN7rocprim17ROCPRIM_400000_NS6detail31init_lookback_scan_state_kernelINS1_19lookback_scan_stateIN3c104HalfELb1ELb1EEENS1_16block_id_wrapperIjLb1EEEEEvT_jT0_jPNS9_10value_typeE.kd
    .uniform_work_group_size: 1
    .uses_dynamic_stack: false
    .vgpr_count:     5
    .vgpr_spill_count: 0
    .wavefront_size: 32
    .workgroup_processor_mode: 1
  - .args:
      - .offset:         0
        .size:           96
        .value_kind:     by_value
    .group_segment_fixed_size: 0
    .kernarg_segment_align: 8
    .kernarg_segment_size: 96
    .language:       OpenCL C
    .language_version:
      - 2
      - 0
    .max_flat_workgroup_size: 128
    .name:           _ZN7rocprim17ROCPRIM_400000_NS6detail17trampoline_kernelINS0_14default_configENS1_20scan_config_selectorIN3c104HalfEEEZZNS1_9scan_implILNS1_25lookback_scan_determinismE0ELb0ELb0ES3_PKS6_PS6_S6_ZZZN2at6native31launch_logcumsumexp_cuda_kernelERKNSD_10TensorBaseESH_lENKUlvE_clEvENKUlvE3_clEvEUlS6_S6_E_S6_EEDaPvRmT3_T4_T5_mT6_P12ihipStream_tbENKUlT_T0_E_clISt17integral_constantIbLb1EESY_EEDaST_SU_EUlST_E_NS1_11comp_targetILNS1_3genE0ELNS1_11target_archE4294967295ELNS1_3gpuE0ELNS1_3repE0EEENS1_30default_config_static_selectorELNS0_4arch9wavefront6targetE0EEEvT1_
    .private_segment_fixed_size: 0
    .sgpr_count:     0
    .sgpr_spill_count: 0
    .symbol:         _ZN7rocprim17ROCPRIM_400000_NS6detail17trampoline_kernelINS0_14default_configENS1_20scan_config_selectorIN3c104HalfEEEZZNS1_9scan_implILNS1_25lookback_scan_determinismE0ELb0ELb0ES3_PKS6_PS6_S6_ZZZN2at6native31launch_logcumsumexp_cuda_kernelERKNSD_10TensorBaseESH_lENKUlvE_clEvENKUlvE3_clEvEUlS6_S6_E_S6_EEDaPvRmT3_T4_T5_mT6_P12ihipStream_tbENKUlT_T0_E_clISt17integral_constantIbLb1EESY_EEDaST_SU_EUlST_E_NS1_11comp_targetILNS1_3genE0ELNS1_11target_archE4294967295ELNS1_3gpuE0ELNS1_3repE0EEENS1_30default_config_static_selectorELNS0_4arch9wavefront6targetE0EEEvT1_.kd
    .uniform_work_group_size: 1
    .uses_dynamic_stack: false
    .vgpr_count:     0
    .vgpr_spill_count: 0
    .wavefront_size: 32
    .workgroup_processor_mode: 1
  - .args:
      - .offset:         0
        .size:           96
        .value_kind:     by_value
    .group_segment_fixed_size: 0
    .kernarg_segment_align: 8
    .kernarg_segment_size: 96
    .language:       OpenCL C
    .language_version:
      - 2
      - 0
    .max_flat_workgroup_size: 256
    .name:           _ZN7rocprim17ROCPRIM_400000_NS6detail17trampoline_kernelINS0_14default_configENS1_20scan_config_selectorIN3c104HalfEEEZZNS1_9scan_implILNS1_25lookback_scan_determinismE0ELb0ELb0ES3_PKS6_PS6_S6_ZZZN2at6native31launch_logcumsumexp_cuda_kernelERKNSD_10TensorBaseESH_lENKUlvE_clEvENKUlvE3_clEvEUlS6_S6_E_S6_EEDaPvRmT3_T4_T5_mT6_P12ihipStream_tbENKUlT_T0_E_clISt17integral_constantIbLb1EESY_EEDaST_SU_EUlST_E_NS1_11comp_targetILNS1_3genE5ELNS1_11target_archE942ELNS1_3gpuE9ELNS1_3repE0EEENS1_30default_config_static_selectorELNS0_4arch9wavefront6targetE0EEEvT1_
    .private_segment_fixed_size: 0
    .sgpr_count:     0
    .sgpr_spill_count: 0
    .symbol:         _ZN7rocprim17ROCPRIM_400000_NS6detail17trampoline_kernelINS0_14default_configENS1_20scan_config_selectorIN3c104HalfEEEZZNS1_9scan_implILNS1_25lookback_scan_determinismE0ELb0ELb0ES3_PKS6_PS6_S6_ZZZN2at6native31launch_logcumsumexp_cuda_kernelERKNSD_10TensorBaseESH_lENKUlvE_clEvENKUlvE3_clEvEUlS6_S6_E_S6_EEDaPvRmT3_T4_T5_mT6_P12ihipStream_tbENKUlT_T0_E_clISt17integral_constantIbLb1EESY_EEDaST_SU_EUlST_E_NS1_11comp_targetILNS1_3genE5ELNS1_11target_archE942ELNS1_3gpuE9ELNS1_3repE0EEENS1_30default_config_static_selectorELNS0_4arch9wavefront6targetE0EEEvT1_.kd
    .uniform_work_group_size: 1
    .uses_dynamic_stack: false
    .vgpr_count:     0
    .vgpr_spill_count: 0
    .wavefront_size: 32
    .workgroup_processor_mode: 1
  - .args:
      - .offset:         0
        .size:           96
        .value_kind:     by_value
    .group_segment_fixed_size: 0
    .kernarg_segment_align: 8
    .kernarg_segment_size: 96
    .language:       OpenCL C
    .language_version:
      - 2
      - 0
    .max_flat_workgroup_size: 64
    .name:           _ZN7rocprim17ROCPRIM_400000_NS6detail17trampoline_kernelINS0_14default_configENS1_20scan_config_selectorIN3c104HalfEEEZZNS1_9scan_implILNS1_25lookback_scan_determinismE0ELb0ELb0ES3_PKS6_PS6_S6_ZZZN2at6native31launch_logcumsumexp_cuda_kernelERKNSD_10TensorBaseESH_lENKUlvE_clEvENKUlvE3_clEvEUlS6_S6_E_S6_EEDaPvRmT3_T4_T5_mT6_P12ihipStream_tbENKUlT_T0_E_clISt17integral_constantIbLb1EESY_EEDaST_SU_EUlST_E_NS1_11comp_targetILNS1_3genE4ELNS1_11target_archE910ELNS1_3gpuE8ELNS1_3repE0EEENS1_30default_config_static_selectorELNS0_4arch9wavefront6targetE0EEEvT1_
    .private_segment_fixed_size: 0
    .sgpr_count:     0
    .sgpr_spill_count: 0
    .symbol:         _ZN7rocprim17ROCPRIM_400000_NS6detail17trampoline_kernelINS0_14default_configENS1_20scan_config_selectorIN3c104HalfEEEZZNS1_9scan_implILNS1_25lookback_scan_determinismE0ELb0ELb0ES3_PKS6_PS6_S6_ZZZN2at6native31launch_logcumsumexp_cuda_kernelERKNSD_10TensorBaseESH_lENKUlvE_clEvENKUlvE3_clEvEUlS6_S6_E_S6_EEDaPvRmT3_T4_T5_mT6_P12ihipStream_tbENKUlT_T0_E_clISt17integral_constantIbLb1EESY_EEDaST_SU_EUlST_E_NS1_11comp_targetILNS1_3genE4ELNS1_11target_archE910ELNS1_3gpuE8ELNS1_3repE0EEENS1_30default_config_static_selectorELNS0_4arch9wavefront6targetE0EEEvT1_.kd
    .uniform_work_group_size: 1
    .uses_dynamic_stack: false
    .vgpr_count:     0
    .vgpr_spill_count: 0
    .wavefront_size: 32
    .workgroup_processor_mode: 1
  - .args:
      - .offset:         0
        .size:           96
        .value_kind:     by_value
    .group_segment_fixed_size: 0
    .kernarg_segment_align: 8
    .kernarg_segment_size: 96
    .language:       OpenCL C
    .language_version:
      - 2
      - 0
    .max_flat_workgroup_size: 128
    .name:           _ZN7rocprim17ROCPRIM_400000_NS6detail17trampoline_kernelINS0_14default_configENS1_20scan_config_selectorIN3c104HalfEEEZZNS1_9scan_implILNS1_25lookback_scan_determinismE0ELb0ELb0ES3_PKS6_PS6_S6_ZZZN2at6native31launch_logcumsumexp_cuda_kernelERKNSD_10TensorBaseESH_lENKUlvE_clEvENKUlvE3_clEvEUlS6_S6_E_S6_EEDaPvRmT3_T4_T5_mT6_P12ihipStream_tbENKUlT_T0_E_clISt17integral_constantIbLb1EESY_EEDaST_SU_EUlST_E_NS1_11comp_targetILNS1_3genE3ELNS1_11target_archE908ELNS1_3gpuE7ELNS1_3repE0EEENS1_30default_config_static_selectorELNS0_4arch9wavefront6targetE0EEEvT1_
    .private_segment_fixed_size: 0
    .sgpr_count:     0
    .sgpr_spill_count: 0
    .symbol:         _ZN7rocprim17ROCPRIM_400000_NS6detail17trampoline_kernelINS0_14default_configENS1_20scan_config_selectorIN3c104HalfEEEZZNS1_9scan_implILNS1_25lookback_scan_determinismE0ELb0ELb0ES3_PKS6_PS6_S6_ZZZN2at6native31launch_logcumsumexp_cuda_kernelERKNSD_10TensorBaseESH_lENKUlvE_clEvENKUlvE3_clEvEUlS6_S6_E_S6_EEDaPvRmT3_T4_T5_mT6_P12ihipStream_tbENKUlT_T0_E_clISt17integral_constantIbLb1EESY_EEDaST_SU_EUlST_E_NS1_11comp_targetILNS1_3genE3ELNS1_11target_archE908ELNS1_3gpuE7ELNS1_3repE0EEENS1_30default_config_static_selectorELNS0_4arch9wavefront6targetE0EEEvT1_.kd
    .uniform_work_group_size: 1
    .uses_dynamic_stack: false
    .vgpr_count:     0
    .vgpr_spill_count: 0
    .wavefront_size: 32
    .workgroup_processor_mode: 1
  - .args:
      - .offset:         0
        .size:           96
        .value_kind:     by_value
    .group_segment_fixed_size: 0
    .kernarg_segment_align: 8
    .kernarg_segment_size: 96
    .language:       OpenCL C
    .language_version:
      - 2
      - 0
    .max_flat_workgroup_size: 256
    .name:           _ZN7rocprim17ROCPRIM_400000_NS6detail17trampoline_kernelINS0_14default_configENS1_20scan_config_selectorIN3c104HalfEEEZZNS1_9scan_implILNS1_25lookback_scan_determinismE0ELb0ELb0ES3_PKS6_PS6_S6_ZZZN2at6native31launch_logcumsumexp_cuda_kernelERKNSD_10TensorBaseESH_lENKUlvE_clEvENKUlvE3_clEvEUlS6_S6_E_S6_EEDaPvRmT3_T4_T5_mT6_P12ihipStream_tbENKUlT_T0_E_clISt17integral_constantIbLb1EESY_EEDaST_SU_EUlST_E_NS1_11comp_targetILNS1_3genE2ELNS1_11target_archE906ELNS1_3gpuE6ELNS1_3repE0EEENS1_30default_config_static_selectorELNS0_4arch9wavefront6targetE0EEEvT1_
    .private_segment_fixed_size: 0
    .sgpr_count:     0
    .sgpr_spill_count: 0
    .symbol:         _ZN7rocprim17ROCPRIM_400000_NS6detail17trampoline_kernelINS0_14default_configENS1_20scan_config_selectorIN3c104HalfEEEZZNS1_9scan_implILNS1_25lookback_scan_determinismE0ELb0ELb0ES3_PKS6_PS6_S6_ZZZN2at6native31launch_logcumsumexp_cuda_kernelERKNSD_10TensorBaseESH_lENKUlvE_clEvENKUlvE3_clEvEUlS6_S6_E_S6_EEDaPvRmT3_T4_T5_mT6_P12ihipStream_tbENKUlT_T0_E_clISt17integral_constantIbLb1EESY_EEDaST_SU_EUlST_E_NS1_11comp_targetILNS1_3genE2ELNS1_11target_archE906ELNS1_3gpuE6ELNS1_3repE0EEENS1_30default_config_static_selectorELNS0_4arch9wavefront6targetE0EEEvT1_.kd
    .uniform_work_group_size: 1
    .uses_dynamic_stack: false
    .vgpr_count:     0
    .vgpr_spill_count: 0
    .wavefront_size: 32
    .workgroup_processor_mode: 1
  - .args:
      - .offset:         0
        .size:           96
        .value_kind:     by_value
    .group_segment_fixed_size: 0
    .kernarg_segment_align: 8
    .kernarg_segment_size: 96
    .language:       OpenCL C
    .language_version:
      - 2
      - 0
    .max_flat_workgroup_size: 256
    .name:           _ZN7rocprim17ROCPRIM_400000_NS6detail17trampoline_kernelINS0_14default_configENS1_20scan_config_selectorIN3c104HalfEEEZZNS1_9scan_implILNS1_25lookback_scan_determinismE0ELb0ELb0ES3_PKS6_PS6_S6_ZZZN2at6native31launch_logcumsumexp_cuda_kernelERKNSD_10TensorBaseESH_lENKUlvE_clEvENKUlvE3_clEvEUlS6_S6_E_S6_EEDaPvRmT3_T4_T5_mT6_P12ihipStream_tbENKUlT_T0_E_clISt17integral_constantIbLb1EESY_EEDaST_SU_EUlST_E_NS1_11comp_targetILNS1_3genE10ELNS1_11target_archE1201ELNS1_3gpuE5ELNS1_3repE0EEENS1_30default_config_static_selectorELNS0_4arch9wavefront6targetE0EEEvT1_
    .private_segment_fixed_size: 0
    .sgpr_count:     0
    .sgpr_spill_count: 0
    .symbol:         _ZN7rocprim17ROCPRIM_400000_NS6detail17trampoline_kernelINS0_14default_configENS1_20scan_config_selectorIN3c104HalfEEEZZNS1_9scan_implILNS1_25lookback_scan_determinismE0ELb0ELb0ES3_PKS6_PS6_S6_ZZZN2at6native31launch_logcumsumexp_cuda_kernelERKNSD_10TensorBaseESH_lENKUlvE_clEvENKUlvE3_clEvEUlS6_S6_E_S6_EEDaPvRmT3_T4_T5_mT6_P12ihipStream_tbENKUlT_T0_E_clISt17integral_constantIbLb1EESY_EEDaST_SU_EUlST_E_NS1_11comp_targetILNS1_3genE10ELNS1_11target_archE1201ELNS1_3gpuE5ELNS1_3repE0EEENS1_30default_config_static_selectorELNS0_4arch9wavefront6targetE0EEEvT1_.kd
    .uniform_work_group_size: 1
    .uses_dynamic_stack: false
    .vgpr_count:     0
    .vgpr_spill_count: 0
    .wavefront_size: 32
    .workgroup_processor_mode: 1
  - .args:
      - .offset:         0
        .size:           96
        .value_kind:     by_value
    .group_segment_fixed_size: 0
    .kernarg_segment_align: 8
    .kernarg_segment_size: 96
    .language:       OpenCL C
    .language_version:
      - 2
      - 0
    .max_flat_workgroup_size: 256
    .name:           _ZN7rocprim17ROCPRIM_400000_NS6detail17trampoline_kernelINS0_14default_configENS1_20scan_config_selectorIN3c104HalfEEEZZNS1_9scan_implILNS1_25lookback_scan_determinismE0ELb0ELb0ES3_PKS6_PS6_S6_ZZZN2at6native31launch_logcumsumexp_cuda_kernelERKNSD_10TensorBaseESH_lENKUlvE_clEvENKUlvE3_clEvEUlS6_S6_E_S6_EEDaPvRmT3_T4_T5_mT6_P12ihipStream_tbENKUlT_T0_E_clISt17integral_constantIbLb1EESY_EEDaST_SU_EUlST_E_NS1_11comp_targetILNS1_3genE10ELNS1_11target_archE1200ELNS1_3gpuE4ELNS1_3repE0EEENS1_30default_config_static_selectorELNS0_4arch9wavefront6targetE0EEEvT1_
    .private_segment_fixed_size: 0
    .sgpr_count:     0
    .sgpr_spill_count: 0
    .symbol:         _ZN7rocprim17ROCPRIM_400000_NS6detail17trampoline_kernelINS0_14default_configENS1_20scan_config_selectorIN3c104HalfEEEZZNS1_9scan_implILNS1_25lookback_scan_determinismE0ELb0ELb0ES3_PKS6_PS6_S6_ZZZN2at6native31launch_logcumsumexp_cuda_kernelERKNSD_10TensorBaseESH_lENKUlvE_clEvENKUlvE3_clEvEUlS6_S6_E_S6_EEDaPvRmT3_T4_T5_mT6_P12ihipStream_tbENKUlT_T0_E_clISt17integral_constantIbLb1EESY_EEDaST_SU_EUlST_E_NS1_11comp_targetILNS1_3genE10ELNS1_11target_archE1200ELNS1_3gpuE4ELNS1_3repE0EEENS1_30default_config_static_selectorELNS0_4arch9wavefront6targetE0EEEvT1_.kd
    .uniform_work_group_size: 1
    .uses_dynamic_stack: false
    .vgpr_count:     0
    .vgpr_spill_count: 0
    .wavefront_size: 32
    .workgroup_processor_mode: 1
  - .args:
      - .offset:         0
        .size:           96
        .value_kind:     by_value
    .group_segment_fixed_size: 0
    .kernarg_segment_align: 8
    .kernarg_segment_size: 96
    .language:       OpenCL C
    .language_version:
      - 2
      - 0
    .max_flat_workgroup_size: 64
    .name:           _ZN7rocprim17ROCPRIM_400000_NS6detail17trampoline_kernelINS0_14default_configENS1_20scan_config_selectorIN3c104HalfEEEZZNS1_9scan_implILNS1_25lookback_scan_determinismE0ELb0ELb0ES3_PKS6_PS6_S6_ZZZN2at6native31launch_logcumsumexp_cuda_kernelERKNSD_10TensorBaseESH_lENKUlvE_clEvENKUlvE3_clEvEUlS6_S6_E_S6_EEDaPvRmT3_T4_T5_mT6_P12ihipStream_tbENKUlT_T0_E_clISt17integral_constantIbLb1EESY_EEDaST_SU_EUlST_E_NS1_11comp_targetILNS1_3genE9ELNS1_11target_archE1100ELNS1_3gpuE3ELNS1_3repE0EEENS1_30default_config_static_selectorELNS0_4arch9wavefront6targetE0EEEvT1_
    .private_segment_fixed_size: 0
    .sgpr_count:     0
    .sgpr_spill_count: 0
    .symbol:         _ZN7rocprim17ROCPRIM_400000_NS6detail17trampoline_kernelINS0_14default_configENS1_20scan_config_selectorIN3c104HalfEEEZZNS1_9scan_implILNS1_25lookback_scan_determinismE0ELb0ELb0ES3_PKS6_PS6_S6_ZZZN2at6native31launch_logcumsumexp_cuda_kernelERKNSD_10TensorBaseESH_lENKUlvE_clEvENKUlvE3_clEvEUlS6_S6_E_S6_EEDaPvRmT3_T4_T5_mT6_P12ihipStream_tbENKUlT_T0_E_clISt17integral_constantIbLb1EESY_EEDaST_SU_EUlST_E_NS1_11comp_targetILNS1_3genE9ELNS1_11target_archE1100ELNS1_3gpuE3ELNS1_3repE0EEENS1_30default_config_static_selectorELNS0_4arch9wavefront6targetE0EEEvT1_.kd
    .uniform_work_group_size: 1
    .uses_dynamic_stack: false
    .vgpr_count:     0
    .vgpr_spill_count: 0
    .wavefront_size: 32
    .workgroup_processor_mode: 1
  - .args:
      - .offset:         0
        .size:           96
        .value_kind:     by_value
    .group_segment_fixed_size: 0
    .kernarg_segment_align: 8
    .kernarg_segment_size: 96
    .language:       OpenCL C
    .language_version:
      - 2
      - 0
    .max_flat_workgroup_size: 64
    .name:           _ZN7rocprim17ROCPRIM_400000_NS6detail17trampoline_kernelINS0_14default_configENS1_20scan_config_selectorIN3c104HalfEEEZZNS1_9scan_implILNS1_25lookback_scan_determinismE0ELb0ELb0ES3_PKS6_PS6_S6_ZZZN2at6native31launch_logcumsumexp_cuda_kernelERKNSD_10TensorBaseESH_lENKUlvE_clEvENKUlvE3_clEvEUlS6_S6_E_S6_EEDaPvRmT3_T4_T5_mT6_P12ihipStream_tbENKUlT_T0_E_clISt17integral_constantIbLb1EESY_EEDaST_SU_EUlST_E_NS1_11comp_targetILNS1_3genE8ELNS1_11target_archE1030ELNS1_3gpuE2ELNS1_3repE0EEENS1_30default_config_static_selectorELNS0_4arch9wavefront6targetE0EEEvT1_
    .private_segment_fixed_size: 0
    .sgpr_count:     0
    .sgpr_spill_count: 0
    .symbol:         _ZN7rocprim17ROCPRIM_400000_NS6detail17trampoline_kernelINS0_14default_configENS1_20scan_config_selectorIN3c104HalfEEEZZNS1_9scan_implILNS1_25lookback_scan_determinismE0ELb0ELb0ES3_PKS6_PS6_S6_ZZZN2at6native31launch_logcumsumexp_cuda_kernelERKNSD_10TensorBaseESH_lENKUlvE_clEvENKUlvE3_clEvEUlS6_S6_E_S6_EEDaPvRmT3_T4_T5_mT6_P12ihipStream_tbENKUlT_T0_E_clISt17integral_constantIbLb1EESY_EEDaST_SU_EUlST_E_NS1_11comp_targetILNS1_3genE8ELNS1_11target_archE1030ELNS1_3gpuE2ELNS1_3repE0EEENS1_30default_config_static_selectorELNS0_4arch9wavefront6targetE0EEEvT1_.kd
    .uniform_work_group_size: 1
    .uses_dynamic_stack: false
    .vgpr_count:     0
    .vgpr_spill_count: 0
    .wavefront_size: 32
    .workgroup_processor_mode: 1
  - .args:
      - .offset:         0
        .size:           32
        .value_kind:     by_value
    .group_segment_fixed_size: 0
    .kernarg_segment_align: 8
    .kernarg_segment_size: 32
    .language:       OpenCL C
    .language_version:
      - 2
      - 0
    .max_flat_workgroup_size: 128
    .name:           _ZN7rocprim17ROCPRIM_400000_NS6detail17trampoline_kernelINS0_14default_configENS1_20scan_config_selectorIN3c104HalfEEEZZNS1_9scan_implILNS1_25lookback_scan_determinismE0ELb0ELb0ES3_PKS6_PS6_S6_ZZZN2at6native31launch_logcumsumexp_cuda_kernelERKNSD_10TensorBaseESH_lENKUlvE_clEvENKUlvE3_clEvEUlS6_S6_E_S6_EEDaPvRmT3_T4_T5_mT6_P12ihipStream_tbENKUlT_T0_E_clISt17integral_constantIbLb1EESY_EEDaST_SU_EUlST_E0_NS1_11comp_targetILNS1_3genE0ELNS1_11target_archE4294967295ELNS1_3gpuE0ELNS1_3repE0EEENS1_30default_config_static_selectorELNS0_4arch9wavefront6targetE0EEEvT1_
    .private_segment_fixed_size: 0
    .sgpr_count:     0
    .sgpr_spill_count: 0
    .symbol:         _ZN7rocprim17ROCPRIM_400000_NS6detail17trampoline_kernelINS0_14default_configENS1_20scan_config_selectorIN3c104HalfEEEZZNS1_9scan_implILNS1_25lookback_scan_determinismE0ELb0ELb0ES3_PKS6_PS6_S6_ZZZN2at6native31launch_logcumsumexp_cuda_kernelERKNSD_10TensorBaseESH_lENKUlvE_clEvENKUlvE3_clEvEUlS6_S6_E_S6_EEDaPvRmT3_T4_T5_mT6_P12ihipStream_tbENKUlT_T0_E_clISt17integral_constantIbLb1EESY_EEDaST_SU_EUlST_E0_NS1_11comp_targetILNS1_3genE0ELNS1_11target_archE4294967295ELNS1_3gpuE0ELNS1_3repE0EEENS1_30default_config_static_selectorELNS0_4arch9wavefront6targetE0EEEvT1_.kd
    .uniform_work_group_size: 1
    .uses_dynamic_stack: false
    .vgpr_count:     0
    .vgpr_spill_count: 0
    .wavefront_size: 32
    .workgroup_processor_mode: 1
  - .args:
      - .offset:         0
        .size:           32
        .value_kind:     by_value
    .group_segment_fixed_size: 0
    .kernarg_segment_align: 8
    .kernarg_segment_size: 32
    .language:       OpenCL C
    .language_version:
      - 2
      - 0
    .max_flat_workgroup_size: 256
    .name:           _ZN7rocprim17ROCPRIM_400000_NS6detail17trampoline_kernelINS0_14default_configENS1_20scan_config_selectorIN3c104HalfEEEZZNS1_9scan_implILNS1_25lookback_scan_determinismE0ELb0ELb0ES3_PKS6_PS6_S6_ZZZN2at6native31launch_logcumsumexp_cuda_kernelERKNSD_10TensorBaseESH_lENKUlvE_clEvENKUlvE3_clEvEUlS6_S6_E_S6_EEDaPvRmT3_T4_T5_mT6_P12ihipStream_tbENKUlT_T0_E_clISt17integral_constantIbLb1EESY_EEDaST_SU_EUlST_E0_NS1_11comp_targetILNS1_3genE5ELNS1_11target_archE942ELNS1_3gpuE9ELNS1_3repE0EEENS1_30default_config_static_selectorELNS0_4arch9wavefront6targetE0EEEvT1_
    .private_segment_fixed_size: 0
    .sgpr_count:     0
    .sgpr_spill_count: 0
    .symbol:         _ZN7rocprim17ROCPRIM_400000_NS6detail17trampoline_kernelINS0_14default_configENS1_20scan_config_selectorIN3c104HalfEEEZZNS1_9scan_implILNS1_25lookback_scan_determinismE0ELb0ELb0ES3_PKS6_PS6_S6_ZZZN2at6native31launch_logcumsumexp_cuda_kernelERKNSD_10TensorBaseESH_lENKUlvE_clEvENKUlvE3_clEvEUlS6_S6_E_S6_EEDaPvRmT3_T4_T5_mT6_P12ihipStream_tbENKUlT_T0_E_clISt17integral_constantIbLb1EESY_EEDaST_SU_EUlST_E0_NS1_11comp_targetILNS1_3genE5ELNS1_11target_archE942ELNS1_3gpuE9ELNS1_3repE0EEENS1_30default_config_static_selectorELNS0_4arch9wavefront6targetE0EEEvT1_.kd
    .uniform_work_group_size: 1
    .uses_dynamic_stack: false
    .vgpr_count:     0
    .vgpr_spill_count: 0
    .wavefront_size: 32
    .workgroup_processor_mode: 1
  - .args:
      - .offset:         0
        .size:           32
        .value_kind:     by_value
    .group_segment_fixed_size: 0
    .kernarg_segment_align: 8
    .kernarg_segment_size: 32
    .language:       OpenCL C
    .language_version:
      - 2
      - 0
    .max_flat_workgroup_size: 64
    .name:           _ZN7rocprim17ROCPRIM_400000_NS6detail17trampoline_kernelINS0_14default_configENS1_20scan_config_selectorIN3c104HalfEEEZZNS1_9scan_implILNS1_25lookback_scan_determinismE0ELb0ELb0ES3_PKS6_PS6_S6_ZZZN2at6native31launch_logcumsumexp_cuda_kernelERKNSD_10TensorBaseESH_lENKUlvE_clEvENKUlvE3_clEvEUlS6_S6_E_S6_EEDaPvRmT3_T4_T5_mT6_P12ihipStream_tbENKUlT_T0_E_clISt17integral_constantIbLb1EESY_EEDaST_SU_EUlST_E0_NS1_11comp_targetILNS1_3genE4ELNS1_11target_archE910ELNS1_3gpuE8ELNS1_3repE0EEENS1_30default_config_static_selectorELNS0_4arch9wavefront6targetE0EEEvT1_
    .private_segment_fixed_size: 0
    .sgpr_count:     0
    .sgpr_spill_count: 0
    .symbol:         _ZN7rocprim17ROCPRIM_400000_NS6detail17trampoline_kernelINS0_14default_configENS1_20scan_config_selectorIN3c104HalfEEEZZNS1_9scan_implILNS1_25lookback_scan_determinismE0ELb0ELb0ES3_PKS6_PS6_S6_ZZZN2at6native31launch_logcumsumexp_cuda_kernelERKNSD_10TensorBaseESH_lENKUlvE_clEvENKUlvE3_clEvEUlS6_S6_E_S6_EEDaPvRmT3_T4_T5_mT6_P12ihipStream_tbENKUlT_T0_E_clISt17integral_constantIbLb1EESY_EEDaST_SU_EUlST_E0_NS1_11comp_targetILNS1_3genE4ELNS1_11target_archE910ELNS1_3gpuE8ELNS1_3repE0EEENS1_30default_config_static_selectorELNS0_4arch9wavefront6targetE0EEEvT1_.kd
    .uniform_work_group_size: 1
    .uses_dynamic_stack: false
    .vgpr_count:     0
    .vgpr_spill_count: 0
    .wavefront_size: 32
    .workgroup_processor_mode: 1
  - .args:
      - .offset:         0
        .size:           32
        .value_kind:     by_value
    .group_segment_fixed_size: 0
    .kernarg_segment_align: 8
    .kernarg_segment_size: 32
    .language:       OpenCL C
    .language_version:
      - 2
      - 0
    .max_flat_workgroup_size: 128
    .name:           _ZN7rocprim17ROCPRIM_400000_NS6detail17trampoline_kernelINS0_14default_configENS1_20scan_config_selectorIN3c104HalfEEEZZNS1_9scan_implILNS1_25lookback_scan_determinismE0ELb0ELb0ES3_PKS6_PS6_S6_ZZZN2at6native31launch_logcumsumexp_cuda_kernelERKNSD_10TensorBaseESH_lENKUlvE_clEvENKUlvE3_clEvEUlS6_S6_E_S6_EEDaPvRmT3_T4_T5_mT6_P12ihipStream_tbENKUlT_T0_E_clISt17integral_constantIbLb1EESY_EEDaST_SU_EUlST_E0_NS1_11comp_targetILNS1_3genE3ELNS1_11target_archE908ELNS1_3gpuE7ELNS1_3repE0EEENS1_30default_config_static_selectorELNS0_4arch9wavefront6targetE0EEEvT1_
    .private_segment_fixed_size: 0
    .sgpr_count:     0
    .sgpr_spill_count: 0
    .symbol:         _ZN7rocprim17ROCPRIM_400000_NS6detail17trampoline_kernelINS0_14default_configENS1_20scan_config_selectorIN3c104HalfEEEZZNS1_9scan_implILNS1_25lookback_scan_determinismE0ELb0ELb0ES3_PKS6_PS6_S6_ZZZN2at6native31launch_logcumsumexp_cuda_kernelERKNSD_10TensorBaseESH_lENKUlvE_clEvENKUlvE3_clEvEUlS6_S6_E_S6_EEDaPvRmT3_T4_T5_mT6_P12ihipStream_tbENKUlT_T0_E_clISt17integral_constantIbLb1EESY_EEDaST_SU_EUlST_E0_NS1_11comp_targetILNS1_3genE3ELNS1_11target_archE908ELNS1_3gpuE7ELNS1_3repE0EEENS1_30default_config_static_selectorELNS0_4arch9wavefront6targetE0EEEvT1_.kd
    .uniform_work_group_size: 1
    .uses_dynamic_stack: false
    .vgpr_count:     0
    .vgpr_spill_count: 0
    .wavefront_size: 32
    .workgroup_processor_mode: 1
  - .args:
      - .offset:         0
        .size:           32
        .value_kind:     by_value
    .group_segment_fixed_size: 0
    .kernarg_segment_align: 8
    .kernarg_segment_size: 32
    .language:       OpenCL C
    .language_version:
      - 2
      - 0
    .max_flat_workgroup_size: 256
    .name:           _ZN7rocprim17ROCPRIM_400000_NS6detail17trampoline_kernelINS0_14default_configENS1_20scan_config_selectorIN3c104HalfEEEZZNS1_9scan_implILNS1_25lookback_scan_determinismE0ELb0ELb0ES3_PKS6_PS6_S6_ZZZN2at6native31launch_logcumsumexp_cuda_kernelERKNSD_10TensorBaseESH_lENKUlvE_clEvENKUlvE3_clEvEUlS6_S6_E_S6_EEDaPvRmT3_T4_T5_mT6_P12ihipStream_tbENKUlT_T0_E_clISt17integral_constantIbLb1EESY_EEDaST_SU_EUlST_E0_NS1_11comp_targetILNS1_3genE2ELNS1_11target_archE906ELNS1_3gpuE6ELNS1_3repE0EEENS1_30default_config_static_selectorELNS0_4arch9wavefront6targetE0EEEvT1_
    .private_segment_fixed_size: 0
    .sgpr_count:     0
    .sgpr_spill_count: 0
    .symbol:         _ZN7rocprim17ROCPRIM_400000_NS6detail17trampoline_kernelINS0_14default_configENS1_20scan_config_selectorIN3c104HalfEEEZZNS1_9scan_implILNS1_25lookback_scan_determinismE0ELb0ELb0ES3_PKS6_PS6_S6_ZZZN2at6native31launch_logcumsumexp_cuda_kernelERKNSD_10TensorBaseESH_lENKUlvE_clEvENKUlvE3_clEvEUlS6_S6_E_S6_EEDaPvRmT3_T4_T5_mT6_P12ihipStream_tbENKUlT_T0_E_clISt17integral_constantIbLb1EESY_EEDaST_SU_EUlST_E0_NS1_11comp_targetILNS1_3genE2ELNS1_11target_archE906ELNS1_3gpuE6ELNS1_3repE0EEENS1_30default_config_static_selectorELNS0_4arch9wavefront6targetE0EEEvT1_.kd
    .uniform_work_group_size: 1
    .uses_dynamic_stack: false
    .vgpr_count:     0
    .vgpr_spill_count: 0
    .wavefront_size: 32
    .workgroup_processor_mode: 1
  - .args:
      - .offset:         0
        .size:           32
        .value_kind:     by_value
    .group_segment_fixed_size: 6144
    .kernarg_segment_align: 8
    .kernarg_segment_size: 32
    .language:       OpenCL C
    .language_version:
      - 2
      - 0
    .max_flat_workgroup_size: 256
    .name:           _ZN7rocprim17ROCPRIM_400000_NS6detail17trampoline_kernelINS0_14default_configENS1_20scan_config_selectorIN3c104HalfEEEZZNS1_9scan_implILNS1_25lookback_scan_determinismE0ELb0ELb0ES3_PKS6_PS6_S6_ZZZN2at6native31launch_logcumsumexp_cuda_kernelERKNSD_10TensorBaseESH_lENKUlvE_clEvENKUlvE3_clEvEUlS6_S6_E_S6_EEDaPvRmT3_T4_T5_mT6_P12ihipStream_tbENKUlT_T0_E_clISt17integral_constantIbLb1EESY_EEDaST_SU_EUlST_E0_NS1_11comp_targetILNS1_3genE10ELNS1_11target_archE1201ELNS1_3gpuE5ELNS1_3repE0EEENS1_30default_config_static_selectorELNS0_4arch9wavefront6targetE0EEEvT1_
    .private_segment_fixed_size: 0
    .sgpr_count:     32
    .sgpr_spill_count: 0
    .symbol:         _ZN7rocprim17ROCPRIM_400000_NS6detail17trampoline_kernelINS0_14default_configENS1_20scan_config_selectorIN3c104HalfEEEZZNS1_9scan_implILNS1_25lookback_scan_determinismE0ELb0ELb0ES3_PKS6_PS6_S6_ZZZN2at6native31launch_logcumsumexp_cuda_kernelERKNSD_10TensorBaseESH_lENKUlvE_clEvENKUlvE3_clEvEUlS6_S6_E_S6_EEDaPvRmT3_T4_T5_mT6_P12ihipStream_tbENKUlT_T0_E_clISt17integral_constantIbLb1EESY_EEDaST_SU_EUlST_E0_NS1_11comp_targetILNS1_3genE10ELNS1_11target_archE1201ELNS1_3gpuE5ELNS1_3repE0EEENS1_30default_config_static_selectorELNS0_4arch9wavefront6targetE0EEEvT1_.kd
    .uniform_work_group_size: 1
    .uses_dynamic_stack: false
    .vgpr_count:     36
    .vgpr_spill_count: 0
    .wavefront_size: 32
    .workgroup_processor_mode: 1
  - .args:
      - .offset:         0
        .size:           32
        .value_kind:     by_value
    .group_segment_fixed_size: 0
    .kernarg_segment_align: 8
    .kernarg_segment_size: 32
    .language:       OpenCL C
    .language_version:
      - 2
      - 0
    .max_flat_workgroup_size: 256
    .name:           _ZN7rocprim17ROCPRIM_400000_NS6detail17trampoline_kernelINS0_14default_configENS1_20scan_config_selectorIN3c104HalfEEEZZNS1_9scan_implILNS1_25lookback_scan_determinismE0ELb0ELb0ES3_PKS6_PS6_S6_ZZZN2at6native31launch_logcumsumexp_cuda_kernelERKNSD_10TensorBaseESH_lENKUlvE_clEvENKUlvE3_clEvEUlS6_S6_E_S6_EEDaPvRmT3_T4_T5_mT6_P12ihipStream_tbENKUlT_T0_E_clISt17integral_constantIbLb1EESY_EEDaST_SU_EUlST_E0_NS1_11comp_targetILNS1_3genE10ELNS1_11target_archE1200ELNS1_3gpuE4ELNS1_3repE0EEENS1_30default_config_static_selectorELNS0_4arch9wavefront6targetE0EEEvT1_
    .private_segment_fixed_size: 0
    .sgpr_count:     0
    .sgpr_spill_count: 0
    .symbol:         _ZN7rocprim17ROCPRIM_400000_NS6detail17trampoline_kernelINS0_14default_configENS1_20scan_config_selectorIN3c104HalfEEEZZNS1_9scan_implILNS1_25lookback_scan_determinismE0ELb0ELb0ES3_PKS6_PS6_S6_ZZZN2at6native31launch_logcumsumexp_cuda_kernelERKNSD_10TensorBaseESH_lENKUlvE_clEvENKUlvE3_clEvEUlS6_S6_E_S6_EEDaPvRmT3_T4_T5_mT6_P12ihipStream_tbENKUlT_T0_E_clISt17integral_constantIbLb1EESY_EEDaST_SU_EUlST_E0_NS1_11comp_targetILNS1_3genE10ELNS1_11target_archE1200ELNS1_3gpuE4ELNS1_3repE0EEENS1_30default_config_static_selectorELNS0_4arch9wavefront6targetE0EEEvT1_.kd
    .uniform_work_group_size: 1
    .uses_dynamic_stack: false
    .vgpr_count:     0
    .vgpr_spill_count: 0
    .wavefront_size: 32
    .workgroup_processor_mode: 1
  - .args:
      - .offset:         0
        .size:           32
        .value_kind:     by_value
    .group_segment_fixed_size: 0
    .kernarg_segment_align: 8
    .kernarg_segment_size: 32
    .language:       OpenCL C
    .language_version:
      - 2
      - 0
    .max_flat_workgroup_size: 64
    .name:           _ZN7rocprim17ROCPRIM_400000_NS6detail17trampoline_kernelINS0_14default_configENS1_20scan_config_selectorIN3c104HalfEEEZZNS1_9scan_implILNS1_25lookback_scan_determinismE0ELb0ELb0ES3_PKS6_PS6_S6_ZZZN2at6native31launch_logcumsumexp_cuda_kernelERKNSD_10TensorBaseESH_lENKUlvE_clEvENKUlvE3_clEvEUlS6_S6_E_S6_EEDaPvRmT3_T4_T5_mT6_P12ihipStream_tbENKUlT_T0_E_clISt17integral_constantIbLb1EESY_EEDaST_SU_EUlST_E0_NS1_11comp_targetILNS1_3genE9ELNS1_11target_archE1100ELNS1_3gpuE3ELNS1_3repE0EEENS1_30default_config_static_selectorELNS0_4arch9wavefront6targetE0EEEvT1_
    .private_segment_fixed_size: 0
    .sgpr_count:     0
    .sgpr_spill_count: 0
    .symbol:         _ZN7rocprim17ROCPRIM_400000_NS6detail17trampoline_kernelINS0_14default_configENS1_20scan_config_selectorIN3c104HalfEEEZZNS1_9scan_implILNS1_25lookback_scan_determinismE0ELb0ELb0ES3_PKS6_PS6_S6_ZZZN2at6native31launch_logcumsumexp_cuda_kernelERKNSD_10TensorBaseESH_lENKUlvE_clEvENKUlvE3_clEvEUlS6_S6_E_S6_EEDaPvRmT3_T4_T5_mT6_P12ihipStream_tbENKUlT_T0_E_clISt17integral_constantIbLb1EESY_EEDaST_SU_EUlST_E0_NS1_11comp_targetILNS1_3genE9ELNS1_11target_archE1100ELNS1_3gpuE3ELNS1_3repE0EEENS1_30default_config_static_selectorELNS0_4arch9wavefront6targetE0EEEvT1_.kd
    .uniform_work_group_size: 1
    .uses_dynamic_stack: false
    .vgpr_count:     0
    .vgpr_spill_count: 0
    .wavefront_size: 32
    .workgroup_processor_mode: 1
  - .args:
      - .offset:         0
        .size:           32
        .value_kind:     by_value
    .group_segment_fixed_size: 0
    .kernarg_segment_align: 8
    .kernarg_segment_size: 32
    .language:       OpenCL C
    .language_version:
      - 2
      - 0
    .max_flat_workgroup_size: 64
    .name:           _ZN7rocprim17ROCPRIM_400000_NS6detail17trampoline_kernelINS0_14default_configENS1_20scan_config_selectorIN3c104HalfEEEZZNS1_9scan_implILNS1_25lookback_scan_determinismE0ELb0ELb0ES3_PKS6_PS6_S6_ZZZN2at6native31launch_logcumsumexp_cuda_kernelERKNSD_10TensorBaseESH_lENKUlvE_clEvENKUlvE3_clEvEUlS6_S6_E_S6_EEDaPvRmT3_T4_T5_mT6_P12ihipStream_tbENKUlT_T0_E_clISt17integral_constantIbLb1EESY_EEDaST_SU_EUlST_E0_NS1_11comp_targetILNS1_3genE8ELNS1_11target_archE1030ELNS1_3gpuE2ELNS1_3repE0EEENS1_30default_config_static_selectorELNS0_4arch9wavefront6targetE0EEEvT1_
    .private_segment_fixed_size: 0
    .sgpr_count:     0
    .sgpr_spill_count: 0
    .symbol:         _ZN7rocprim17ROCPRIM_400000_NS6detail17trampoline_kernelINS0_14default_configENS1_20scan_config_selectorIN3c104HalfEEEZZNS1_9scan_implILNS1_25lookback_scan_determinismE0ELb0ELb0ES3_PKS6_PS6_S6_ZZZN2at6native31launch_logcumsumexp_cuda_kernelERKNSD_10TensorBaseESH_lENKUlvE_clEvENKUlvE3_clEvEUlS6_S6_E_S6_EEDaPvRmT3_T4_T5_mT6_P12ihipStream_tbENKUlT_T0_E_clISt17integral_constantIbLb1EESY_EEDaST_SU_EUlST_E0_NS1_11comp_targetILNS1_3genE8ELNS1_11target_archE1030ELNS1_3gpuE2ELNS1_3repE0EEENS1_30default_config_static_selectorELNS0_4arch9wavefront6targetE0EEEvT1_.kd
    .uniform_work_group_size: 1
    .uses_dynamic_stack: false
    .vgpr_count:     0
    .vgpr_spill_count: 0
    .wavefront_size: 32
    .workgroup_processor_mode: 1
  - .args:
      - .address_space:  global
        .offset:         0
        .size:           8
        .value_kind:     global_buffer
      - .offset:         8
        .size:           4
        .value_kind:     by_value
      - .offset:         12
        .size:           1
        .value_kind:     by_value
      - .offset:         16
        .size:           4
        .value_kind:     by_value
      - .address_space:  global
        .offset:         24
        .size:           8
        .value_kind:     global_buffer
      - .offset:         32
        .size:           4
        .value_kind:     hidden_block_count_x
      - .offset:         36
        .size:           4
        .value_kind:     hidden_block_count_y
      - .offset:         40
        .size:           4
        .value_kind:     hidden_block_count_z
      - .offset:         44
        .size:           2
        .value_kind:     hidden_group_size_x
      - .offset:         46
        .size:           2
        .value_kind:     hidden_group_size_y
      - .offset:         48
        .size:           2
        .value_kind:     hidden_group_size_z
      - .offset:         50
        .size:           2
        .value_kind:     hidden_remainder_x
      - .offset:         52
        .size:           2
        .value_kind:     hidden_remainder_y
      - .offset:         54
        .size:           2
        .value_kind:     hidden_remainder_z
      - .offset:         72
        .size:           8
        .value_kind:     hidden_global_offset_x
      - .offset:         80
        .size:           8
        .value_kind:     hidden_global_offset_y
      - .offset:         88
        .size:           8
        .value_kind:     hidden_global_offset_z
      - .offset:         96
        .size:           2
        .value_kind:     hidden_grid_dims
    .group_segment_fixed_size: 0
    .kernarg_segment_align: 8
    .kernarg_segment_size: 288
    .language:       OpenCL C
    .language_version:
      - 2
      - 0
    .max_flat_workgroup_size: 256
    .name:           _ZN7rocprim17ROCPRIM_400000_NS6detail31init_lookback_scan_state_kernelINS1_19lookback_scan_stateIN3c104HalfELb1ELb1EEENS1_16block_id_wrapperIjLb0EEEEEvT_jT0_jPNS9_10value_typeE
    .private_segment_fixed_size: 0
    .sgpr_count:     12
    .sgpr_spill_count: 0
    .symbol:         _ZN7rocprim17ROCPRIM_400000_NS6detail31init_lookback_scan_state_kernelINS1_19lookback_scan_stateIN3c104HalfELb1ELb1EEENS1_16block_id_wrapperIjLb0EEEEEvT_jT0_jPNS9_10value_typeE.kd
    .uniform_work_group_size: 1
    .uses_dynamic_stack: false
    .vgpr_count:     5
    .vgpr_spill_count: 0
    .wavefront_size: 32
    .workgroup_processor_mode: 1
  - .args:
      - .offset:         0
        .size:           96
        .value_kind:     by_value
    .group_segment_fixed_size: 0
    .kernarg_segment_align: 8
    .kernarg_segment_size: 96
    .language:       OpenCL C
    .language_version:
      - 2
      - 0
    .max_flat_workgroup_size: 128
    .name:           _ZN7rocprim17ROCPRIM_400000_NS6detail17trampoline_kernelINS0_14default_configENS1_20scan_config_selectorIN3c104HalfEEEZZNS1_9scan_implILNS1_25lookback_scan_determinismE0ELb0ELb0ES3_PKS6_PS6_S6_ZZZN2at6native31launch_logcumsumexp_cuda_kernelERKNSD_10TensorBaseESH_lENKUlvE_clEvENKUlvE3_clEvEUlS6_S6_E_S6_EEDaPvRmT3_T4_T5_mT6_P12ihipStream_tbENKUlT_T0_E_clISt17integral_constantIbLb1EESX_IbLb0EEEEDaST_SU_EUlST_E_NS1_11comp_targetILNS1_3genE0ELNS1_11target_archE4294967295ELNS1_3gpuE0ELNS1_3repE0EEENS1_30default_config_static_selectorELNS0_4arch9wavefront6targetE0EEEvT1_
    .private_segment_fixed_size: 0
    .sgpr_count:     0
    .sgpr_spill_count: 0
    .symbol:         _ZN7rocprim17ROCPRIM_400000_NS6detail17trampoline_kernelINS0_14default_configENS1_20scan_config_selectorIN3c104HalfEEEZZNS1_9scan_implILNS1_25lookback_scan_determinismE0ELb0ELb0ES3_PKS6_PS6_S6_ZZZN2at6native31launch_logcumsumexp_cuda_kernelERKNSD_10TensorBaseESH_lENKUlvE_clEvENKUlvE3_clEvEUlS6_S6_E_S6_EEDaPvRmT3_T4_T5_mT6_P12ihipStream_tbENKUlT_T0_E_clISt17integral_constantIbLb1EESX_IbLb0EEEEDaST_SU_EUlST_E_NS1_11comp_targetILNS1_3genE0ELNS1_11target_archE4294967295ELNS1_3gpuE0ELNS1_3repE0EEENS1_30default_config_static_selectorELNS0_4arch9wavefront6targetE0EEEvT1_.kd
    .uniform_work_group_size: 1
    .uses_dynamic_stack: false
    .vgpr_count:     0
    .vgpr_spill_count: 0
    .wavefront_size: 32
    .workgroup_processor_mode: 1
  - .args:
      - .offset:         0
        .size:           96
        .value_kind:     by_value
    .group_segment_fixed_size: 0
    .kernarg_segment_align: 8
    .kernarg_segment_size: 96
    .language:       OpenCL C
    .language_version:
      - 2
      - 0
    .max_flat_workgroup_size: 256
    .name:           _ZN7rocprim17ROCPRIM_400000_NS6detail17trampoline_kernelINS0_14default_configENS1_20scan_config_selectorIN3c104HalfEEEZZNS1_9scan_implILNS1_25lookback_scan_determinismE0ELb0ELb0ES3_PKS6_PS6_S6_ZZZN2at6native31launch_logcumsumexp_cuda_kernelERKNSD_10TensorBaseESH_lENKUlvE_clEvENKUlvE3_clEvEUlS6_S6_E_S6_EEDaPvRmT3_T4_T5_mT6_P12ihipStream_tbENKUlT_T0_E_clISt17integral_constantIbLb1EESX_IbLb0EEEEDaST_SU_EUlST_E_NS1_11comp_targetILNS1_3genE5ELNS1_11target_archE942ELNS1_3gpuE9ELNS1_3repE0EEENS1_30default_config_static_selectorELNS0_4arch9wavefront6targetE0EEEvT1_
    .private_segment_fixed_size: 0
    .sgpr_count:     0
    .sgpr_spill_count: 0
    .symbol:         _ZN7rocprim17ROCPRIM_400000_NS6detail17trampoline_kernelINS0_14default_configENS1_20scan_config_selectorIN3c104HalfEEEZZNS1_9scan_implILNS1_25lookback_scan_determinismE0ELb0ELb0ES3_PKS6_PS6_S6_ZZZN2at6native31launch_logcumsumexp_cuda_kernelERKNSD_10TensorBaseESH_lENKUlvE_clEvENKUlvE3_clEvEUlS6_S6_E_S6_EEDaPvRmT3_T4_T5_mT6_P12ihipStream_tbENKUlT_T0_E_clISt17integral_constantIbLb1EESX_IbLb0EEEEDaST_SU_EUlST_E_NS1_11comp_targetILNS1_3genE5ELNS1_11target_archE942ELNS1_3gpuE9ELNS1_3repE0EEENS1_30default_config_static_selectorELNS0_4arch9wavefront6targetE0EEEvT1_.kd
    .uniform_work_group_size: 1
    .uses_dynamic_stack: false
    .vgpr_count:     0
    .vgpr_spill_count: 0
    .wavefront_size: 32
    .workgroup_processor_mode: 1
  - .args:
      - .offset:         0
        .size:           96
        .value_kind:     by_value
    .group_segment_fixed_size: 0
    .kernarg_segment_align: 8
    .kernarg_segment_size: 96
    .language:       OpenCL C
    .language_version:
      - 2
      - 0
    .max_flat_workgroup_size: 64
    .name:           _ZN7rocprim17ROCPRIM_400000_NS6detail17trampoline_kernelINS0_14default_configENS1_20scan_config_selectorIN3c104HalfEEEZZNS1_9scan_implILNS1_25lookback_scan_determinismE0ELb0ELb0ES3_PKS6_PS6_S6_ZZZN2at6native31launch_logcumsumexp_cuda_kernelERKNSD_10TensorBaseESH_lENKUlvE_clEvENKUlvE3_clEvEUlS6_S6_E_S6_EEDaPvRmT3_T4_T5_mT6_P12ihipStream_tbENKUlT_T0_E_clISt17integral_constantIbLb1EESX_IbLb0EEEEDaST_SU_EUlST_E_NS1_11comp_targetILNS1_3genE4ELNS1_11target_archE910ELNS1_3gpuE8ELNS1_3repE0EEENS1_30default_config_static_selectorELNS0_4arch9wavefront6targetE0EEEvT1_
    .private_segment_fixed_size: 0
    .sgpr_count:     0
    .sgpr_spill_count: 0
    .symbol:         _ZN7rocprim17ROCPRIM_400000_NS6detail17trampoline_kernelINS0_14default_configENS1_20scan_config_selectorIN3c104HalfEEEZZNS1_9scan_implILNS1_25lookback_scan_determinismE0ELb0ELb0ES3_PKS6_PS6_S6_ZZZN2at6native31launch_logcumsumexp_cuda_kernelERKNSD_10TensorBaseESH_lENKUlvE_clEvENKUlvE3_clEvEUlS6_S6_E_S6_EEDaPvRmT3_T4_T5_mT6_P12ihipStream_tbENKUlT_T0_E_clISt17integral_constantIbLb1EESX_IbLb0EEEEDaST_SU_EUlST_E_NS1_11comp_targetILNS1_3genE4ELNS1_11target_archE910ELNS1_3gpuE8ELNS1_3repE0EEENS1_30default_config_static_selectorELNS0_4arch9wavefront6targetE0EEEvT1_.kd
    .uniform_work_group_size: 1
    .uses_dynamic_stack: false
    .vgpr_count:     0
    .vgpr_spill_count: 0
    .wavefront_size: 32
    .workgroup_processor_mode: 1
  - .args:
      - .offset:         0
        .size:           96
        .value_kind:     by_value
    .group_segment_fixed_size: 0
    .kernarg_segment_align: 8
    .kernarg_segment_size: 96
    .language:       OpenCL C
    .language_version:
      - 2
      - 0
    .max_flat_workgroup_size: 128
    .name:           _ZN7rocprim17ROCPRIM_400000_NS6detail17trampoline_kernelINS0_14default_configENS1_20scan_config_selectorIN3c104HalfEEEZZNS1_9scan_implILNS1_25lookback_scan_determinismE0ELb0ELb0ES3_PKS6_PS6_S6_ZZZN2at6native31launch_logcumsumexp_cuda_kernelERKNSD_10TensorBaseESH_lENKUlvE_clEvENKUlvE3_clEvEUlS6_S6_E_S6_EEDaPvRmT3_T4_T5_mT6_P12ihipStream_tbENKUlT_T0_E_clISt17integral_constantIbLb1EESX_IbLb0EEEEDaST_SU_EUlST_E_NS1_11comp_targetILNS1_3genE3ELNS1_11target_archE908ELNS1_3gpuE7ELNS1_3repE0EEENS1_30default_config_static_selectorELNS0_4arch9wavefront6targetE0EEEvT1_
    .private_segment_fixed_size: 0
    .sgpr_count:     0
    .sgpr_spill_count: 0
    .symbol:         _ZN7rocprim17ROCPRIM_400000_NS6detail17trampoline_kernelINS0_14default_configENS1_20scan_config_selectorIN3c104HalfEEEZZNS1_9scan_implILNS1_25lookback_scan_determinismE0ELb0ELb0ES3_PKS6_PS6_S6_ZZZN2at6native31launch_logcumsumexp_cuda_kernelERKNSD_10TensorBaseESH_lENKUlvE_clEvENKUlvE3_clEvEUlS6_S6_E_S6_EEDaPvRmT3_T4_T5_mT6_P12ihipStream_tbENKUlT_T0_E_clISt17integral_constantIbLb1EESX_IbLb0EEEEDaST_SU_EUlST_E_NS1_11comp_targetILNS1_3genE3ELNS1_11target_archE908ELNS1_3gpuE7ELNS1_3repE0EEENS1_30default_config_static_selectorELNS0_4arch9wavefront6targetE0EEEvT1_.kd
    .uniform_work_group_size: 1
    .uses_dynamic_stack: false
    .vgpr_count:     0
    .vgpr_spill_count: 0
    .wavefront_size: 32
    .workgroup_processor_mode: 1
  - .args:
      - .offset:         0
        .size:           96
        .value_kind:     by_value
    .group_segment_fixed_size: 0
    .kernarg_segment_align: 8
    .kernarg_segment_size: 96
    .language:       OpenCL C
    .language_version:
      - 2
      - 0
    .max_flat_workgroup_size: 256
    .name:           _ZN7rocprim17ROCPRIM_400000_NS6detail17trampoline_kernelINS0_14default_configENS1_20scan_config_selectorIN3c104HalfEEEZZNS1_9scan_implILNS1_25lookback_scan_determinismE0ELb0ELb0ES3_PKS6_PS6_S6_ZZZN2at6native31launch_logcumsumexp_cuda_kernelERKNSD_10TensorBaseESH_lENKUlvE_clEvENKUlvE3_clEvEUlS6_S6_E_S6_EEDaPvRmT3_T4_T5_mT6_P12ihipStream_tbENKUlT_T0_E_clISt17integral_constantIbLb1EESX_IbLb0EEEEDaST_SU_EUlST_E_NS1_11comp_targetILNS1_3genE2ELNS1_11target_archE906ELNS1_3gpuE6ELNS1_3repE0EEENS1_30default_config_static_selectorELNS0_4arch9wavefront6targetE0EEEvT1_
    .private_segment_fixed_size: 0
    .sgpr_count:     0
    .sgpr_spill_count: 0
    .symbol:         _ZN7rocprim17ROCPRIM_400000_NS6detail17trampoline_kernelINS0_14default_configENS1_20scan_config_selectorIN3c104HalfEEEZZNS1_9scan_implILNS1_25lookback_scan_determinismE0ELb0ELb0ES3_PKS6_PS6_S6_ZZZN2at6native31launch_logcumsumexp_cuda_kernelERKNSD_10TensorBaseESH_lENKUlvE_clEvENKUlvE3_clEvEUlS6_S6_E_S6_EEDaPvRmT3_T4_T5_mT6_P12ihipStream_tbENKUlT_T0_E_clISt17integral_constantIbLb1EESX_IbLb0EEEEDaST_SU_EUlST_E_NS1_11comp_targetILNS1_3genE2ELNS1_11target_archE906ELNS1_3gpuE6ELNS1_3repE0EEENS1_30default_config_static_selectorELNS0_4arch9wavefront6targetE0EEEvT1_.kd
    .uniform_work_group_size: 1
    .uses_dynamic_stack: false
    .vgpr_count:     0
    .vgpr_spill_count: 0
    .wavefront_size: 32
    .workgroup_processor_mode: 1
  - .args:
      - .offset:         0
        .size:           96
        .value_kind:     by_value
    .group_segment_fixed_size: 0
    .kernarg_segment_align: 8
    .kernarg_segment_size: 96
    .language:       OpenCL C
    .language_version:
      - 2
      - 0
    .max_flat_workgroup_size: 256
    .name:           _ZN7rocprim17ROCPRIM_400000_NS6detail17trampoline_kernelINS0_14default_configENS1_20scan_config_selectorIN3c104HalfEEEZZNS1_9scan_implILNS1_25lookback_scan_determinismE0ELb0ELb0ES3_PKS6_PS6_S6_ZZZN2at6native31launch_logcumsumexp_cuda_kernelERKNSD_10TensorBaseESH_lENKUlvE_clEvENKUlvE3_clEvEUlS6_S6_E_S6_EEDaPvRmT3_T4_T5_mT6_P12ihipStream_tbENKUlT_T0_E_clISt17integral_constantIbLb1EESX_IbLb0EEEEDaST_SU_EUlST_E_NS1_11comp_targetILNS1_3genE10ELNS1_11target_archE1201ELNS1_3gpuE5ELNS1_3repE0EEENS1_30default_config_static_selectorELNS0_4arch9wavefront6targetE0EEEvT1_
    .private_segment_fixed_size: 0
    .sgpr_count:     0
    .sgpr_spill_count: 0
    .symbol:         _ZN7rocprim17ROCPRIM_400000_NS6detail17trampoline_kernelINS0_14default_configENS1_20scan_config_selectorIN3c104HalfEEEZZNS1_9scan_implILNS1_25lookback_scan_determinismE0ELb0ELb0ES3_PKS6_PS6_S6_ZZZN2at6native31launch_logcumsumexp_cuda_kernelERKNSD_10TensorBaseESH_lENKUlvE_clEvENKUlvE3_clEvEUlS6_S6_E_S6_EEDaPvRmT3_T4_T5_mT6_P12ihipStream_tbENKUlT_T0_E_clISt17integral_constantIbLb1EESX_IbLb0EEEEDaST_SU_EUlST_E_NS1_11comp_targetILNS1_3genE10ELNS1_11target_archE1201ELNS1_3gpuE5ELNS1_3repE0EEENS1_30default_config_static_selectorELNS0_4arch9wavefront6targetE0EEEvT1_.kd
    .uniform_work_group_size: 1
    .uses_dynamic_stack: false
    .vgpr_count:     0
    .vgpr_spill_count: 0
    .wavefront_size: 32
    .workgroup_processor_mode: 1
  - .args:
      - .offset:         0
        .size:           96
        .value_kind:     by_value
    .group_segment_fixed_size: 0
    .kernarg_segment_align: 8
    .kernarg_segment_size: 96
    .language:       OpenCL C
    .language_version:
      - 2
      - 0
    .max_flat_workgroup_size: 256
    .name:           _ZN7rocprim17ROCPRIM_400000_NS6detail17trampoline_kernelINS0_14default_configENS1_20scan_config_selectorIN3c104HalfEEEZZNS1_9scan_implILNS1_25lookback_scan_determinismE0ELb0ELb0ES3_PKS6_PS6_S6_ZZZN2at6native31launch_logcumsumexp_cuda_kernelERKNSD_10TensorBaseESH_lENKUlvE_clEvENKUlvE3_clEvEUlS6_S6_E_S6_EEDaPvRmT3_T4_T5_mT6_P12ihipStream_tbENKUlT_T0_E_clISt17integral_constantIbLb1EESX_IbLb0EEEEDaST_SU_EUlST_E_NS1_11comp_targetILNS1_3genE10ELNS1_11target_archE1200ELNS1_3gpuE4ELNS1_3repE0EEENS1_30default_config_static_selectorELNS0_4arch9wavefront6targetE0EEEvT1_
    .private_segment_fixed_size: 0
    .sgpr_count:     0
    .sgpr_spill_count: 0
    .symbol:         _ZN7rocprim17ROCPRIM_400000_NS6detail17trampoline_kernelINS0_14default_configENS1_20scan_config_selectorIN3c104HalfEEEZZNS1_9scan_implILNS1_25lookback_scan_determinismE0ELb0ELb0ES3_PKS6_PS6_S6_ZZZN2at6native31launch_logcumsumexp_cuda_kernelERKNSD_10TensorBaseESH_lENKUlvE_clEvENKUlvE3_clEvEUlS6_S6_E_S6_EEDaPvRmT3_T4_T5_mT6_P12ihipStream_tbENKUlT_T0_E_clISt17integral_constantIbLb1EESX_IbLb0EEEEDaST_SU_EUlST_E_NS1_11comp_targetILNS1_3genE10ELNS1_11target_archE1200ELNS1_3gpuE4ELNS1_3repE0EEENS1_30default_config_static_selectorELNS0_4arch9wavefront6targetE0EEEvT1_.kd
    .uniform_work_group_size: 1
    .uses_dynamic_stack: false
    .vgpr_count:     0
    .vgpr_spill_count: 0
    .wavefront_size: 32
    .workgroup_processor_mode: 1
  - .args:
      - .offset:         0
        .size:           96
        .value_kind:     by_value
    .group_segment_fixed_size: 0
    .kernarg_segment_align: 8
    .kernarg_segment_size: 96
    .language:       OpenCL C
    .language_version:
      - 2
      - 0
    .max_flat_workgroup_size: 64
    .name:           _ZN7rocprim17ROCPRIM_400000_NS6detail17trampoline_kernelINS0_14default_configENS1_20scan_config_selectorIN3c104HalfEEEZZNS1_9scan_implILNS1_25lookback_scan_determinismE0ELb0ELb0ES3_PKS6_PS6_S6_ZZZN2at6native31launch_logcumsumexp_cuda_kernelERKNSD_10TensorBaseESH_lENKUlvE_clEvENKUlvE3_clEvEUlS6_S6_E_S6_EEDaPvRmT3_T4_T5_mT6_P12ihipStream_tbENKUlT_T0_E_clISt17integral_constantIbLb1EESX_IbLb0EEEEDaST_SU_EUlST_E_NS1_11comp_targetILNS1_3genE9ELNS1_11target_archE1100ELNS1_3gpuE3ELNS1_3repE0EEENS1_30default_config_static_selectorELNS0_4arch9wavefront6targetE0EEEvT1_
    .private_segment_fixed_size: 0
    .sgpr_count:     0
    .sgpr_spill_count: 0
    .symbol:         _ZN7rocprim17ROCPRIM_400000_NS6detail17trampoline_kernelINS0_14default_configENS1_20scan_config_selectorIN3c104HalfEEEZZNS1_9scan_implILNS1_25lookback_scan_determinismE0ELb0ELb0ES3_PKS6_PS6_S6_ZZZN2at6native31launch_logcumsumexp_cuda_kernelERKNSD_10TensorBaseESH_lENKUlvE_clEvENKUlvE3_clEvEUlS6_S6_E_S6_EEDaPvRmT3_T4_T5_mT6_P12ihipStream_tbENKUlT_T0_E_clISt17integral_constantIbLb1EESX_IbLb0EEEEDaST_SU_EUlST_E_NS1_11comp_targetILNS1_3genE9ELNS1_11target_archE1100ELNS1_3gpuE3ELNS1_3repE0EEENS1_30default_config_static_selectorELNS0_4arch9wavefront6targetE0EEEvT1_.kd
    .uniform_work_group_size: 1
    .uses_dynamic_stack: false
    .vgpr_count:     0
    .vgpr_spill_count: 0
    .wavefront_size: 32
    .workgroup_processor_mode: 1
  - .args:
      - .offset:         0
        .size:           96
        .value_kind:     by_value
    .group_segment_fixed_size: 0
    .kernarg_segment_align: 8
    .kernarg_segment_size: 96
    .language:       OpenCL C
    .language_version:
      - 2
      - 0
    .max_flat_workgroup_size: 64
    .name:           _ZN7rocprim17ROCPRIM_400000_NS6detail17trampoline_kernelINS0_14default_configENS1_20scan_config_selectorIN3c104HalfEEEZZNS1_9scan_implILNS1_25lookback_scan_determinismE0ELb0ELb0ES3_PKS6_PS6_S6_ZZZN2at6native31launch_logcumsumexp_cuda_kernelERKNSD_10TensorBaseESH_lENKUlvE_clEvENKUlvE3_clEvEUlS6_S6_E_S6_EEDaPvRmT3_T4_T5_mT6_P12ihipStream_tbENKUlT_T0_E_clISt17integral_constantIbLb1EESX_IbLb0EEEEDaST_SU_EUlST_E_NS1_11comp_targetILNS1_3genE8ELNS1_11target_archE1030ELNS1_3gpuE2ELNS1_3repE0EEENS1_30default_config_static_selectorELNS0_4arch9wavefront6targetE0EEEvT1_
    .private_segment_fixed_size: 0
    .sgpr_count:     0
    .sgpr_spill_count: 0
    .symbol:         _ZN7rocprim17ROCPRIM_400000_NS6detail17trampoline_kernelINS0_14default_configENS1_20scan_config_selectorIN3c104HalfEEEZZNS1_9scan_implILNS1_25lookback_scan_determinismE0ELb0ELb0ES3_PKS6_PS6_S6_ZZZN2at6native31launch_logcumsumexp_cuda_kernelERKNSD_10TensorBaseESH_lENKUlvE_clEvENKUlvE3_clEvEUlS6_S6_E_S6_EEDaPvRmT3_T4_T5_mT6_P12ihipStream_tbENKUlT_T0_E_clISt17integral_constantIbLb1EESX_IbLb0EEEEDaST_SU_EUlST_E_NS1_11comp_targetILNS1_3genE8ELNS1_11target_archE1030ELNS1_3gpuE2ELNS1_3repE0EEENS1_30default_config_static_selectorELNS0_4arch9wavefront6targetE0EEEvT1_.kd
    .uniform_work_group_size: 1
    .uses_dynamic_stack: false
    .vgpr_count:     0
    .vgpr_spill_count: 0
    .wavefront_size: 32
    .workgroup_processor_mode: 1
  - .args:
      - .offset:         0
        .size:           32
        .value_kind:     by_value
    .group_segment_fixed_size: 0
    .kernarg_segment_align: 8
    .kernarg_segment_size: 32
    .language:       OpenCL C
    .language_version:
      - 2
      - 0
    .max_flat_workgroup_size: 128
    .name:           _ZN7rocprim17ROCPRIM_400000_NS6detail17trampoline_kernelINS0_14default_configENS1_20scan_config_selectorIN3c104HalfEEEZZNS1_9scan_implILNS1_25lookback_scan_determinismE0ELb0ELb0ES3_PKS6_PS6_S6_ZZZN2at6native31launch_logcumsumexp_cuda_kernelERKNSD_10TensorBaseESH_lENKUlvE_clEvENKUlvE3_clEvEUlS6_S6_E_S6_EEDaPvRmT3_T4_T5_mT6_P12ihipStream_tbENKUlT_T0_E_clISt17integral_constantIbLb1EESX_IbLb0EEEEDaST_SU_EUlST_E0_NS1_11comp_targetILNS1_3genE0ELNS1_11target_archE4294967295ELNS1_3gpuE0ELNS1_3repE0EEENS1_30default_config_static_selectorELNS0_4arch9wavefront6targetE0EEEvT1_
    .private_segment_fixed_size: 0
    .sgpr_count:     0
    .sgpr_spill_count: 0
    .symbol:         _ZN7rocprim17ROCPRIM_400000_NS6detail17trampoline_kernelINS0_14default_configENS1_20scan_config_selectorIN3c104HalfEEEZZNS1_9scan_implILNS1_25lookback_scan_determinismE0ELb0ELb0ES3_PKS6_PS6_S6_ZZZN2at6native31launch_logcumsumexp_cuda_kernelERKNSD_10TensorBaseESH_lENKUlvE_clEvENKUlvE3_clEvEUlS6_S6_E_S6_EEDaPvRmT3_T4_T5_mT6_P12ihipStream_tbENKUlT_T0_E_clISt17integral_constantIbLb1EESX_IbLb0EEEEDaST_SU_EUlST_E0_NS1_11comp_targetILNS1_3genE0ELNS1_11target_archE4294967295ELNS1_3gpuE0ELNS1_3repE0EEENS1_30default_config_static_selectorELNS0_4arch9wavefront6targetE0EEEvT1_.kd
    .uniform_work_group_size: 1
    .uses_dynamic_stack: false
    .vgpr_count:     0
    .vgpr_spill_count: 0
    .wavefront_size: 32
    .workgroup_processor_mode: 1
  - .args:
      - .offset:         0
        .size:           32
        .value_kind:     by_value
    .group_segment_fixed_size: 0
    .kernarg_segment_align: 8
    .kernarg_segment_size: 32
    .language:       OpenCL C
    .language_version:
      - 2
      - 0
    .max_flat_workgroup_size: 256
    .name:           _ZN7rocprim17ROCPRIM_400000_NS6detail17trampoline_kernelINS0_14default_configENS1_20scan_config_selectorIN3c104HalfEEEZZNS1_9scan_implILNS1_25lookback_scan_determinismE0ELb0ELb0ES3_PKS6_PS6_S6_ZZZN2at6native31launch_logcumsumexp_cuda_kernelERKNSD_10TensorBaseESH_lENKUlvE_clEvENKUlvE3_clEvEUlS6_S6_E_S6_EEDaPvRmT3_T4_T5_mT6_P12ihipStream_tbENKUlT_T0_E_clISt17integral_constantIbLb1EESX_IbLb0EEEEDaST_SU_EUlST_E0_NS1_11comp_targetILNS1_3genE5ELNS1_11target_archE942ELNS1_3gpuE9ELNS1_3repE0EEENS1_30default_config_static_selectorELNS0_4arch9wavefront6targetE0EEEvT1_
    .private_segment_fixed_size: 0
    .sgpr_count:     0
    .sgpr_spill_count: 0
    .symbol:         _ZN7rocprim17ROCPRIM_400000_NS6detail17trampoline_kernelINS0_14default_configENS1_20scan_config_selectorIN3c104HalfEEEZZNS1_9scan_implILNS1_25lookback_scan_determinismE0ELb0ELb0ES3_PKS6_PS6_S6_ZZZN2at6native31launch_logcumsumexp_cuda_kernelERKNSD_10TensorBaseESH_lENKUlvE_clEvENKUlvE3_clEvEUlS6_S6_E_S6_EEDaPvRmT3_T4_T5_mT6_P12ihipStream_tbENKUlT_T0_E_clISt17integral_constantIbLb1EESX_IbLb0EEEEDaST_SU_EUlST_E0_NS1_11comp_targetILNS1_3genE5ELNS1_11target_archE942ELNS1_3gpuE9ELNS1_3repE0EEENS1_30default_config_static_selectorELNS0_4arch9wavefront6targetE0EEEvT1_.kd
    .uniform_work_group_size: 1
    .uses_dynamic_stack: false
    .vgpr_count:     0
    .vgpr_spill_count: 0
    .wavefront_size: 32
    .workgroup_processor_mode: 1
  - .args:
      - .offset:         0
        .size:           32
        .value_kind:     by_value
    .group_segment_fixed_size: 0
    .kernarg_segment_align: 8
    .kernarg_segment_size: 32
    .language:       OpenCL C
    .language_version:
      - 2
      - 0
    .max_flat_workgroup_size: 64
    .name:           _ZN7rocprim17ROCPRIM_400000_NS6detail17trampoline_kernelINS0_14default_configENS1_20scan_config_selectorIN3c104HalfEEEZZNS1_9scan_implILNS1_25lookback_scan_determinismE0ELb0ELb0ES3_PKS6_PS6_S6_ZZZN2at6native31launch_logcumsumexp_cuda_kernelERKNSD_10TensorBaseESH_lENKUlvE_clEvENKUlvE3_clEvEUlS6_S6_E_S6_EEDaPvRmT3_T4_T5_mT6_P12ihipStream_tbENKUlT_T0_E_clISt17integral_constantIbLb1EESX_IbLb0EEEEDaST_SU_EUlST_E0_NS1_11comp_targetILNS1_3genE4ELNS1_11target_archE910ELNS1_3gpuE8ELNS1_3repE0EEENS1_30default_config_static_selectorELNS0_4arch9wavefront6targetE0EEEvT1_
    .private_segment_fixed_size: 0
    .sgpr_count:     0
    .sgpr_spill_count: 0
    .symbol:         _ZN7rocprim17ROCPRIM_400000_NS6detail17trampoline_kernelINS0_14default_configENS1_20scan_config_selectorIN3c104HalfEEEZZNS1_9scan_implILNS1_25lookback_scan_determinismE0ELb0ELb0ES3_PKS6_PS6_S6_ZZZN2at6native31launch_logcumsumexp_cuda_kernelERKNSD_10TensorBaseESH_lENKUlvE_clEvENKUlvE3_clEvEUlS6_S6_E_S6_EEDaPvRmT3_T4_T5_mT6_P12ihipStream_tbENKUlT_T0_E_clISt17integral_constantIbLb1EESX_IbLb0EEEEDaST_SU_EUlST_E0_NS1_11comp_targetILNS1_3genE4ELNS1_11target_archE910ELNS1_3gpuE8ELNS1_3repE0EEENS1_30default_config_static_selectorELNS0_4arch9wavefront6targetE0EEEvT1_.kd
    .uniform_work_group_size: 1
    .uses_dynamic_stack: false
    .vgpr_count:     0
    .vgpr_spill_count: 0
    .wavefront_size: 32
    .workgroup_processor_mode: 1
  - .args:
      - .offset:         0
        .size:           32
        .value_kind:     by_value
    .group_segment_fixed_size: 0
    .kernarg_segment_align: 8
    .kernarg_segment_size: 32
    .language:       OpenCL C
    .language_version:
      - 2
      - 0
    .max_flat_workgroup_size: 128
    .name:           _ZN7rocprim17ROCPRIM_400000_NS6detail17trampoline_kernelINS0_14default_configENS1_20scan_config_selectorIN3c104HalfEEEZZNS1_9scan_implILNS1_25lookback_scan_determinismE0ELb0ELb0ES3_PKS6_PS6_S6_ZZZN2at6native31launch_logcumsumexp_cuda_kernelERKNSD_10TensorBaseESH_lENKUlvE_clEvENKUlvE3_clEvEUlS6_S6_E_S6_EEDaPvRmT3_T4_T5_mT6_P12ihipStream_tbENKUlT_T0_E_clISt17integral_constantIbLb1EESX_IbLb0EEEEDaST_SU_EUlST_E0_NS1_11comp_targetILNS1_3genE3ELNS1_11target_archE908ELNS1_3gpuE7ELNS1_3repE0EEENS1_30default_config_static_selectorELNS0_4arch9wavefront6targetE0EEEvT1_
    .private_segment_fixed_size: 0
    .sgpr_count:     0
    .sgpr_spill_count: 0
    .symbol:         _ZN7rocprim17ROCPRIM_400000_NS6detail17trampoline_kernelINS0_14default_configENS1_20scan_config_selectorIN3c104HalfEEEZZNS1_9scan_implILNS1_25lookback_scan_determinismE0ELb0ELb0ES3_PKS6_PS6_S6_ZZZN2at6native31launch_logcumsumexp_cuda_kernelERKNSD_10TensorBaseESH_lENKUlvE_clEvENKUlvE3_clEvEUlS6_S6_E_S6_EEDaPvRmT3_T4_T5_mT6_P12ihipStream_tbENKUlT_T0_E_clISt17integral_constantIbLb1EESX_IbLb0EEEEDaST_SU_EUlST_E0_NS1_11comp_targetILNS1_3genE3ELNS1_11target_archE908ELNS1_3gpuE7ELNS1_3repE0EEENS1_30default_config_static_selectorELNS0_4arch9wavefront6targetE0EEEvT1_.kd
    .uniform_work_group_size: 1
    .uses_dynamic_stack: false
    .vgpr_count:     0
    .vgpr_spill_count: 0
    .wavefront_size: 32
    .workgroup_processor_mode: 1
  - .args:
      - .offset:         0
        .size:           32
        .value_kind:     by_value
    .group_segment_fixed_size: 0
    .kernarg_segment_align: 8
    .kernarg_segment_size: 32
    .language:       OpenCL C
    .language_version:
      - 2
      - 0
    .max_flat_workgroup_size: 256
    .name:           _ZN7rocprim17ROCPRIM_400000_NS6detail17trampoline_kernelINS0_14default_configENS1_20scan_config_selectorIN3c104HalfEEEZZNS1_9scan_implILNS1_25lookback_scan_determinismE0ELb0ELb0ES3_PKS6_PS6_S6_ZZZN2at6native31launch_logcumsumexp_cuda_kernelERKNSD_10TensorBaseESH_lENKUlvE_clEvENKUlvE3_clEvEUlS6_S6_E_S6_EEDaPvRmT3_T4_T5_mT6_P12ihipStream_tbENKUlT_T0_E_clISt17integral_constantIbLb1EESX_IbLb0EEEEDaST_SU_EUlST_E0_NS1_11comp_targetILNS1_3genE2ELNS1_11target_archE906ELNS1_3gpuE6ELNS1_3repE0EEENS1_30default_config_static_selectorELNS0_4arch9wavefront6targetE0EEEvT1_
    .private_segment_fixed_size: 0
    .sgpr_count:     0
    .sgpr_spill_count: 0
    .symbol:         _ZN7rocprim17ROCPRIM_400000_NS6detail17trampoline_kernelINS0_14default_configENS1_20scan_config_selectorIN3c104HalfEEEZZNS1_9scan_implILNS1_25lookback_scan_determinismE0ELb0ELb0ES3_PKS6_PS6_S6_ZZZN2at6native31launch_logcumsumexp_cuda_kernelERKNSD_10TensorBaseESH_lENKUlvE_clEvENKUlvE3_clEvEUlS6_S6_E_S6_EEDaPvRmT3_T4_T5_mT6_P12ihipStream_tbENKUlT_T0_E_clISt17integral_constantIbLb1EESX_IbLb0EEEEDaST_SU_EUlST_E0_NS1_11comp_targetILNS1_3genE2ELNS1_11target_archE906ELNS1_3gpuE6ELNS1_3repE0EEENS1_30default_config_static_selectorELNS0_4arch9wavefront6targetE0EEEvT1_.kd
    .uniform_work_group_size: 1
    .uses_dynamic_stack: false
    .vgpr_count:     0
    .vgpr_spill_count: 0
    .wavefront_size: 32
    .workgroup_processor_mode: 1
  - .args:
      - .offset:         0
        .size:           32
        .value_kind:     by_value
    .group_segment_fixed_size: 6144
    .kernarg_segment_align: 8
    .kernarg_segment_size: 32
    .language:       OpenCL C
    .language_version:
      - 2
      - 0
    .max_flat_workgroup_size: 256
    .name:           _ZN7rocprim17ROCPRIM_400000_NS6detail17trampoline_kernelINS0_14default_configENS1_20scan_config_selectorIN3c104HalfEEEZZNS1_9scan_implILNS1_25lookback_scan_determinismE0ELb0ELb0ES3_PKS6_PS6_S6_ZZZN2at6native31launch_logcumsumexp_cuda_kernelERKNSD_10TensorBaseESH_lENKUlvE_clEvENKUlvE3_clEvEUlS6_S6_E_S6_EEDaPvRmT3_T4_T5_mT6_P12ihipStream_tbENKUlT_T0_E_clISt17integral_constantIbLb1EESX_IbLb0EEEEDaST_SU_EUlST_E0_NS1_11comp_targetILNS1_3genE10ELNS1_11target_archE1201ELNS1_3gpuE5ELNS1_3repE0EEENS1_30default_config_static_selectorELNS0_4arch9wavefront6targetE0EEEvT1_
    .private_segment_fixed_size: 0
    .sgpr_count:     32
    .sgpr_spill_count: 0
    .symbol:         _ZN7rocprim17ROCPRIM_400000_NS6detail17trampoline_kernelINS0_14default_configENS1_20scan_config_selectorIN3c104HalfEEEZZNS1_9scan_implILNS1_25lookback_scan_determinismE0ELb0ELb0ES3_PKS6_PS6_S6_ZZZN2at6native31launch_logcumsumexp_cuda_kernelERKNSD_10TensorBaseESH_lENKUlvE_clEvENKUlvE3_clEvEUlS6_S6_E_S6_EEDaPvRmT3_T4_T5_mT6_P12ihipStream_tbENKUlT_T0_E_clISt17integral_constantIbLb1EESX_IbLb0EEEEDaST_SU_EUlST_E0_NS1_11comp_targetILNS1_3genE10ELNS1_11target_archE1201ELNS1_3gpuE5ELNS1_3repE0EEENS1_30default_config_static_selectorELNS0_4arch9wavefront6targetE0EEEvT1_.kd
    .uniform_work_group_size: 1
    .uses_dynamic_stack: false
    .vgpr_count:     36
    .vgpr_spill_count: 0
    .wavefront_size: 32
    .workgroup_processor_mode: 1
  - .args:
      - .offset:         0
        .size:           32
        .value_kind:     by_value
    .group_segment_fixed_size: 0
    .kernarg_segment_align: 8
    .kernarg_segment_size: 32
    .language:       OpenCL C
    .language_version:
      - 2
      - 0
    .max_flat_workgroup_size: 256
    .name:           _ZN7rocprim17ROCPRIM_400000_NS6detail17trampoline_kernelINS0_14default_configENS1_20scan_config_selectorIN3c104HalfEEEZZNS1_9scan_implILNS1_25lookback_scan_determinismE0ELb0ELb0ES3_PKS6_PS6_S6_ZZZN2at6native31launch_logcumsumexp_cuda_kernelERKNSD_10TensorBaseESH_lENKUlvE_clEvENKUlvE3_clEvEUlS6_S6_E_S6_EEDaPvRmT3_T4_T5_mT6_P12ihipStream_tbENKUlT_T0_E_clISt17integral_constantIbLb1EESX_IbLb0EEEEDaST_SU_EUlST_E0_NS1_11comp_targetILNS1_3genE10ELNS1_11target_archE1200ELNS1_3gpuE4ELNS1_3repE0EEENS1_30default_config_static_selectorELNS0_4arch9wavefront6targetE0EEEvT1_
    .private_segment_fixed_size: 0
    .sgpr_count:     0
    .sgpr_spill_count: 0
    .symbol:         _ZN7rocprim17ROCPRIM_400000_NS6detail17trampoline_kernelINS0_14default_configENS1_20scan_config_selectorIN3c104HalfEEEZZNS1_9scan_implILNS1_25lookback_scan_determinismE0ELb0ELb0ES3_PKS6_PS6_S6_ZZZN2at6native31launch_logcumsumexp_cuda_kernelERKNSD_10TensorBaseESH_lENKUlvE_clEvENKUlvE3_clEvEUlS6_S6_E_S6_EEDaPvRmT3_T4_T5_mT6_P12ihipStream_tbENKUlT_T0_E_clISt17integral_constantIbLb1EESX_IbLb0EEEEDaST_SU_EUlST_E0_NS1_11comp_targetILNS1_3genE10ELNS1_11target_archE1200ELNS1_3gpuE4ELNS1_3repE0EEENS1_30default_config_static_selectorELNS0_4arch9wavefront6targetE0EEEvT1_.kd
    .uniform_work_group_size: 1
    .uses_dynamic_stack: false
    .vgpr_count:     0
    .vgpr_spill_count: 0
    .wavefront_size: 32
    .workgroup_processor_mode: 1
  - .args:
      - .offset:         0
        .size:           32
        .value_kind:     by_value
    .group_segment_fixed_size: 0
    .kernarg_segment_align: 8
    .kernarg_segment_size: 32
    .language:       OpenCL C
    .language_version:
      - 2
      - 0
    .max_flat_workgroup_size: 64
    .name:           _ZN7rocprim17ROCPRIM_400000_NS6detail17trampoline_kernelINS0_14default_configENS1_20scan_config_selectorIN3c104HalfEEEZZNS1_9scan_implILNS1_25lookback_scan_determinismE0ELb0ELb0ES3_PKS6_PS6_S6_ZZZN2at6native31launch_logcumsumexp_cuda_kernelERKNSD_10TensorBaseESH_lENKUlvE_clEvENKUlvE3_clEvEUlS6_S6_E_S6_EEDaPvRmT3_T4_T5_mT6_P12ihipStream_tbENKUlT_T0_E_clISt17integral_constantIbLb1EESX_IbLb0EEEEDaST_SU_EUlST_E0_NS1_11comp_targetILNS1_3genE9ELNS1_11target_archE1100ELNS1_3gpuE3ELNS1_3repE0EEENS1_30default_config_static_selectorELNS0_4arch9wavefront6targetE0EEEvT1_
    .private_segment_fixed_size: 0
    .sgpr_count:     0
    .sgpr_spill_count: 0
    .symbol:         _ZN7rocprim17ROCPRIM_400000_NS6detail17trampoline_kernelINS0_14default_configENS1_20scan_config_selectorIN3c104HalfEEEZZNS1_9scan_implILNS1_25lookback_scan_determinismE0ELb0ELb0ES3_PKS6_PS6_S6_ZZZN2at6native31launch_logcumsumexp_cuda_kernelERKNSD_10TensorBaseESH_lENKUlvE_clEvENKUlvE3_clEvEUlS6_S6_E_S6_EEDaPvRmT3_T4_T5_mT6_P12ihipStream_tbENKUlT_T0_E_clISt17integral_constantIbLb1EESX_IbLb0EEEEDaST_SU_EUlST_E0_NS1_11comp_targetILNS1_3genE9ELNS1_11target_archE1100ELNS1_3gpuE3ELNS1_3repE0EEENS1_30default_config_static_selectorELNS0_4arch9wavefront6targetE0EEEvT1_.kd
    .uniform_work_group_size: 1
    .uses_dynamic_stack: false
    .vgpr_count:     0
    .vgpr_spill_count: 0
    .wavefront_size: 32
    .workgroup_processor_mode: 1
  - .args:
      - .offset:         0
        .size:           32
        .value_kind:     by_value
    .group_segment_fixed_size: 0
    .kernarg_segment_align: 8
    .kernarg_segment_size: 32
    .language:       OpenCL C
    .language_version:
      - 2
      - 0
    .max_flat_workgroup_size: 64
    .name:           _ZN7rocprim17ROCPRIM_400000_NS6detail17trampoline_kernelINS0_14default_configENS1_20scan_config_selectorIN3c104HalfEEEZZNS1_9scan_implILNS1_25lookback_scan_determinismE0ELb0ELb0ES3_PKS6_PS6_S6_ZZZN2at6native31launch_logcumsumexp_cuda_kernelERKNSD_10TensorBaseESH_lENKUlvE_clEvENKUlvE3_clEvEUlS6_S6_E_S6_EEDaPvRmT3_T4_T5_mT6_P12ihipStream_tbENKUlT_T0_E_clISt17integral_constantIbLb1EESX_IbLb0EEEEDaST_SU_EUlST_E0_NS1_11comp_targetILNS1_3genE8ELNS1_11target_archE1030ELNS1_3gpuE2ELNS1_3repE0EEENS1_30default_config_static_selectorELNS0_4arch9wavefront6targetE0EEEvT1_
    .private_segment_fixed_size: 0
    .sgpr_count:     0
    .sgpr_spill_count: 0
    .symbol:         _ZN7rocprim17ROCPRIM_400000_NS6detail17trampoline_kernelINS0_14default_configENS1_20scan_config_selectorIN3c104HalfEEEZZNS1_9scan_implILNS1_25lookback_scan_determinismE0ELb0ELb0ES3_PKS6_PS6_S6_ZZZN2at6native31launch_logcumsumexp_cuda_kernelERKNSD_10TensorBaseESH_lENKUlvE_clEvENKUlvE3_clEvEUlS6_S6_E_S6_EEDaPvRmT3_T4_T5_mT6_P12ihipStream_tbENKUlT_T0_E_clISt17integral_constantIbLb1EESX_IbLb0EEEEDaST_SU_EUlST_E0_NS1_11comp_targetILNS1_3genE8ELNS1_11target_archE1030ELNS1_3gpuE2ELNS1_3repE0EEENS1_30default_config_static_selectorELNS0_4arch9wavefront6targetE0EEEvT1_.kd
    .uniform_work_group_size: 1
    .uses_dynamic_stack: false
    .vgpr_count:     0
    .vgpr_spill_count: 0
    .wavefront_size: 32
    .workgroup_processor_mode: 1
  - .args:
      - .address_space:  global
        .offset:         0
        .size:           8
        .value_kind:     global_buffer
      - .offset:         8
        .size:           4
        .value_kind:     by_value
      - .address_space:  global
        .offset:         16
        .size:           8
        .value_kind:     global_buffer
      - .offset:         24
        .size:           4
        .value_kind:     by_value
      - .address_space:  global
        .offset:         32
        .size:           8
        .value_kind:     global_buffer
      - .offset:         40
        .size:           4
        .value_kind:     hidden_block_count_x
      - .offset:         44
        .size:           4
        .value_kind:     hidden_block_count_y
      - .offset:         48
        .size:           4
        .value_kind:     hidden_block_count_z
      - .offset:         52
        .size:           2
        .value_kind:     hidden_group_size_x
      - .offset:         54
        .size:           2
        .value_kind:     hidden_group_size_y
      - .offset:         56
        .size:           2
        .value_kind:     hidden_group_size_z
      - .offset:         58
        .size:           2
        .value_kind:     hidden_remainder_x
      - .offset:         60
        .size:           2
        .value_kind:     hidden_remainder_y
      - .offset:         62
        .size:           2
        .value_kind:     hidden_remainder_z
      - .offset:         80
        .size:           8
        .value_kind:     hidden_global_offset_x
      - .offset:         88
        .size:           8
        .value_kind:     hidden_global_offset_y
      - .offset:         96
        .size:           8
        .value_kind:     hidden_global_offset_z
      - .offset:         104
        .size:           2
        .value_kind:     hidden_grid_dims
    .group_segment_fixed_size: 0
    .kernarg_segment_align: 8
    .kernarg_segment_size: 296
    .language:       OpenCL C
    .language_version:
      - 2
      - 0
    .max_flat_workgroup_size: 256
    .name:           _ZN7rocprim17ROCPRIM_400000_NS6detail31init_lookback_scan_state_kernelINS1_19lookback_scan_stateIN3c104HalfELb0ELb1EEENS1_16block_id_wrapperIjLb1EEEEEvT_jT0_jPNS9_10value_typeE
    .private_segment_fixed_size: 0
    .sgpr_count:     12
    .sgpr_spill_count: 0
    .symbol:         _ZN7rocprim17ROCPRIM_400000_NS6detail31init_lookback_scan_state_kernelINS1_19lookback_scan_stateIN3c104HalfELb0ELb1EEENS1_16block_id_wrapperIjLb1EEEEEvT_jT0_jPNS9_10value_typeE.kd
    .uniform_work_group_size: 1
    .uses_dynamic_stack: false
    .vgpr_count:     5
    .vgpr_spill_count: 0
    .wavefront_size: 32
    .workgroup_processor_mode: 1
  - .args:
      - .offset:         0
        .size:           96
        .value_kind:     by_value
    .group_segment_fixed_size: 0
    .kernarg_segment_align: 8
    .kernarg_segment_size: 96
    .language:       OpenCL C
    .language_version:
      - 2
      - 0
    .max_flat_workgroup_size: 128
    .name:           _ZN7rocprim17ROCPRIM_400000_NS6detail17trampoline_kernelINS0_14default_configENS1_20scan_config_selectorIN3c104HalfEEEZZNS1_9scan_implILNS1_25lookback_scan_determinismE0ELb0ELb0ES3_PKS6_PS6_S6_ZZZN2at6native31launch_logcumsumexp_cuda_kernelERKNSD_10TensorBaseESH_lENKUlvE_clEvENKUlvE3_clEvEUlS6_S6_E_S6_EEDaPvRmT3_T4_T5_mT6_P12ihipStream_tbENKUlT_T0_E_clISt17integral_constantIbLb0EESX_IbLb1EEEEDaST_SU_EUlST_E_NS1_11comp_targetILNS1_3genE0ELNS1_11target_archE4294967295ELNS1_3gpuE0ELNS1_3repE0EEENS1_30default_config_static_selectorELNS0_4arch9wavefront6targetE0EEEvT1_
    .private_segment_fixed_size: 0
    .sgpr_count:     0
    .sgpr_spill_count: 0
    .symbol:         _ZN7rocprim17ROCPRIM_400000_NS6detail17trampoline_kernelINS0_14default_configENS1_20scan_config_selectorIN3c104HalfEEEZZNS1_9scan_implILNS1_25lookback_scan_determinismE0ELb0ELb0ES3_PKS6_PS6_S6_ZZZN2at6native31launch_logcumsumexp_cuda_kernelERKNSD_10TensorBaseESH_lENKUlvE_clEvENKUlvE3_clEvEUlS6_S6_E_S6_EEDaPvRmT3_T4_T5_mT6_P12ihipStream_tbENKUlT_T0_E_clISt17integral_constantIbLb0EESX_IbLb1EEEEDaST_SU_EUlST_E_NS1_11comp_targetILNS1_3genE0ELNS1_11target_archE4294967295ELNS1_3gpuE0ELNS1_3repE0EEENS1_30default_config_static_selectorELNS0_4arch9wavefront6targetE0EEEvT1_.kd
    .uniform_work_group_size: 1
    .uses_dynamic_stack: false
    .vgpr_count:     0
    .vgpr_spill_count: 0
    .wavefront_size: 32
    .workgroup_processor_mode: 1
  - .args:
      - .offset:         0
        .size:           96
        .value_kind:     by_value
    .group_segment_fixed_size: 0
    .kernarg_segment_align: 8
    .kernarg_segment_size: 96
    .language:       OpenCL C
    .language_version:
      - 2
      - 0
    .max_flat_workgroup_size: 256
    .name:           _ZN7rocprim17ROCPRIM_400000_NS6detail17trampoline_kernelINS0_14default_configENS1_20scan_config_selectorIN3c104HalfEEEZZNS1_9scan_implILNS1_25lookback_scan_determinismE0ELb0ELb0ES3_PKS6_PS6_S6_ZZZN2at6native31launch_logcumsumexp_cuda_kernelERKNSD_10TensorBaseESH_lENKUlvE_clEvENKUlvE3_clEvEUlS6_S6_E_S6_EEDaPvRmT3_T4_T5_mT6_P12ihipStream_tbENKUlT_T0_E_clISt17integral_constantIbLb0EESX_IbLb1EEEEDaST_SU_EUlST_E_NS1_11comp_targetILNS1_3genE5ELNS1_11target_archE942ELNS1_3gpuE9ELNS1_3repE0EEENS1_30default_config_static_selectorELNS0_4arch9wavefront6targetE0EEEvT1_
    .private_segment_fixed_size: 0
    .sgpr_count:     0
    .sgpr_spill_count: 0
    .symbol:         _ZN7rocprim17ROCPRIM_400000_NS6detail17trampoline_kernelINS0_14default_configENS1_20scan_config_selectorIN3c104HalfEEEZZNS1_9scan_implILNS1_25lookback_scan_determinismE0ELb0ELb0ES3_PKS6_PS6_S6_ZZZN2at6native31launch_logcumsumexp_cuda_kernelERKNSD_10TensorBaseESH_lENKUlvE_clEvENKUlvE3_clEvEUlS6_S6_E_S6_EEDaPvRmT3_T4_T5_mT6_P12ihipStream_tbENKUlT_T0_E_clISt17integral_constantIbLb0EESX_IbLb1EEEEDaST_SU_EUlST_E_NS1_11comp_targetILNS1_3genE5ELNS1_11target_archE942ELNS1_3gpuE9ELNS1_3repE0EEENS1_30default_config_static_selectorELNS0_4arch9wavefront6targetE0EEEvT1_.kd
    .uniform_work_group_size: 1
    .uses_dynamic_stack: false
    .vgpr_count:     0
    .vgpr_spill_count: 0
    .wavefront_size: 32
    .workgroup_processor_mode: 1
  - .args:
      - .offset:         0
        .size:           96
        .value_kind:     by_value
    .group_segment_fixed_size: 0
    .kernarg_segment_align: 8
    .kernarg_segment_size: 96
    .language:       OpenCL C
    .language_version:
      - 2
      - 0
    .max_flat_workgroup_size: 64
    .name:           _ZN7rocprim17ROCPRIM_400000_NS6detail17trampoline_kernelINS0_14default_configENS1_20scan_config_selectorIN3c104HalfEEEZZNS1_9scan_implILNS1_25lookback_scan_determinismE0ELb0ELb0ES3_PKS6_PS6_S6_ZZZN2at6native31launch_logcumsumexp_cuda_kernelERKNSD_10TensorBaseESH_lENKUlvE_clEvENKUlvE3_clEvEUlS6_S6_E_S6_EEDaPvRmT3_T4_T5_mT6_P12ihipStream_tbENKUlT_T0_E_clISt17integral_constantIbLb0EESX_IbLb1EEEEDaST_SU_EUlST_E_NS1_11comp_targetILNS1_3genE4ELNS1_11target_archE910ELNS1_3gpuE8ELNS1_3repE0EEENS1_30default_config_static_selectorELNS0_4arch9wavefront6targetE0EEEvT1_
    .private_segment_fixed_size: 0
    .sgpr_count:     0
    .sgpr_spill_count: 0
    .symbol:         _ZN7rocprim17ROCPRIM_400000_NS6detail17trampoline_kernelINS0_14default_configENS1_20scan_config_selectorIN3c104HalfEEEZZNS1_9scan_implILNS1_25lookback_scan_determinismE0ELb0ELb0ES3_PKS6_PS6_S6_ZZZN2at6native31launch_logcumsumexp_cuda_kernelERKNSD_10TensorBaseESH_lENKUlvE_clEvENKUlvE3_clEvEUlS6_S6_E_S6_EEDaPvRmT3_T4_T5_mT6_P12ihipStream_tbENKUlT_T0_E_clISt17integral_constantIbLb0EESX_IbLb1EEEEDaST_SU_EUlST_E_NS1_11comp_targetILNS1_3genE4ELNS1_11target_archE910ELNS1_3gpuE8ELNS1_3repE0EEENS1_30default_config_static_selectorELNS0_4arch9wavefront6targetE0EEEvT1_.kd
    .uniform_work_group_size: 1
    .uses_dynamic_stack: false
    .vgpr_count:     0
    .vgpr_spill_count: 0
    .wavefront_size: 32
    .workgroup_processor_mode: 1
  - .args:
      - .offset:         0
        .size:           96
        .value_kind:     by_value
    .group_segment_fixed_size: 0
    .kernarg_segment_align: 8
    .kernarg_segment_size: 96
    .language:       OpenCL C
    .language_version:
      - 2
      - 0
    .max_flat_workgroup_size: 128
    .name:           _ZN7rocprim17ROCPRIM_400000_NS6detail17trampoline_kernelINS0_14default_configENS1_20scan_config_selectorIN3c104HalfEEEZZNS1_9scan_implILNS1_25lookback_scan_determinismE0ELb0ELb0ES3_PKS6_PS6_S6_ZZZN2at6native31launch_logcumsumexp_cuda_kernelERKNSD_10TensorBaseESH_lENKUlvE_clEvENKUlvE3_clEvEUlS6_S6_E_S6_EEDaPvRmT3_T4_T5_mT6_P12ihipStream_tbENKUlT_T0_E_clISt17integral_constantIbLb0EESX_IbLb1EEEEDaST_SU_EUlST_E_NS1_11comp_targetILNS1_3genE3ELNS1_11target_archE908ELNS1_3gpuE7ELNS1_3repE0EEENS1_30default_config_static_selectorELNS0_4arch9wavefront6targetE0EEEvT1_
    .private_segment_fixed_size: 0
    .sgpr_count:     0
    .sgpr_spill_count: 0
    .symbol:         _ZN7rocprim17ROCPRIM_400000_NS6detail17trampoline_kernelINS0_14default_configENS1_20scan_config_selectorIN3c104HalfEEEZZNS1_9scan_implILNS1_25lookback_scan_determinismE0ELb0ELb0ES3_PKS6_PS6_S6_ZZZN2at6native31launch_logcumsumexp_cuda_kernelERKNSD_10TensorBaseESH_lENKUlvE_clEvENKUlvE3_clEvEUlS6_S6_E_S6_EEDaPvRmT3_T4_T5_mT6_P12ihipStream_tbENKUlT_T0_E_clISt17integral_constantIbLb0EESX_IbLb1EEEEDaST_SU_EUlST_E_NS1_11comp_targetILNS1_3genE3ELNS1_11target_archE908ELNS1_3gpuE7ELNS1_3repE0EEENS1_30default_config_static_selectorELNS0_4arch9wavefront6targetE0EEEvT1_.kd
    .uniform_work_group_size: 1
    .uses_dynamic_stack: false
    .vgpr_count:     0
    .vgpr_spill_count: 0
    .wavefront_size: 32
    .workgroup_processor_mode: 1
  - .args:
      - .offset:         0
        .size:           96
        .value_kind:     by_value
    .group_segment_fixed_size: 0
    .kernarg_segment_align: 8
    .kernarg_segment_size: 96
    .language:       OpenCL C
    .language_version:
      - 2
      - 0
    .max_flat_workgroup_size: 256
    .name:           _ZN7rocprim17ROCPRIM_400000_NS6detail17trampoline_kernelINS0_14default_configENS1_20scan_config_selectorIN3c104HalfEEEZZNS1_9scan_implILNS1_25lookback_scan_determinismE0ELb0ELb0ES3_PKS6_PS6_S6_ZZZN2at6native31launch_logcumsumexp_cuda_kernelERKNSD_10TensorBaseESH_lENKUlvE_clEvENKUlvE3_clEvEUlS6_S6_E_S6_EEDaPvRmT3_T4_T5_mT6_P12ihipStream_tbENKUlT_T0_E_clISt17integral_constantIbLb0EESX_IbLb1EEEEDaST_SU_EUlST_E_NS1_11comp_targetILNS1_3genE2ELNS1_11target_archE906ELNS1_3gpuE6ELNS1_3repE0EEENS1_30default_config_static_selectorELNS0_4arch9wavefront6targetE0EEEvT1_
    .private_segment_fixed_size: 0
    .sgpr_count:     0
    .sgpr_spill_count: 0
    .symbol:         _ZN7rocprim17ROCPRIM_400000_NS6detail17trampoline_kernelINS0_14default_configENS1_20scan_config_selectorIN3c104HalfEEEZZNS1_9scan_implILNS1_25lookback_scan_determinismE0ELb0ELb0ES3_PKS6_PS6_S6_ZZZN2at6native31launch_logcumsumexp_cuda_kernelERKNSD_10TensorBaseESH_lENKUlvE_clEvENKUlvE3_clEvEUlS6_S6_E_S6_EEDaPvRmT3_T4_T5_mT6_P12ihipStream_tbENKUlT_T0_E_clISt17integral_constantIbLb0EESX_IbLb1EEEEDaST_SU_EUlST_E_NS1_11comp_targetILNS1_3genE2ELNS1_11target_archE906ELNS1_3gpuE6ELNS1_3repE0EEENS1_30default_config_static_selectorELNS0_4arch9wavefront6targetE0EEEvT1_.kd
    .uniform_work_group_size: 1
    .uses_dynamic_stack: false
    .vgpr_count:     0
    .vgpr_spill_count: 0
    .wavefront_size: 32
    .workgroup_processor_mode: 1
  - .args:
      - .offset:         0
        .size:           96
        .value_kind:     by_value
    .group_segment_fixed_size: 6144
    .kernarg_segment_align: 8
    .kernarg_segment_size: 96
    .language:       OpenCL C
    .language_version:
      - 2
      - 0
    .max_flat_workgroup_size: 256
    .name:           _ZN7rocprim17ROCPRIM_400000_NS6detail17trampoline_kernelINS0_14default_configENS1_20scan_config_selectorIN3c104HalfEEEZZNS1_9scan_implILNS1_25lookback_scan_determinismE0ELb0ELb0ES3_PKS6_PS6_S6_ZZZN2at6native31launch_logcumsumexp_cuda_kernelERKNSD_10TensorBaseESH_lENKUlvE_clEvENKUlvE3_clEvEUlS6_S6_E_S6_EEDaPvRmT3_T4_T5_mT6_P12ihipStream_tbENKUlT_T0_E_clISt17integral_constantIbLb0EESX_IbLb1EEEEDaST_SU_EUlST_E_NS1_11comp_targetILNS1_3genE10ELNS1_11target_archE1201ELNS1_3gpuE5ELNS1_3repE0EEENS1_30default_config_static_selectorELNS0_4arch9wavefront6targetE0EEEvT1_
    .private_segment_fixed_size: 0
    .sgpr_count:     46
    .sgpr_spill_count: 0
    .symbol:         _ZN7rocprim17ROCPRIM_400000_NS6detail17trampoline_kernelINS0_14default_configENS1_20scan_config_selectorIN3c104HalfEEEZZNS1_9scan_implILNS1_25lookback_scan_determinismE0ELb0ELb0ES3_PKS6_PS6_S6_ZZZN2at6native31launch_logcumsumexp_cuda_kernelERKNSD_10TensorBaseESH_lENKUlvE_clEvENKUlvE3_clEvEUlS6_S6_E_S6_EEDaPvRmT3_T4_T5_mT6_P12ihipStream_tbENKUlT_T0_E_clISt17integral_constantIbLb0EESX_IbLb1EEEEDaST_SU_EUlST_E_NS1_11comp_targetILNS1_3genE10ELNS1_11target_archE1201ELNS1_3gpuE5ELNS1_3repE0EEENS1_30default_config_static_selectorELNS0_4arch9wavefront6targetE0EEEvT1_.kd
    .uniform_work_group_size: 1
    .uses_dynamic_stack: false
    .vgpr_count:     59
    .vgpr_spill_count: 0
    .wavefront_size: 32
    .workgroup_processor_mode: 1
  - .args:
      - .offset:         0
        .size:           96
        .value_kind:     by_value
    .group_segment_fixed_size: 0
    .kernarg_segment_align: 8
    .kernarg_segment_size: 96
    .language:       OpenCL C
    .language_version:
      - 2
      - 0
    .max_flat_workgroup_size: 256
    .name:           _ZN7rocprim17ROCPRIM_400000_NS6detail17trampoline_kernelINS0_14default_configENS1_20scan_config_selectorIN3c104HalfEEEZZNS1_9scan_implILNS1_25lookback_scan_determinismE0ELb0ELb0ES3_PKS6_PS6_S6_ZZZN2at6native31launch_logcumsumexp_cuda_kernelERKNSD_10TensorBaseESH_lENKUlvE_clEvENKUlvE3_clEvEUlS6_S6_E_S6_EEDaPvRmT3_T4_T5_mT6_P12ihipStream_tbENKUlT_T0_E_clISt17integral_constantIbLb0EESX_IbLb1EEEEDaST_SU_EUlST_E_NS1_11comp_targetILNS1_3genE10ELNS1_11target_archE1200ELNS1_3gpuE4ELNS1_3repE0EEENS1_30default_config_static_selectorELNS0_4arch9wavefront6targetE0EEEvT1_
    .private_segment_fixed_size: 0
    .sgpr_count:     0
    .sgpr_spill_count: 0
    .symbol:         _ZN7rocprim17ROCPRIM_400000_NS6detail17trampoline_kernelINS0_14default_configENS1_20scan_config_selectorIN3c104HalfEEEZZNS1_9scan_implILNS1_25lookback_scan_determinismE0ELb0ELb0ES3_PKS6_PS6_S6_ZZZN2at6native31launch_logcumsumexp_cuda_kernelERKNSD_10TensorBaseESH_lENKUlvE_clEvENKUlvE3_clEvEUlS6_S6_E_S6_EEDaPvRmT3_T4_T5_mT6_P12ihipStream_tbENKUlT_T0_E_clISt17integral_constantIbLb0EESX_IbLb1EEEEDaST_SU_EUlST_E_NS1_11comp_targetILNS1_3genE10ELNS1_11target_archE1200ELNS1_3gpuE4ELNS1_3repE0EEENS1_30default_config_static_selectorELNS0_4arch9wavefront6targetE0EEEvT1_.kd
    .uniform_work_group_size: 1
    .uses_dynamic_stack: false
    .vgpr_count:     0
    .vgpr_spill_count: 0
    .wavefront_size: 32
    .workgroup_processor_mode: 1
  - .args:
      - .offset:         0
        .size:           96
        .value_kind:     by_value
    .group_segment_fixed_size: 0
    .kernarg_segment_align: 8
    .kernarg_segment_size: 96
    .language:       OpenCL C
    .language_version:
      - 2
      - 0
    .max_flat_workgroup_size: 64
    .name:           _ZN7rocprim17ROCPRIM_400000_NS6detail17trampoline_kernelINS0_14default_configENS1_20scan_config_selectorIN3c104HalfEEEZZNS1_9scan_implILNS1_25lookback_scan_determinismE0ELb0ELb0ES3_PKS6_PS6_S6_ZZZN2at6native31launch_logcumsumexp_cuda_kernelERKNSD_10TensorBaseESH_lENKUlvE_clEvENKUlvE3_clEvEUlS6_S6_E_S6_EEDaPvRmT3_T4_T5_mT6_P12ihipStream_tbENKUlT_T0_E_clISt17integral_constantIbLb0EESX_IbLb1EEEEDaST_SU_EUlST_E_NS1_11comp_targetILNS1_3genE9ELNS1_11target_archE1100ELNS1_3gpuE3ELNS1_3repE0EEENS1_30default_config_static_selectorELNS0_4arch9wavefront6targetE0EEEvT1_
    .private_segment_fixed_size: 0
    .sgpr_count:     0
    .sgpr_spill_count: 0
    .symbol:         _ZN7rocprim17ROCPRIM_400000_NS6detail17trampoline_kernelINS0_14default_configENS1_20scan_config_selectorIN3c104HalfEEEZZNS1_9scan_implILNS1_25lookback_scan_determinismE0ELb0ELb0ES3_PKS6_PS6_S6_ZZZN2at6native31launch_logcumsumexp_cuda_kernelERKNSD_10TensorBaseESH_lENKUlvE_clEvENKUlvE3_clEvEUlS6_S6_E_S6_EEDaPvRmT3_T4_T5_mT6_P12ihipStream_tbENKUlT_T0_E_clISt17integral_constantIbLb0EESX_IbLb1EEEEDaST_SU_EUlST_E_NS1_11comp_targetILNS1_3genE9ELNS1_11target_archE1100ELNS1_3gpuE3ELNS1_3repE0EEENS1_30default_config_static_selectorELNS0_4arch9wavefront6targetE0EEEvT1_.kd
    .uniform_work_group_size: 1
    .uses_dynamic_stack: false
    .vgpr_count:     0
    .vgpr_spill_count: 0
    .wavefront_size: 32
    .workgroup_processor_mode: 1
  - .args:
      - .offset:         0
        .size:           96
        .value_kind:     by_value
    .group_segment_fixed_size: 0
    .kernarg_segment_align: 8
    .kernarg_segment_size: 96
    .language:       OpenCL C
    .language_version:
      - 2
      - 0
    .max_flat_workgroup_size: 64
    .name:           _ZN7rocprim17ROCPRIM_400000_NS6detail17trampoline_kernelINS0_14default_configENS1_20scan_config_selectorIN3c104HalfEEEZZNS1_9scan_implILNS1_25lookback_scan_determinismE0ELb0ELb0ES3_PKS6_PS6_S6_ZZZN2at6native31launch_logcumsumexp_cuda_kernelERKNSD_10TensorBaseESH_lENKUlvE_clEvENKUlvE3_clEvEUlS6_S6_E_S6_EEDaPvRmT3_T4_T5_mT6_P12ihipStream_tbENKUlT_T0_E_clISt17integral_constantIbLb0EESX_IbLb1EEEEDaST_SU_EUlST_E_NS1_11comp_targetILNS1_3genE8ELNS1_11target_archE1030ELNS1_3gpuE2ELNS1_3repE0EEENS1_30default_config_static_selectorELNS0_4arch9wavefront6targetE0EEEvT1_
    .private_segment_fixed_size: 0
    .sgpr_count:     0
    .sgpr_spill_count: 0
    .symbol:         _ZN7rocprim17ROCPRIM_400000_NS6detail17trampoline_kernelINS0_14default_configENS1_20scan_config_selectorIN3c104HalfEEEZZNS1_9scan_implILNS1_25lookback_scan_determinismE0ELb0ELb0ES3_PKS6_PS6_S6_ZZZN2at6native31launch_logcumsumexp_cuda_kernelERKNSD_10TensorBaseESH_lENKUlvE_clEvENKUlvE3_clEvEUlS6_S6_E_S6_EEDaPvRmT3_T4_T5_mT6_P12ihipStream_tbENKUlT_T0_E_clISt17integral_constantIbLb0EESX_IbLb1EEEEDaST_SU_EUlST_E_NS1_11comp_targetILNS1_3genE8ELNS1_11target_archE1030ELNS1_3gpuE2ELNS1_3repE0EEENS1_30default_config_static_selectorELNS0_4arch9wavefront6targetE0EEEvT1_.kd
    .uniform_work_group_size: 1
    .uses_dynamic_stack: false
    .vgpr_count:     0
    .vgpr_spill_count: 0
    .wavefront_size: 32
    .workgroup_processor_mode: 1
  - .args:
      - .offset:         0
        .size:           32
        .value_kind:     by_value
    .group_segment_fixed_size: 0
    .kernarg_segment_align: 8
    .kernarg_segment_size: 32
    .language:       OpenCL C
    .language_version:
      - 2
      - 0
    .max_flat_workgroup_size: 128
    .name:           _ZN7rocprim17ROCPRIM_400000_NS6detail17trampoline_kernelINS0_14default_configENS1_20scan_config_selectorIN3c104HalfEEEZZNS1_9scan_implILNS1_25lookback_scan_determinismE0ELb0ELb0ES3_PKS6_PS6_S6_ZZZN2at6native31launch_logcumsumexp_cuda_kernelERKNSD_10TensorBaseESH_lENKUlvE_clEvENKUlvE3_clEvEUlS6_S6_E_S6_EEDaPvRmT3_T4_T5_mT6_P12ihipStream_tbENKUlT_T0_E_clISt17integral_constantIbLb0EESX_IbLb1EEEEDaST_SU_EUlST_E0_NS1_11comp_targetILNS1_3genE0ELNS1_11target_archE4294967295ELNS1_3gpuE0ELNS1_3repE0EEENS1_30default_config_static_selectorELNS0_4arch9wavefront6targetE0EEEvT1_
    .private_segment_fixed_size: 0
    .sgpr_count:     0
    .sgpr_spill_count: 0
    .symbol:         _ZN7rocprim17ROCPRIM_400000_NS6detail17trampoline_kernelINS0_14default_configENS1_20scan_config_selectorIN3c104HalfEEEZZNS1_9scan_implILNS1_25lookback_scan_determinismE0ELb0ELb0ES3_PKS6_PS6_S6_ZZZN2at6native31launch_logcumsumexp_cuda_kernelERKNSD_10TensorBaseESH_lENKUlvE_clEvENKUlvE3_clEvEUlS6_S6_E_S6_EEDaPvRmT3_T4_T5_mT6_P12ihipStream_tbENKUlT_T0_E_clISt17integral_constantIbLb0EESX_IbLb1EEEEDaST_SU_EUlST_E0_NS1_11comp_targetILNS1_3genE0ELNS1_11target_archE4294967295ELNS1_3gpuE0ELNS1_3repE0EEENS1_30default_config_static_selectorELNS0_4arch9wavefront6targetE0EEEvT1_.kd
    .uniform_work_group_size: 1
    .uses_dynamic_stack: false
    .vgpr_count:     0
    .vgpr_spill_count: 0
    .wavefront_size: 32
    .workgroup_processor_mode: 1
  - .args:
      - .offset:         0
        .size:           32
        .value_kind:     by_value
    .group_segment_fixed_size: 0
    .kernarg_segment_align: 8
    .kernarg_segment_size: 32
    .language:       OpenCL C
    .language_version:
      - 2
      - 0
    .max_flat_workgroup_size: 256
    .name:           _ZN7rocprim17ROCPRIM_400000_NS6detail17trampoline_kernelINS0_14default_configENS1_20scan_config_selectorIN3c104HalfEEEZZNS1_9scan_implILNS1_25lookback_scan_determinismE0ELb0ELb0ES3_PKS6_PS6_S6_ZZZN2at6native31launch_logcumsumexp_cuda_kernelERKNSD_10TensorBaseESH_lENKUlvE_clEvENKUlvE3_clEvEUlS6_S6_E_S6_EEDaPvRmT3_T4_T5_mT6_P12ihipStream_tbENKUlT_T0_E_clISt17integral_constantIbLb0EESX_IbLb1EEEEDaST_SU_EUlST_E0_NS1_11comp_targetILNS1_3genE5ELNS1_11target_archE942ELNS1_3gpuE9ELNS1_3repE0EEENS1_30default_config_static_selectorELNS0_4arch9wavefront6targetE0EEEvT1_
    .private_segment_fixed_size: 0
    .sgpr_count:     0
    .sgpr_spill_count: 0
    .symbol:         _ZN7rocprim17ROCPRIM_400000_NS6detail17trampoline_kernelINS0_14default_configENS1_20scan_config_selectorIN3c104HalfEEEZZNS1_9scan_implILNS1_25lookback_scan_determinismE0ELb0ELb0ES3_PKS6_PS6_S6_ZZZN2at6native31launch_logcumsumexp_cuda_kernelERKNSD_10TensorBaseESH_lENKUlvE_clEvENKUlvE3_clEvEUlS6_S6_E_S6_EEDaPvRmT3_T4_T5_mT6_P12ihipStream_tbENKUlT_T0_E_clISt17integral_constantIbLb0EESX_IbLb1EEEEDaST_SU_EUlST_E0_NS1_11comp_targetILNS1_3genE5ELNS1_11target_archE942ELNS1_3gpuE9ELNS1_3repE0EEENS1_30default_config_static_selectorELNS0_4arch9wavefront6targetE0EEEvT1_.kd
    .uniform_work_group_size: 1
    .uses_dynamic_stack: false
    .vgpr_count:     0
    .vgpr_spill_count: 0
    .wavefront_size: 32
    .workgroup_processor_mode: 1
  - .args:
      - .offset:         0
        .size:           32
        .value_kind:     by_value
    .group_segment_fixed_size: 0
    .kernarg_segment_align: 8
    .kernarg_segment_size: 32
    .language:       OpenCL C
    .language_version:
      - 2
      - 0
    .max_flat_workgroup_size: 64
    .name:           _ZN7rocprim17ROCPRIM_400000_NS6detail17trampoline_kernelINS0_14default_configENS1_20scan_config_selectorIN3c104HalfEEEZZNS1_9scan_implILNS1_25lookback_scan_determinismE0ELb0ELb0ES3_PKS6_PS6_S6_ZZZN2at6native31launch_logcumsumexp_cuda_kernelERKNSD_10TensorBaseESH_lENKUlvE_clEvENKUlvE3_clEvEUlS6_S6_E_S6_EEDaPvRmT3_T4_T5_mT6_P12ihipStream_tbENKUlT_T0_E_clISt17integral_constantIbLb0EESX_IbLb1EEEEDaST_SU_EUlST_E0_NS1_11comp_targetILNS1_3genE4ELNS1_11target_archE910ELNS1_3gpuE8ELNS1_3repE0EEENS1_30default_config_static_selectorELNS0_4arch9wavefront6targetE0EEEvT1_
    .private_segment_fixed_size: 0
    .sgpr_count:     0
    .sgpr_spill_count: 0
    .symbol:         _ZN7rocprim17ROCPRIM_400000_NS6detail17trampoline_kernelINS0_14default_configENS1_20scan_config_selectorIN3c104HalfEEEZZNS1_9scan_implILNS1_25lookback_scan_determinismE0ELb0ELb0ES3_PKS6_PS6_S6_ZZZN2at6native31launch_logcumsumexp_cuda_kernelERKNSD_10TensorBaseESH_lENKUlvE_clEvENKUlvE3_clEvEUlS6_S6_E_S6_EEDaPvRmT3_T4_T5_mT6_P12ihipStream_tbENKUlT_T0_E_clISt17integral_constantIbLb0EESX_IbLb1EEEEDaST_SU_EUlST_E0_NS1_11comp_targetILNS1_3genE4ELNS1_11target_archE910ELNS1_3gpuE8ELNS1_3repE0EEENS1_30default_config_static_selectorELNS0_4arch9wavefront6targetE0EEEvT1_.kd
    .uniform_work_group_size: 1
    .uses_dynamic_stack: false
    .vgpr_count:     0
    .vgpr_spill_count: 0
    .wavefront_size: 32
    .workgroup_processor_mode: 1
  - .args:
      - .offset:         0
        .size:           32
        .value_kind:     by_value
    .group_segment_fixed_size: 0
    .kernarg_segment_align: 8
    .kernarg_segment_size: 32
    .language:       OpenCL C
    .language_version:
      - 2
      - 0
    .max_flat_workgroup_size: 128
    .name:           _ZN7rocprim17ROCPRIM_400000_NS6detail17trampoline_kernelINS0_14default_configENS1_20scan_config_selectorIN3c104HalfEEEZZNS1_9scan_implILNS1_25lookback_scan_determinismE0ELb0ELb0ES3_PKS6_PS6_S6_ZZZN2at6native31launch_logcumsumexp_cuda_kernelERKNSD_10TensorBaseESH_lENKUlvE_clEvENKUlvE3_clEvEUlS6_S6_E_S6_EEDaPvRmT3_T4_T5_mT6_P12ihipStream_tbENKUlT_T0_E_clISt17integral_constantIbLb0EESX_IbLb1EEEEDaST_SU_EUlST_E0_NS1_11comp_targetILNS1_3genE3ELNS1_11target_archE908ELNS1_3gpuE7ELNS1_3repE0EEENS1_30default_config_static_selectorELNS0_4arch9wavefront6targetE0EEEvT1_
    .private_segment_fixed_size: 0
    .sgpr_count:     0
    .sgpr_spill_count: 0
    .symbol:         _ZN7rocprim17ROCPRIM_400000_NS6detail17trampoline_kernelINS0_14default_configENS1_20scan_config_selectorIN3c104HalfEEEZZNS1_9scan_implILNS1_25lookback_scan_determinismE0ELb0ELb0ES3_PKS6_PS6_S6_ZZZN2at6native31launch_logcumsumexp_cuda_kernelERKNSD_10TensorBaseESH_lENKUlvE_clEvENKUlvE3_clEvEUlS6_S6_E_S6_EEDaPvRmT3_T4_T5_mT6_P12ihipStream_tbENKUlT_T0_E_clISt17integral_constantIbLb0EESX_IbLb1EEEEDaST_SU_EUlST_E0_NS1_11comp_targetILNS1_3genE3ELNS1_11target_archE908ELNS1_3gpuE7ELNS1_3repE0EEENS1_30default_config_static_selectorELNS0_4arch9wavefront6targetE0EEEvT1_.kd
    .uniform_work_group_size: 1
    .uses_dynamic_stack: false
    .vgpr_count:     0
    .vgpr_spill_count: 0
    .wavefront_size: 32
    .workgroup_processor_mode: 1
  - .args:
      - .offset:         0
        .size:           32
        .value_kind:     by_value
    .group_segment_fixed_size: 0
    .kernarg_segment_align: 8
    .kernarg_segment_size: 32
    .language:       OpenCL C
    .language_version:
      - 2
      - 0
    .max_flat_workgroup_size: 256
    .name:           _ZN7rocprim17ROCPRIM_400000_NS6detail17trampoline_kernelINS0_14default_configENS1_20scan_config_selectorIN3c104HalfEEEZZNS1_9scan_implILNS1_25lookback_scan_determinismE0ELb0ELb0ES3_PKS6_PS6_S6_ZZZN2at6native31launch_logcumsumexp_cuda_kernelERKNSD_10TensorBaseESH_lENKUlvE_clEvENKUlvE3_clEvEUlS6_S6_E_S6_EEDaPvRmT3_T4_T5_mT6_P12ihipStream_tbENKUlT_T0_E_clISt17integral_constantIbLb0EESX_IbLb1EEEEDaST_SU_EUlST_E0_NS1_11comp_targetILNS1_3genE2ELNS1_11target_archE906ELNS1_3gpuE6ELNS1_3repE0EEENS1_30default_config_static_selectorELNS0_4arch9wavefront6targetE0EEEvT1_
    .private_segment_fixed_size: 0
    .sgpr_count:     0
    .sgpr_spill_count: 0
    .symbol:         _ZN7rocprim17ROCPRIM_400000_NS6detail17trampoline_kernelINS0_14default_configENS1_20scan_config_selectorIN3c104HalfEEEZZNS1_9scan_implILNS1_25lookback_scan_determinismE0ELb0ELb0ES3_PKS6_PS6_S6_ZZZN2at6native31launch_logcumsumexp_cuda_kernelERKNSD_10TensorBaseESH_lENKUlvE_clEvENKUlvE3_clEvEUlS6_S6_E_S6_EEDaPvRmT3_T4_T5_mT6_P12ihipStream_tbENKUlT_T0_E_clISt17integral_constantIbLb0EESX_IbLb1EEEEDaST_SU_EUlST_E0_NS1_11comp_targetILNS1_3genE2ELNS1_11target_archE906ELNS1_3gpuE6ELNS1_3repE0EEENS1_30default_config_static_selectorELNS0_4arch9wavefront6targetE0EEEvT1_.kd
    .uniform_work_group_size: 1
    .uses_dynamic_stack: false
    .vgpr_count:     0
    .vgpr_spill_count: 0
    .wavefront_size: 32
    .workgroup_processor_mode: 1
  - .args:
      - .offset:         0
        .size:           32
        .value_kind:     by_value
    .group_segment_fixed_size: 6144
    .kernarg_segment_align: 8
    .kernarg_segment_size: 32
    .language:       OpenCL C
    .language_version:
      - 2
      - 0
    .max_flat_workgroup_size: 256
    .name:           _ZN7rocprim17ROCPRIM_400000_NS6detail17trampoline_kernelINS0_14default_configENS1_20scan_config_selectorIN3c104HalfEEEZZNS1_9scan_implILNS1_25lookback_scan_determinismE0ELb0ELb0ES3_PKS6_PS6_S6_ZZZN2at6native31launch_logcumsumexp_cuda_kernelERKNSD_10TensorBaseESH_lENKUlvE_clEvENKUlvE3_clEvEUlS6_S6_E_S6_EEDaPvRmT3_T4_T5_mT6_P12ihipStream_tbENKUlT_T0_E_clISt17integral_constantIbLb0EESX_IbLb1EEEEDaST_SU_EUlST_E0_NS1_11comp_targetILNS1_3genE10ELNS1_11target_archE1201ELNS1_3gpuE5ELNS1_3repE0EEENS1_30default_config_static_selectorELNS0_4arch9wavefront6targetE0EEEvT1_
    .private_segment_fixed_size: 0
    .sgpr_count:     32
    .sgpr_spill_count: 0
    .symbol:         _ZN7rocprim17ROCPRIM_400000_NS6detail17trampoline_kernelINS0_14default_configENS1_20scan_config_selectorIN3c104HalfEEEZZNS1_9scan_implILNS1_25lookback_scan_determinismE0ELb0ELb0ES3_PKS6_PS6_S6_ZZZN2at6native31launch_logcumsumexp_cuda_kernelERKNSD_10TensorBaseESH_lENKUlvE_clEvENKUlvE3_clEvEUlS6_S6_E_S6_EEDaPvRmT3_T4_T5_mT6_P12ihipStream_tbENKUlT_T0_E_clISt17integral_constantIbLb0EESX_IbLb1EEEEDaST_SU_EUlST_E0_NS1_11comp_targetILNS1_3genE10ELNS1_11target_archE1201ELNS1_3gpuE5ELNS1_3repE0EEENS1_30default_config_static_selectorELNS0_4arch9wavefront6targetE0EEEvT1_.kd
    .uniform_work_group_size: 1
    .uses_dynamic_stack: false
    .vgpr_count:     36
    .vgpr_spill_count: 0
    .wavefront_size: 32
    .workgroup_processor_mode: 1
  - .args:
      - .offset:         0
        .size:           32
        .value_kind:     by_value
    .group_segment_fixed_size: 0
    .kernarg_segment_align: 8
    .kernarg_segment_size: 32
    .language:       OpenCL C
    .language_version:
      - 2
      - 0
    .max_flat_workgroup_size: 256
    .name:           _ZN7rocprim17ROCPRIM_400000_NS6detail17trampoline_kernelINS0_14default_configENS1_20scan_config_selectorIN3c104HalfEEEZZNS1_9scan_implILNS1_25lookback_scan_determinismE0ELb0ELb0ES3_PKS6_PS6_S6_ZZZN2at6native31launch_logcumsumexp_cuda_kernelERKNSD_10TensorBaseESH_lENKUlvE_clEvENKUlvE3_clEvEUlS6_S6_E_S6_EEDaPvRmT3_T4_T5_mT6_P12ihipStream_tbENKUlT_T0_E_clISt17integral_constantIbLb0EESX_IbLb1EEEEDaST_SU_EUlST_E0_NS1_11comp_targetILNS1_3genE10ELNS1_11target_archE1200ELNS1_3gpuE4ELNS1_3repE0EEENS1_30default_config_static_selectorELNS0_4arch9wavefront6targetE0EEEvT1_
    .private_segment_fixed_size: 0
    .sgpr_count:     0
    .sgpr_spill_count: 0
    .symbol:         _ZN7rocprim17ROCPRIM_400000_NS6detail17trampoline_kernelINS0_14default_configENS1_20scan_config_selectorIN3c104HalfEEEZZNS1_9scan_implILNS1_25lookback_scan_determinismE0ELb0ELb0ES3_PKS6_PS6_S6_ZZZN2at6native31launch_logcumsumexp_cuda_kernelERKNSD_10TensorBaseESH_lENKUlvE_clEvENKUlvE3_clEvEUlS6_S6_E_S6_EEDaPvRmT3_T4_T5_mT6_P12ihipStream_tbENKUlT_T0_E_clISt17integral_constantIbLb0EESX_IbLb1EEEEDaST_SU_EUlST_E0_NS1_11comp_targetILNS1_3genE10ELNS1_11target_archE1200ELNS1_3gpuE4ELNS1_3repE0EEENS1_30default_config_static_selectorELNS0_4arch9wavefront6targetE0EEEvT1_.kd
    .uniform_work_group_size: 1
    .uses_dynamic_stack: false
    .vgpr_count:     0
    .vgpr_spill_count: 0
    .wavefront_size: 32
    .workgroup_processor_mode: 1
  - .args:
      - .offset:         0
        .size:           32
        .value_kind:     by_value
    .group_segment_fixed_size: 0
    .kernarg_segment_align: 8
    .kernarg_segment_size: 32
    .language:       OpenCL C
    .language_version:
      - 2
      - 0
    .max_flat_workgroup_size: 64
    .name:           _ZN7rocprim17ROCPRIM_400000_NS6detail17trampoline_kernelINS0_14default_configENS1_20scan_config_selectorIN3c104HalfEEEZZNS1_9scan_implILNS1_25lookback_scan_determinismE0ELb0ELb0ES3_PKS6_PS6_S6_ZZZN2at6native31launch_logcumsumexp_cuda_kernelERKNSD_10TensorBaseESH_lENKUlvE_clEvENKUlvE3_clEvEUlS6_S6_E_S6_EEDaPvRmT3_T4_T5_mT6_P12ihipStream_tbENKUlT_T0_E_clISt17integral_constantIbLb0EESX_IbLb1EEEEDaST_SU_EUlST_E0_NS1_11comp_targetILNS1_3genE9ELNS1_11target_archE1100ELNS1_3gpuE3ELNS1_3repE0EEENS1_30default_config_static_selectorELNS0_4arch9wavefront6targetE0EEEvT1_
    .private_segment_fixed_size: 0
    .sgpr_count:     0
    .sgpr_spill_count: 0
    .symbol:         _ZN7rocprim17ROCPRIM_400000_NS6detail17trampoline_kernelINS0_14default_configENS1_20scan_config_selectorIN3c104HalfEEEZZNS1_9scan_implILNS1_25lookback_scan_determinismE0ELb0ELb0ES3_PKS6_PS6_S6_ZZZN2at6native31launch_logcumsumexp_cuda_kernelERKNSD_10TensorBaseESH_lENKUlvE_clEvENKUlvE3_clEvEUlS6_S6_E_S6_EEDaPvRmT3_T4_T5_mT6_P12ihipStream_tbENKUlT_T0_E_clISt17integral_constantIbLb0EESX_IbLb1EEEEDaST_SU_EUlST_E0_NS1_11comp_targetILNS1_3genE9ELNS1_11target_archE1100ELNS1_3gpuE3ELNS1_3repE0EEENS1_30default_config_static_selectorELNS0_4arch9wavefront6targetE0EEEvT1_.kd
    .uniform_work_group_size: 1
    .uses_dynamic_stack: false
    .vgpr_count:     0
    .vgpr_spill_count: 0
    .wavefront_size: 32
    .workgroup_processor_mode: 1
  - .args:
      - .offset:         0
        .size:           32
        .value_kind:     by_value
    .group_segment_fixed_size: 0
    .kernarg_segment_align: 8
    .kernarg_segment_size: 32
    .language:       OpenCL C
    .language_version:
      - 2
      - 0
    .max_flat_workgroup_size: 64
    .name:           _ZN7rocprim17ROCPRIM_400000_NS6detail17trampoline_kernelINS0_14default_configENS1_20scan_config_selectorIN3c104HalfEEEZZNS1_9scan_implILNS1_25lookback_scan_determinismE0ELb0ELb0ES3_PKS6_PS6_S6_ZZZN2at6native31launch_logcumsumexp_cuda_kernelERKNSD_10TensorBaseESH_lENKUlvE_clEvENKUlvE3_clEvEUlS6_S6_E_S6_EEDaPvRmT3_T4_T5_mT6_P12ihipStream_tbENKUlT_T0_E_clISt17integral_constantIbLb0EESX_IbLb1EEEEDaST_SU_EUlST_E0_NS1_11comp_targetILNS1_3genE8ELNS1_11target_archE1030ELNS1_3gpuE2ELNS1_3repE0EEENS1_30default_config_static_selectorELNS0_4arch9wavefront6targetE0EEEvT1_
    .private_segment_fixed_size: 0
    .sgpr_count:     0
    .sgpr_spill_count: 0
    .symbol:         _ZN7rocprim17ROCPRIM_400000_NS6detail17trampoline_kernelINS0_14default_configENS1_20scan_config_selectorIN3c104HalfEEEZZNS1_9scan_implILNS1_25lookback_scan_determinismE0ELb0ELb0ES3_PKS6_PS6_S6_ZZZN2at6native31launch_logcumsumexp_cuda_kernelERKNSD_10TensorBaseESH_lENKUlvE_clEvENKUlvE3_clEvEUlS6_S6_E_S6_EEDaPvRmT3_T4_T5_mT6_P12ihipStream_tbENKUlT_T0_E_clISt17integral_constantIbLb0EESX_IbLb1EEEEDaST_SU_EUlST_E0_NS1_11comp_targetILNS1_3genE8ELNS1_11target_archE1030ELNS1_3gpuE2ELNS1_3repE0EEENS1_30default_config_static_selectorELNS0_4arch9wavefront6targetE0EEEvT1_.kd
    .uniform_work_group_size: 1
    .uses_dynamic_stack: false
    .vgpr_count:     0
    .vgpr_spill_count: 0
    .wavefront_size: 32
    .workgroup_processor_mode: 1
  - .args:
      - .address_space:  global
        .offset:         0
        .size:           8
        .value_kind:     global_buffer
      - .address_space:  global
        .offset:         8
        .size:           8
        .value_kind:     global_buffer
      - .offset:         16
        .size:           4
        .value_kind:     by_value
      - .offset:         20
        .size:           4
        .value_kind:     by_value
      - .offset:         24
        .size:           4
        .value_kind:     by_value
      - .offset:         28
        .size:           2
        .value_kind:     by_value
      - .offset:         30
        .size:           1
        .value_kind:     by_value
      - .offset:         32
        .size:           4
        .value_kind:     hidden_block_count_x
      - .offset:         36
        .size:           4
        .value_kind:     hidden_block_count_y
      - .offset:         40
        .size:           4
        .value_kind:     hidden_block_count_z
      - .offset:         44
        .size:           2
        .value_kind:     hidden_group_size_x
      - .offset:         46
        .size:           2
        .value_kind:     hidden_group_size_y
      - .offset:         48
        .size:           2
        .value_kind:     hidden_group_size_z
      - .offset:         50
        .size:           2
        .value_kind:     hidden_remainder_x
      - .offset:         52
        .size:           2
        .value_kind:     hidden_remainder_y
      - .offset:         54
        .size:           2
        .value_kind:     hidden_remainder_z
      - .offset:         72
        .size:           8
        .value_kind:     hidden_global_offset_x
      - .offset:         80
        .size:           8
        .value_kind:     hidden_global_offset_y
      - .offset:         88
        .size:           8
        .value_kind:     hidden_global_offset_z
      - .offset:         96
        .size:           2
        .value_kind:     hidden_grid_dims
      - .offset:         152
        .size:           4
        .value_kind:     hidden_dynamic_lds_size
    .group_segment_fixed_size: 0
    .kernarg_segment_align: 8
    .kernarg_segment_size: 288
    .language:       OpenCL C
    .language_version:
      - 2
      - 0
    .max_flat_workgroup_size: 1024
    .name:           _ZN2at6native32tensor_kernel_scan_innermost_dimIN3c104HalfEZZZNS0_31launch_logcumsumexp_cuda_kernelERKNS_10TensorBaseES6_lENKUlvE_clEvENKUlvE3_clEvEUlS3_S3_E_EEvPT_PKSA_jjjSA_T0_
    .private_segment_fixed_size: 0
    .sgpr_count:     27
    .sgpr_spill_count: 0
    .symbol:         _ZN2at6native32tensor_kernel_scan_innermost_dimIN3c104HalfEZZZNS0_31launch_logcumsumexp_cuda_kernelERKNS_10TensorBaseES6_lENKUlvE_clEvENKUlvE3_clEvEUlS3_S3_E_EEvPT_PKSA_jjjSA_T0_.kd
    .uniform_work_group_size: 1
    .uses_dynamic_stack: false
    .vgpr_count:     34
    .vgpr_spill_count: 0
    .wavefront_size: 32
    .workgroup_processor_mode: 1
  - .args:
      - .address_space:  global
        .offset:         0
        .size:           8
        .value_kind:     global_buffer
      - .address_space:  global
        .offset:         8
        .size:           8
        .value_kind:     global_buffer
      - .offset:         16
        .size:           4
        .value_kind:     by_value
      - .offset:         20
        .size:           4
        .value_kind:     by_value
      - .offset:         24
        .size:           4
        .value_kind:     by_value
      - .offset:         28
        .size:           2
        .value_kind:     by_value
      - .offset:         30
        .size:           1
        .value_kind:     by_value
      - .offset:         32
        .size:           4
        .value_kind:     hidden_block_count_x
      - .offset:         36
        .size:           4
        .value_kind:     hidden_block_count_y
      - .offset:         40
        .size:           4
        .value_kind:     hidden_block_count_z
      - .offset:         44
        .size:           2
        .value_kind:     hidden_group_size_x
      - .offset:         46
        .size:           2
        .value_kind:     hidden_group_size_y
      - .offset:         48
        .size:           2
        .value_kind:     hidden_group_size_z
      - .offset:         50
        .size:           2
        .value_kind:     hidden_remainder_x
      - .offset:         52
        .size:           2
        .value_kind:     hidden_remainder_y
      - .offset:         54
        .size:           2
        .value_kind:     hidden_remainder_z
      - .offset:         72
        .size:           8
        .value_kind:     hidden_global_offset_x
      - .offset:         80
        .size:           8
        .value_kind:     hidden_global_offset_y
      - .offset:         88
        .size:           8
        .value_kind:     hidden_global_offset_z
      - .offset:         96
        .size:           2
        .value_kind:     hidden_grid_dims
    .group_segment_fixed_size: 0
    .kernarg_segment_align: 8
    .kernarg_segment_size: 288
    .language:       OpenCL C
    .language_version:
      - 2
      - 0
    .max_flat_workgroup_size: 1024
    .name:           _ZN2at6native28tensor_kernel_scan_outer_dimIN3c104HalfEjZZZNS0_31launch_logcumsumexp_cuda_kernelERKNS_10TensorBaseES6_lENKUlvE_clEvENKUlvE3_clEvEUlS3_S3_E_EEvPT_PKSA_jjjSA_T1_
    .private_segment_fixed_size: 0
    .sgpr_count:     31
    .sgpr_spill_count: 0
    .symbol:         _ZN2at6native28tensor_kernel_scan_outer_dimIN3c104HalfEjZZZNS0_31launch_logcumsumexp_cuda_kernelERKNS_10TensorBaseES6_lENKUlvE_clEvENKUlvE3_clEvEUlS3_S3_E_EEvPT_PKSA_jjjSA_T1_.kd
    .uniform_work_group_size: 1
    .uses_dynamic_stack: false
    .vgpr_count:     19
    .vgpr_spill_count: 0
    .wavefront_size: 32
    .workgroup_processor_mode: 1
  - .args:
      - .address_space:  global
        .offset:         0
        .size:           8
        .value_kind:     global_buffer
      - .address_space:  global
        .offset:         8
        .size:           8
        .value_kind:     global_buffer
      - .offset:         16
        .size:           4
        .value_kind:     by_value
      - .offset:         20
        .size:           4
        .value_kind:     by_value
      - .offset:         24
        .size:           4
        .value_kind:     by_value
      - .offset:         28
        .size:           2
        .value_kind:     by_value
      - .offset:         30
        .size:           1
        .value_kind:     by_value
      - .offset:         32
        .size:           4
        .value_kind:     hidden_block_count_x
      - .offset:         36
        .size:           4
        .value_kind:     hidden_block_count_y
      - .offset:         40
        .size:           4
        .value_kind:     hidden_block_count_z
      - .offset:         44
        .size:           2
        .value_kind:     hidden_group_size_x
      - .offset:         46
        .size:           2
        .value_kind:     hidden_group_size_y
      - .offset:         48
        .size:           2
        .value_kind:     hidden_group_size_z
      - .offset:         50
        .size:           2
        .value_kind:     hidden_remainder_x
      - .offset:         52
        .size:           2
        .value_kind:     hidden_remainder_y
      - .offset:         54
        .size:           2
        .value_kind:     hidden_remainder_z
      - .offset:         72
        .size:           8
        .value_kind:     hidden_global_offset_x
      - .offset:         80
        .size:           8
        .value_kind:     hidden_global_offset_y
      - .offset:         88
        .size:           8
        .value_kind:     hidden_global_offset_z
      - .offset:         96
        .size:           2
        .value_kind:     hidden_grid_dims
    .group_segment_fixed_size: 0
    .kernarg_segment_align: 8
    .kernarg_segment_size: 288
    .language:       OpenCL C
    .language_version:
      - 2
      - 0
    .max_flat_workgroup_size: 1024
    .name:           _ZN2at6native28tensor_kernel_scan_outer_dimIN3c104HalfEmZZZNS0_31launch_logcumsumexp_cuda_kernelERKNS_10TensorBaseES6_lENKUlvE_clEvENKUlvE3_clEvEUlS3_S3_E_EEvPT_PKSA_jjjSA_T1_
    .private_segment_fixed_size: 0
    .sgpr_count:     31
    .sgpr_spill_count: 0
    .symbol:         _ZN2at6native28tensor_kernel_scan_outer_dimIN3c104HalfEmZZZNS0_31launch_logcumsumexp_cuda_kernelERKNS_10TensorBaseES6_lENKUlvE_clEvENKUlvE3_clEvEUlS3_S3_E_EEvPT_PKSA_jjjSA_T1_.kd
    .uniform_work_group_size: 1
    .uses_dynamic_stack: false
    .vgpr_count:     19
    .vgpr_spill_count: 0
    .wavefront_size: 32
    .workgroup_processor_mode: 1
  - .args:
      - .address_space:  global
        .offset:         0
        .size:           8
        .value_kind:     global_buffer
      - .offset:         8
        .size:           4
        .value_kind:     by_value
      - .offset:         12
        .size:           1
        .value_kind:     by_value
      - .offset:         16
        .size:           4
        .value_kind:     by_value
      - .address_space:  global
        .offset:         24
        .size:           8
        .value_kind:     global_buffer
      - .offset:         32
        .size:           4
        .value_kind:     hidden_block_count_x
      - .offset:         36
        .size:           4
        .value_kind:     hidden_block_count_y
      - .offset:         40
        .size:           4
        .value_kind:     hidden_block_count_z
      - .offset:         44
        .size:           2
        .value_kind:     hidden_group_size_x
      - .offset:         46
        .size:           2
        .value_kind:     hidden_group_size_y
      - .offset:         48
        .size:           2
        .value_kind:     hidden_group_size_z
      - .offset:         50
        .size:           2
        .value_kind:     hidden_remainder_x
      - .offset:         52
        .size:           2
        .value_kind:     hidden_remainder_y
      - .offset:         54
        .size:           2
        .value_kind:     hidden_remainder_z
      - .offset:         72
        .size:           8
        .value_kind:     hidden_global_offset_x
      - .offset:         80
        .size:           8
        .value_kind:     hidden_global_offset_y
      - .offset:         88
        .size:           8
        .value_kind:     hidden_global_offset_z
      - .offset:         96
        .size:           2
        .value_kind:     hidden_grid_dims
    .group_segment_fixed_size: 0
    .kernarg_segment_align: 8
    .kernarg_segment_size: 288
    .language:       OpenCL C
    .language_version:
      - 2
      - 0
    .max_flat_workgroup_size: 256
    .name:           _ZN7rocprim17ROCPRIM_400000_NS6detail31init_lookback_scan_state_kernelINS1_19lookback_scan_stateIN3c108BFloat16ELb0ELb1EEENS1_16block_id_wrapperIjLb0EEEEEvT_jT0_jPNS9_10value_typeE
    .private_segment_fixed_size: 0
    .sgpr_count:     10
    .sgpr_spill_count: 0
    .symbol:         _ZN7rocprim17ROCPRIM_400000_NS6detail31init_lookback_scan_state_kernelINS1_19lookback_scan_stateIN3c108BFloat16ELb0ELb1EEENS1_16block_id_wrapperIjLb0EEEEEvT_jT0_jPNS9_10value_typeE.kd
    .uniform_work_group_size: 1
    .uses_dynamic_stack: false
    .vgpr_count:     5
    .vgpr_spill_count: 0
    .wavefront_size: 32
    .workgroup_processor_mode: 1
  - .args:
      - .offset:         0
        .size:           96
        .value_kind:     by_value
    .group_segment_fixed_size: 0
    .kernarg_segment_align: 8
    .kernarg_segment_size: 96
    .language:       OpenCL C
    .language_version:
      - 2
      - 0
    .max_flat_workgroup_size: 128
    .name:           _ZN7rocprim17ROCPRIM_400000_NS6detail17trampoline_kernelINS0_14default_configENS1_20scan_config_selectorIN3c108BFloat16EEEZZNS1_9scan_implILNS1_25lookback_scan_determinismE0ELb0ELb0ES3_PKS6_PS6_S6_ZZZN2at6native31launch_logcumsumexp_cuda_kernelERKNSD_10TensorBaseESH_lENKUlvE_clEvENKUlvE4_clEvEUlS6_S6_E_S6_EEDaPvRmT3_T4_T5_mT6_P12ihipStream_tbENKUlT_T0_E_clISt17integral_constantIbLb0EESY_EEDaST_SU_EUlST_E_NS1_11comp_targetILNS1_3genE0ELNS1_11target_archE4294967295ELNS1_3gpuE0ELNS1_3repE0EEENS1_30default_config_static_selectorELNS0_4arch9wavefront6targetE0EEEvT1_
    .private_segment_fixed_size: 0
    .sgpr_count:     0
    .sgpr_spill_count: 0
    .symbol:         _ZN7rocprim17ROCPRIM_400000_NS6detail17trampoline_kernelINS0_14default_configENS1_20scan_config_selectorIN3c108BFloat16EEEZZNS1_9scan_implILNS1_25lookback_scan_determinismE0ELb0ELb0ES3_PKS6_PS6_S6_ZZZN2at6native31launch_logcumsumexp_cuda_kernelERKNSD_10TensorBaseESH_lENKUlvE_clEvENKUlvE4_clEvEUlS6_S6_E_S6_EEDaPvRmT3_T4_T5_mT6_P12ihipStream_tbENKUlT_T0_E_clISt17integral_constantIbLb0EESY_EEDaST_SU_EUlST_E_NS1_11comp_targetILNS1_3genE0ELNS1_11target_archE4294967295ELNS1_3gpuE0ELNS1_3repE0EEENS1_30default_config_static_selectorELNS0_4arch9wavefront6targetE0EEEvT1_.kd
    .uniform_work_group_size: 1
    .uses_dynamic_stack: false
    .vgpr_count:     0
    .vgpr_spill_count: 0
    .wavefront_size: 32
    .workgroup_processor_mode: 1
  - .args:
      - .offset:         0
        .size:           96
        .value_kind:     by_value
    .group_segment_fixed_size: 0
    .kernarg_segment_align: 8
    .kernarg_segment_size: 96
    .language:       OpenCL C
    .language_version:
      - 2
      - 0
    .max_flat_workgroup_size: 256
    .name:           _ZN7rocprim17ROCPRIM_400000_NS6detail17trampoline_kernelINS0_14default_configENS1_20scan_config_selectorIN3c108BFloat16EEEZZNS1_9scan_implILNS1_25lookback_scan_determinismE0ELb0ELb0ES3_PKS6_PS6_S6_ZZZN2at6native31launch_logcumsumexp_cuda_kernelERKNSD_10TensorBaseESH_lENKUlvE_clEvENKUlvE4_clEvEUlS6_S6_E_S6_EEDaPvRmT3_T4_T5_mT6_P12ihipStream_tbENKUlT_T0_E_clISt17integral_constantIbLb0EESY_EEDaST_SU_EUlST_E_NS1_11comp_targetILNS1_3genE5ELNS1_11target_archE942ELNS1_3gpuE9ELNS1_3repE0EEENS1_30default_config_static_selectorELNS0_4arch9wavefront6targetE0EEEvT1_
    .private_segment_fixed_size: 0
    .sgpr_count:     0
    .sgpr_spill_count: 0
    .symbol:         _ZN7rocprim17ROCPRIM_400000_NS6detail17trampoline_kernelINS0_14default_configENS1_20scan_config_selectorIN3c108BFloat16EEEZZNS1_9scan_implILNS1_25lookback_scan_determinismE0ELb0ELb0ES3_PKS6_PS6_S6_ZZZN2at6native31launch_logcumsumexp_cuda_kernelERKNSD_10TensorBaseESH_lENKUlvE_clEvENKUlvE4_clEvEUlS6_S6_E_S6_EEDaPvRmT3_T4_T5_mT6_P12ihipStream_tbENKUlT_T0_E_clISt17integral_constantIbLb0EESY_EEDaST_SU_EUlST_E_NS1_11comp_targetILNS1_3genE5ELNS1_11target_archE942ELNS1_3gpuE9ELNS1_3repE0EEENS1_30default_config_static_selectorELNS0_4arch9wavefront6targetE0EEEvT1_.kd
    .uniform_work_group_size: 1
    .uses_dynamic_stack: false
    .vgpr_count:     0
    .vgpr_spill_count: 0
    .wavefront_size: 32
    .workgroup_processor_mode: 1
  - .args:
      - .offset:         0
        .size:           96
        .value_kind:     by_value
    .group_segment_fixed_size: 0
    .kernarg_segment_align: 8
    .kernarg_segment_size: 96
    .language:       OpenCL C
    .language_version:
      - 2
      - 0
    .max_flat_workgroup_size: 64
    .name:           _ZN7rocprim17ROCPRIM_400000_NS6detail17trampoline_kernelINS0_14default_configENS1_20scan_config_selectorIN3c108BFloat16EEEZZNS1_9scan_implILNS1_25lookback_scan_determinismE0ELb0ELb0ES3_PKS6_PS6_S6_ZZZN2at6native31launch_logcumsumexp_cuda_kernelERKNSD_10TensorBaseESH_lENKUlvE_clEvENKUlvE4_clEvEUlS6_S6_E_S6_EEDaPvRmT3_T4_T5_mT6_P12ihipStream_tbENKUlT_T0_E_clISt17integral_constantIbLb0EESY_EEDaST_SU_EUlST_E_NS1_11comp_targetILNS1_3genE4ELNS1_11target_archE910ELNS1_3gpuE8ELNS1_3repE0EEENS1_30default_config_static_selectorELNS0_4arch9wavefront6targetE0EEEvT1_
    .private_segment_fixed_size: 0
    .sgpr_count:     0
    .sgpr_spill_count: 0
    .symbol:         _ZN7rocprim17ROCPRIM_400000_NS6detail17trampoline_kernelINS0_14default_configENS1_20scan_config_selectorIN3c108BFloat16EEEZZNS1_9scan_implILNS1_25lookback_scan_determinismE0ELb0ELb0ES3_PKS6_PS6_S6_ZZZN2at6native31launch_logcumsumexp_cuda_kernelERKNSD_10TensorBaseESH_lENKUlvE_clEvENKUlvE4_clEvEUlS6_S6_E_S6_EEDaPvRmT3_T4_T5_mT6_P12ihipStream_tbENKUlT_T0_E_clISt17integral_constantIbLb0EESY_EEDaST_SU_EUlST_E_NS1_11comp_targetILNS1_3genE4ELNS1_11target_archE910ELNS1_3gpuE8ELNS1_3repE0EEENS1_30default_config_static_selectorELNS0_4arch9wavefront6targetE0EEEvT1_.kd
    .uniform_work_group_size: 1
    .uses_dynamic_stack: false
    .vgpr_count:     0
    .vgpr_spill_count: 0
    .wavefront_size: 32
    .workgroup_processor_mode: 1
  - .args:
      - .offset:         0
        .size:           96
        .value_kind:     by_value
    .group_segment_fixed_size: 0
    .kernarg_segment_align: 8
    .kernarg_segment_size: 96
    .language:       OpenCL C
    .language_version:
      - 2
      - 0
    .max_flat_workgroup_size: 128
    .name:           _ZN7rocprim17ROCPRIM_400000_NS6detail17trampoline_kernelINS0_14default_configENS1_20scan_config_selectorIN3c108BFloat16EEEZZNS1_9scan_implILNS1_25lookback_scan_determinismE0ELb0ELb0ES3_PKS6_PS6_S6_ZZZN2at6native31launch_logcumsumexp_cuda_kernelERKNSD_10TensorBaseESH_lENKUlvE_clEvENKUlvE4_clEvEUlS6_S6_E_S6_EEDaPvRmT3_T4_T5_mT6_P12ihipStream_tbENKUlT_T0_E_clISt17integral_constantIbLb0EESY_EEDaST_SU_EUlST_E_NS1_11comp_targetILNS1_3genE3ELNS1_11target_archE908ELNS1_3gpuE7ELNS1_3repE0EEENS1_30default_config_static_selectorELNS0_4arch9wavefront6targetE0EEEvT1_
    .private_segment_fixed_size: 0
    .sgpr_count:     0
    .sgpr_spill_count: 0
    .symbol:         _ZN7rocprim17ROCPRIM_400000_NS6detail17trampoline_kernelINS0_14default_configENS1_20scan_config_selectorIN3c108BFloat16EEEZZNS1_9scan_implILNS1_25lookback_scan_determinismE0ELb0ELb0ES3_PKS6_PS6_S6_ZZZN2at6native31launch_logcumsumexp_cuda_kernelERKNSD_10TensorBaseESH_lENKUlvE_clEvENKUlvE4_clEvEUlS6_S6_E_S6_EEDaPvRmT3_T4_T5_mT6_P12ihipStream_tbENKUlT_T0_E_clISt17integral_constantIbLb0EESY_EEDaST_SU_EUlST_E_NS1_11comp_targetILNS1_3genE3ELNS1_11target_archE908ELNS1_3gpuE7ELNS1_3repE0EEENS1_30default_config_static_selectorELNS0_4arch9wavefront6targetE0EEEvT1_.kd
    .uniform_work_group_size: 1
    .uses_dynamic_stack: false
    .vgpr_count:     0
    .vgpr_spill_count: 0
    .wavefront_size: 32
    .workgroup_processor_mode: 1
  - .args:
      - .offset:         0
        .size:           96
        .value_kind:     by_value
    .group_segment_fixed_size: 0
    .kernarg_segment_align: 8
    .kernarg_segment_size: 96
    .language:       OpenCL C
    .language_version:
      - 2
      - 0
    .max_flat_workgroup_size: 256
    .name:           _ZN7rocprim17ROCPRIM_400000_NS6detail17trampoline_kernelINS0_14default_configENS1_20scan_config_selectorIN3c108BFloat16EEEZZNS1_9scan_implILNS1_25lookback_scan_determinismE0ELb0ELb0ES3_PKS6_PS6_S6_ZZZN2at6native31launch_logcumsumexp_cuda_kernelERKNSD_10TensorBaseESH_lENKUlvE_clEvENKUlvE4_clEvEUlS6_S6_E_S6_EEDaPvRmT3_T4_T5_mT6_P12ihipStream_tbENKUlT_T0_E_clISt17integral_constantIbLb0EESY_EEDaST_SU_EUlST_E_NS1_11comp_targetILNS1_3genE2ELNS1_11target_archE906ELNS1_3gpuE6ELNS1_3repE0EEENS1_30default_config_static_selectorELNS0_4arch9wavefront6targetE0EEEvT1_
    .private_segment_fixed_size: 0
    .sgpr_count:     0
    .sgpr_spill_count: 0
    .symbol:         _ZN7rocprim17ROCPRIM_400000_NS6detail17trampoline_kernelINS0_14default_configENS1_20scan_config_selectorIN3c108BFloat16EEEZZNS1_9scan_implILNS1_25lookback_scan_determinismE0ELb0ELb0ES3_PKS6_PS6_S6_ZZZN2at6native31launch_logcumsumexp_cuda_kernelERKNSD_10TensorBaseESH_lENKUlvE_clEvENKUlvE4_clEvEUlS6_S6_E_S6_EEDaPvRmT3_T4_T5_mT6_P12ihipStream_tbENKUlT_T0_E_clISt17integral_constantIbLb0EESY_EEDaST_SU_EUlST_E_NS1_11comp_targetILNS1_3genE2ELNS1_11target_archE906ELNS1_3gpuE6ELNS1_3repE0EEENS1_30default_config_static_selectorELNS0_4arch9wavefront6targetE0EEEvT1_.kd
    .uniform_work_group_size: 1
    .uses_dynamic_stack: false
    .vgpr_count:     0
    .vgpr_spill_count: 0
    .wavefront_size: 32
    .workgroup_processor_mode: 1
  - .args:
      - .offset:         0
        .size:           96
        .value_kind:     by_value
    .group_segment_fixed_size: 6144
    .kernarg_segment_align: 8
    .kernarg_segment_size: 96
    .language:       OpenCL C
    .language_version:
      - 2
      - 0
    .max_flat_workgroup_size: 256
    .name:           _ZN7rocprim17ROCPRIM_400000_NS6detail17trampoline_kernelINS0_14default_configENS1_20scan_config_selectorIN3c108BFloat16EEEZZNS1_9scan_implILNS1_25lookback_scan_determinismE0ELb0ELb0ES3_PKS6_PS6_S6_ZZZN2at6native31launch_logcumsumexp_cuda_kernelERKNSD_10TensorBaseESH_lENKUlvE_clEvENKUlvE4_clEvEUlS6_S6_E_S6_EEDaPvRmT3_T4_T5_mT6_P12ihipStream_tbENKUlT_T0_E_clISt17integral_constantIbLb0EESY_EEDaST_SU_EUlST_E_NS1_11comp_targetILNS1_3genE10ELNS1_11target_archE1201ELNS1_3gpuE5ELNS1_3repE0EEENS1_30default_config_static_selectorELNS0_4arch9wavefront6targetE0EEEvT1_
    .private_segment_fixed_size: 0
    .sgpr_count:     42
    .sgpr_spill_count: 0
    .symbol:         _ZN7rocprim17ROCPRIM_400000_NS6detail17trampoline_kernelINS0_14default_configENS1_20scan_config_selectorIN3c108BFloat16EEEZZNS1_9scan_implILNS1_25lookback_scan_determinismE0ELb0ELb0ES3_PKS6_PS6_S6_ZZZN2at6native31launch_logcumsumexp_cuda_kernelERKNSD_10TensorBaseESH_lENKUlvE_clEvENKUlvE4_clEvEUlS6_S6_E_S6_EEDaPvRmT3_T4_T5_mT6_P12ihipStream_tbENKUlT_T0_E_clISt17integral_constantIbLb0EESY_EEDaST_SU_EUlST_E_NS1_11comp_targetILNS1_3genE10ELNS1_11target_archE1201ELNS1_3gpuE5ELNS1_3repE0EEENS1_30default_config_static_selectorELNS0_4arch9wavefront6targetE0EEEvT1_.kd
    .uniform_work_group_size: 1
    .uses_dynamic_stack: false
    .vgpr_count:     70
    .vgpr_spill_count: 0
    .wavefront_size: 32
    .workgroup_processor_mode: 1
  - .args:
      - .offset:         0
        .size:           96
        .value_kind:     by_value
    .group_segment_fixed_size: 0
    .kernarg_segment_align: 8
    .kernarg_segment_size: 96
    .language:       OpenCL C
    .language_version:
      - 2
      - 0
    .max_flat_workgroup_size: 256
    .name:           _ZN7rocprim17ROCPRIM_400000_NS6detail17trampoline_kernelINS0_14default_configENS1_20scan_config_selectorIN3c108BFloat16EEEZZNS1_9scan_implILNS1_25lookback_scan_determinismE0ELb0ELb0ES3_PKS6_PS6_S6_ZZZN2at6native31launch_logcumsumexp_cuda_kernelERKNSD_10TensorBaseESH_lENKUlvE_clEvENKUlvE4_clEvEUlS6_S6_E_S6_EEDaPvRmT3_T4_T5_mT6_P12ihipStream_tbENKUlT_T0_E_clISt17integral_constantIbLb0EESY_EEDaST_SU_EUlST_E_NS1_11comp_targetILNS1_3genE10ELNS1_11target_archE1200ELNS1_3gpuE4ELNS1_3repE0EEENS1_30default_config_static_selectorELNS0_4arch9wavefront6targetE0EEEvT1_
    .private_segment_fixed_size: 0
    .sgpr_count:     0
    .sgpr_spill_count: 0
    .symbol:         _ZN7rocprim17ROCPRIM_400000_NS6detail17trampoline_kernelINS0_14default_configENS1_20scan_config_selectorIN3c108BFloat16EEEZZNS1_9scan_implILNS1_25lookback_scan_determinismE0ELb0ELb0ES3_PKS6_PS6_S6_ZZZN2at6native31launch_logcumsumexp_cuda_kernelERKNSD_10TensorBaseESH_lENKUlvE_clEvENKUlvE4_clEvEUlS6_S6_E_S6_EEDaPvRmT3_T4_T5_mT6_P12ihipStream_tbENKUlT_T0_E_clISt17integral_constantIbLb0EESY_EEDaST_SU_EUlST_E_NS1_11comp_targetILNS1_3genE10ELNS1_11target_archE1200ELNS1_3gpuE4ELNS1_3repE0EEENS1_30default_config_static_selectorELNS0_4arch9wavefront6targetE0EEEvT1_.kd
    .uniform_work_group_size: 1
    .uses_dynamic_stack: false
    .vgpr_count:     0
    .vgpr_spill_count: 0
    .wavefront_size: 32
    .workgroup_processor_mode: 1
  - .args:
      - .offset:         0
        .size:           96
        .value_kind:     by_value
    .group_segment_fixed_size: 0
    .kernarg_segment_align: 8
    .kernarg_segment_size: 96
    .language:       OpenCL C
    .language_version:
      - 2
      - 0
    .max_flat_workgroup_size: 64
    .name:           _ZN7rocprim17ROCPRIM_400000_NS6detail17trampoline_kernelINS0_14default_configENS1_20scan_config_selectorIN3c108BFloat16EEEZZNS1_9scan_implILNS1_25lookback_scan_determinismE0ELb0ELb0ES3_PKS6_PS6_S6_ZZZN2at6native31launch_logcumsumexp_cuda_kernelERKNSD_10TensorBaseESH_lENKUlvE_clEvENKUlvE4_clEvEUlS6_S6_E_S6_EEDaPvRmT3_T4_T5_mT6_P12ihipStream_tbENKUlT_T0_E_clISt17integral_constantIbLb0EESY_EEDaST_SU_EUlST_E_NS1_11comp_targetILNS1_3genE9ELNS1_11target_archE1100ELNS1_3gpuE3ELNS1_3repE0EEENS1_30default_config_static_selectorELNS0_4arch9wavefront6targetE0EEEvT1_
    .private_segment_fixed_size: 0
    .sgpr_count:     0
    .sgpr_spill_count: 0
    .symbol:         _ZN7rocprim17ROCPRIM_400000_NS6detail17trampoline_kernelINS0_14default_configENS1_20scan_config_selectorIN3c108BFloat16EEEZZNS1_9scan_implILNS1_25lookback_scan_determinismE0ELb0ELb0ES3_PKS6_PS6_S6_ZZZN2at6native31launch_logcumsumexp_cuda_kernelERKNSD_10TensorBaseESH_lENKUlvE_clEvENKUlvE4_clEvEUlS6_S6_E_S6_EEDaPvRmT3_T4_T5_mT6_P12ihipStream_tbENKUlT_T0_E_clISt17integral_constantIbLb0EESY_EEDaST_SU_EUlST_E_NS1_11comp_targetILNS1_3genE9ELNS1_11target_archE1100ELNS1_3gpuE3ELNS1_3repE0EEENS1_30default_config_static_selectorELNS0_4arch9wavefront6targetE0EEEvT1_.kd
    .uniform_work_group_size: 1
    .uses_dynamic_stack: false
    .vgpr_count:     0
    .vgpr_spill_count: 0
    .wavefront_size: 32
    .workgroup_processor_mode: 1
  - .args:
      - .offset:         0
        .size:           96
        .value_kind:     by_value
    .group_segment_fixed_size: 0
    .kernarg_segment_align: 8
    .kernarg_segment_size: 96
    .language:       OpenCL C
    .language_version:
      - 2
      - 0
    .max_flat_workgroup_size: 64
    .name:           _ZN7rocprim17ROCPRIM_400000_NS6detail17trampoline_kernelINS0_14default_configENS1_20scan_config_selectorIN3c108BFloat16EEEZZNS1_9scan_implILNS1_25lookback_scan_determinismE0ELb0ELb0ES3_PKS6_PS6_S6_ZZZN2at6native31launch_logcumsumexp_cuda_kernelERKNSD_10TensorBaseESH_lENKUlvE_clEvENKUlvE4_clEvEUlS6_S6_E_S6_EEDaPvRmT3_T4_T5_mT6_P12ihipStream_tbENKUlT_T0_E_clISt17integral_constantIbLb0EESY_EEDaST_SU_EUlST_E_NS1_11comp_targetILNS1_3genE8ELNS1_11target_archE1030ELNS1_3gpuE2ELNS1_3repE0EEENS1_30default_config_static_selectorELNS0_4arch9wavefront6targetE0EEEvT1_
    .private_segment_fixed_size: 0
    .sgpr_count:     0
    .sgpr_spill_count: 0
    .symbol:         _ZN7rocprim17ROCPRIM_400000_NS6detail17trampoline_kernelINS0_14default_configENS1_20scan_config_selectorIN3c108BFloat16EEEZZNS1_9scan_implILNS1_25lookback_scan_determinismE0ELb0ELb0ES3_PKS6_PS6_S6_ZZZN2at6native31launch_logcumsumexp_cuda_kernelERKNSD_10TensorBaseESH_lENKUlvE_clEvENKUlvE4_clEvEUlS6_S6_E_S6_EEDaPvRmT3_T4_T5_mT6_P12ihipStream_tbENKUlT_T0_E_clISt17integral_constantIbLb0EESY_EEDaST_SU_EUlST_E_NS1_11comp_targetILNS1_3genE8ELNS1_11target_archE1030ELNS1_3gpuE2ELNS1_3repE0EEENS1_30default_config_static_selectorELNS0_4arch9wavefront6targetE0EEEvT1_.kd
    .uniform_work_group_size: 1
    .uses_dynamic_stack: false
    .vgpr_count:     0
    .vgpr_spill_count: 0
    .wavefront_size: 32
    .workgroup_processor_mode: 1
  - .args:
      - .offset:         0
        .size:           40
        .value_kind:     by_value
    .group_segment_fixed_size: 0
    .kernarg_segment_align: 8
    .kernarg_segment_size: 40
    .language:       OpenCL C
    .language_version:
      - 2
      - 0
    .max_flat_workgroup_size: 128
    .name:           _ZN7rocprim17ROCPRIM_400000_NS6detail17trampoline_kernelINS0_14default_configENS1_25transform_config_selectorIN3c108BFloat16ELb1EEEZNS1_14transform_implILb1ES3_S7_PS6_S9_NS0_8identityIS6_EEEE10hipError_tT2_T3_mT4_P12ihipStream_tbEUlT_E_NS1_11comp_targetILNS1_3genE0ELNS1_11target_archE4294967295ELNS1_3gpuE0ELNS1_3repE0EEENS1_30default_config_static_selectorELNS0_4arch9wavefront6targetE0EEEvT1_
    .private_segment_fixed_size: 0
    .sgpr_count:     0
    .sgpr_spill_count: 0
    .symbol:         _ZN7rocprim17ROCPRIM_400000_NS6detail17trampoline_kernelINS0_14default_configENS1_25transform_config_selectorIN3c108BFloat16ELb1EEEZNS1_14transform_implILb1ES3_S7_PS6_S9_NS0_8identityIS6_EEEE10hipError_tT2_T3_mT4_P12ihipStream_tbEUlT_E_NS1_11comp_targetILNS1_3genE0ELNS1_11target_archE4294967295ELNS1_3gpuE0ELNS1_3repE0EEENS1_30default_config_static_selectorELNS0_4arch9wavefront6targetE0EEEvT1_.kd
    .uniform_work_group_size: 1
    .uses_dynamic_stack: false
    .vgpr_count:     0
    .vgpr_spill_count: 0
    .wavefront_size: 32
    .workgroup_processor_mode: 1
  - .args:
      - .offset:         0
        .size:           40
        .value_kind:     by_value
      - .offset:         40
        .size:           4
        .value_kind:     hidden_block_count_x
      - .offset:         44
        .size:           4
        .value_kind:     hidden_block_count_y
      - .offset:         48
        .size:           4
        .value_kind:     hidden_block_count_z
      - .offset:         52
        .size:           2
        .value_kind:     hidden_group_size_x
      - .offset:         54
        .size:           2
        .value_kind:     hidden_group_size_y
      - .offset:         56
        .size:           2
        .value_kind:     hidden_group_size_z
      - .offset:         58
        .size:           2
        .value_kind:     hidden_remainder_x
      - .offset:         60
        .size:           2
        .value_kind:     hidden_remainder_y
      - .offset:         62
        .size:           2
        .value_kind:     hidden_remainder_z
      - .offset:         80
        .size:           8
        .value_kind:     hidden_global_offset_x
      - .offset:         88
        .size:           8
        .value_kind:     hidden_global_offset_y
      - .offset:         96
        .size:           8
        .value_kind:     hidden_global_offset_z
      - .offset:         104
        .size:           2
        .value_kind:     hidden_grid_dims
    .group_segment_fixed_size: 0
    .kernarg_segment_align: 8
    .kernarg_segment_size: 296
    .language:       OpenCL C
    .language_version:
      - 2
      - 0
    .max_flat_workgroup_size: 64
    .name:           _ZN7rocprim17ROCPRIM_400000_NS6detail17trampoline_kernelINS0_14default_configENS1_25transform_config_selectorIN3c108BFloat16ELb1EEEZNS1_14transform_implILb1ES3_S7_PS6_S9_NS0_8identityIS6_EEEE10hipError_tT2_T3_mT4_P12ihipStream_tbEUlT_E_NS1_11comp_targetILNS1_3genE10ELNS1_11target_archE1201ELNS1_3gpuE5ELNS1_3repE0EEENS1_30default_config_static_selectorELNS0_4arch9wavefront6targetE0EEEvT1_
    .private_segment_fixed_size: 0
    .sgpr_count:     15
    .sgpr_spill_count: 0
    .symbol:         _ZN7rocprim17ROCPRIM_400000_NS6detail17trampoline_kernelINS0_14default_configENS1_25transform_config_selectorIN3c108BFloat16ELb1EEEZNS1_14transform_implILb1ES3_S7_PS6_S9_NS0_8identityIS6_EEEE10hipError_tT2_T3_mT4_P12ihipStream_tbEUlT_E_NS1_11comp_targetILNS1_3genE10ELNS1_11target_archE1201ELNS1_3gpuE5ELNS1_3repE0EEENS1_30default_config_static_selectorELNS0_4arch9wavefront6targetE0EEEvT1_.kd
    .uniform_work_group_size: 1
    .uses_dynamic_stack: false
    .vgpr_count:     4
    .vgpr_spill_count: 0
    .wavefront_size: 32
    .workgroup_processor_mode: 1
  - .args:
      - .offset:         0
        .size:           40
        .value_kind:     by_value
    .group_segment_fixed_size: 0
    .kernarg_segment_align: 8
    .kernarg_segment_size: 40
    .language:       OpenCL C
    .language_version:
      - 2
      - 0
    .max_flat_workgroup_size: 256
    .name:           _ZN7rocprim17ROCPRIM_400000_NS6detail17trampoline_kernelINS0_14default_configENS1_25transform_config_selectorIN3c108BFloat16ELb1EEEZNS1_14transform_implILb1ES3_S7_PS6_S9_NS0_8identityIS6_EEEE10hipError_tT2_T3_mT4_P12ihipStream_tbEUlT_E_NS1_11comp_targetILNS1_3genE5ELNS1_11target_archE942ELNS1_3gpuE9ELNS1_3repE0EEENS1_30default_config_static_selectorELNS0_4arch9wavefront6targetE0EEEvT1_
    .private_segment_fixed_size: 0
    .sgpr_count:     0
    .sgpr_spill_count: 0
    .symbol:         _ZN7rocprim17ROCPRIM_400000_NS6detail17trampoline_kernelINS0_14default_configENS1_25transform_config_selectorIN3c108BFloat16ELb1EEEZNS1_14transform_implILb1ES3_S7_PS6_S9_NS0_8identityIS6_EEEE10hipError_tT2_T3_mT4_P12ihipStream_tbEUlT_E_NS1_11comp_targetILNS1_3genE5ELNS1_11target_archE942ELNS1_3gpuE9ELNS1_3repE0EEENS1_30default_config_static_selectorELNS0_4arch9wavefront6targetE0EEEvT1_.kd
    .uniform_work_group_size: 1
    .uses_dynamic_stack: false
    .vgpr_count:     0
    .vgpr_spill_count: 0
    .wavefront_size: 32
    .workgroup_processor_mode: 1
  - .args:
      - .offset:         0
        .size:           40
        .value_kind:     by_value
    .group_segment_fixed_size: 0
    .kernarg_segment_align: 8
    .kernarg_segment_size: 40
    .language:       OpenCL C
    .language_version:
      - 2
      - 0
    .max_flat_workgroup_size: 1024
    .name:           _ZN7rocprim17ROCPRIM_400000_NS6detail17trampoline_kernelINS0_14default_configENS1_25transform_config_selectorIN3c108BFloat16ELb1EEEZNS1_14transform_implILb1ES3_S7_PS6_S9_NS0_8identityIS6_EEEE10hipError_tT2_T3_mT4_P12ihipStream_tbEUlT_E_NS1_11comp_targetILNS1_3genE4ELNS1_11target_archE910ELNS1_3gpuE8ELNS1_3repE0EEENS1_30default_config_static_selectorELNS0_4arch9wavefront6targetE0EEEvT1_
    .private_segment_fixed_size: 0
    .sgpr_count:     0
    .sgpr_spill_count: 0
    .symbol:         _ZN7rocprim17ROCPRIM_400000_NS6detail17trampoline_kernelINS0_14default_configENS1_25transform_config_selectorIN3c108BFloat16ELb1EEEZNS1_14transform_implILb1ES3_S7_PS6_S9_NS0_8identityIS6_EEEE10hipError_tT2_T3_mT4_P12ihipStream_tbEUlT_E_NS1_11comp_targetILNS1_3genE4ELNS1_11target_archE910ELNS1_3gpuE8ELNS1_3repE0EEENS1_30default_config_static_selectorELNS0_4arch9wavefront6targetE0EEEvT1_.kd
    .uniform_work_group_size: 1
    .uses_dynamic_stack: false
    .vgpr_count:     0
    .vgpr_spill_count: 0
    .wavefront_size: 32
    .workgroup_processor_mode: 1
  - .args:
      - .offset:         0
        .size:           40
        .value_kind:     by_value
    .group_segment_fixed_size: 0
    .kernarg_segment_align: 8
    .kernarg_segment_size: 40
    .language:       OpenCL C
    .language_version:
      - 2
      - 0
    .max_flat_workgroup_size: 128
    .name:           _ZN7rocprim17ROCPRIM_400000_NS6detail17trampoline_kernelINS0_14default_configENS1_25transform_config_selectorIN3c108BFloat16ELb1EEEZNS1_14transform_implILb1ES3_S7_PS6_S9_NS0_8identityIS6_EEEE10hipError_tT2_T3_mT4_P12ihipStream_tbEUlT_E_NS1_11comp_targetILNS1_3genE3ELNS1_11target_archE908ELNS1_3gpuE7ELNS1_3repE0EEENS1_30default_config_static_selectorELNS0_4arch9wavefront6targetE0EEEvT1_
    .private_segment_fixed_size: 0
    .sgpr_count:     0
    .sgpr_spill_count: 0
    .symbol:         _ZN7rocprim17ROCPRIM_400000_NS6detail17trampoline_kernelINS0_14default_configENS1_25transform_config_selectorIN3c108BFloat16ELb1EEEZNS1_14transform_implILb1ES3_S7_PS6_S9_NS0_8identityIS6_EEEE10hipError_tT2_T3_mT4_P12ihipStream_tbEUlT_E_NS1_11comp_targetILNS1_3genE3ELNS1_11target_archE908ELNS1_3gpuE7ELNS1_3repE0EEENS1_30default_config_static_selectorELNS0_4arch9wavefront6targetE0EEEvT1_.kd
    .uniform_work_group_size: 1
    .uses_dynamic_stack: false
    .vgpr_count:     0
    .vgpr_spill_count: 0
    .wavefront_size: 32
    .workgroup_processor_mode: 1
  - .args:
      - .offset:         0
        .size:           40
        .value_kind:     by_value
    .group_segment_fixed_size: 0
    .kernarg_segment_align: 8
    .kernarg_segment_size: 40
    .language:       OpenCL C
    .language_version:
      - 2
      - 0
    .max_flat_workgroup_size: 1024
    .name:           _ZN7rocprim17ROCPRIM_400000_NS6detail17trampoline_kernelINS0_14default_configENS1_25transform_config_selectorIN3c108BFloat16ELb1EEEZNS1_14transform_implILb1ES3_S7_PS6_S9_NS0_8identityIS6_EEEE10hipError_tT2_T3_mT4_P12ihipStream_tbEUlT_E_NS1_11comp_targetILNS1_3genE2ELNS1_11target_archE906ELNS1_3gpuE6ELNS1_3repE0EEENS1_30default_config_static_selectorELNS0_4arch9wavefront6targetE0EEEvT1_
    .private_segment_fixed_size: 0
    .sgpr_count:     0
    .sgpr_spill_count: 0
    .symbol:         _ZN7rocprim17ROCPRIM_400000_NS6detail17trampoline_kernelINS0_14default_configENS1_25transform_config_selectorIN3c108BFloat16ELb1EEEZNS1_14transform_implILb1ES3_S7_PS6_S9_NS0_8identityIS6_EEEE10hipError_tT2_T3_mT4_P12ihipStream_tbEUlT_E_NS1_11comp_targetILNS1_3genE2ELNS1_11target_archE906ELNS1_3gpuE6ELNS1_3repE0EEENS1_30default_config_static_selectorELNS0_4arch9wavefront6targetE0EEEvT1_.kd
    .uniform_work_group_size: 1
    .uses_dynamic_stack: false
    .vgpr_count:     0
    .vgpr_spill_count: 0
    .wavefront_size: 32
    .workgroup_processor_mode: 1
  - .args:
      - .offset:         0
        .size:           40
        .value_kind:     by_value
    .group_segment_fixed_size: 0
    .kernarg_segment_align: 8
    .kernarg_segment_size: 40
    .language:       OpenCL C
    .language_version:
      - 2
      - 0
    .max_flat_workgroup_size: 1024
    .name:           _ZN7rocprim17ROCPRIM_400000_NS6detail17trampoline_kernelINS0_14default_configENS1_25transform_config_selectorIN3c108BFloat16ELb1EEEZNS1_14transform_implILb1ES3_S7_PS6_S9_NS0_8identityIS6_EEEE10hipError_tT2_T3_mT4_P12ihipStream_tbEUlT_E_NS1_11comp_targetILNS1_3genE9ELNS1_11target_archE1100ELNS1_3gpuE3ELNS1_3repE0EEENS1_30default_config_static_selectorELNS0_4arch9wavefront6targetE0EEEvT1_
    .private_segment_fixed_size: 0
    .sgpr_count:     0
    .sgpr_spill_count: 0
    .symbol:         _ZN7rocprim17ROCPRIM_400000_NS6detail17trampoline_kernelINS0_14default_configENS1_25transform_config_selectorIN3c108BFloat16ELb1EEEZNS1_14transform_implILb1ES3_S7_PS6_S9_NS0_8identityIS6_EEEE10hipError_tT2_T3_mT4_P12ihipStream_tbEUlT_E_NS1_11comp_targetILNS1_3genE9ELNS1_11target_archE1100ELNS1_3gpuE3ELNS1_3repE0EEENS1_30default_config_static_selectorELNS0_4arch9wavefront6targetE0EEEvT1_.kd
    .uniform_work_group_size: 1
    .uses_dynamic_stack: false
    .vgpr_count:     0
    .vgpr_spill_count: 0
    .wavefront_size: 32
    .workgroup_processor_mode: 1
  - .args:
      - .offset:         0
        .size:           40
        .value_kind:     by_value
    .group_segment_fixed_size: 0
    .kernarg_segment_align: 8
    .kernarg_segment_size: 40
    .language:       OpenCL C
    .language_version:
      - 2
      - 0
    .max_flat_workgroup_size: 1024
    .name:           _ZN7rocprim17ROCPRIM_400000_NS6detail17trampoline_kernelINS0_14default_configENS1_25transform_config_selectorIN3c108BFloat16ELb1EEEZNS1_14transform_implILb1ES3_S7_PS6_S9_NS0_8identityIS6_EEEE10hipError_tT2_T3_mT4_P12ihipStream_tbEUlT_E_NS1_11comp_targetILNS1_3genE8ELNS1_11target_archE1030ELNS1_3gpuE2ELNS1_3repE0EEENS1_30default_config_static_selectorELNS0_4arch9wavefront6targetE0EEEvT1_
    .private_segment_fixed_size: 0
    .sgpr_count:     0
    .sgpr_spill_count: 0
    .symbol:         _ZN7rocprim17ROCPRIM_400000_NS6detail17trampoline_kernelINS0_14default_configENS1_25transform_config_selectorIN3c108BFloat16ELb1EEEZNS1_14transform_implILb1ES3_S7_PS6_S9_NS0_8identityIS6_EEEE10hipError_tT2_T3_mT4_P12ihipStream_tbEUlT_E_NS1_11comp_targetILNS1_3genE8ELNS1_11target_archE1030ELNS1_3gpuE2ELNS1_3repE0EEENS1_30default_config_static_selectorELNS0_4arch9wavefront6targetE0EEEvT1_.kd
    .uniform_work_group_size: 1
    .uses_dynamic_stack: false
    .vgpr_count:     0
    .vgpr_spill_count: 0
    .wavefront_size: 32
    .workgroup_processor_mode: 1
  - .args:
      - .offset:         0
        .size:           32
        .value_kind:     by_value
    .group_segment_fixed_size: 0
    .kernarg_segment_align: 8
    .kernarg_segment_size: 32
    .language:       OpenCL C
    .language_version:
      - 2
      - 0
    .max_flat_workgroup_size: 128
    .name:           _ZN7rocprim17ROCPRIM_400000_NS6detail17trampoline_kernelINS0_14default_configENS1_20scan_config_selectorIN3c108BFloat16EEEZZNS1_9scan_implILNS1_25lookback_scan_determinismE0ELb0ELb0ES3_PKS6_PS6_S6_ZZZN2at6native31launch_logcumsumexp_cuda_kernelERKNSD_10TensorBaseESH_lENKUlvE_clEvENKUlvE4_clEvEUlS6_S6_E_S6_EEDaPvRmT3_T4_T5_mT6_P12ihipStream_tbENKUlT_T0_E_clISt17integral_constantIbLb0EESY_EEDaST_SU_EUlST_E0_NS1_11comp_targetILNS1_3genE0ELNS1_11target_archE4294967295ELNS1_3gpuE0ELNS1_3repE0EEENS1_30default_config_static_selectorELNS0_4arch9wavefront6targetE0EEEvT1_
    .private_segment_fixed_size: 0
    .sgpr_count:     0
    .sgpr_spill_count: 0
    .symbol:         _ZN7rocprim17ROCPRIM_400000_NS6detail17trampoline_kernelINS0_14default_configENS1_20scan_config_selectorIN3c108BFloat16EEEZZNS1_9scan_implILNS1_25lookback_scan_determinismE0ELb0ELb0ES3_PKS6_PS6_S6_ZZZN2at6native31launch_logcumsumexp_cuda_kernelERKNSD_10TensorBaseESH_lENKUlvE_clEvENKUlvE4_clEvEUlS6_S6_E_S6_EEDaPvRmT3_T4_T5_mT6_P12ihipStream_tbENKUlT_T0_E_clISt17integral_constantIbLb0EESY_EEDaST_SU_EUlST_E0_NS1_11comp_targetILNS1_3genE0ELNS1_11target_archE4294967295ELNS1_3gpuE0ELNS1_3repE0EEENS1_30default_config_static_selectorELNS0_4arch9wavefront6targetE0EEEvT1_.kd
    .uniform_work_group_size: 1
    .uses_dynamic_stack: false
    .vgpr_count:     0
    .vgpr_spill_count: 0
    .wavefront_size: 32
    .workgroup_processor_mode: 1
  - .args:
      - .offset:         0
        .size:           32
        .value_kind:     by_value
    .group_segment_fixed_size: 0
    .kernarg_segment_align: 8
    .kernarg_segment_size: 32
    .language:       OpenCL C
    .language_version:
      - 2
      - 0
    .max_flat_workgroup_size: 256
    .name:           _ZN7rocprim17ROCPRIM_400000_NS6detail17trampoline_kernelINS0_14default_configENS1_20scan_config_selectorIN3c108BFloat16EEEZZNS1_9scan_implILNS1_25lookback_scan_determinismE0ELb0ELb0ES3_PKS6_PS6_S6_ZZZN2at6native31launch_logcumsumexp_cuda_kernelERKNSD_10TensorBaseESH_lENKUlvE_clEvENKUlvE4_clEvEUlS6_S6_E_S6_EEDaPvRmT3_T4_T5_mT6_P12ihipStream_tbENKUlT_T0_E_clISt17integral_constantIbLb0EESY_EEDaST_SU_EUlST_E0_NS1_11comp_targetILNS1_3genE5ELNS1_11target_archE942ELNS1_3gpuE9ELNS1_3repE0EEENS1_30default_config_static_selectorELNS0_4arch9wavefront6targetE0EEEvT1_
    .private_segment_fixed_size: 0
    .sgpr_count:     0
    .sgpr_spill_count: 0
    .symbol:         _ZN7rocprim17ROCPRIM_400000_NS6detail17trampoline_kernelINS0_14default_configENS1_20scan_config_selectorIN3c108BFloat16EEEZZNS1_9scan_implILNS1_25lookback_scan_determinismE0ELb0ELb0ES3_PKS6_PS6_S6_ZZZN2at6native31launch_logcumsumexp_cuda_kernelERKNSD_10TensorBaseESH_lENKUlvE_clEvENKUlvE4_clEvEUlS6_S6_E_S6_EEDaPvRmT3_T4_T5_mT6_P12ihipStream_tbENKUlT_T0_E_clISt17integral_constantIbLb0EESY_EEDaST_SU_EUlST_E0_NS1_11comp_targetILNS1_3genE5ELNS1_11target_archE942ELNS1_3gpuE9ELNS1_3repE0EEENS1_30default_config_static_selectorELNS0_4arch9wavefront6targetE0EEEvT1_.kd
    .uniform_work_group_size: 1
    .uses_dynamic_stack: false
    .vgpr_count:     0
    .vgpr_spill_count: 0
    .wavefront_size: 32
    .workgroup_processor_mode: 1
  - .args:
      - .offset:         0
        .size:           32
        .value_kind:     by_value
    .group_segment_fixed_size: 0
    .kernarg_segment_align: 8
    .kernarg_segment_size: 32
    .language:       OpenCL C
    .language_version:
      - 2
      - 0
    .max_flat_workgroup_size: 64
    .name:           _ZN7rocprim17ROCPRIM_400000_NS6detail17trampoline_kernelINS0_14default_configENS1_20scan_config_selectorIN3c108BFloat16EEEZZNS1_9scan_implILNS1_25lookback_scan_determinismE0ELb0ELb0ES3_PKS6_PS6_S6_ZZZN2at6native31launch_logcumsumexp_cuda_kernelERKNSD_10TensorBaseESH_lENKUlvE_clEvENKUlvE4_clEvEUlS6_S6_E_S6_EEDaPvRmT3_T4_T5_mT6_P12ihipStream_tbENKUlT_T0_E_clISt17integral_constantIbLb0EESY_EEDaST_SU_EUlST_E0_NS1_11comp_targetILNS1_3genE4ELNS1_11target_archE910ELNS1_3gpuE8ELNS1_3repE0EEENS1_30default_config_static_selectorELNS0_4arch9wavefront6targetE0EEEvT1_
    .private_segment_fixed_size: 0
    .sgpr_count:     0
    .sgpr_spill_count: 0
    .symbol:         _ZN7rocprim17ROCPRIM_400000_NS6detail17trampoline_kernelINS0_14default_configENS1_20scan_config_selectorIN3c108BFloat16EEEZZNS1_9scan_implILNS1_25lookback_scan_determinismE0ELb0ELb0ES3_PKS6_PS6_S6_ZZZN2at6native31launch_logcumsumexp_cuda_kernelERKNSD_10TensorBaseESH_lENKUlvE_clEvENKUlvE4_clEvEUlS6_S6_E_S6_EEDaPvRmT3_T4_T5_mT6_P12ihipStream_tbENKUlT_T0_E_clISt17integral_constantIbLb0EESY_EEDaST_SU_EUlST_E0_NS1_11comp_targetILNS1_3genE4ELNS1_11target_archE910ELNS1_3gpuE8ELNS1_3repE0EEENS1_30default_config_static_selectorELNS0_4arch9wavefront6targetE0EEEvT1_.kd
    .uniform_work_group_size: 1
    .uses_dynamic_stack: false
    .vgpr_count:     0
    .vgpr_spill_count: 0
    .wavefront_size: 32
    .workgroup_processor_mode: 1
  - .args:
      - .offset:         0
        .size:           32
        .value_kind:     by_value
    .group_segment_fixed_size: 0
    .kernarg_segment_align: 8
    .kernarg_segment_size: 32
    .language:       OpenCL C
    .language_version:
      - 2
      - 0
    .max_flat_workgroup_size: 128
    .name:           _ZN7rocprim17ROCPRIM_400000_NS6detail17trampoline_kernelINS0_14default_configENS1_20scan_config_selectorIN3c108BFloat16EEEZZNS1_9scan_implILNS1_25lookback_scan_determinismE0ELb0ELb0ES3_PKS6_PS6_S6_ZZZN2at6native31launch_logcumsumexp_cuda_kernelERKNSD_10TensorBaseESH_lENKUlvE_clEvENKUlvE4_clEvEUlS6_S6_E_S6_EEDaPvRmT3_T4_T5_mT6_P12ihipStream_tbENKUlT_T0_E_clISt17integral_constantIbLb0EESY_EEDaST_SU_EUlST_E0_NS1_11comp_targetILNS1_3genE3ELNS1_11target_archE908ELNS1_3gpuE7ELNS1_3repE0EEENS1_30default_config_static_selectorELNS0_4arch9wavefront6targetE0EEEvT1_
    .private_segment_fixed_size: 0
    .sgpr_count:     0
    .sgpr_spill_count: 0
    .symbol:         _ZN7rocprim17ROCPRIM_400000_NS6detail17trampoline_kernelINS0_14default_configENS1_20scan_config_selectorIN3c108BFloat16EEEZZNS1_9scan_implILNS1_25lookback_scan_determinismE0ELb0ELb0ES3_PKS6_PS6_S6_ZZZN2at6native31launch_logcumsumexp_cuda_kernelERKNSD_10TensorBaseESH_lENKUlvE_clEvENKUlvE4_clEvEUlS6_S6_E_S6_EEDaPvRmT3_T4_T5_mT6_P12ihipStream_tbENKUlT_T0_E_clISt17integral_constantIbLb0EESY_EEDaST_SU_EUlST_E0_NS1_11comp_targetILNS1_3genE3ELNS1_11target_archE908ELNS1_3gpuE7ELNS1_3repE0EEENS1_30default_config_static_selectorELNS0_4arch9wavefront6targetE0EEEvT1_.kd
    .uniform_work_group_size: 1
    .uses_dynamic_stack: false
    .vgpr_count:     0
    .vgpr_spill_count: 0
    .wavefront_size: 32
    .workgroup_processor_mode: 1
  - .args:
      - .offset:         0
        .size:           32
        .value_kind:     by_value
    .group_segment_fixed_size: 0
    .kernarg_segment_align: 8
    .kernarg_segment_size: 32
    .language:       OpenCL C
    .language_version:
      - 2
      - 0
    .max_flat_workgroup_size: 256
    .name:           _ZN7rocprim17ROCPRIM_400000_NS6detail17trampoline_kernelINS0_14default_configENS1_20scan_config_selectorIN3c108BFloat16EEEZZNS1_9scan_implILNS1_25lookback_scan_determinismE0ELb0ELb0ES3_PKS6_PS6_S6_ZZZN2at6native31launch_logcumsumexp_cuda_kernelERKNSD_10TensorBaseESH_lENKUlvE_clEvENKUlvE4_clEvEUlS6_S6_E_S6_EEDaPvRmT3_T4_T5_mT6_P12ihipStream_tbENKUlT_T0_E_clISt17integral_constantIbLb0EESY_EEDaST_SU_EUlST_E0_NS1_11comp_targetILNS1_3genE2ELNS1_11target_archE906ELNS1_3gpuE6ELNS1_3repE0EEENS1_30default_config_static_selectorELNS0_4arch9wavefront6targetE0EEEvT1_
    .private_segment_fixed_size: 0
    .sgpr_count:     0
    .sgpr_spill_count: 0
    .symbol:         _ZN7rocprim17ROCPRIM_400000_NS6detail17trampoline_kernelINS0_14default_configENS1_20scan_config_selectorIN3c108BFloat16EEEZZNS1_9scan_implILNS1_25lookback_scan_determinismE0ELb0ELb0ES3_PKS6_PS6_S6_ZZZN2at6native31launch_logcumsumexp_cuda_kernelERKNSD_10TensorBaseESH_lENKUlvE_clEvENKUlvE4_clEvEUlS6_S6_E_S6_EEDaPvRmT3_T4_T5_mT6_P12ihipStream_tbENKUlT_T0_E_clISt17integral_constantIbLb0EESY_EEDaST_SU_EUlST_E0_NS1_11comp_targetILNS1_3genE2ELNS1_11target_archE906ELNS1_3gpuE6ELNS1_3repE0EEENS1_30default_config_static_selectorELNS0_4arch9wavefront6targetE0EEEvT1_.kd
    .uniform_work_group_size: 1
    .uses_dynamic_stack: false
    .vgpr_count:     0
    .vgpr_spill_count: 0
    .wavefront_size: 32
    .workgroup_processor_mode: 1
  - .args:
      - .offset:         0
        .size:           32
        .value_kind:     by_value
    .group_segment_fixed_size: 6144
    .kernarg_segment_align: 8
    .kernarg_segment_size: 32
    .language:       OpenCL C
    .language_version:
      - 2
      - 0
    .max_flat_workgroup_size: 256
    .name:           _ZN7rocprim17ROCPRIM_400000_NS6detail17trampoline_kernelINS0_14default_configENS1_20scan_config_selectorIN3c108BFloat16EEEZZNS1_9scan_implILNS1_25lookback_scan_determinismE0ELb0ELb0ES3_PKS6_PS6_S6_ZZZN2at6native31launch_logcumsumexp_cuda_kernelERKNSD_10TensorBaseESH_lENKUlvE_clEvENKUlvE4_clEvEUlS6_S6_E_S6_EEDaPvRmT3_T4_T5_mT6_P12ihipStream_tbENKUlT_T0_E_clISt17integral_constantIbLb0EESY_EEDaST_SU_EUlST_E0_NS1_11comp_targetILNS1_3genE10ELNS1_11target_archE1201ELNS1_3gpuE5ELNS1_3repE0EEENS1_30default_config_static_selectorELNS0_4arch9wavefront6targetE0EEEvT1_
    .private_segment_fixed_size: 0
    .sgpr_count:     32
    .sgpr_spill_count: 0
    .symbol:         _ZN7rocprim17ROCPRIM_400000_NS6detail17trampoline_kernelINS0_14default_configENS1_20scan_config_selectorIN3c108BFloat16EEEZZNS1_9scan_implILNS1_25lookback_scan_determinismE0ELb0ELb0ES3_PKS6_PS6_S6_ZZZN2at6native31launch_logcumsumexp_cuda_kernelERKNSD_10TensorBaseESH_lENKUlvE_clEvENKUlvE4_clEvEUlS6_S6_E_S6_EEDaPvRmT3_T4_T5_mT6_P12ihipStream_tbENKUlT_T0_E_clISt17integral_constantIbLb0EESY_EEDaST_SU_EUlST_E0_NS1_11comp_targetILNS1_3genE10ELNS1_11target_archE1201ELNS1_3gpuE5ELNS1_3repE0EEENS1_30default_config_static_selectorELNS0_4arch9wavefront6targetE0EEEvT1_.kd
    .uniform_work_group_size: 1
    .uses_dynamic_stack: false
    .vgpr_count:     49
    .vgpr_spill_count: 0
    .wavefront_size: 32
    .workgroup_processor_mode: 1
  - .args:
      - .offset:         0
        .size:           32
        .value_kind:     by_value
    .group_segment_fixed_size: 0
    .kernarg_segment_align: 8
    .kernarg_segment_size: 32
    .language:       OpenCL C
    .language_version:
      - 2
      - 0
    .max_flat_workgroup_size: 256
    .name:           _ZN7rocprim17ROCPRIM_400000_NS6detail17trampoline_kernelINS0_14default_configENS1_20scan_config_selectorIN3c108BFloat16EEEZZNS1_9scan_implILNS1_25lookback_scan_determinismE0ELb0ELb0ES3_PKS6_PS6_S6_ZZZN2at6native31launch_logcumsumexp_cuda_kernelERKNSD_10TensorBaseESH_lENKUlvE_clEvENKUlvE4_clEvEUlS6_S6_E_S6_EEDaPvRmT3_T4_T5_mT6_P12ihipStream_tbENKUlT_T0_E_clISt17integral_constantIbLb0EESY_EEDaST_SU_EUlST_E0_NS1_11comp_targetILNS1_3genE10ELNS1_11target_archE1200ELNS1_3gpuE4ELNS1_3repE0EEENS1_30default_config_static_selectorELNS0_4arch9wavefront6targetE0EEEvT1_
    .private_segment_fixed_size: 0
    .sgpr_count:     0
    .sgpr_spill_count: 0
    .symbol:         _ZN7rocprim17ROCPRIM_400000_NS6detail17trampoline_kernelINS0_14default_configENS1_20scan_config_selectorIN3c108BFloat16EEEZZNS1_9scan_implILNS1_25lookback_scan_determinismE0ELb0ELb0ES3_PKS6_PS6_S6_ZZZN2at6native31launch_logcumsumexp_cuda_kernelERKNSD_10TensorBaseESH_lENKUlvE_clEvENKUlvE4_clEvEUlS6_S6_E_S6_EEDaPvRmT3_T4_T5_mT6_P12ihipStream_tbENKUlT_T0_E_clISt17integral_constantIbLb0EESY_EEDaST_SU_EUlST_E0_NS1_11comp_targetILNS1_3genE10ELNS1_11target_archE1200ELNS1_3gpuE4ELNS1_3repE0EEENS1_30default_config_static_selectorELNS0_4arch9wavefront6targetE0EEEvT1_.kd
    .uniform_work_group_size: 1
    .uses_dynamic_stack: false
    .vgpr_count:     0
    .vgpr_spill_count: 0
    .wavefront_size: 32
    .workgroup_processor_mode: 1
  - .args:
      - .offset:         0
        .size:           32
        .value_kind:     by_value
    .group_segment_fixed_size: 0
    .kernarg_segment_align: 8
    .kernarg_segment_size: 32
    .language:       OpenCL C
    .language_version:
      - 2
      - 0
    .max_flat_workgroup_size: 64
    .name:           _ZN7rocprim17ROCPRIM_400000_NS6detail17trampoline_kernelINS0_14default_configENS1_20scan_config_selectorIN3c108BFloat16EEEZZNS1_9scan_implILNS1_25lookback_scan_determinismE0ELb0ELb0ES3_PKS6_PS6_S6_ZZZN2at6native31launch_logcumsumexp_cuda_kernelERKNSD_10TensorBaseESH_lENKUlvE_clEvENKUlvE4_clEvEUlS6_S6_E_S6_EEDaPvRmT3_T4_T5_mT6_P12ihipStream_tbENKUlT_T0_E_clISt17integral_constantIbLb0EESY_EEDaST_SU_EUlST_E0_NS1_11comp_targetILNS1_3genE9ELNS1_11target_archE1100ELNS1_3gpuE3ELNS1_3repE0EEENS1_30default_config_static_selectorELNS0_4arch9wavefront6targetE0EEEvT1_
    .private_segment_fixed_size: 0
    .sgpr_count:     0
    .sgpr_spill_count: 0
    .symbol:         _ZN7rocprim17ROCPRIM_400000_NS6detail17trampoline_kernelINS0_14default_configENS1_20scan_config_selectorIN3c108BFloat16EEEZZNS1_9scan_implILNS1_25lookback_scan_determinismE0ELb0ELb0ES3_PKS6_PS6_S6_ZZZN2at6native31launch_logcumsumexp_cuda_kernelERKNSD_10TensorBaseESH_lENKUlvE_clEvENKUlvE4_clEvEUlS6_S6_E_S6_EEDaPvRmT3_T4_T5_mT6_P12ihipStream_tbENKUlT_T0_E_clISt17integral_constantIbLb0EESY_EEDaST_SU_EUlST_E0_NS1_11comp_targetILNS1_3genE9ELNS1_11target_archE1100ELNS1_3gpuE3ELNS1_3repE0EEENS1_30default_config_static_selectorELNS0_4arch9wavefront6targetE0EEEvT1_.kd
    .uniform_work_group_size: 1
    .uses_dynamic_stack: false
    .vgpr_count:     0
    .vgpr_spill_count: 0
    .wavefront_size: 32
    .workgroup_processor_mode: 1
  - .args:
      - .offset:         0
        .size:           32
        .value_kind:     by_value
    .group_segment_fixed_size: 0
    .kernarg_segment_align: 8
    .kernarg_segment_size: 32
    .language:       OpenCL C
    .language_version:
      - 2
      - 0
    .max_flat_workgroup_size: 64
    .name:           _ZN7rocprim17ROCPRIM_400000_NS6detail17trampoline_kernelINS0_14default_configENS1_20scan_config_selectorIN3c108BFloat16EEEZZNS1_9scan_implILNS1_25lookback_scan_determinismE0ELb0ELb0ES3_PKS6_PS6_S6_ZZZN2at6native31launch_logcumsumexp_cuda_kernelERKNSD_10TensorBaseESH_lENKUlvE_clEvENKUlvE4_clEvEUlS6_S6_E_S6_EEDaPvRmT3_T4_T5_mT6_P12ihipStream_tbENKUlT_T0_E_clISt17integral_constantIbLb0EESY_EEDaST_SU_EUlST_E0_NS1_11comp_targetILNS1_3genE8ELNS1_11target_archE1030ELNS1_3gpuE2ELNS1_3repE0EEENS1_30default_config_static_selectorELNS0_4arch9wavefront6targetE0EEEvT1_
    .private_segment_fixed_size: 0
    .sgpr_count:     0
    .sgpr_spill_count: 0
    .symbol:         _ZN7rocprim17ROCPRIM_400000_NS6detail17trampoline_kernelINS0_14default_configENS1_20scan_config_selectorIN3c108BFloat16EEEZZNS1_9scan_implILNS1_25lookback_scan_determinismE0ELb0ELb0ES3_PKS6_PS6_S6_ZZZN2at6native31launch_logcumsumexp_cuda_kernelERKNSD_10TensorBaseESH_lENKUlvE_clEvENKUlvE4_clEvEUlS6_S6_E_S6_EEDaPvRmT3_T4_T5_mT6_P12ihipStream_tbENKUlT_T0_E_clISt17integral_constantIbLb0EESY_EEDaST_SU_EUlST_E0_NS1_11comp_targetILNS1_3genE8ELNS1_11target_archE1030ELNS1_3gpuE2ELNS1_3repE0EEENS1_30default_config_static_selectorELNS0_4arch9wavefront6targetE0EEEvT1_.kd
    .uniform_work_group_size: 1
    .uses_dynamic_stack: false
    .vgpr_count:     0
    .vgpr_spill_count: 0
    .wavefront_size: 32
    .workgroup_processor_mode: 1
  - .args:
      - .address_space:  global
        .offset:         0
        .size:           8
        .value_kind:     global_buffer
      - .offset:         8
        .size:           4
        .value_kind:     by_value
      - .address_space:  global
        .offset:         16
        .size:           8
        .value_kind:     global_buffer
      - .offset:         24
        .size:           4
        .value_kind:     by_value
      - .address_space:  global
        .offset:         32
        .size:           8
        .value_kind:     global_buffer
      - .offset:         40
        .size:           4
        .value_kind:     hidden_block_count_x
      - .offset:         44
        .size:           4
        .value_kind:     hidden_block_count_y
      - .offset:         48
        .size:           4
        .value_kind:     hidden_block_count_z
      - .offset:         52
        .size:           2
        .value_kind:     hidden_group_size_x
      - .offset:         54
        .size:           2
        .value_kind:     hidden_group_size_y
      - .offset:         56
        .size:           2
        .value_kind:     hidden_group_size_z
      - .offset:         58
        .size:           2
        .value_kind:     hidden_remainder_x
      - .offset:         60
        .size:           2
        .value_kind:     hidden_remainder_y
      - .offset:         62
        .size:           2
        .value_kind:     hidden_remainder_z
      - .offset:         80
        .size:           8
        .value_kind:     hidden_global_offset_x
      - .offset:         88
        .size:           8
        .value_kind:     hidden_global_offset_y
      - .offset:         96
        .size:           8
        .value_kind:     hidden_global_offset_z
      - .offset:         104
        .size:           2
        .value_kind:     hidden_grid_dims
    .group_segment_fixed_size: 0
    .kernarg_segment_align: 8
    .kernarg_segment_size: 296
    .language:       OpenCL C
    .language_version:
      - 2
      - 0
    .max_flat_workgroup_size: 256
    .name:           _ZN7rocprim17ROCPRIM_400000_NS6detail31init_lookback_scan_state_kernelINS1_19lookback_scan_stateIN3c108BFloat16ELb1ELb1EEENS1_16block_id_wrapperIjLb1EEEEEvT_jT0_jPNS9_10value_typeE
    .private_segment_fixed_size: 0
    .sgpr_count:     14
    .sgpr_spill_count: 0
    .symbol:         _ZN7rocprim17ROCPRIM_400000_NS6detail31init_lookback_scan_state_kernelINS1_19lookback_scan_stateIN3c108BFloat16ELb1ELb1EEENS1_16block_id_wrapperIjLb1EEEEEvT_jT0_jPNS9_10value_typeE.kd
    .uniform_work_group_size: 1
    .uses_dynamic_stack: false
    .vgpr_count:     5
    .vgpr_spill_count: 0
    .wavefront_size: 32
    .workgroup_processor_mode: 1
  - .args:
      - .offset:         0
        .size:           96
        .value_kind:     by_value
    .group_segment_fixed_size: 0
    .kernarg_segment_align: 8
    .kernarg_segment_size: 96
    .language:       OpenCL C
    .language_version:
      - 2
      - 0
    .max_flat_workgroup_size: 128
    .name:           _ZN7rocprim17ROCPRIM_400000_NS6detail17trampoline_kernelINS0_14default_configENS1_20scan_config_selectorIN3c108BFloat16EEEZZNS1_9scan_implILNS1_25lookback_scan_determinismE0ELb0ELb0ES3_PKS6_PS6_S6_ZZZN2at6native31launch_logcumsumexp_cuda_kernelERKNSD_10TensorBaseESH_lENKUlvE_clEvENKUlvE4_clEvEUlS6_S6_E_S6_EEDaPvRmT3_T4_T5_mT6_P12ihipStream_tbENKUlT_T0_E_clISt17integral_constantIbLb1EESY_EEDaST_SU_EUlST_E_NS1_11comp_targetILNS1_3genE0ELNS1_11target_archE4294967295ELNS1_3gpuE0ELNS1_3repE0EEENS1_30default_config_static_selectorELNS0_4arch9wavefront6targetE0EEEvT1_
    .private_segment_fixed_size: 0
    .sgpr_count:     0
    .sgpr_spill_count: 0
    .symbol:         _ZN7rocprim17ROCPRIM_400000_NS6detail17trampoline_kernelINS0_14default_configENS1_20scan_config_selectorIN3c108BFloat16EEEZZNS1_9scan_implILNS1_25lookback_scan_determinismE0ELb0ELb0ES3_PKS6_PS6_S6_ZZZN2at6native31launch_logcumsumexp_cuda_kernelERKNSD_10TensorBaseESH_lENKUlvE_clEvENKUlvE4_clEvEUlS6_S6_E_S6_EEDaPvRmT3_T4_T5_mT6_P12ihipStream_tbENKUlT_T0_E_clISt17integral_constantIbLb1EESY_EEDaST_SU_EUlST_E_NS1_11comp_targetILNS1_3genE0ELNS1_11target_archE4294967295ELNS1_3gpuE0ELNS1_3repE0EEENS1_30default_config_static_selectorELNS0_4arch9wavefront6targetE0EEEvT1_.kd
    .uniform_work_group_size: 1
    .uses_dynamic_stack: false
    .vgpr_count:     0
    .vgpr_spill_count: 0
    .wavefront_size: 32
    .workgroup_processor_mode: 1
  - .args:
      - .offset:         0
        .size:           96
        .value_kind:     by_value
    .group_segment_fixed_size: 0
    .kernarg_segment_align: 8
    .kernarg_segment_size: 96
    .language:       OpenCL C
    .language_version:
      - 2
      - 0
    .max_flat_workgroup_size: 256
    .name:           _ZN7rocprim17ROCPRIM_400000_NS6detail17trampoline_kernelINS0_14default_configENS1_20scan_config_selectorIN3c108BFloat16EEEZZNS1_9scan_implILNS1_25lookback_scan_determinismE0ELb0ELb0ES3_PKS6_PS6_S6_ZZZN2at6native31launch_logcumsumexp_cuda_kernelERKNSD_10TensorBaseESH_lENKUlvE_clEvENKUlvE4_clEvEUlS6_S6_E_S6_EEDaPvRmT3_T4_T5_mT6_P12ihipStream_tbENKUlT_T0_E_clISt17integral_constantIbLb1EESY_EEDaST_SU_EUlST_E_NS1_11comp_targetILNS1_3genE5ELNS1_11target_archE942ELNS1_3gpuE9ELNS1_3repE0EEENS1_30default_config_static_selectorELNS0_4arch9wavefront6targetE0EEEvT1_
    .private_segment_fixed_size: 0
    .sgpr_count:     0
    .sgpr_spill_count: 0
    .symbol:         _ZN7rocprim17ROCPRIM_400000_NS6detail17trampoline_kernelINS0_14default_configENS1_20scan_config_selectorIN3c108BFloat16EEEZZNS1_9scan_implILNS1_25lookback_scan_determinismE0ELb0ELb0ES3_PKS6_PS6_S6_ZZZN2at6native31launch_logcumsumexp_cuda_kernelERKNSD_10TensorBaseESH_lENKUlvE_clEvENKUlvE4_clEvEUlS6_S6_E_S6_EEDaPvRmT3_T4_T5_mT6_P12ihipStream_tbENKUlT_T0_E_clISt17integral_constantIbLb1EESY_EEDaST_SU_EUlST_E_NS1_11comp_targetILNS1_3genE5ELNS1_11target_archE942ELNS1_3gpuE9ELNS1_3repE0EEENS1_30default_config_static_selectorELNS0_4arch9wavefront6targetE0EEEvT1_.kd
    .uniform_work_group_size: 1
    .uses_dynamic_stack: false
    .vgpr_count:     0
    .vgpr_spill_count: 0
    .wavefront_size: 32
    .workgroup_processor_mode: 1
  - .args:
      - .offset:         0
        .size:           96
        .value_kind:     by_value
    .group_segment_fixed_size: 0
    .kernarg_segment_align: 8
    .kernarg_segment_size: 96
    .language:       OpenCL C
    .language_version:
      - 2
      - 0
    .max_flat_workgroup_size: 64
    .name:           _ZN7rocprim17ROCPRIM_400000_NS6detail17trampoline_kernelINS0_14default_configENS1_20scan_config_selectorIN3c108BFloat16EEEZZNS1_9scan_implILNS1_25lookback_scan_determinismE0ELb0ELb0ES3_PKS6_PS6_S6_ZZZN2at6native31launch_logcumsumexp_cuda_kernelERKNSD_10TensorBaseESH_lENKUlvE_clEvENKUlvE4_clEvEUlS6_S6_E_S6_EEDaPvRmT3_T4_T5_mT6_P12ihipStream_tbENKUlT_T0_E_clISt17integral_constantIbLb1EESY_EEDaST_SU_EUlST_E_NS1_11comp_targetILNS1_3genE4ELNS1_11target_archE910ELNS1_3gpuE8ELNS1_3repE0EEENS1_30default_config_static_selectorELNS0_4arch9wavefront6targetE0EEEvT1_
    .private_segment_fixed_size: 0
    .sgpr_count:     0
    .sgpr_spill_count: 0
    .symbol:         _ZN7rocprim17ROCPRIM_400000_NS6detail17trampoline_kernelINS0_14default_configENS1_20scan_config_selectorIN3c108BFloat16EEEZZNS1_9scan_implILNS1_25lookback_scan_determinismE0ELb0ELb0ES3_PKS6_PS6_S6_ZZZN2at6native31launch_logcumsumexp_cuda_kernelERKNSD_10TensorBaseESH_lENKUlvE_clEvENKUlvE4_clEvEUlS6_S6_E_S6_EEDaPvRmT3_T4_T5_mT6_P12ihipStream_tbENKUlT_T0_E_clISt17integral_constantIbLb1EESY_EEDaST_SU_EUlST_E_NS1_11comp_targetILNS1_3genE4ELNS1_11target_archE910ELNS1_3gpuE8ELNS1_3repE0EEENS1_30default_config_static_selectorELNS0_4arch9wavefront6targetE0EEEvT1_.kd
    .uniform_work_group_size: 1
    .uses_dynamic_stack: false
    .vgpr_count:     0
    .vgpr_spill_count: 0
    .wavefront_size: 32
    .workgroup_processor_mode: 1
  - .args:
      - .offset:         0
        .size:           96
        .value_kind:     by_value
    .group_segment_fixed_size: 0
    .kernarg_segment_align: 8
    .kernarg_segment_size: 96
    .language:       OpenCL C
    .language_version:
      - 2
      - 0
    .max_flat_workgroup_size: 128
    .name:           _ZN7rocprim17ROCPRIM_400000_NS6detail17trampoline_kernelINS0_14default_configENS1_20scan_config_selectorIN3c108BFloat16EEEZZNS1_9scan_implILNS1_25lookback_scan_determinismE0ELb0ELb0ES3_PKS6_PS6_S6_ZZZN2at6native31launch_logcumsumexp_cuda_kernelERKNSD_10TensorBaseESH_lENKUlvE_clEvENKUlvE4_clEvEUlS6_S6_E_S6_EEDaPvRmT3_T4_T5_mT6_P12ihipStream_tbENKUlT_T0_E_clISt17integral_constantIbLb1EESY_EEDaST_SU_EUlST_E_NS1_11comp_targetILNS1_3genE3ELNS1_11target_archE908ELNS1_3gpuE7ELNS1_3repE0EEENS1_30default_config_static_selectorELNS0_4arch9wavefront6targetE0EEEvT1_
    .private_segment_fixed_size: 0
    .sgpr_count:     0
    .sgpr_spill_count: 0
    .symbol:         _ZN7rocprim17ROCPRIM_400000_NS6detail17trampoline_kernelINS0_14default_configENS1_20scan_config_selectorIN3c108BFloat16EEEZZNS1_9scan_implILNS1_25lookback_scan_determinismE0ELb0ELb0ES3_PKS6_PS6_S6_ZZZN2at6native31launch_logcumsumexp_cuda_kernelERKNSD_10TensorBaseESH_lENKUlvE_clEvENKUlvE4_clEvEUlS6_S6_E_S6_EEDaPvRmT3_T4_T5_mT6_P12ihipStream_tbENKUlT_T0_E_clISt17integral_constantIbLb1EESY_EEDaST_SU_EUlST_E_NS1_11comp_targetILNS1_3genE3ELNS1_11target_archE908ELNS1_3gpuE7ELNS1_3repE0EEENS1_30default_config_static_selectorELNS0_4arch9wavefront6targetE0EEEvT1_.kd
    .uniform_work_group_size: 1
    .uses_dynamic_stack: false
    .vgpr_count:     0
    .vgpr_spill_count: 0
    .wavefront_size: 32
    .workgroup_processor_mode: 1
  - .args:
      - .offset:         0
        .size:           96
        .value_kind:     by_value
    .group_segment_fixed_size: 0
    .kernarg_segment_align: 8
    .kernarg_segment_size: 96
    .language:       OpenCL C
    .language_version:
      - 2
      - 0
    .max_flat_workgroup_size: 256
    .name:           _ZN7rocprim17ROCPRIM_400000_NS6detail17trampoline_kernelINS0_14default_configENS1_20scan_config_selectorIN3c108BFloat16EEEZZNS1_9scan_implILNS1_25lookback_scan_determinismE0ELb0ELb0ES3_PKS6_PS6_S6_ZZZN2at6native31launch_logcumsumexp_cuda_kernelERKNSD_10TensorBaseESH_lENKUlvE_clEvENKUlvE4_clEvEUlS6_S6_E_S6_EEDaPvRmT3_T4_T5_mT6_P12ihipStream_tbENKUlT_T0_E_clISt17integral_constantIbLb1EESY_EEDaST_SU_EUlST_E_NS1_11comp_targetILNS1_3genE2ELNS1_11target_archE906ELNS1_3gpuE6ELNS1_3repE0EEENS1_30default_config_static_selectorELNS0_4arch9wavefront6targetE0EEEvT1_
    .private_segment_fixed_size: 0
    .sgpr_count:     0
    .sgpr_spill_count: 0
    .symbol:         _ZN7rocprim17ROCPRIM_400000_NS6detail17trampoline_kernelINS0_14default_configENS1_20scan_config_selectorIN3c108BFloat16EEEZZNS1_9scan_implILNS1_25lookback_scan_determinismE0ELb0ELb0ES3_PKS6_PS6_S6_ZZZN2at6native31launch_logcumsumexp_cuda_kernelERKNSD_10TensorBaseESH_lENKUlvE_clEvENKUlvE4_clEvEUlS6_S6_E_S6_EEDaPvRmT3_T4_T5_mT6_P12ihipStream_tbENKUlT_T0_E_clISt17integral_constantIbLb1EESY_EEDaST_SU_EUlST_E_NS1_11comp_targetILNS1_3genE2ELNS1_11target_archE906ELNS1_3gpuE6ELNS1_3repE0EEENS1_30default_config_static_selectorELNS0_4arch9wavefront6targetE0EEEvT1_.kd
    .uniform_work_group_size: 1
    .uses_dynamic_stack: false
    .vgpr_count:     0
    .vgpr_spill_count: 0
    .wavefront_size: 32
    .workgroup_processor_mode: 1
  - .args:
      - .offset:         0
        .size:           96
        .value_kind:     by_value
    .group_segment_fixed_size: 0
    .kernarg_segment_align: 8
    .kernarg_segment_size: 96
    .language:       OpenCL C
    .language_version:
      - 2
      - 0
    .max_flat_workgroup_size: 256
    .name:           _ZN7rocprim17ROCPRIM_400000_NS6detail17trampoline_kernelINS0_14default_configENS1_20scan_config_selectorIN3c108BFloat16EEEZZNS1_9scan_implILNS1_25lookback_scan_determinismE0ELb0ELb0ES3_PKS6_PS6_S6_ZZZN2at6native31launch_logcumsumexp_cuda_kernelERKNSD_10TensorBaseESH_lENKUlvE_clEvENKUlvE4_clEvEUlS6_S6_E_S6_EEDaPvRmT3_T4_T5_mT6_P12ihipStream_tbENKUlT_T0_E_clISt17integral_constantIbLb1EESY_EEDaST_SU_EUlST_E_NS1_11comp_targetILNS1_3genE10ELNS1_11target_archE1201ELNS1_3gpuE5ELNS1_3repE0EEENS1_30default_config_static_selectorELNS0_4arch9wavefront6targetE0EEEvT1_
    .private_segment_fixed_size: 0
    .sgpr_count:     0
    .sgpr_spill_count: 0
    .symbol:         _ZN7rocprim17ROCPRIM_400000_NS6detail17trampoline_kernelINS0_14default_configENS1_20scan_config_selectorIN3c108BFloat16EEEZZNS1_9scan_implILNS1_25lookback_scan_determinismE0ELb0ELb0ES3_PKS6_PS6_S6_ZZZN2at6native31launch_logcumsumexp_cuda_kernelERKNSD_10TensorBaseESH_lENKUlvE_clEvENKUlvE4_clEvEUlS6_S6_E_S6_EEDaPvRmT3_T4_T5_mT6_P12ihipStream_tbENKUlT_T0_E_clISt17integral_constantIbLb1EESY_EEDaST_SU_EUlST_E_NS1_11comp_targetILNS1_3genE10ELNS1_11target_archE1201ELNS1_3gpuE5ELNS1_3repE0EEENS1_30default_config_static_selectorELNS0_4arch9wavefront6targetE0EEEvT1_.kd
    .uniform_work_group_size: 1
    .uses_dynamic_stack: false
    .vgpr_count:     0
    .vgpr_spill_count: 0
    .wavefront_size: 32
    .workgroup_processor_mode: 1
  - .args:
      - .offset:         0
        .size:           96
        .value_kind:     by_value
    .group_segment_fixed_size: 0
    .kernarg_segment_align: 8
    .kernarg_segment_size: 96
    .language:       OpenCL C
    .language_version:
      - 2
      - 0
    .max_flat_workgroup_size: 256
    .name:           _ZN7rocprim17ROCPRIM_400000_NS6detail17trampoline_kernelINS0_14default_configENS1_20scan_config_selectorIN3c108BFloat16EEEZZNS1_9scan_implILNS1_25lookback_scan_determinismE0ELb0ELb0ES3_PKS6_PS6_S6_ZZZN2at6native31launch_logcumsumexp_cuda_kernelERKNSD_10TensorBaseESH_lENKUlvE_clEvENKUlvE4_clEvEUlS6_S6_E_S6_EEDaPvRmT3_T4_T5_mT6_P12ihipStream_tbENKUlT_T0_E_clISt17integral_constantIbLb1EESY_EEDaST_SU_EUlST_E_NS1_11comp_targetILNS1_3genE10ELNS1_11target_archE1200ELNS1_3gpuE4ELNS1_3repE0EEENS1_30default_config_static_selectorELNS0_4arch9wavefront6targetE0EEEvT1_
    .private_segment_fixed_size: 0
    .sgpr_count:     0
    .sgpr_spill_count: 0
    .symbol:         _ZN7rocprim17ROCPRIM_400000_NS6detail17trampoline_kernelINS0_14default_configENS1_20scan_config_selectorIN3c108BFloat16EEEZZNS1_9scan_implILNS1_25lookback_scan_determinismE0ELb0ELb0ES3_PKS6_PS6_S6_ZZZN2at6native31launch_logcumsumexp_cuda_kernelERKNSD_10TensorBaseESH_lENKUlvE_clEvENKUlvE4_clEvEUlS6_S6_E_S6_EEDaPvRmT3_T4_T5_mT6_P12ihipStream_tbENKUlT_T0_E_clISt17integral_constantIbLb1EESY_EEDaST_SU_EUlST_E_NS1_11comp_targetILNS1_3genE10ELNS1_11target_archE1200ELNS1_3gpuE4ELNS1_3repE0EEENS1_30default_config_static_selectorELNS0_4arch9wavefront6targetE0EEEvT1_.kd
    .uniform_work_group_size: 1
    .uses_dynamic_stack: false
    .vgpr_count:     0
    .vgpr_spill_count: 0
    .wavefront_size: 32
    .workgroup_processor_mode: 1
  - .args:
      - .offset:         0
        .size:           96
        .value_kind:     by_value
    .group_segment_fixed_size: 0
    .kernarg_segment_align: 8
    .kernarg_segment_size: 96
    .language:       OpenCL C
    .language_version:
      - 2
      - 0
    .max_flat_workgroup_size: 64
    .name:           _ZN7rocprim17ROCPRIM_400000_NS6detail17trampoline_kernelINS0_14default_configENS1_20scan_config_selectorIN3c108BFloat16EEEZZNS1_9scan_implILNS1_25lookback_scan_determinismE0ELb0ELb0ES3_PKS6_PS6_S6_ZZZN2at6native31launch_logcumsumexp_cuda_kernelERKNSD_10TensorBaseESH_lENKUlvE_clEvENKUlvE4_clEvEUlS6_S6_E_S6_EEDaPvRmT3_T4_T5_mT6_P12ihipStream_tbENKUlT_T0_E_clISt17integral_constantIbLb1EESY_EEDaST_SU_EUlST_E_NS1_11comp_targetILNS1_3genE9ELNS1_11target_archE1100ELNS1_3gpuE3ELNS1_3repE0EEENS1_30default_config_static_selectorELNS0_4arch9wavefront6targetE0EEEvT1_
    .private_segment_fixed_size: 0
    .sgpr_count:     0
    .sgpr_spill_count: 0
    .symbol:         _ZN7rocprim17ROCPRIM_400000_NS6detail17trampoline_kernelINS0_14default_configENS1_20scan_config_selectorIN3c108BFloat16EEEZZNS1_9scan_implILNS1_25lookback_scan_determinismE0ELb0ELb0ES3_PKS6_PS6_S6_ZZZN2at6native31launch_logcumsumexp_cuda_kernelERKNSD_10TensorBaseESH_lENKUlvE_clEvENKUlvE4_clEvEUlS6_S6_E_S6_EEDaPvRmT3_T4_T5_mT6_P12ihipStream_tbENKUlT_T0_E_clISt17integral_constantIbLb1EESY_EEDaST_SU_EUlST_E_NS1_11comp_targetILNS1_3genE9ELNS1_11target_archE1100ELNS1_3gpuE3ELNS1_3repE0EEENS1_30default_config_static_selectorELNS0_4arch9wavefront6targetE0EEEvT1_.kd
    .uniform_work_group_size: 1
    .uses_dynamic_stack: false
    .vgpr_count:     0
    .vgpr_spill_count: 0
    .wavefront_size: 32
    .workgroup_processor_mode: 1
  - .args:
      - .offset:         0
        .size:           96
        .value_kind:     by_value
    .group_segment_fixed_size: 0
    .kernarg_segment_align: 8
    .kernarg_segment_size: 96
    .language:       OpenCL C
    .language_version:
      - 2
      - 0
    .max_flat_workgroup_size: 64
    .name:           _ZN7rocprim17ROCPRIM_400000_NS6detail17trampoline_kernelINS0_14default_configENS1_20scan_config_selectorIN3c108BFloat16EEEZZNS1_9scan_implILNS1_25lookback_scan_determinismE0ELb0ELb0ES3_PKS6_PS6_S6_ZZZN2at6native31launch_logcumsumexp_cuda_kernelERKNSD_10TensorBaseESH_lENKUlvE_clEvENKUlvE4_clEvEUlS6_S6_E_S6_EEDaPvRmT3_T4_T5_mT6_P12ihipStream_tbENKUlT_T0_E_clISt17integral_constantIbLb1EESY_EEDaST_SU_EUlST_E_NS1_11comp_targetILNS1_3genE8ELNS1_11target_archE1030ELNS1_3gpuE2ELNS1_3repE0EEENS1_30default_config_static_selectorELNS0_4arch9wavefront6targetE0EEEvT1_
    .private_segment_fixed_size: 0
    .sgpr_count:     0
    .sgpr_spill_count: 0
    .symbol:         _ZN7rocprim17ROCPRIM_400000_NS6detail17trampoline_kernelINS0_14default_configENS1_20scan_config_selectorIN3c108BFloat16EEEZZNS1_9scan_implILNS1_25lookback_scan_determinismE0ELb0ELb0ES3_PKS6_PS6_S6_ZZZN2at6native31launch_logcumsumexp_cuda_kernelERKNSD_10TensorBaseESH_lENKUlvE_clEvENKUlvE4_clEvEUlS6_S6_E_S6_EEDaPvRmT3_T4_T5_mT6_P12ihipStream_tbENKUlT_T0_E_clISt17integral_constantIbLb1EESY_EEDaST_SU_EUlST_E_NS1_11comp_targetILNS1_3genE8ELNS1_11target_archE1030ELNS1_3gpuE2ELNS1_3repE0EEENS1_30default_config_static_selectorELNS0_4arch9wavefront6targetE0EEEvT1_.kd
    .uniform_work_group_size: 1
    .uses_dynamic_stack: false
    .vgpr_count:     0
    .vgpr_spill_count: 0
    .wavefront_size: 32
    .workgroup_processor_mode: 1
  - .args:
      - .offset:         0
        .size:           32
        .value_kind:     by_value
    .group_segment_fixed_size: 0
    .kernarg_segment_align: 8
    .kernarg_segment_size: 32
    .language:       OpenCL C
    .language_version:
      - 2
      - 0
    .max_flat_workgroup_size: 128
    .name:           _ZN7rocprim17ROCPRIM_400000_NS6detail17trampoline_kernelINS0_14default_configENS1_20scan_config_selectorIN3c108BFloat16EEEZZNS1_9scan_implILNS1_25lookback_scan_determinismE0ELb0ELb0ES3_PKS6_PS6_S6_ZZZN2at6native31launch_logcumsumexp_cuda_kernelERKNSD_10TensorBaseESH_lENKUlvE_clEvENKUlvE4_clEvEUlS6_S6_E_S6_EEDaPvRmT3_T4_T5_mT6_P12ihipStream_tbENKUlT_T0_E_clISt17integral_constantIbLb1EESY_EEDaST_SU_EUlST_E0_NS1_11comp_targetILNS1_3genE0ELNS1_11target_archE4294967295ELNS1_3gpuE0ELNS1_3repE0EEENS1_30default_config_static_selectorELNS0_4arch9wavefront6targetE0EEEvT1_
    .private_segment_fixed_size: 0
    .sgpr_count:     0
    .sgpr_spill_count: 0
    .symbol:         _ZN7rocprim17ROCPRIM_400000_NS6detail17trampoline_kernelINS0_14default_configENS1_20scan_config_selectorIN3c108BFloat16EEEZZNS1_9scan_implILNS1_25lookback_scan_determinismE0ELb0ELb0ES3_PKS6_PS6_S6_ZZZN2at6native31launch_logcumsumexp_cuda_kernelERKNSD_10TensorBaseESH_lENKUlvE_clEvENKUlvE4_clEvEUlS6_S6_E_S6_EEDaPvRmT3_T4_T5_mT6_P12ihipStream_tbENKUlT_T0_E_clISt17integral_constantIbLb1EESY_EEDaST_SU_EUlST_E0_NS1_11comp_targetILNS1_3genE0ELNS1_11target_archE4294967295ELNS1_3gpuE0ELNS1_3repE0EEENS1_30default_config_static_selectorELNS0_4arch9wavefront6targetE0EEEvT1_.kd
    .uniform_work_group_size: 1
    .uses_dynamic_stack: false
    .vgpr_count:     0
    .vgpr_spill_count: 0
    .wavefront_size: 32
    .workgroup_processor_mode: 1
  - .args:
      - .offset:         0
        .size:           32
        .value_kind:     by_value
    .group_segment_fixed_size: 0
    .kernarg_segment_align: 8
    .kernarg_segment_size: 32
    .language:       OpenCL C
    .language_version:
      - 2
      - 0
    .max_flat_workgroup_size: 256
    .name:           _ZN7rocprim17ROCPRIM_400000_NS6detail17trampoline_kernelINS0_14default_configENS1_20scan_config_selectorIN3c108BFloat16EEEZZNS1_9scan_implILNS1_25lookback_scan_determinismE0ELb0ELb0ES3_PKS6_PS6_S6_ZZZN2at6native31launch_logcumsumexp_cuda_kernelERKNSD_10TensorBaseESH_lENKUlvE_clEvENKUlvE4_clEvEUlS6_S6_E_S6_EEDaPvRmT3_T4_T5_mT6_P12ihipStream_tbENKUlT_T0_E_clISt17integral_constantIbLb1EESY_EEDaST_SU_EUlST_E0_NS1_11comp_targetILNS1_3genE5ELNS1_11target_archE942ELNS1_3gpuE9ELNS1_3repE0EEENS1_30default_config_static_selectorELNS0_4arch9wavefront6targetE0EEEvT1_
    .private_segment_fixed_size: 0
    .sgpr_count:     0
    .sgpr_spill_count: 0
    .symbol:         _ZN7rocprim17ROCPRIM_400000_NS6detail17trampoline_kernelINS0_14default_configENS1_20scan_config_selectorIN3c108BFloat16EEEZZNS1_9scan_implILNS1_25lookback_scan_determinismE0ELb0ELb0ES3_PKS6_PS6_S6_ZZZN2at6native31launch_logcumsumexp_cuda_kernelERKNSD_10TensorBaseESH_lENKUlvE_clEvENKUlvE4_clEvEUlS6_S6_E_S6_EEDaPvRmT3_T4_T5_mT6_P12ihipStream_tbENKUlT_T0_E_clISt17integral_constantIbLb1EESY_EEDaST_SU_EUlST_E0_NS1_11comp_targetILNS1_3genE5ELNS1_11target_archE942ELNS1_3gpuE9ELNS1_3repE0EEENS1_30default_config_static_selectorELNS0_4arch9wavefront6targetE0EEEvT1_.kd
    .uniform_work_group_size: 1
    .uses_dynamic_stack: false
    .vgpr_count:     0
    .vgpr_spill_count: 0
    .wavefront_size: 32
    .workgroup_processor_mode: 1
  - .args:
      - .offset:         0
        .size:           32
        .value_kind:     by_value
    .group_segment_fixed_size: 0
    .kernarg_segment_align: 8
    .kernarg_segment_size: 32
    .language:       OpenCL C
    .language_version:
      - 2
      - 0
    .max_flat_workgroup_size: 64
    .name:           _ZN7rocprim17ROCPRIM_400000_NS6detail17trampoline_kernelINS0_14default_configENS1_20scan_config_selectorIN3c108BFloat16EEEZZNS1_9scan_implILNS1_25lookback_scan_determinismE0ELb0ELb0ES3_PKS6_PS6_S6_ZZZN2at6native31launch_logcumsumexp_cuda_kernelERKNSD_10TensorBaseESH_lENKUlvE_clEvENKUlvE4_clEvEUlS6_S6_E_S6_EEDaPvRmT3_T4_T5_mT6_P12ihipStream_tbENKUlT_T0_E_clISt17integral_constantIbLb1EESY_EEDaST_SU_EUlST_E0_NS1_11comp_targetILNS1_3genE4ELNS1_11target_archE910ELNS1_3gpuE8ELNS1_3repE0EEENS1_30default_config_static_selectorELNS0_4arch9wavefront6targetE0EEEvT1_
    .private_segment_fixed_size: 0
    .sgpr_count:     0
    .sgpr_spill_count: 0
    .symbol:         _ZN7rocprim17ROCPRIM_400000_NS6detail17trampoline_kernelINS0_14default_configENS1_20scan_config_selectorIN3c108BFloat16EEEZZNS1_9scan_implILNS1_25lookback_scan_determinismE0ELb0ELb0ES3_PKS6_PS6_S6_ZZZN2at6native31launch_logcumsumexp_cuda_kernelERKNSD_10TensorBaseESH_lENKUlvE_clEvENKUlvE4_clEvEUlS6_S6_E_S6_EEDaPvRmT3_T4_T5_mT6_P12ihipStream_tbENKUlT_T0_E_clISt17integral_constantIbLb1EESY_EEDaST_SU_EUlST_E0_NS1_11comp_targetILNS1_3genE4ELNS1_11target_archE910ELNS1_3gpuE8ELNS1_3repE0EEENS1_30default_config_static_selectorELNS0_4arch9wavefront6targetE0EEEvT1_.kd
    .uniform_work_group_size: 1
    .uses_dynamic_stack: false
    .vgpr_count:     0
    .vgpr_spill_count: 0
    .wavefront_size: 32
    .workgroup_processor_mode: 1
  - .args:
      - .offset:         0
        .size:           32
        .value_kind:     by_value
    .group_segment_fixed_size: 0
    .kernarg_segment_align: 8
    .kernarg_segment_size: 32
    .language:       OpenCL C
    .language_version:
      - 2
      - 0
    .max_flat_workgroup_size: 128
    .name:           _ZN7rocprim17ROCPRIM_400000_NS6detail17trampoline_kernelINS0_14default_configENS1_20scan_config_selectorIN3c108BFloat16EEEZZNS1_9scan_implILNS1_25lookback_scan_determinismE0ELb0ELb0ES3_PKS6_PS6_S6_ZZZN2at6native31launch_logcumsumexp_cuda_kernelERKNSD_10TensorBaseESH_lENKUlvE_clEvENKUlvE4_clEvEUlS6_S6_E_S6_EEDaPvRmT3_T4_T5_mT6_P12ihipStream_tbENKUlT_T0_E_clISt17integral_constantIbLb1EESY_EEDaST_SU_EUlST_E0_NS1_11comp_targetILNS1_3genE3ELNS1_11target_archE908ELNS1_3gpuE7ELNS1_3repE0EEENS1_30default_config_static_selectorELNS0_4arch9wavefront6targetE0EEEvT1_
    .private_segment_fixed_size: 0
    .sgpr_count:     0
    .sgpr_spill_count: 0
    .symbol:         _ZN7rocprim17ROCPRIM_400000_NS6detail17trampoline_kernelINS0_14default_configENS1_20scan_config_selectorIN3c108BFloat16EEEZZNS1_9scan_implILNS1_25lookback_scan_determinismE0ELb0ELb0ES3_PKS6_PS6_S6_ZZZN2at6native31launch_logcumsumexp_cuda_kernelERKNSD_10TensorBaseESH_lENKUlvE_clEvENKUlvE4_clEvEUlS6_S6_E_S6_EEDaPvRmT3_T4_T5_mT6_P12ihipStream_tbENKUlT_T0_E_clISt17integral_constantIbLb1EESY_EEDaST_SU_EUlST_E0_NS1_11comp_targetILNS1_3genE3ELNS1_11target_archE908ELNS1_3gpuE7ELNS1_3repE0EEENS1_30default_config_static_selectorELNS0_4arch9wavefront6targetE0EEEvT1_.kd
    .uniform_work_group_size: 1
    .uses_dynamic_stack: false
    .vgpr_count:     0
    .vgpr_spill_count: 0
    .wavefront_size: 32
    .workgroup_processor_mode: 1
  - .args:
      - .offset:         0
        .size:           32
        .value_kind:     by_value
    .group_segment_fixed_size: 0
    .kernarg_segment_align: 8
    .kernarg_segment_size: 32
    .language:       OpenCL C
    .language_version:
      - 2
      - 0
    .max_flat_workgroup_size: 256
    .name:           _ZN7rocprim17ROCPRIM_400000_NS6detail17trampoline_kernelINS0_14default_configENS1_20scan_config_selectorIN3c108BFloat16EEEZZNS1_9scan_implILNS1_25lookback_scan_determinismE0ELb0ELb0ES3_PKS6_PS6_S6_ZZZN2at6native31launch_logcumsumexp_cuda_kernelERKNSD_10TensorBaseESH_lENKUlvE_clEvENKUlvE4_clEvEUlS6_S6_E_S6_EEDaPvRmT3_T4_T5_mT6_P12ihipStream_tbENKUlT_T0_E_clISt17integral_constantIbLb1EESY_EEDaST_SU_EUlST_E0_NS1_11comp_targetILNS1_3genE2ELNS1_11target_archE906ELNS1_3gpuE6ELNS1_3repE0EEENS1_30default_config_static_selectorELNS0_4arch9wavefront6targetE0EEEvT1_
    .private_segment_fixed_size: 0
    .sgpr_count:     0
    .sgpr_spill_count: 0
    .symbol:         _ZN7rocprim17ROCPRIM_400000_NS6detail17trampoline_kernelINS0_14default_configENS1_20scan_config_selectorIN3c108BFloat16EEEZZNS1_9scan_implILNS1_25lookback_scan_determinismE0ELb0ELb0ES3_PKS6_PS6_S6_ZZZN2at6native31launch_logcumsumexp_cuda_kernelERKNSD_10TensorBaseESH_lENKUlvE_clEvENKUlvE4_clEvEUlS6_S6_E_S6_EEDaPvRmT3_T4_T5_mT6_P12ihipStream_tbENKUlT_T0_E_clISt17integral_constantIbLb1EESY_EEDaST_SU_EUlST_E0_NS1_11comp_targetILNS1_3genE2ELNS1_11target_archE906ELNS1_3gpuE6ELNS1_3repE0EEENS1_30default_config_static_selectorELNS0_4arch9wavefront6targetE0EEEvT1_.kd
    .uniform_work_group_size: 1
    .uses_dynamic_stack: false
    .vgpr_count:     0
    .vgpr_spill_count: 0
    .wavefront_size: 32
    .workgroup_processor_mode: 1
  - .args:
      - .offset:         0
        .size:           32
        .value_kind:     by_value
    .group_segment_fixed_size: 6144
    .kernarg_segment_align: 8
    .kernarg_segment_size: 32
    .language:       OpenCL C
    .language_version:
      - 2
      - 0
    .max_flat_workgroup_size: 256
    .name:           _ZN7rocprim17ROCPRIM_400000_NS6detail17trampoline_kernelINS0_14default_configENS1_20scan_config_selectorIN3c108BFloat16EEEZZNS1_9scan_implILNS1_25lookback_scan_determinismE0ELb0ELb0ES3_PKS6_PS6_S6_ZZZN2at6native31launch_logcumsumexp_cuda_kernelERKNSD_10TensorBaseESH_lENKUlvE_clEvENKUlvE4_clEvEUlS6_S6_E_S6_EEDaPvRmT3_T4_T5_mT6_P12ihipStream_tbENKUlT_T0_E_clISt17integral_constantIbLb1EESY_EEDaST_SU_EUlST_E0_NS1_11comp_targetILNS1_3genE10ELNS1_11target_archE1201ELNS1_3gpuE5ELNS1_3repE0EEENS1_30default_config_static_selectorELNS0_4arch9wavefront6targetE0EEEvT1_
    .private_segment_fixed_size: 0
    .sgpr_count:     32
    .sgpr_spill_count: 0
    .symbol:         _ZN7rocprim17ROCPRIM_400000_NS6detail17trampoline_kernelINS0_14default_configENS1_20scan_config_selectorIN3c108BFloat16EEEZZNS1_9scan_implILNS1_25lookback_scan_determinismE0ELb0ELb0ES3_PKS6_PS6_S6_ZZZN2at6native31launch_logcumsumexp_cuda_kernelERKNSD_10TensorBaseESH_lENKUlvE_clEvENKUlvE4_clEvEUlS6_S6_E_S6_EEDaPvRmT3_T4_T5_mT6_P12ihipStream_tbENKUlT_T0_E_clISt17integral_constantIbLb1EESY_EEDaST_SU_EUlST_E0_NS1_11comp_targetILNS1_3genE10ELNS1_11target_archE1201ELNS1_3gpuE5ELNS1_3repE0EEENS1_30default_config_static_selectorELNS0_4arch9wavefront6targetE0EEEvT1_.kd
    .uniform_work_group_size: 1
    .uses_dynamic_stack: false
    .vgpr_count:     49
    .vgpr_spill_count: 0
    .wavefront_size: 32
    .workgroup_processor_mode: 1
  - .args:
      - .offset:         0
        .size:           32
        .value_kind:     by_value
    .group_segment_fixed_size: 0
    .kernarg_segment_align: 8
    .kernarg_segment_size: 32
    .language:       OpenCL C
    .language_version:
      - 2
      - 0
    .max_flat_workgroup_size: 256
    .name:           _ZN7rocprim17ROCPRIM_400000_NS6detail17trampoline_kernelINS0_14default_configENS1_20scan_config_selectorIN3c108BFloat16EEEZZNS1_9scan_implILNS1_25lookback_scan_determinismE0ELb0ELb0ES3_PKS6_PS6_S6_ZZZN2at6native31launch_logcumsumexp_cuda_kernelERKNSD_10TensorBaseESH_lENKUlvE_clEvENKUlvE4_clEvEUlS6_S6_E_S6_EEDaPvRmT3_T4_T5_mT6_P12ihipStream_tbENKUlT_T0_E_clISt17integral_constantIbLb1EESY_EEDaST_SU_EUlST_E0_NS1_11comp_targetILNS1_3genE10ELNS1_11target_archE1200ELNS1_3gpuE4ELNS1_3repE0EEENS1_30default_config_static_selectorELNS0_4arch9wavefront6targetE0EEEvT1_
    .private_segment_fixed_size: 0
    .sgpr_count:     0
    .sgpr_spill_count: 0
    .symbol:         _ZN7rocprim17ROCPRIM_400000_NS6detail17trampoline_kernelINS0_14default_configENS1_20scan_config_selectorIN3c108BFloat16EEEZZNS1_9scan_implILNS1_25lookback_scan_determinismE0ELb0ELb0ES3_PKS6_PS6_S6_ZZZN2at6native31launch_logcumsumexp_cuda_kernelERKNSD_10TensorBaseESH_lENKUlvE_clEvENKUlvE4_clEvEUlS6_S6_E_S6_EEDaPvRmT3_T4_T5_mT6_P12ihipStream_tbENKUlT_T0_E_clISt17integral_constantIbLb1EESY_EEDaST_SU_EUlST_E0_NS1_11comp_targetILNS1_3genE10ELNS1_11target_archE1200ELNS1_3gpuE4ELNS1_3repE0EEENS1_30default_config_static_selectorELNS0_4arch9wavefront6targetE0EEEvT1_.kd
    .uniform_work_group_size: 1
    .uses_dynamic_stack: false
    .vgpr_count:     0
    .vgpr_spill_count: 0
    .wavefront_size: 32
    .workgroup_processor_mode: 1
  - .args:
      - .offset:         0
        .size:           32
        .value_kind:     by_value
    .group_segment_fixed_size: 0
    .kernarg_segment_align: 8
    .kernarg_segment_size: 32
    .language:       OpenCL C
    .language_version:
      - 2
      - 0
    .max_flat_workgroup_size: 64
    .name:           _ZN7rocprim17ROCPRIM_400000_NS6detail17trampoline_kernelINS0_14default_configENS1_20scan_config_selectorIN3c108BFloat16EEEZZNS1_9scan_implILNS1_25lookback_scan_determinismE0ELb0ELb0ES3_PKS6_PS6_S6_ZZZN2at6native31launch_logcumsumexp_cuda_kernelERKNSD_10TensorBaseESH_lENKUlvE_clEvENKUlvE4_clEvEUlS6_S6_E_S6_EEDaPvRmT3_T4_T5_mT6_P12ihipStream_tbENKUlT_T0_E_clISt17integral_constantIbLb1EESY_EEDaST_SU_EUlST_E0_NS1_11comp_targetILNS1_3genE9ELNS1_11target_archE1100ELNS1_3gpuE3ELNS1_3repE0EEENS1_30default_config_static_selectorELNS0_4arch9wavefront6targetE0EEEvT1_
    .private_segment_fixed_size: 0
    .sgpr_count:     0
    .sgpr_spill_count: 0
    .symbol:         _ZN7rocprim17ROCPRIM_400000_NS6detail17trampoline_kernelINS0_14default_configENS1_20scan_config_selectorIN3c108BFloat16EEEZZNS1_9scan_implILNS1_25lookback_scan_determinismE0ELb0ELb0ES3_PKS6_PS6_S6_ZZZN2at6native31launch_logcumsumexp_cuda_kernelERKNSD_10TensorBaseESH_lENKUlvE_clEvENKUlvE4_clEvEUlS6_S6_E_S6_EEDaPvRmT3_T4_T5_mT6_P12ihipStream_tbENKUlT_T0_E_clISt17integral_constantIbLb1EESY_EEDaST_SU_EUlST_E0_NS1_11comp_targetILNS1_3genE9ELNS1_11target_archE1100ELNS1_3gpuE3ELNS1_3repE0EEENS1_30default_config_static_selectorELNS0_4arch9wavefront6targetE0EEEvT1_.kd
    .uniform_work_group_size: 1
    .uses_dynamic_stack: false
    .vgpr_count:     0
    .vgpr_spill_count: 0
    .wavefront_size: 32
    .workgroup_processor_mode: 1
  - .args:
      - .offset:         0
        .size:           32
        .value_kind:     by_value
    .group_segment_fixed_size: 0
    .kernarg_segment_align: 8
    .kernarg_segment_size: 32
    .language:       OpenCL C
    .language_version:
      - 2
      - 0
    .max_flat_workgroup_size: 64
    .name:           _ZN7rocprim17ROCPRIM_400000_NS6detail17trampoline_kernelINS0_14default_configENS1_20scan_config_selectorIN3c108BFloat16EEEZZNS1_9scan_implILNS1_25lookback_scan_determinismE0ELb0ELb0ES3_PKS6_PS6_S6_ZZZN2at6native31launch_logcumsumexp_cuda_kernelERKNSD_10TensorBaseESH_lENKUlvE_clEvENKUlvE4_clEvEUlS6_S6_E_S6_EEDaPvRmT3_T4_T5_mT6_P12ihipStream_tbENKUlT_T0_E_clISt17integral_constantIbLb1EESY_EEDaST_SU_EUlST_E0_NS1_11comp_targetILNS1_3genE8ELNS1_11target_archE1030ELNS1_3gpuE2ELNS1_3repE0EEENS1_30default_config_static_selectorELNS0_4arch9wavefront6targetE0EEEvT1_
    .private_segment_fixed_size: 0
    .sgpr_count:     0
    .sgpr_spill_count: 0
    .symbol:         _ZN7rocprim17ROCPRIM_400000_NS6detail17trampoline_kernelINS0_14default_configENS1_20scan_config_selectorIN3c108BFloat16EEEZZNS1_9scan_implILNS1_25lookback_scan_determinismE0ELb0ELb0ES3_PKS6_PS6_S6_ZZZN2at6native31launch_logcumsumexp_cuda_kernelERKNSD_10TensorBaseESH_lENKUlvE_clEvENKUlvE4_clEvEUlS6_S6_E_S6_EEDaPvRmT3_T4_T5_mT6_P12ihipStream_tbENKUlT_T0_E_clISt17integral_constantIbLb1EESY_EEDaST_SU_EUlST_E0_NS1_11comp_targetILNS1_3genE8ELNS1_11target_archE1030ELNS1_3gpuE2ELNS1_3repE0EEENS1_30default_config_static_selectorELNS0_4arch9wavefront6targetE0EEEvT1_.kd
    .uniform_work_group_size: 1
    .uses_dynamic_stack: false
    .vgpr_count:     0
    .vgpr_spill_count: 0
    .wavefront_size: 32
    .workgroup_processor_mode: 1
  - .args:
      - .address_space:  global
        .offset:         0
        .size:           8
        .value_kind:     global_buffer
      - .offset:         8
        .size:           4
        .value_kind:     by_value
      - .offset:         12
        .size:           1
        .value_kind:     by_value
      - .offset:         16
        .size:           4
        .value_kind:     by_value
      - .address_space:  global
        .offset:         24
        .size:           8
        .value_kind:     global_buffer
      - .offset:         32
        .size:           4
        .value_kind:     hidden_block_count_x
      - .offset:         36
        .size:           4
        .value_kind:     hidden_block_count_y
      - .offset:         40
        .size:           4
        .value_kind:     hidden_block_count_z
      - .offset:         44
        .size:           2
        .value_kind:     hidden_group_size_x
      - .offset:         46
        .size:           2
        .value_kind:     hidden_group_size_y
      - .offset:         48
        .size:           2
        .value_kind:     hidden_group_size_z
      - .offset:         50
        .size:           2
        .value_kind:     hidden_remainder_x
      - .offset:         52
        .size:           2
        .value_kind:     hidden_remainder_y
      - .offset:         54
        .size:           2
        .value_kind:     hidden_remainder_z
      - .offset:         72
        .size:           8
        .value_kind:     hidden_global_offset_x
      - .offset:         80
        .size:           8
        .value_kind:     hidden_global_offset_y
      - .offset:         88
        .size:           8
        .value_kind:     hidden_global_offset_z
      - .offset:         96
        .size:           2
        .value_kind:     hidden_grid_dims
    .group_segment_fixed_size: 0
    .kernarg_segment_align: 8
    .kernarg_segment_size: 288
    .language:       OpenCL C
    .language_version:
      - 2
      - 0
    .max_flat_workgroup_size: 256
    .name:           _ZN7rocprim17ROCPRIM_400000_NS6detail31init_lookback_scan_state_kernelINS1_19lookback_scan_stateIN3c108BFloat16ELb1ELb1EEENS1_16block_id_wrapperIjLb0EEEEEvT_jT0_jPNS9_10value_typeE
    .private_segment_fixed_size: 0
    .sgpr_count:     12
    .sgpr_spill_count: 0
    .symbol:         _ZN7rocprim17ROCPRIM_400000_NS6detail31init_lookback_scan_state_kernelINS1_19lookback_scan_stateIN3c108BFloat16ELb1ELb1EEENS1_16block_id_wrapperIjLb0EEEEEvT_jT0_jPNS9_10value_typeE.kd
    .uniform_work_group_size: 1
    .uses_dynamic_stack: false
    .vgpr_count:     5
    .vgpr_spill_count: 0
    .wavefront_size: 32
    .workgroup_processor_mode: 1
  - .args:
      - .offset:         0
        .size:           96
        .value_kind:     by_value
    .group_segment_fixed_size: 0
    .kernarg_segment_align: 8
    .kernarg_segment_size: 96
    .language:       OpenCL C
    .language_version:
      - 2
      - 0
    .max_flat_workgroup_size: 128
    .name:           _ZN7rocprim17ROCPRIM_400000_NS6detail17trampoline_kernelINS0_14default_configENS1_20scan_config_selectorIN3c108BFloat16EEEZZNS1_9scan_implILNS1_25lookback_scan_determinismE0ELb0ELb0ES3_PKS6_PS6_S6_ZZZN2at6native31launch_logcumsumexp_cuda_kernelERKNSD_10TensorBaseESH_lENKUlvE_clEvENKUlvE4_clEvEUlS6_S6_E_S6_EEDaPvRmT3_T4_T5_mT6_P12ihipStream_tbENKUlT_T0_E_clISt17integral_constantIbLb1EESX_IbLb0EEEEDaST_SU_EUlST_E_NS1_11comp_targetILNS1_3genE0ELNS1_11target_archE4294967295ELNS1_3gpuE0ELNS1_3repE0EEENS1_30default_config_static_selectorELNS0_4arch9wavefront6targetE0EEEvT1_
    .private_segment_fixed_size: 0
    .sgpr_count:     0
    .sgpr_spill_count: 0
    .symbol:         _ZN7rocprim17ROCPRIM_400000_NS6detail17trampoline_kernelINS0_14default_configENS1_20scan_config_selectorIN3c108BFloat16EEEZZNS1_9scan_implILNS1_25lookback_scan_determinismE0ELb0ELb0ES3_PKS6_PS6_S6_ZZZN2at6native31launch_logcumsumexp_cuda_kernelERKNSD_10TensorBaseESH_lENKUlvE_clEvENKUlvE4_clEvEUlS6_S6_E_S6_EEDaPvRmT3_T4_T5_mT6_P12ihipStream_tbENKUlT_T0_E_clISt17integral_constantIbLb1EESX_IbLb0EEEEDaST_SU_EUlST_E_NS1_11comp_targetILNS1_3genE0ELNS1_11target_archE4294967295ELNS1_3gpuE0ELNS1_3repE0EEENS1_30default_config_static_selectorELNS0_4arch9wavefront6targetE0EEEvT1_.kd
    .uniform_work_group_size: 1
    .uses_dynamic_stack: false
    .vgpr_count:     0
    .vgpr_spill_count: 0
    .wavefront_size: 32
    .workgroup_processor_mode: 1
  - .args:
      - .offset:         0
        .size:           96
        .value_kind:     by_value
    .group_segment_fixed_size: 0
    .kernarg_segment_align: 8
    .kernarg_segment_size: 96
    .language:       OpenCL C
    .language_version:
      - 2
      - 0
    .max_flat_workgroup_size: 256
    .name:           _ZN7rocprim17ROCPRIM_400000_NS6detail17trampoline_kernelINS0_14default_configENS1_20scan_config_selectorIN3c108BFloat16EEEZZNS1_9scan_implILNS1_25lookback_scan_determinismE0ELb0ELb0ES3_PKS6_PS6_S6_ZZZN2at6native31launch_logcumsumexp_cuda_kernelERKNSD_10TensorBaseESH_lENKUlvE_clEvENKUlvE4_clEvEUlS6_S6_E_S6_EEDaPvRmT3_T4_T5_mT6_P12ihipStream_tbENKUlT_T0_E_clISt17integral_constantIbLb1EESX_IbLb0EEEEDaST_SU_EUlST_E_NS1_11comp_targetILNS1_3genE5ELNS1_11target_archE942ELNS1_3gpuE9ELNS1_3repE0EEENS1_30default_config_static_selectorELNS0_4arch9wavefront6targetE0EEEvT1_
    .private_segment_fixed_size: 0
    .sgpr_count:     0
    .sgpr_spill_count: 0
    .symbol:         _ZN7rocprim17ROCPRIM_400000_NS6detail17trampoline_kernelINS0_14default_configENS1_20scan_config_selectorIN3c108BFloat16EEEZZNS1_9scan_implILNS1_25lookback_scan_determinismE0ELb0ELb0ES3_PKS6_PS6_S6_ZZZN2at6native31launch_logcumsumexp_cuda_kernelERKNSD_10TensorBaseESH_lENKUlvE_clEvENKUlvE4_clEvEUlS6_S6_E_S6_EEDaPvRmT3_T4_T5_mT6_P12ihipStream_tbENKUlT_T0_E_clISt17integral_constantIbLb1EESX_IbLb0EEEEDaST_SU_EUlST_E_NS1_11comp_targetILNS1_3genE5ELNS1_11target_archE942ELNS1_3gpuE9ELNS1_3repE0EEENS1_30default_config_static_selectorELNS0_4arch9wavefront6targetE0EEEvT1_.kd
    .uniform_work_group_size: 1
    .uses_dynamic_stack: false
    .vgpr_count:     0
    .vgpr_spill_count: 0
    .wavefront_size: 32
    .workgroup_processor_mode: 1
  - .args:
      - .offset:         0
        .size:           96
        .value_kind:     by_value
    .group_segment_fixed_size: 0
    .kernarg_segment_align: 8
    .kernarg_segment_size: 96
    .language:       OpenCL C
    .language_version:
      - 2
      - 0
    .max_flat_workgroup_size: 64
    .name:           _ZN7rocprim17ROCPRIM_400000_NS6detail17trampoline_kernelINS0_14default_configENS1_20scan_config_selectorIN3c108BFloat16EEEZZNS1_9scan_implILNS1_25lookback_scan_determinismE0ELb0ELb0ES3_PKS6_PS6_S6_ZZZN2at6native31launch_logcumsumexp_cuda_kernelERKNSD_10TensorBaseESH_lENKUlvE_clEvENKUlvE4_clEvEUlS6_S6_E_S6_EEDaPvRmT3_T4_T5_mT6_P12ihipStream_tbENKUlT_T0_E_clISt17integral_constantIbLb1EESX_IbLb0EEEEDaST_SU_EUlST_E_NS1_11comp_targetILNS1_3genE4ELNS1_11target_archE910ELNS1_3gpuE8ELNS1_3repE0EEENS1_30default_config_static_selectorELNS0_4arch9wavefront6targetE0EEEvT1_
    .private_segment_fixed_size: 0
    .sgpr_count:     0
    .sgpr_spill_count: 0
    .symbol:         _ZN7rocprim17ROCPRIM_400000_NS6detail17trampoline_kernelINS0_14default_configENS1_20scan_config_selectorIN3c108BFloat16EEEZZNS1_9scan_implILNS1_25lookback_scan_determinismE0ELb0ELb0ES3_PKS6_PS6_S6_ZZZN2at6native31launch_logcumsumexp_cuda_kernelERKNSD_10TensorBaseESH_lENKUlvE_clEvENKUlvE4_clEvEUlS6_S6_E_S6_EEDaPvRmT3_T4_T5_mT6_P12ihipStream_tbENKUlT_T0_E_clISt17integral_constantIbLb1EESX_IbLb0EEEEDaST_SU_EUlST_E_NS1_11comp_targetILNS1_3genE4ELNS1_11target_archE910ELNS1_3gpuE8ELNS1_3repE0EEENS1_30default_config_static_selectorELNS0_4arch9wavefront6targetE0EEEvT1_.kd
    .uniform_work_group_size: 1
    .uses_dynamic_stack: false
    .vgpr_count:     0
    .vgpr_spill_count: 0
    .wavefront_size: 32
    .workgroup_processor_mode: 1
  - .args:
      - .offset:         0
        .size:           96
        .value_kind:     by_value
    .group_segment_fixed_size: 0
    .kernarg_segment_align: 8
    .kernarg_segment_size: 96
    .language:       OpenCL C
    .language_version:
      - 2
      - 0
    .max_flat_workgroup_size: 128
    .name:           _ZN7rocprim17ROCPRIM_400000_NS6detail17trampoline_kernelINS0_14default_configENS1_20scan_config_selectorIN3c108BFloat16EEEZZNS1_9scan_implILNS1_25lookback_scan_determinismE0ELb0ELb0ES3_PKS6_PS6_S6_ZZZN2at6native31launch_logcumsumexp_cuda_kernelERKNSD_10TensorBaseESH_lENKUlvE_clEvENKUlvE4_clEvEUlS6_S6_E_S6_EEDaPvRmT3_T4_T5_mT6_P12ihipStream_tbENKUlT_T0_E_clISt17integral_constantIbLb1EESX_IbLb0EEEEDaST_SU_EUlST_E_NS1_11comp_targetILNS1_3genE3ELNS1_11target_archE908ELNS1_3gpuE7ELNS1_3repE0EEENS1_30default_config_static_selectorELNS0_4arch9wavefront6targetE0EEEvT1_
    .private_segment_fixed_size: 0
    .sgpr_count:     0
    .sgpr_spill_count: 0
    .symbol:         _ZN7rocprim17ROCPRIM_400000_NS6detail17trampoline_kernelINS0_14default_configENS1_20scan_config_selectorIN3c108BFloat16EEEZZNS1_9scan_implILNS1_25lookback_scan_determinismE0ELb0ELb0ES3_PKS6_PS6_S6_ZZZN2at6native31launch_logcumsumexp_cuda_kernelERKNSD_10TensorBaseESH_lENKUlvE_clEvENKUlvE4_clEvEUlS6_S6_E_S6_EEDaPvRmT3_T4_T5_mT6_P12ihipStream_tbENKUlT_T0_E_clISt17integral_constantIbLb1EESX_IbLb0EEEEDaST_SU_EUlST_E_NS1_11comp_targetILNS1_3genE3ELNS1_11target_archE908ELNS1_3gpuE7ELNS1_3repE0EEENS1_30default_config_static_selectorELNS0_4arch9wavefront6targetE0EEEvT1_.kd
    .uniform_work_group_size: 1
    .uses_dynamic_stack: false
    .vgpr_count:     0
    .vgpr_spill_count: 0
    .wavefront_size: 32
    .workgroup_processor_mode: 1
  - .args:
      - .offset:         0
        .size:           96
        .value_kind:     by_value
    .group_segment_fixed_size: 0
    .kernarg_segment_align: 8
    .kernarg_segment_size: 96
    .language:       OpenCL C
    .language_version:
      - 2
      - 0
    .max_flat_workgroup_size: 256
    .name:           _ZN7rocprim17ROCPRIM_400000_NS6detail17trampoline_kernelINS0_14default_configENS1_20scan_config_selectorIN3c108BFloat16EEEZZNS1_9scan_implILNS1_25lookback_scan_determinismE0ELb0ELb0ES3_PKS6_PS6_S6_ZZZN2at6native31launch_logcumsumexp_cuda_kernelERKNSD_10TensorBaseESH_lENKUlvE_clEvENKUlvE4_clEvEUlS6_S6_E_S6_EEDaPvRmT3_T4_T5_mT6_P12ihipStream_tbENKUlT_T0_E_clISt17integral_constantIbLb1EESX_IbLb0EEEEDaST_SU_EUlST_E_NS1_11comp_targetILNS1_3genE2ELNS1_11target_archE906ELNS1_3gpuE6ELNS1_3repE0EEENS1_30default_config_static_selectorELNS0_4arch9wavefront6targetE0EEEvT1_
    .private_segment_fixed_size: 0
    .sgpr_count:     0
    .sgpr_spill_count: 0
    .symbol:         _ZN7rocprim17ROCPRIM_400000_NS6detail17trampoline_kernelINS0_14default_configENS1_20scan_config_selectorIN3c108BFloat16EEEZZNS1_9scan_implILNS1_25lookback_scan_determinismE0ELb0ELb0ES3_PKS6_PS6_S6_ZZZN2at6native31launch_logcumsumexp_cuda_kernelERKNSD_10TensorBaseESH_lENKUlvE_clEvENKUlvE4_clEvEUlS6_S6_E_S6_EEDaPvRmT3_T4_T5_mT6_P12ihipStream_tbENKUlT_T0_E_clISt17integral_constantIbLb1EESX_IbLb0EEEEDaST_SU_EUlST_E_NS1_11comp_targetILNS1_3genE2ELNS1_11target_archE906ELNS1_3gpuE6ELNS1_3repE0EEENS1_30default_config_static_selectorELNS0_4arch9wavefront6targetE0EEEvT1_.kd
    .uniform_work_group_size: 1
    .uses_dynamic_stack: false
    .vgpr_count:     0
    .vgpr_spill_count: 0
    .wavefront_size: 32
    .workgroup_processor_mode: 1
  - .args:
      - .offset:         0
        .size:           96
        .value_kind:     by_value
    .group_segment_fixed_size: 0
    .kernarg_segment_align: 8
    .kernarg_segment_size: 96
    .language:       OpenCL C
    .language_version:
      - 2
      - 0
    .max_flat_workgroup_size: 256
    .name:           _ZN7rocprim17ROCPRIM_400000_NS6detail17trampoline_kernelINS0_14default_configENS1_20scan_config_selectorIN3c108BFloat16EEEZZNS1_9scan_implILNS1_25lookback_scan_determinismE0ELb0ELb0ES3_PKS6_PS6_S6_ZZZN2at6native31launch_logcumsumexp_cuda_kernelERKNSD_10TensorBaseESH_lENKUlvE_clEvENKUlvE4_clEvEUlS6_S6_E_S6_EEDaPvRmT3_T4_T5_mT6_P12ihipStream_tbENKUlT_T0_E_clISt17integral_constantIbLb1EESX_IbLb0EEEEDaST_SU_EUlST_E_NS1_11comp_targetILNS1_3genE10ELNS1_11target_archE1201ELNS1_3gpuE5ELNS1_3repE0EEENS1_30default_config_static_selectorELNS0_4arch9wavefront6targetE0EEEvT1_
    .private_segment_fixed_size: 0
    .sgpr_count:     0
    .sgpr_spill_count: 0
    .symbol:         _ZN7rocprim17ROCPRIM_400000_NS6detail17trampoline_kernelINS0_14default_configENS1_20scan_config_selectorIN3c108BFloat16EEEZZNS1_9scan_implILNS1_25lookback_scan_determinismE0ELb0ELb0ES3_PKS6_PS6_S6_ZZZN2at6native31launch_logcumsumexp_cuda_kernelERKNSD_10TensorBaseESH_lENKUlvE_clEvENKUlvE4_clEvEUlS6_S6_E_S6_EEDaPvRmT3_T4_T5_mT6_P12ihipStream_tbENKUlT_T0_E_clISt17integral_constantIbLb1EESX_IbLb0EEEEDaST_SU_EUlST_E_NS1_11comp_targetILNS1_3genE10ELNS1_11target_archE1201ELNS1_3gpuE5ELNS1_3repE0EEENS1_30default_config_static_selectorELNS0_4arch9wavefront6targetE0EEEvT1_.kd
    .uniform_work_group_size: 1
    .uses_dynamic_stack: false
    .vgpr_count:     0
    .vgpr_spill_count: 0
    .wavefront_size: 32
    .workgroup_processor_mode: 1
  - .args:
      - .offset:         0
        .size:           96
        .value_kind:     by_value
    .group_segment_fixed_size: 0
    .kernarg_segment_align: 8
    .kernarg_segment_size: 96
    .language:       OpenCL C
    .language_version:
      - 2
      - 0
    .max_flat_workgroup_size: 256
    .name:           _ZN7rocprim17ROCPRIM_400000_NS6detail17trampoline_kernelINS0_14default_configENS1_20scan_config_selectorIN3c108BFloat16EEEZZNS1_9scan_implILNS1_25lookback_scan_determinismE0ELb0ELb0ES3_PKS6_PS6_S6_ZZZN2at6native31launch_logcumsumexp_cuda_kernelERKNSD_10TensorBaseESH_lENKUlvE_clEvENKUlvE4_clEvEUlS6_S6_E_S6_EEDaPvRmT3_T4_T5_mT6_P12ihipStream_tbENKUlT_T0_E_clISt17integral_constantIbLb1EESX_IbLb0EEEEDaST_SU_EUlST_E_NS1_11comp_targetILNS1_3genE10ELNS1_11target_archE1200ELNS1_3gpuE4ELNS1_3repE0EEENS1_30default_config_static_selectorELNS0_4arch9wavefront6targetE0EEEvT1_
    .private_segment_fixed_size: 0
    .sgpr_count:     0
    .sgpr_spill_count: 0
    .symbol:         _ZN7rocprim17ROCPRIM_400000_NS6detail17trampoline_kernelINS0_14default_configENS1_20scan_config_selectorIN3c108BFloat16EEEZZNS1_9scan_implILNS1_25lookback_scan_determinismE0ELb0ELb0ES3_PKS6_PS6_S6_ZZZN2at6native31launch_logcumsumexp_cuda_kernelERKNSD_10TensorBaseESH_lENKUlvE_clEvENKUlvE4_clEvEUlS6_S6_E_S6_EEDaPvRmT3_T4_T5_mT6_P12ihipStream_tbENKUlT_T0_E_clISt17integral_constantIbLb1EESX_IbLb0EEEEDaST_SU_EUlST_E_NS1_11comp_targetILNS1_3genE10ELNS1_11target_archE1200ELNS1_3gpuE4ELNS1_3repE0EEENS1_30default_config_static_selectorELNS0_4arch9wavefront6targetE0EEEvT1_.kd
    .uniform_work_group_size: 1
    .uses_dynamic_stack: false
    .vgpr_count:     0
    .vgpr_spill_count: 0
    .wavefront_size: 32
    .workgroup_processor_mode: 1
  - .args:
      - .offset:         0
        .size:           96
        .value_kind:     by_value
    .group_segment_fixed_size: 0
    .kernarg_segment_align: 8
    .kernarg_segment_size: 96
    .language:       OpenCL C
    .language_version:
      - 2
      - 0
    .max_flat_workgroup_size: 64
    .name:           _ZN7rocprim17ROCPRIM_400000_NS6detail17trampoline_kernelINS0_14default_configENS1_20scan_config_selectorIN3c108BFloat16EEEZZNS1_9scan_implILNS1_25lookback_scan_determinismE0ELb0ELb0ES3_PKS6_PS6_S6_ZZZN2at6native31launch_logcumsumexp_cuda_kernelERKNSD_10TensorBaseESH_lENKUlvE_clEvENKUlvE4_clEvEUlS6_S6_E_S6_EEDaPvRmT3_T4_T5_mT6_P12ihipStream_tbENKUlT_T0_E_clISt17integral_constantIbLb1EESX_IbLb0EEEEDaST_SU_EUlST_E_NS1_11comp_targetILNS1_3genE9ELNS1_11target_archE1100ELNS1_3gpuE3ELNS1_3repE0EEENS1_30default_config_static_selectorELNS0_4arch9wavefront6targetE0EEEvT1_
    .private_segment_fixed_size: 0
    .sgpr_count:     0
    .sgpr_spill_count: 0
    .symbol:         _ZN7rocprim17ROCPRIM_400000_NS6detail17trampoline_kernelINS0_14default_configENS1_20scan_config_selectorIN3c108BFloat16EEEZZNS1_9scan_implILNS1_25lookback_scan_determinismE0ELb0ELb0ES3_PKS6_PS6_S6_ZZZN2at6native31launch_logcumsumexp_cuda_kernelERKNSD_10TensorBaseESH_lENKUlvE_clEvENKUlvE4_clEvEUlS6_S6_E_S6_EEDaPvRmT3_T4_T5_mT6_P12ihipStream_tbENKUlT_T0_E_clISt17integral_constantIbLb1EESX_IbLb0EEEEDaST_SU_EUlST_E_NS1_11comp_targetILNS1_3genE9ELNS1_11target_archE1100ELNS1_3gpuE3ELNS1_3repE0EEENS1_30default_config_static_selectorELNS0_4arch9wavefront6targetE0EEEvT1_.kd
    .uniform_work_group_size: 1
    .uses_dynamic_stack: false
    .vgpr_count:     0
    .vgpr_spill_count: 0
    .wavefront_size: 32
    .workgroup_processor_mode: 1
  - .args:
      - .offset:         0
        .size:           96
        .value_kind:     by_value
    .group_segment_fixed_size: 0
    .kernarg_segment_align: 8
    .kernarg_segment_size: 96
    .language:       OpenCL C
    .language_version:
      - 2
      - 0
    .max_flat_workgroup_size: 64
    .name:           _ZN7rocprim17ROCPRIM_400000_NS6detail17trampoline_kernelINS0_14default_configENS1_20scan_config_selectorIN3c108BFloat16EEEZZNS1_9scan_implILNS1_25lookback_scan_determinismE0ELb0ELb0ES3_PKS6_PS6_S6_ZZZN2at6native31launch_logcumsumexp_cuda_kernelERKNSD_10TensorBaseESH_lENKUlvE_clEvENKUlvE4_clEvEUlS6_S6_E_S6_EEDaPvRmT3_T4_T5_mT6_P12ihipStream_tbENKUlT_T0_E_clISt17integral_constantIbLb1EESX_IbLb0EEEEDaST_SU_EUlST_E_NS1_11comp_targetILNS1_3genE8ELNS1_11target_archE1030ELNS1_3gpuE2ELNS1_3repE0EEENS1_30default_config_static_selectorELNS0_4arch9wavefront6targetE0EEEvT1_
    .private_segment_fixed_size: 0
    .sgpr_count:     0
    .sgpr_spill_count: 0
    .symbol:         _ZN7rocprim17ROCPRIM_400000_NS6detail17trampoline_kernelINS0_14default_configENS1_20scan_config_selectorIN3c108BFloat16EEEZZNS1_9scan_implILNS1_25lookback_scan_determinismE0ELb0ELb0ES3_PKS6_PS6_S6_ZZZN2at6native31launch_logcumsumexp_cuda_kernelERKNSD_10TensorBaseESH_lENKUlvE_clEvENKUlvE4_clEvEUlS6_S6_E_S6_EEDaPvRmT3_T4_T5_mT6_P12ihipStream_tbENKUlT_T0_E_clISt17integral_constantIbLb1EESX_IbLb0EEEEDaST_SU_EUlST_E_NS1_11comp_targetILNS1_3genE8ELNS1_11target_archE1030ELNS1_3gpuE2ELNS1_3repE0EEENS1_30default_config_static_selectorELNS0_4arch9wavefront6targetE0EEEvT1_.kd
    .uniform_work_group_size: 1
    .uses_dynamic_stack: false
    .vgpr_count:     0
    .vgpr_spill_count: 0
    .wavefront_size: 32
    .workgroup_processor_mode: 1
  - .args:
      - .offset:         0
        .size:           32
        .value_kind:     by_value
    .group_segment_fixed_size: 0
    .kernarg_segment_align: 8
    .kernarg_segment_size: 32
    .language:       OpenCL C
    .language_version:
      - 2
      - 0
    .max_flat_workgroup_size: 128
    .name:           _ZN7rocprim17ROCPRIM_400000_NS6detail17trampoline_kernelINS0_14default_configENS1_20scan_config_selectorIN3c108BFloat16EEEZZNS1_9scan_implILNS1_25lookback_scan_determinismE0ELb0ELb0ES3_PKS6_PS6_S6_ZZZN2at6native31launch_logcumsumexp_cuda_kernelERKNSD_10TensorBaseESH_lENKUlvE_clEvENKUlvE4_clEvEUlS6_S6_E_S6_EEDaPvRmT3_T4_T5_mT6_P12ihipStream_tbENKUlT_T0_E_clISt17integral_constantIbLb1EESX_IbLb0EEEEDaST_SU_EUlST_E0_NS1_11comp_targetILNS1_3genE0ELNS1_11target_archE4294967295ELNS1_3gpuE0ELNS1_3repE0EEENS1_30default_config_static_selectorELNS0_4arch9wavefront6targetE0EEEvT1_
    .private_segment_fixed_size: 0
    .sgpr_count:     0
    .sgpr_spill_count: 0
    .symbol:         _ZN7rocprim17ROCPRIM_400000_NS6detail17trampoline_kernelINS0_14default_configENS1_20scan_config_selectorIN3c108BFloat16EEEZZNS1_9scan_implILNS1_25lookback_scan_determinismE0ELb0ELb0ES3_PKS6_PS6_S6_ZZZN2at6native31launch_logcumsumexp_cuda_kernelERKNSD_10TensorBaseESH_lENKUlvE_clEvENKUlvE4_clEvEUlS6_S6_E_S6_EEDaPvRmT3_T4_T5_mT6_P12ihipStream_tbENKUlT_T0_E_clISt17integral_constantIbLb1EESX_IbLb0EEEEDaST_SU_EUlST_E0_NS1_11comp_targetILNS1_3genE0ELNS1_11target_archE4294967295ELNS1_3gpuE0ELNS1_3repE0EEENS1_30default_config_static_selectorELNS0_4arch9wavefront6targetE0EEEvT1_.kd
    .uniform_work_group_size: 1
    .uses_dynamic_stack: false
    .vgpr_count:     0
    .vgpr_spill_count: 0
    .wavefront_size: 32
    .workgroup_processor_mode: 1
  - .args:
      - .offset:         0
        .size:           32
        .value_kind:     by_value
    .group_segment_fixed_size: 0
    .kernarg_segment_align: 8
    .kernarg_segment_size: 32
    .language:       OpenCL C
    .language_version:
      - 2
      - 0
    .max_flat_workgroup_size: 256
    .name:           _ZN7rocprim17ROCPRIM_400000_NS6detail17trampoline_kernelINS0_14default_configENS1_20scan_config_selectorIN3c108BFloat16EEEZZNS1_9scan_implILNS1_25lookback_scan_determinismE0ELb0ELb0ES3_PKS6_PS6_S6_ZZZN2at6native31launch_logcumsumexp_cuda_kernelERKNSD_10TensorBaseESH_lENKUlvE_clEvENKUlvE4_clEvEUlS6_S6_E_S6_EEDaPvRmT3_T4_T5_mT6_P12ihipStream_tbENKUlT_T0_E_clISt17integral_constantIbLb1EESX_IbLb0EEEEDaST_SU_EUlST_E0_NS1_11comp_targetILNS1_3genE5ELNS1_11target_archE942ELNS1_3gpuE9ELNS1_3repE0EEENS1_30default_config_static_selectorELNS0_4arch9wavefront6targetE0EEEvT1_
    .private_segment_fixed_size: 0
    .sgpr_count:     0
    .sgpr_spill_count: 0
    .symbol:         _ZN7rocprim17ROCPRIM_400000_NS6detail17trampoline_kernelINS0_14default_configENS1_20scan_config_selectorIN3c108BFloat16EEEZZNS1_9scan_implILNS1_25lookback_scan_determinismE0ELb0ELb0ES3_PKS6_PS6_S6_ZZZN2at6native31launch_logcumsumexp_cuda_kernelERKNSD_10TensorBaseESH_lENKUlvE_clEvENKUlvE4_clEvEUlS6_S6_E_S6_EEDaPvRmT3_T4_T5_mT6_P12ihipStream_tbENKUlT_T0_E_clISt17integral_constantIbLb1EESX_IbLb0EEEEDaST_SU_EUlST_E0_NS1_11comp_targetILNS1_3genE5ELNS1_11target_archE942ELNS1_3gpuE9ELNS1_3repE0EEENS1_30default_config_static_selectorELNS0_4arch9wavefront6targetE0EEEvT1_.kd
    .uniform_work_group_size: 1
    .uses_dynamic_stack: false
    .vgpr_count:     0
    .vgpr_spill_count: 0
    .wavefront_size: 32
    .workgroup_processor_mode: 1
  - .args:
      - .offset:         0
        .size:           32
        .value_kind:     by_value
    .group_segment_fixed_size: 0
    .kernarg_segment_align: 8
    .kernarg_segment_size: 32
    .language:       OpenCL C
    .language_version:
      - 2
      - 0
    .max_flat_workgroup_size: 64
    .name:           _ZN7rocprim17ROCPRIM_400000_NS6detail17trampoline_kernelINS0_14default_configENS1_20scan_config_selectorIN3c108BFloat16EEEZZNS1_9scan_implILNS1_25lookback_scan_determinismE0ELb0ELb0ES3_PKS6_PS6_S6_ZZZN2at6native31launch_logcumsumexp_cuda_kernelERKNSD_10TensorBaseESH_lENKUlvE_clEvENKUlvE4_clEvEUlS6_S6_E_S6_EEDaPvRmT3_T4_T5_mT6_P12ihipStream_tbENKUlT_T0_E_clISt17integral_constantIbLb1EESX_IbLb0EEEEDaST_SU_EUlST_E0_NS1_11comp_targetILNS1_3genE4ELNS1_11target_archE910ELNS1_3gpuE8ELNS1_3repE0EEENS1_30default_config_static_selectorELNS0_4arch9wavefront6targetE0EEEvT1_
    .private_segment_fixed_size: 0
    .sgpr_count:     0
    .sgpr_spill_count: 0
    .symbol:         _ZN7rocprim17ROCPRIM_400000_NS6detail17trampoline_kernelINS0_14default_configENS1_20scan_config_selectorIN3c108BFloat16EEEZZNS1_9scan_implILNS1_25lookback_scan_determinismE0ELb0ELb0ES3_PKS6_PS6_S6_ZZZN2at6native31launch_logcumsumexp_cuda_kernelERKNSD_10TensorBaseESH_lENKUlvE_clEvENKUlvE4_clEvEUlS6_S6_E_S6_EEDaPvRmT3_T4_T5_mT6_P12ihipStream_tbENKUlT_T0_E_clISt17integral_constantIbLb1EESX_IbLb0EEEEDaST_SU_EUlST_E0_NS1_11comp_targetILNS1_3genE4ELNS1_11target_archE910ELNS1_3gpuE8ELNS1_3repE0EEENS1_30default_config_static_selectorELNS0_4arch9wavefront6targetE0EEEvT1_.kd
    .uniform_work_group_size: 1
    .uses_dynamic_stack: false
    .vgpr_count:     0
    .vgpr_spill_count: 0
    .wavefront_size: 32
    .workgroup_processor_mode: 1
  - .args:
      - .offset:         0
        .size:           32
        .value_kind:     by_value
    .group_segment_fixed_size: 0
    .kernarg_segment_align: 8
    .kernarg_segment_size: 32
    .language:       OpenCL C
    .language_version:
      - 2
      - 0
    .max_flat_workgroup_size: 128
    .name:           _ZN7rocprim17ROCPRIM_400000_NS6detail17trampoline_kernelINS0_14default_configENS1_20scan_config_selectorIN3c108BFloat16EEEZZNS1_9scan_implILNS1_25lookback_scan_determinismE0ELb0ELb0ES3_PKS6_PS6_S6_ZZZN2at6native31launch_logcumsumexp_cuda_kernelERKNSD_10TensorBaseESH_lENKUlvE_clEvENKUlvE4_clEvEUlS6_S6_E_S6_EEDaPvRmT3_T4_T5_mT6_P12ihipStream_tbENKUlT_T0_E_clISt17integral_constantIbLb1EESX_IbLb0EEEEDaST_SU_EUlST_E0_NS1_11comp_targetILNS1_3genE3ELNS1_11target_archE908ELNS1_3gpuE7ELNS1_3repE0EEENS1_30default_config_static_selectorELNS0_4arch9wavefront6targetE0EEEvT1_
    .private_segment_fixed_size: 0
    .sgpr_count:     0
    .sgpr_spill_count: 0
    .symbol:         _ZN7rocprim17ROCPRIM_400000_NS6detail17trampoline_kernelINS0_14default_configENS1_20scan_config_selectorIN3c108BFloat16EEEZZNS1_9scan_implILNS1_25lookback_scan_determinismE0ELb0ELb0ES3_PKS6_PS6_S6_ZZZN2at6native31launch_logcumsumexp_cuda_kernelERKNSD_10TensorBaseESH_lENKUlvE_clEvENKUlvE4_clEvEUlS6_S6_E_S6_EEDaPvRmT3_T4_T5_mT6_P12ihipStream_tbENKUlT_T0_E_clISt17integral_constantIbLb1EESX_IbLb0EEEEDaST_SU_EUlST_E0_NS1_11comp_targetILNS1_3genE3ELNS1_11target_archE908ELNS1_3gpuE7ELNS1_3repE0EEENS1_30default_config_static_selectorELNS0_4arch9wavefront6targetE0EEEvT1_.kd
    .uniform_work_group_size: 1
    .uses_dynamic_stack: false
    .vgpr_count:     0
    .vgpr_spill_count: 0
    .wavefront_size: 32
    .workgroup_processor_mode: 1
  - .args:
      - .offset:         0
        .size:           32
        .value_kind:     by_value
    .group_segment_fixed_size: 0
    .kernarg_segment_align: 8
    .kernarg_segment_size: 32
    .language:       OpenCL C
    .language_version:
      - 2
      - 0
    .max_flat_workgroup_size: 256
    .name:           _ZN7rocprim17ROCPRIM_400000_NS6detail17trampoline_kernelINS0_14default_configENS1_20scan_config_selectorIN3c108BFloat16EEEZZNS1_9scan_implILNS1_25lookback_scan_determinismE0ELb0ELb0ES3_PKS6_PS6_S6_ZZZN2at6native31launch_logcumsumexp_cuda_kernelERKNSD_10TensorBaseESH_lENKUlvE_clEvENKUlvE4_clEvEUlS6_S6_E_S6_EEDaPvRmT3_T4_T5_mT6_P12ihipStream_tbENKUlT_T0_E_clISt17integral_constantIbLb1EESX_IbLb0EEEEDaST_SU_EUlST_E0_NS1_11comp_targetILNS1_3genE2ELNS1_11target_archE906ELNS1_3gpuE6ELNS1_3repE0EEENS1_30default_config_static_selectorELNS0_4arch9wavefront6targetE0EEEvT1_
    .private_segment_fixed_size: 0
    .sgpr_count:     0
    .sgpr_spill_count: 0
    .symbol:         _ZN7rocprim17ROCPRIM_400000_NS6detail17trampoline_kernelINS0_14default_configENS1_20scan_config_selectorIN3c108BFloat16EEEZZNS1_9scan_implILNS1_25lookback_scan_determinismE0ELb0ELb0ES3_PKS6_PS6_S6_ZZZN2at6native31launch_logcumsumexp_cuda_kernelERKNSD_10TensorBaseESH_lENKUlvE_clEvENKUlvE4_clEvEUlS6_S6_E_S6_EEDaPvRmT3_T4_T5_mT6_P12ihipStream_tbENKUlT_T0_E_clISt17integral_constantIbLb1EESX_IbLb0EEEEDaST_SU_EUlST_E0_NS1_11comp_targetILNS1_3genE2ELNS1_11target_archE906ELNS1_3gpuE6ELNS1_3repE0EEENS1_30default_config_static_selectorELNS0_4arch9wavefront6targetE0EEEvT1_.kd
    .uniform_work_group_size: 1
    .uses_dynamic_stack: false
    .vgpr_count:     0
    .vgpr_spill_count: 0
    .wavefront_size: 32
    .workgroup_processor_mode: 1
  - .args:
      - .offset:         0
        .size:           32
        .value_kind:     by_value
    .group_segment_fixed_size: 6144
    .kernarg_segment_align: 8
    .kernarg_segment_size: 32
    .language:       OpenCL C
    .language_version:
      - 2
      - 0
    .max_flat_workgroup_size: 256
    .name:           _ZN7rocprim17ROCPRIM_400000_NS6detail17trampoline_kernelINS0_14default_configENS1_20scan_config_selectorIN3c108BFloat16EEEZZNS1_9scan_implILNS1_25lookback_scan_determinismE0ELb0ELb0ES3_PKS6_PS6_S6_ZZZN2at6native31launch_logcumsumexp_cuda_kernelERKNSD_10TensorBaseESH_lENKUlvE_clEvENKUlvE4_clEvEUlS6_S6_E_S6_EEDaPvRmT3_T4_T5_mT6_P12ihipStream_tbENKUlT_T0_E_clISt17integral_constantIbLb1EESX_IbLb0EEEEDaST_SU_EUlST_E0_NS1_11comp_targetILNS1_3genE10ELNS1_11target_archE1201ELNS1_3gpuE5ELNS1_3repE0EEENS1_30default_config_static_selectorELNS0_4arch9wavefront6targetE0EEEvT1_
    .private_segment_fixed_size: 0
    .sgpr_count:     32
    .sgpr_spill_count: 0
    .symbol:         _ZN7rocprim17ROCPRIM_400000_NS6detail17trampoline_kernelINS0_14default_configENS1_20scan_config_selectorIN3c108BFloat16EEEZZNS1_9scan_implILNS1_25lookback_scan_determinismE0ELb0ELb0ES3_PKS6_PS6_S6_ZZZN2at6native31launch_logcumsumexp_cuda_kernelERKNSD_10TensorBaseESH_lENKUlvE_clEvENKUlvE4_clEvEUlS6_S6_E_S6_EEDaPvRmT3_T4_T5_mT6_P12ihipStream_tbENKUlT_T0_E_clISt17integral_constantIbLb1EESX_IbLb0EEEEDaST_SU_EUlST_E0_NS1_11comp_targetILNS1_3genE10ELNS1_11target_archE1201ELNS1_3gpuE5ELNS1_3repE0EEENS1_30default_config_static_selectorELNS0_4arch9wavefront6targetE0EEEvT1_.kd
    .uniform_work_group_size: 1
    .uses_dynamic_stack: false
    .vgpr_count:     49
    .vgpr_spill_count: 0
    .wavefront_size: 32
    .workgroup_processor_mode: 1
  - .args:
      - .offset:         0
        .size:           32
        .value_kind:     by_value
    .group_segment_fixed_size: 0
    .kernarg_segment_align: 8
    .kernarg_segment_size: 32
    .language:       OpenCL C
    .language_version:
      - 2
      - 0
    .max_flat_workgroup_size: 256
    .name:           _ZN7rocprim17ROCPRIM_400000_NS6detail17trampoline_kernelINS0_14default_configENS1_20scan_config_selectorIN3c108BFloat16EEEZZNS1_9scan_implILNS1_25lookback_scan_determinismE0ELb0ELb0ES3_PKS6_PS6_S6_ZZZN2at6native31launch_logcumsumexp_cuda_kernelERKNSD_10TensorBaseESH_lENKUlvE_clEvENKUlvE4_clEvEUlS6_S6_E_S6_EEDaPvRmT3_T4_T5_mT6_P12ihipStream_tbENKUlT_T0_E_clISt17integral_constantIbLb1EESX_IbLb0EEEEDaST_SU_EUlST_E0_NS1_11comp_targetILNS1_3genE10ELNS1_11target_archE1200ELNS1_3gpuE4ELNS1_3repE0EEENS1_30default_config_static_selectorELNS0_4arch9wavefront6targetE0EEEvT1_
    .private_segment_fixed_size: 0
    .sgpr_count:     0
    .sgpr_spill_count: 0
    .symbol:         _ZN7rocprim17ROCPRIM_400000_NS6detail17trampoline_kernelINS0_14default_configENS1_20scan_config_selectorIN3c108BFloat16EEEZZNS1_9scan_implILNS1_25lookback_scan_determinismE0ELb0ELb0ES3_PKS6_PS6_S6_ZZZN2at6native31launch_logcumsumexp_cuda_kernelERKNSD_10TensorBaseESH_lENKUlvE_clEvENKUlvE4_clEvEUlS6_S6_E_S6_EEDaPvRmT3_T4_T5_mT6_P12ihipStream_tbENKUlT_T0_E_clISt17integral_constantIbLb1EESX_IbLb0EEEEDaST_SU_EUlST_E0_NS1_11comp_targetILNS1_3genE10ELNS1_11target_archE1200ELNS1_3gpuE4ELNS1_3repE0EEENS1_30default_config_static_selectorELNS0_4arch9wavefront6targetE0EEEvT1_.kd
    .uniform_work_group_size: 1
    .uses_dynamic_stack: false
    .vgpr_count:     0
    .vgpr_spill_count: 0
    .wavefront_size: 32
    .workgroup_processor_mode: 1
  - .args:
      - .offset:         0
        .size:           32
        .value_kind:     by_value
    .group_segment_fixed_size: 0
    .kernarg_segment_align: 8
    .kernarg_segment_size: 32
    .language:       OpenCL C
    .language_version:
      - 2
      - 0
    .max_flat_workgroup_size: 64
    .name:           _ZN7rocprim17ROCPRIM_400000_NS6detail17trampoline_kernelINS0_14default_configENS1_20scan_config_selectorIN3c108BFloat16EEEZZNS1_9scan_implILNS1_25lookback_scan_determinismE0ELb0ELb0ES3_PKS6_PS6_S6_ZZZN2at6native31launch_logcumsumexp_cuda_kernelERKNSD_10TensorBaseESH_lENKUlvE_clEvENKUlvE4_clEvEUlS6_S6_E_S6_EEDaPvRmT3_T4_T5_mT6_P12ihipStream_tbENKUlT_T0_E_clISt17integral_constantIbLb1EESX_IbLb0EEEEDaST_SU_EUlST_E0_NS1_11comp_targetILNS1_3genE9ELNS1_11target_archE1100ELNS1_3gpuE3ELNS1_3repE0EEENS1_30default_config_static_selectorELNS0_4arch9wavefront6targetE0EEEvT1_
    .private_segment_fixed_size: 0
    .sgpr_count:     0
    .sgpr_spill_count: 0
    .symbol:         _ZN7rocprim17ROCPRIM_400000_NS6detail17trampoline_kernelINS0_14default_configENS1_20scan_config_selectorIN3c108BFloat16EEEZZNS1_9scan_implILNS1_25lookback_scan_determinismE0ELb0ELb0ES3_PKS6_PS6_S6_ZZZN2at6native31launch_logcumsumexp_cuda_kernelERKNSD_10TensorBaseESH_lENKUlvE_clEvENKUlvE4_clEvEUlS6_S6_E_S6_EEDaPvRmT3_T4_T5_mT6_P12ihipStream_tbENKUlT_T0_E_clISt17integral_constantIbLb1EESX_IbLb0EEEEDaST_SU_EUlST_E0_NS1_11comp_targetILNS1_3genE9ELNS1_11target_archE1100ELNS1_3gpuE3ELNS1_3repE0EEENS1_30default_config_static_selectorELNS0_4arch9wavefront6targetE0EEEvT1_.kd
    .uniform_work_group_size: 1
    .uses_dynamic_stack: false
    .vgpr_count:     0
    .vgpr_spill_count: 0
    .wavefront_size: 32
    .workgroup_processor_mode: 1
  - .args:
      - .offset:         0
        .size:           32
        .value_kind:     by_value
    .group_segment_fixed_size: 0
    .kernarg_segment_align: 8
    .kernarg_segment_size: 32
    .language:       OpenCL C
    .language_version:
      - 2
      - 0
    .max_flat_workgroup_size: 64
    .name:           _ZN7rocprim17ROCPRIM_400000_NS6detail17trampoline_kernelINS0_14default_configENS1_20scan_config_selectorIN3c108BFloat16EEEZZNS1_9scan_implILNS1_25lookback_scan_determinismE0ELb0ELb0ES3_PKS6_PS6_S6_ZZZN2at6native31launch_logcumsumexp_cuda_kernelERKNSD_10TensorBaseESH_lENKUlvE_clEvENKUlvE4_clEvEUlS6_S6_E_S6_EEDaPvRmT3_T4_T5_mT6_P12ihipStream_tbENKUlT_T0_E_clISt17integral_constantIbLb1EESX_IbLb0EEEEDaST_SU_EUlST_E0_NS1_11comp_targetILNS1_3genE8ELNS1_11target_archE1030ELNS1_3gpuE2ELNS1_3repE0EEENS1_30default_config_static_selectorELNS0_4arch9wavefront6targetE0EEEvT1_
    .private_segment_fixed_size: 0
    .sgpr_count:     0
    .sgpr_spill_count: 0
    .symbol:         _ZN7rocprim17ROCPRIM_400000_NS6detail17trampoline_kernelINS0_14default_configENS1_20scan_config_selectorIN3c108BFloat16EEEZZNS1_9scan_implILNS1_25lookback_scan_determinismE0ELb0ELb0ES3_PKS6_PS6_S6_ZZZN2at6native31launch_logcumsumexp_cuda_kernelERKNSD_10TensorBaseESH_lENKUlvE_clEvENKUlvE4_clEvEUlS6_S6_E_S6_EEDaPvRmT3_T4_T5_mT6_P12ihipStream_tbENKUlT_T0_E_clISt17integral_constantIbLb1EESX_IbLb0EEEEDaST_SU_EUlST_E0_NS1_11comp_targetILNS1_3genE8ELNS1_11target_archE1030ELNS1_3gpuE2ELNS1_3repE0EEENS1_30default_config_static_selectorELNS0_4arch9wavefront6targetE0EEEvT1_.kd
    .uniform_work_group_size: 1
    .uses_dynamic_stack: false
    .vgpr_count:     0
    .vgpr_spill_count: 0
    .wavefront_size: 32
    .workgroup_processor_mode: 1
  - .args:
      - .address_space:  global
        .offset:         0
        .size:           8
        .value_kind:     global_buffer
      - .offset:         8
        .size:           4
        .value_kind:     by_value
      - .address_space:  global
        .offset:         16
        .size:           8
        .value_kind:     global_buffer
      - .offset:         24
        .size:           4
        .value_kind:     by_value
      - .address_space:  global
        .offset:         32
        .size:           8
        .value_kind:     global_buffer
      - .offset:         40
        .size:           4
        .value_kind:     hidden_block_count_x
      - .offset:         44
        .size:           4
        .value_kind:     hidden_block_count_y
      - .offset:         48
        .size:           4
        .value_kind:     hidden_block_count_z
      - .offset:         52
        .size:           2
        .value_kind:     hidden_group_size_x
      - .offset:         54
        .size:           2
        .value_kind:     hidden_group_size_y
      - .offset:         56
        .size:           2
        .value_kind:     hidden_group_size_z
      - .offset:         58
        .size:           2
        .value_kind:     hidden_remainder_x
      - .offset:         60
        .size:           2
        .value_kind:     hidden_remainder_y
      - .offset:         62
        .size:           2
        .value_kind:     hidden_remainder_z
      - .offset:         80
        .size:           8
        .value_kind:     hidden_global_offset_x
      - .offset:         88
        .size:           8
        .value_kind:     hidden_global_offset_y
      - .offset:         96
        .size:           8
        .value_kind:     hidden_global_offset_z
      - .offset:         104
        .size:           2
        .value_kind:     hidden_grid_dims
    .group_segment_fixed_size: 0
    .kernarg_segment_align: 8
    .kernarg_segment_size: 296
    .language:       OpenCL C
    .language_version:
      - 2
      - 0
    .max_flat_workgroup_size: 256
    .name:           _ZN7rocprim17ROCPRIM_400000_NS6detail31init_lookback_scan_state_kernelINS1_19lookback_scan_stateIN3c108BFloat16ELb0ELb1EEENS1_16block_id_wrapperIjLb1EEEEEvT_jT0_jPNS9_10value_typeE
    .private_segment_fixed_size: 0
    .sgpr_count:     12
    .sgpr_spill_count: 0
    .symbol:         _ZN7rocprim17ROCPRIM_400000_NS6detail31init_lookback_scan_state_kernelINS1_19lookback_scan_stateIN3c108BFloat16ELb0ELb1EEENS1_16block_id_wrapperIjLb1EEEEEvT_jT0_jPNS9_10value_typeE.kd
    .uniform_work_group_size: 1
    .uses_dynamic_stack: false
    .vgpr_count:     5
    .vgpr_spill_count: 0
    .wavefront_size: 32
    .workgroup_processor_mode: 1
  - .args:
      - .offset:         0
        .size:           96
        .value_kind:     by_value
    .group_segment_fixed_size: 0
    .kernarg_segment_align: 8
    .kernarg_segment_size: 96
    .language:       OpenCL C
    .language_version:
      - 2
      - 0
    .max_flat_workgroup_size: 128
    .name:           _ZN7rocprim17ROCPRIM_400000_NS6detail17trampoline_kernelINS0_14default_configENS1_20scan_config_selectorIN3c108BFloat16EEEZZNS1_9scan_implILNS1_25lookback_scan_determinismE0ELb0ELb0ES3_PKS6_PS6_S6_ZZZN2at6native31launch_logcumsumexp_cuda_kernelERKNSD_10TensorBaseESH_lENKUlvE_clEvENKUlvE4_clEvEUlS6_S6_E_S6_EEDaPvRmT3_T4_T5_mT6_P12ihipStream_tbENKUlT_T0_E_clISt17integral_constantIbLb0EESX_IbLb1EEEEDaST_SU_EUlST_E_NS1_11comp_targetILNS1_3genE0ELNS1_11target_archE4294967295ELNS1_3gpuE0ELNS1_3repE0EEENS1_30default_config_static_selectorELNS0_4arch9wavefront6targetE0EEEvT1_
    .private_segment_fixed_size: 0
    .sgpr_count:     0
    .sgpr_spill_count: 0
    .symbol:         _ZN7rocprim17ROCPRIM_400000_NS6detail17trampoline_kernelINS0_14default_configENS1_20scan_config_selectorIN3c108BFloat16EEEZZNS1_9scan_implILNS1_25lookback_scan_determinismE0ELb0ELb0ES3_PKS6_PS6_S6_ZZZN2at6native31launch_logcumsumexp_cuda_kernelERKNSD_10TensorBaseESH_lENKUlvE_clEvENKUlvE4_clEvEUlS6_S6_E_S6_EEDaPvRmT3_T4_T5_mT6_P12ihipStream_tbENKUlT_T0_E_clISt17integral_constantIbLb0EESX_IbLb1EEEEDaST_SU_EUlST_E_NS1_11comp_targetILNS1_3genE0ELNS1_11target_archE4294967295ELNS1_3gpuE0ELNS1_3repE0EEENS1_30default_config_static_selectorELNS0_4arch9wavefront6targetE0EEEvT1_.kd
    .uniform_work_group_size: 1
    .uses_dynamic_stack: false
    .vgpr_count:     0
    .vgpr_spill_count: 0
    .wavefront_size: 32
    .workgroup_processor_mode: 1
  - .args:
      - .offset:         0
        .size:           96
        .value_kind:     by_value
    .group_segment_fixed_size: 0
    .kernarg_segment_align: 8
    .kernarg_segment_size: 96
    .language:       OpenCL C
    .language_version:
      - 2
      - 0
    .max_flat_workgroup_size: 256
    .name:           _ZN7rocprim17ROCPRIM_400000_NS6detail17trampoline_kernelINS0_14default_configENS1_20scan_config_selectorIN3c108BFloat16EEEZZNS1_9scan_implILNS1_25lookback_scan_determinismE0ELb0ELb0ES3_PKS6_PS6_S6_ZZZN2at6native31launch_logcumsumexp_cuda_kernelERKNSD_10TensorBaseESH_lENKUlvE_clEvENKUlvE4_clEvEUlS6_S6_E_S6_EEDaPvRmT3_T4_T5_mT6_P12ihipStream_tbENKUlT_T0_E_clISt17integral_constantIbLb0EESX_IbLb1EEEEDaST_SU_EUlST_E_NS1_11comp_targetILNS1_3genE5ELNS1_11target_archE942ELNS1_3gpuE9ELNS1_3repE0EEENS1_30default_config_static_selectorELNS0_4arch9wavefront6targetE0EEEvT1_
    .private_segment_fixed_size: 0
    .sgpr_count:     0
    .sgpr_spill_count: 0
    .symbol:         _ZN7rocprim17ROCPRIM_400000_NS6detail17trampoline_kernelINS0_14default_configENS1_20scan_config_selectorIN3c108BFloat16EEEZZNS1_9scan_implILNS1_25lookback_scan_determinismE0ELb0ELb0ES3_PKS6_PS6_S6_ZZZN2at6native31launch_logcumsumexp_cuda_kernelERKNSD_10TensorBaseESH_lENKUlvE_clEvENKUlvE4_clEvEUlS6_S6_E_S6_EEDaPvRmT3_T4_T5_mT6_P12ihipStream_tbENKUlT_T0_E_clISt17integral_constantIbLb0EESX_IbLb1EEEEDaST_SU_EUlST_E_NS1_11comp_targetILNS1_3genE5ELNS1_11target_archE942ELNS1_3gpuE9ELNS1_3repE0EEENS1_30default_config_static_selectorELNS0_4arch9wavefront6targetE0EEEvT1_.kd
    .uniform_work_group_size: 1
    .uses_dynamic_stack: false
    .vgpr_count:     0
    .vgpr_spill_count: 0
    .wavefront_size: 32
    .workgroup_processor_mode: 1
  - .args:
      - .offset:         0
        .size:           96
        .value_kind:     by_value
    .group_segment_fixed_size: 0
    .kernarg_segment_align: 8
    .kernarg_segment_size: 96
    .language:       OpenCL C
    .language_version:
      - 2
      - 0
    .max_flat_workgroup_size: 64
    .name:           _ZN7rocprim17ROCPRIM_400000_NS6detail17trampoline_kernelINS0_14default_configENS1_20scan_config_selectorIN3c108BFloat16EEEZZNS1_9scan_implILNS1_25lookback_scan_determinismE0ELb0ELb0ES3_PKS6_PS6_S6_ZZZN2at6native31launch_logcumsumexp_cuda_kernelERKNSD_10TensorBaseESH_lENKUlvE_clEvENKUlvE4_clEvEUlS6_S6_E_S6_EEDaPvRmT3_T4_T5_mT6_P12ihipStream_tbENKUlT_T0_E_clISt17integral_constantIbLb0EESX_IbLb1EEEEDaST_SU_EUlST_E_NS1_11comp_targetILNS1_3genE4ELNS1_11target_archE910ELNS1_3gpuE8ELNS1_3repE0EEENS1_30default_config_static_selectorELNS0_4arch9wavefront6targetE0EEEvT1_
    .private_segment_fixed_size: 0
    .sgpr_count:     0
    .sgpr_spill_count: 0
    .symbol:         _ZN7rocprim17ROCPRIM_400000_NS6detail17trampoline_kernelINS0_14default_configENS1_20scan_config_selectorIN3c108BFloat16EEEZZNS1_9scan_implILNS1_25lookback_scan_determinismE0ELb0ELb0ES3_PKS6_PS6_S6_ZZZN2at6native31launch_logcumsumexp_cuda_kernelERKNSD_10TensorBaseESH_lENKUlvE_clEvENKUlvE4_clEvEUlS6_S6_E_S6_EEDaPvRmT3_T4_T5_mT6_P12ihipStream_tbENKUlT_T0_E_clISt17integral_constantIbLb0EESX_IbLb1EEEEDaST_SU_EUlST_E_NS1_11comp_targetILNS1_3genE4ELNS1_11target_archE910ELNS1_3gpuE8ELNS1_3repE0EEENS1_30default_config_static_selectorELNS0_4arch9wavefront6targetE0EEEvT1_.kd
    .uniform_work_group_size: 1
    .uses_dynamic_stack: false
    .vgpr_count:     0
    .vgpr_spill_count: 0
    .wavefront_size: 32
    .workgroup_processor_mode: 1
  - .args:
      - .offset:         0
        .size:           96
        .value_kind:     by_value
    .group_segment_fixed_size: 0
    .kernarg_segment_align: 8
    .kernarg_segment_size: 96
    .language:       OpenCL C
    .language_version:
      - 2
      - 0
    .max_flat_workgroup_size: 128
    .name:           _ZN7rocprim17ROCPRIM_400000_NS6detail17trampoline_kernelINS0_14default_configENS1_20scan_config_selectorIN3c108BFloat16EEEZZNS1_9scan_implILNS1_25lookback_scan_determinismE0ELb0ELb0ES3_PKS6_PS6_S6_ZZZN2at6native31launch_logcumsumexp_cuda_kernelERKNSD_10TensorBaseESH_lENKUlvE_clEvENKUlvE4_clEvEUlS6_S6_E_S6_EEDaPvRmT3_T4_T5_mT6_P12ihipStream_tbENKUlT_T0_E_clISt17integral_constantIbLb0EESX_IbLb1EEEEDaST_SU_EUlST_E_NS1_11comp_targetILNS1_3genE3ELNS1_11target_archE908ELNS1_3gpuE7ELNS1_3repE0EEENS1_30default_config_static_selectorELNS0_4arch9wavefront6targetE0EEEvT1_
    .private_segment_fixed_size: 0
    .sgpr_count:     0
    .sgpr_spill_count: 0
    .symbol:         _ZN7rocprim17ROCPRIM_400000_NS6detail17trampoline_kernelINS0_14default_configENS1_20scan_config_selectorIN3c108BFloat16EEEZZNS1_9scan_implILNS1_25lookback_scan_determinismE0ELb0ELb0ES3_PKS6_PS6_S6_ZZZN2at6native31launch_logcumsumexp_cuda_kernelERKNSD_10TensorBaseESH_lENKUlvE_clEvENKUlvE4_clEvEUlS6_S6_E_S6_EEDaPvRmT3_T4_T5_mT6_P12ihipStream_tbENKUlT_T0_E_clISt17integral_constantIbLb0EESX_IbLb1EEEEDaST_SU_EUlST_E_NS1_11comp_targetILNS1_3genE3ELNS1_11target_archE908ELNS1_3gpuE7ELNS1_3repE0EEENS1_30default_config_static_selectorELNS0_4arch9wavefront6targetE0EEEvT1_.kd
    .uniform_work_group_size: 1
    .uses_dynamic_stack: false
    .vgpr_count:     0
    .vgpr_spill_count: 0
    .wavefront_size: 32
    .workgroup_processor_mode: 1
  - .args:
      - .offset:         0
        .size:           96
        .value_kind:     by_value
    .group_segment_fixed_size: 0
    .kernarg_segment_align: 8
    .kernarg_segment_size: 96
    .language:       OpenCL C
    .language_version:
      - 2
      - 0
    .max_flat_workgroup_size: 256
    .name:           _ZN7rocprim17ROCPRIM_400000_NS6detail17trampoline_kernelINS0_14default_configENS1_20scan_config_selectorIN3c108BFloat16EEEZZNS1_9scan_implILNS1_25lookback_scan_determinismE0ELb0ELb0ES3_PKS6_PS6_S6_ZZZN2at6native31launch_logcumsumexp_cuda_kernelERKNSD_10TensorBaseESH_lENKUlvE_clEvENKUlvE4_clEvEUlS6_S6_E_S6_EEDaPvRmT3_T4_T5_mT6_P12ihipStream_tbENKUlT_T0_E_clISt17integral_constantIbLb0EESX_IbLb1EEEEDaST_SU_EUlST_E_NS1_11comp_targetILNS1_3genE2ELNS1_11target_archE906ELNS1_3gpuE6ELNS1_3repE0EEENS1_30default_config_static_selectorELNS0_4arch9wavefront6targetE0EEEvT1_
    .private_segment_fixed_size: 0
    .sgpr_count:     0
    .sgpr_spill_count: 0
    .symbol:         _ZN7rocprim17ROCPRIM_400000_NS6detail17trampoline_kernelINS0_14default_configENS1_20scan_config_selectorIN3c108BFloat16EEEZZNS1_9scan_implILNS1_25lookback_scan_determinismE0ELb0ELb0ES3_PKS6_PS6_S6_ZZZN2at6native31launch_logcumsumexp_cuda_kernelERKNSD_10TensorBaseESH_lENKUlvE_clEvENKUlvE4_clEvEUlS6_S6_E_S6_EEDaPvRmT3_T4_T5_mT6_P12ihipStream_tbENKUlT_T0_E_clISt17integral_constantIbLb0EESX_IbLb1EEEEDaST_SU_EUlST_E_NS1_11comp_targetILNS1_3genE2ELNS1_11target_archE906ELNS1_3gpuE6ELNS1_3repE0EEENS1_30default_config_static_selectorELNS0_4arch9wavefront6targetE0EEEvT1_.kd
    .uniform_work_group_size: 1
    .uses_dynamic_stack: false
    .vgpr_count:     0
    .vgpr_spill_count: 0
    .wavefront_size: 32
    .workgroup_processor_mode: 1
  - .args:
      - .offset:         0
        .size:           96
        .value_kind:     by_value
    .group_segment_fixed_size: 6144
    .kernarg_segment_align: 8
    .kernarg_segment_size: 96
    .language:       OpenCL C
    .language_version:
      - 2
      - 0
    .max_flat_workgroup_size: 256
    .name:           _ZN7rocprim17ROCPRIM_400000_NS6detail17trampoline_kernelINS0_14default_configENS1_20scan_config_selectorIN3c108BFloat16EEEZZNS1_9scan_implILNS1_25lookback_scan_determinismE0ELb0ELb0ES3_PKS6_PS6_S6_ZZZN2at6native31launch_logcumsumexp_cuda_kernelERKNSD_10TensorBaseESH_lENKUlvE_clEvENKUlvE4_clEvEUlS6_S6_E_S6_EEDaPvRmT3_T4_T5_mT6_P12ihipStream_tbENKUlT_T0_E_clISt17integral_constantIbLb0EESX_IbLb1EEEEDaST_SU_EUlST_E_NS1_11comp_targetILNS1_3genE10ELNS1_11target_archE1201ELNS1_3gpuE5ELNS1_3repE0EEENS1_30default_config_static_selectorELNS0_4arch9wavefront6targetE0EEEvT1_
    .private_segment_fixed_size: 0
    .sgpr_count:     46
    .sgpr_spill_count: 0
    .symbol:         _ZN7rocprim17ROCPRIM_400000_NS6detail17trampoline_kernelINS0_14default_configENS1_20scan_config_selectorIN3c108BFloat16EEEZZNS1_9scan_implILNS1_25lookback_scan_determinismE0ELb0ELb0ES3_PKS6_PS6_S6_ZZZN2at6native31launch_logcumsumexp_cuda_kernelERKNSD_10TensorBaseESH_lENKUlvE_clEvENKUlvE4_clEvEUlS6_S6_E_S6_EEDaPvRmT3_T4_T5_mT6_P12ihipStream_tbENKUlT_T0_E_clISt17integral_constantIbLb0EESX_IbLb1EEEEDaST_SU_EUlST_E_NS1_11comp_targetILNS1_3genE10ELNS1_11target_archE1201ELNS1_3gpuE5ELNS1_3repE0EEENS1_30default_config_static_selectorELNS0_4arch9wavefront6targetE0EEEvT1_.kd
    .uniform_work_group_size: 1
    .uses_dynamic_stack: false
    .vgpr_count:     70
    .vgpr_spill_count: 0
    .wavefront_size: 32
    .workgroup_processor_mode: 1
  - .args:
      - .offset:         0
        .size:           96
        .value_kind:     by_value
    .group_segment_fixed_size: 0
    .kernarg_segment_align: 8
    .kernarg_segment_size: 96
    .language:       OpenCL C
    .language_version:
      - 2
      - 0
    .max_flat_workgroup_size: 256
    .name:           _ZN7rocprim17ROCPRIM_400000_NS6detail17trampoline_kernelINS0_14default_configENS1_20scan_config_selectorIN3c108BFloat16EEEZZNS1_9scan_implILNS1_25lookback_scan_determinismE0ELb0ELb0ES3_PKS6_PS6_S6_ZZZN2at6native31launch_logcumsumexp_cuda_kernelERKNSD_10TensorBaseESH_lENKUlvE_clEvENKUlvE4_clEvEUlS6_S6_E_S6_EEDaPvRmT3_T4_T5_mT6_P12ihipStream_tbENKUlT_T0_E_clISt17integral_constantIbLb0EESX_IbLb1EEEEDaST_SU_EUlST_E_NS1_11comp_targetILNS1_3genE10ELNS1_11target_archE1200ELNS1_3gpuE4ELNS1_3repE0EEENS1_30default_config_static_selectorELNS0_4arch9wavefront6targetE0EEEvT1_
    .private_segment_fixed_size: 0
    .sgpr_count:     0
    .sgpr_spill_count: 0
    .symbol:         _ZN7rocprim17ROCPRIM_400000_NS6detail17trampoline_kernelINS0_14default_configENS1_20scan_config_selectorIN3c108BFloat16EEEZZNS1_9scan_implILNS1_25lookback_scan_determinismE0ELb0ELb0ES3_PKS6_PS6_S6_ZZZN2at6native31launch_logcumsumexp_cuda_kernelERKNSD_10TensorBaseESH_lENKUlvE_clEvENKUlvE4_clEvEUlS6_S6_E_S6_EEDaPvRmT3_T4_T5_mT6_P12ihipStream_tbENKUlT_T0_E_clISt17integral_constantIbLb0EESX_IbLb1EEEEDaST_SU_EUlST_E_NS1_11comp_targetILNS1_3genE10ELNS1_11target_archE1200ELNS1_3gpuE4ELNS1_3repE0EEENS1_30default_config_static_selectorELNS0_4arch9wavefront6targetE0EEEvT1_.kd
    .uniform_work_group_size: 1
    .uses_dynamic_stack: false
    .vgpr_count:     0
    .vgpr_spill_count: 0
    .wavefront_size: 32
    .workgroup_processor_mode: 1
  - .args:
      - .offset:         0
        .size:           96
        .value_kind:     by_value
    .group_segment_fixed_size: 0
    .kernarg_segment_align: 8
    .kernarg_segment_size: 96
    .language:       OpenCL C
    .language_version:
      - 2
      - 0
    .max_flat_workgroup_size: 64
    .name:           _ZN7rocprim17ROCPRIM_400000_NS6detail17trampoline_kernelINS0_14default_configENS1_20scan_config_selectorIN3c108BFloat16EEEZZNS1_9scan_implILNS1_25lookback_scan_determinismE0ELb0ELb0ES3_PKS6_PS6_S6_ZZZN2at6native31launch_logcumsumexp_cuda_kernelERKNSD_10TensorBaseESH_lENKUlvE_clEvENKUlvE4_clEvEUlS6_S6_E_S6_EEDaPvRmT3_T4_T5_mT6_P12ihipStream_tbENKUlT_T0_E_clISt17integral_constantIbLb0EESX_IbLb1EEEEDaST_SU_EUlST_E_NS1_11comp_targetILNS1_3genE9ELNS1_11target_archE1100ELNS1_3gpuE3ELNS1_3repE0EEENS1_30default_config_static_selectorELNS0_4arch9wavefront6targetE0EEEvT1_
    .private_segment_fixed_size: 0
    .sgpr_count:     0
    .sgpr_spill_count: 0
    .symbol:         _ZN7rocprim17ROCPRIM_400000_NS6detail17trampoline_kernelINS0_14default_configENS1_20scan_config_selectorIN3c108BFloat16EEEZZNS1_9scan_implILNS1_25lookback_scan_determinismE0ELb0ELb0ES3_PKS6_PS6_S6_ZZZN2at6native31launch_logcumsumexp_cuda_kernelERKNSD_10TensorBaseESH_lENKUlvE_clEvENKUlvE4_clEvEUlS6_S6_E_S6_EEDaPvRmT3_T4_T5_mT6_P12ihipStream_tbENKUlT_T0_E_clISt17integral_constantIbLb0EESX_IbLb1EEEEDaST_SU_EUlST_E_NS1_11comp_targetILNS1_3genE9ELNS1_11target_archE1100ELNS1_3gpuE3ELNS1_3repE0EEENS1_30default_config_static_selectorELNS0_4arch9wavefront6targetE0EEEvT1_.kd
    .uniform_work_group_size: 1
    .uses_dynamic_stack: false
    .vgpr_count:     0
    .vgpr_spill_count: 0
    .wavefront_size: 32
    .workgroup_processor_mode: 1
  - .args:
      - .offset:         0
        .size:           96
        .value_kind:     by_value
    .group_segment_fixed_size: 0
    .kernarg_segment_align: 8
    .kernarg_segment_size: 96
    .language:       OpenCL C
    .language_version:
      - 2
      - 0
    .max_flat_workgroup_size: 64
    .name:           _ZN7rocprim17ROCPRIM_400000_NS6detail17trampoline_kernelINS0_14default_configENS1_20scan_config_selectorIN3c108BFloat16EEEZZNS1_9scan_implILNS1_25lookback_scan_determinismE0ELb0ELb0ES3_PKS6_PS6_S6_ZZZN2at6native31launch_logcumsumexp_cuda_kernelERKNSD_10TensorBaseESH_lENKUlvE_clEvENKUlvE4_clEvEUlS6_S6_E_S6_EEDaPvRmT3_T4_T5_mT6_P12ihipStream_tbENKUlT_T0_E_clISt17integral_constantIbLb0EESX_IbLb1EEEEDaST_SU_EUlST_E_NS1_11comp_targetILNS1_3genE8ELNS1_11target_archE1030ELNS1_3gpuE2ELNS1_3repE0EEENS1_30default_config_static_selectorELNS0_4arch9wavefront6targetE0EEEvT1_
    .private_segment_fixed_size: 0
    .sgpr_count:     0
    .sgpr_spill_count: 0
    .symbol:         _ZN7rocprim17ROCPRIM_400000_NS6detail17trampoline_kernelINS0_14default_configENS1_20scan_config_selectorIN3c108BFloat16EEEZZNS1_9scan_implILNS1_25lookback_scan_determinismE0ELb0ELb0ES3_PKS6_PS6_S6_ZZZN2at6native31launch_logcumsumexp_cuda_kernelERKNSD_10TensorBaseESH_lENKUlvE_clEvENKUlvE4_clEvEUlS6_S6_E_S6_EEDaPvRmT3_T4_T5_mT6_P12ihipStream_tbENKUlT_T0_E_clISt17integral_constantIbLb0EESX_IbLb1EEEEDaST_SU_EUlST_E_NS1_11comp_targetILNS1_3genE8ELNS1_11target_archE1030ELNS1_3gpuE2ELNS1_3repE0EEENS1_30default_config_static_selectorELNS0_4arch9wavefront6targetE0EEEvT1_.kd
    .uniform_work_group_size: 1
    .uses_dynamic_stack: false
    .vgpr_count:     0
    .vgpr_spill_count: 0
    .wavefront_size: 32
    .workgroup_processor_mode: 1
  - .args:
      - .offset:         0
        .size:           32
        .value_kind:     by_value
    .group_segment_fixed_size: 0
    .kernarg_segment_align: 8
    .kernarg_segment_size: 32
    .language:       OpenCL C
    .language_version:
      - 2
      - 0
    .max_flat_workgroup_size: 128
    .name:           _ZN7rocprim17ROCPRIM_400000_NS6detail17trampoline_kernelINS0_14default_configENS1_20scan_config_selectorIN3c108BFloat16EEEZZNS1_9scan_implILNS1_25lookback_scan_determinismE0ELb0ELb0ES3_PKS6_PS6_S6_ZZZN2at6native31launch_logcumsumexp_cuda_kernelERKNSD_10TensorBaseESH_lENKUlvE_clEvENKUlvE4_clEvEUlS6_S6_E_S6_EEDaPvRmT3_T4_T5_mT6_P12ihipStream_tbENKUlT_T0_E_clISt17integral_constantIbLb0EESX_IbLb1EEEEDaST_SU_EUlST_E0_NS1_11comp_targetILNS1_3genE0ELNS1_11target_archE4294967295ELNS1_3gpuE0ELNS1_3repE0EEENS1_30default_config_static_selectorELNS0_4arch9wavefront6targetE0EEEvT1_
    .private_segment_fixed_size: 0
    .sgpr_count:     0
    .sgpr_spill_count: 0
    .symbol:         _ZN7rocprim17ROCPRIM_400000_NS6detail17trampoline_kernelINS0_14default_configENS1_20scan_config_selectorIN3c108BFloat16EEEZZNS1_9scan_implILNS1_25lookback_scan_determinismE0ELb0ELb0ES3_PKS6_PS6_S6_ZZZN2at6native31launch_logcumsumexp_cuda_kernelERKNSD_10TensorBaseESH_lENKUlvE_clEvENKUlvE4_clEvEUlS6_S6_E_S6_EEDaPvRmT3_T4_T5_mT6_P12ihipStream_tbENKUlT_T0_E_clISt17integral_constantIbLb0EESX_IbLb1EEEEDaST_SU_EUlST_E0_NS1_11comp_targetILNS1_3genE0ELNS1_11target_archE4294967295ELNS1_3gpuE0ELNS1_3repE0EEENS1_30default_config_static_selectorELNS0_4arch9wavefront6targetE0EEEvT1_.kd
    .uniform_work_group_size: 1
    .uses_dynamic_stack: false
    .vgpr_count:     0
    .vgpr_spill_count: 0
    .wavefront_size: 32
    .workgroup_processor_mode: 1
  - .args:
      - .offset:         0
        .size:           32
        .value_kind:     by_value
    .group_segment_fixed_size: 0
    .kernarg_segment_align: 8
    .kernarg_segment_size: 32
    .language:       OpenCL C
    .language_version:
      - 2
      - 0
    .max_flat_workgroup_size: 256
    .name:           _ZN7rocprim17ROCPRIM_400000_NS6detail17trampoline_kernelINS0_14default_configENS1_20scan_config_selectorIN3c108BFloat16EEEZZNS1_9scan_implILNS1_25lookback_scan_determinismE0ELb0ELb0ES3_PKS6_PS6_S6_ZZZN2at6native31launch_logcumsumexp_cuda_kernelERKNSD_10TensorBaseESH_lENKUlvE_clEvENKUlvE4_clEvEUlS6_S6_E_S6_EEDaPvRmT3_T4_T5_mT6_P12ihipStream_tbENKUlT_T0_E_clISt17integral_constantIbLb0EESX_IbLb1EEEEDaST_SU_EUlST_E0_NS1_11comp_targetILNS1_3genE5ELNS1_11target_archE942ELNS1_3gpuE9ELNS1_3repE0EEENS1_30default_config_static_selectorELNS0_4arch9wavefront6targetE0EEEvT1_
    .private_segment_fixed_size: 0
    .sgpr_count:     0
    .sgpr_spill_count: 0
    .symbol:         _ZN7rocprim17ROCPRIM_400000_NS6detail17trampoline_kernelINS0_14default_configENS1_20scan_config_selectorIN3c108BFloat16EEEZZNS1_9scan_implILNS1_25lookback_scan_determinismE0ELb0ELb0ES3_PKS6_PS6_S6_ZZZN2at6native31launch_logcumsumexp_cuda_kernelERKNSD_10TensorBaseESH_lENKUlvE_clEvENKUlvE4_clEvEUlS6_S6_E_S6_EEDaPvRmT3_T4_T5_mT6_P12ihipStream_tbENKUlT_T0_E_clISt17integral_constantIbLb0EESX_IbLb1EEEEDaST_SU_EUlST_E0_NS1_11comp_targetILNS1_3genE5ELNS1_11target_archE942ELNS1_3gpuE9ELNS1_3repE0EEENS1_30default_config_static_selectorELNS0_4arch9wavefront6targetE0EEEvT1_.kd
    .uniform_work_group_size: 1
    .uses_dynamic_stack: false
    .vgpr_count:     0
    .vgpr_spill_count: 0
    .wavefront_size: 32
    .workgroup_processor_mode: 1
  - .args:
      - .offset:         0
        .size:           32
        .value_kind:     by_value
    .group_segment_fixed_size: 0
    .kernarg_segment_align: 8
    .kernarg_segment_size: 32
    .language:       OpenCL C
    .language_version:
      - 2
      - 0
    .max_flat_workgroup_size: 64
    .name:           _ZN7rocprim17ROCPRIM_400000_NS6detail17trampoline_kernelINS0_14default_configENS1_20scan_config_selectorIN3c108BFloat16EEEZZNS1_9scan_implILNS1_25lookback_scan_determinismE0ELb0ELb0ES3_PKS6_PS6_S6_ZZZN2at6native31launch_logcumsumexp_cuda_kernelERKNSD_10TensorBaseESH_lENKUlvE_clEvENKUlvE4_clEvEUlS6_S6_E_S6_EEDaPvRmT3_T4_T5_mT6_P12ihipStream_tbENKUlT_T0_E_clISt17integral_constantIbLb0EESX_IbLb1EEEEDaST_SU_EUlST_E0_NS1_11comp_targetILNS1_3genE4ELNS1_11target_archE910ELNS1_3gpuE8ELNS1_3repE0EEENS1_30default_config_static_selectorELNS0_4arch9wavefront6targetE0EEEvT1_
    .private_segment_fixed_size: 0
    .sgpr_count:     0
    .sgpr_spill_count: 0
    .symbol:         _ZN7rocprim17ROCPRIM_400000_NS6detail17trampoline_kernelINS0_14default_configENS1_20scan_config_selectorIN3c108BFloat16EEEZZNS1_9scan_implILNS1_25lookback_scan_determinismE0ELb0ELb0ES3_PKS6_PS6_S6_ZZZN2at6native31launch_logcumsumexp_cuda_kernelERKNSD_10TensorBaseESH_lENKUlvE_clEvENKUlvE4_clEvEUlS6_S6_E_S6_EEDaPvRmT3_T4_T5_mT6_P12ihipStream_tbENKUlT_T0_E_clISt17integral_constantIbLb0EESX_IbLb1EEEEDaST_SU_EUlST_E0_NS1_11comp_targetILNS1_3genE4ELNS1_11target_archE910ELNS1_3gpuE8ELNS1_3repE0EEENS1_30default_config_static_selectorELNS0_4arch9wavefront6targetE0EEEvT1_.kd
    .uniform_work_group_size: 1
    .uses_dynamic_stack: false
    .vgpr_count:     0
    .vgpr_spill_count: 0
    .wavefront_size: 32
    .workgroup_processor_mode: 1
  - .args:
      - .offset:         0
        .size:           32
        .value_kind:     by_value
    .group_segment_fixed_size: 0
    .kernarg_segment_align: 8
    .kernarg_segment_size: 32
    .language:       OpenCL C
    .language_version:
      - 2
      - 0
    .max_flat_workgroup_size: 128
    .name:           _ZN7rocprim17ROCPRIM_400000_NS6detail17trampoline_kernelINS0_14default_configENS1_20scan_config_selectorIN3c108BFloat16EEEZZNS1_9scan_implILNS1_25lookback_scan_determinismE0ELb0ELb0ES3_PKS6_PS6_S6_ZZZN2at6native31launch_logcumsumexp_cuda_kernelERKNSD_10TensorBaseESH_lENKUlvE_clEvENKUlvE4_clEvEUlS6_S6_E_S6_EEDaPvRmT3_T4_T5_mT6_P12ihipStream_tbENKUlT_T0_E_clISt17integral_constantIbLb0EESX_IbLb1EEEEDaST_SU_EUlST_E0_NS1_11comp_targetILNS1_3genE3ELNS1_11target_archE908ELNS1_3gpuE7ELNS1_3repE0EEENS1_30default_config_static_selectorELNS0_4arch9wavefront6targetE0EEEvT1_
    .private_segment_fixed_size: 0
    .sgpr_count:     0
    .sgpr_spill_count: 0
    .symbol:         _ZN7rocprim17ROCPRIM_400000_NS6detail17trampoline_kernelINS0_14default_configENS1_20scan_config_selectorIN3c108BFloat16EEEZZNS1_9scan_implILNS1_25lookback_scan_determinismE0ELb0ELb0ES3_PKS6_PS6_S6_ZZZN2at6native31launch_logcumsumexp_cuda_kernelERKNSD_10TensorBaseESH_lENKUlvE_clEvENKUlvE4_clEvEUlS6_S6_E_S6_EEDaPvRmT3_T4_T5_mT6_P12ihipStream_tbENKUlT_T0_E_clISt17integral_constantIbLb0EESX_IbLb1EEEEDaST_SU_EUlST_E0_NS1_11comp_targetILNS1_3genE3ELNS1_11target_archE908ELNS1_3gpuE7ELNS1_3repE0EEENS1_30default_config_static_selectorELNS0_4arch9wavefront6targetE0EEEvT1_.kd
    .uniform_work_group_size: 1
    .uses_dynamic_stack: false
    .vgpr_count:     0
    .vgpr_spill_count: 0
    .wavefront_size: 32
    .workgroup_processor_mode: 1
  - .args:
      - .offset:         0
        .size:           32
        .value_kind:     by_value
    .group_segment_fixed_size: 0
    .kernarg_segment_align: 8
    .kernarg_segment_size: 32
    .language:       OpenCL C
    .language_version:
      - 2
      - 0
    .max_flat_workgroup_size: 256
    .name:           _ZN7rocprim17ROCPRIM_400000_NS6detail17trampoline_kernelINS0_14default_configENS1_20scan_config_selectorIN3c108BFloat16EEEZZNS1_9scan_implILNS1_25lookback_scan_determinismE0ELb0ELb0ES3_PKS6_PS6_S6_ZZZN2at6native31launch_logcumsumexp_cuda_kernelERKNSD_10TensorBaseESH_lENKUlvE_clEvENKUlvE4_clEvEUlS6_S6_E_S6_EEDaPvRmT3_T4_T5_mT6_P12ihipStream_tbENKUlT_T0_E_clISt17integral_constantIbLb0EESX_IbLb1EEEEDaST_SU_EUlST_E0_NS1_11comp_targetILNS1_3genE2ELNS1_11target_archE906ELNS1_3gpuE6ELNS1_3repE0EEENS1_30default_config_static_selectorELNS0_4arch9wavefront6targetE0EEEvT1_
    .private_segment_fixed_size: 0
    .sgpr_count:     0
    .sgpr_spill_count: 0
    .symbol:         _ZN7rocprim17ROCPRIM_400000_NS6detail17trampoline_kernelINS0_14default_configENS1_20scan_config_selectorIN3c108BFloat16EEEZZNS1_9scan_implILNS1_25lookback_scan_determinismE0ELb0ELb0ES3_PKS6_PS6_S6_ZZZN2at6native31launch_logcumsumexp_cuda_kernelERKNSD_10TensorBaseESH_lENKUlvE_clEvENKUlvE4_clEvEUlS6_S6_E_S6_EEDaPvRmT3_T4_T5_mT6_P12ihipStream_tbENKUlT_T0_E_clISt17integral_constantIbLb0EESX_IbLb1EEEEDaST_SU_EUlST_E0_NS1_11comp_targetILNS1_3genE2ELNS1_11target_archE906ELNS1_3gpuE6ELNS1_3repE0EEENS1_30default_config_static_selectorELNS0_4arch9wavefront6targetE0EEEvT1_.kd
    .uniform_work_group_size: 1
    .uses_dynamic_stack: false
    .vgpr_count:     0
    .vgpr_spill_count: 0
    .wavefront_size: 32
    .workgroup_processor_mode: 1
  - .args:
      - .offset:         0
        .size:           32
        .value_kind:     by_value
    .group_segment_fixed_size: 6144
    .kernarg_segment_align: 8
    .kernarg_segment_size: 32
    .language:       OpenCL C
    .language_version:
      - 2
      - 0
    .max_flat_workgroup_size: 256
    .name:           _ZN7rocprim17ROCPRIM_400000_NS6detail17trampoline_kernelINS0_14default_configENS1_20scan_config_selectorIN3c108BFloat16EEEZZNS1_9scan_implILNS1_25lookback_scan_determinismE0ELb0ELb0ES3_PKS6_PS6_S6_ZZZN2at6native31launch_logcumsumexp_cuda_kernelERKNSD_10TensorBaseESH_lENKUlvE_clEvENKUlvE4_clEvEUlS6_S6_E_S6_EEDaPvRmT3_T4_T5_mT6_P12ihipStream_tbENKUlT_T0_E_clISt17integral_constantIbLb0EESX_IbLb1EEEEDaST_SU_EUlST_E0_NS1_11comp_targetILNS1_3genE10ELNS1_11target_archE1201ELNS1_3gpuE5ELNS1_3repE0EEENS1_30default_config_static_selectorELNS0_4arch9wavefront6targetE0EEEvT1_
    .private_segment_fixed_size: 0
    .sgpr_count:     32
    .sgpr_spill_count: 0
    .symbol:         _ZN7rocprim17ROCPRIM_400000_NS6detail17trampoline_kernelINS0_14default_configENS1_20scan_config_selectorIN3c108BFloat16EEEZZNS1_9scan_implILNS1_25lookback_scan_determinismE0ELb0ELb0ES3_PKS6_PS6_S6_ZZZN2at6native31launch_logcumsumexp_cuda_kernelERKNSD_10TensorBaseESH_lENKUlvE_clEvENKUlvE4_clEvEUlS6_S6_E_S6_EEDaPvRmT3_T4_T5_mT6_P12ihipStream_tbENKUlT_T0_E_clISt17integral_constantIbLb0EESX_IbLb1EEEEDaST_SU_EUlST_E0_NS1_11comp_targetILNS1_3genE10ELNS1_11target_archE1201ELNS1_3gpuE5ELNS1_3repE0EEENS1_30default_config_static_selectorELNS0_4arch9wavefront6targetE0EEEvT1_.kd
    .uniform_work_group_size: 1
    .uses_dynamic_stack: false
    .vgpr_count:     49
    .vgpr_spill_count: 0
    .wavefront_size: 32
    .workgroup_processor_mode: 1
  - .args:
      - .offset:         0
        .size:           32
        .value_kind:     by_value
    .group_segment_fixed_size: 0
    .kernarg_segment_align: 8
    .kernarg_segment_size: 32
    .language:       OpenCL C
    .language_version:
      - 2
      - 0
    .max_flat_workgroup_size: 256
    .name:           _ZN7rocprim17ROCPRIM_400000_NS6detail17trampoline_kernelINS0_14default_configENS1_20scan_config_selectorIN3c108BFloat16EEEZZNS1_9scan_implILNS1_25lookback_scan_determinismE0ELb0ELb0ES3_PKS6_PS6_S6_ZZZN2at6native31launch_logcumsumexp_cuda_kernelERKNSD_10TensorBaseESH_lENKUlvE_clEvENKUlvE4_clEvEUlS6_S6_E_S6_EEDaPvRmT3_T4_T5_mT6_P12ihipStream_tbENKUlT_T0_E_clISt17integral_constantIbLb0EESX_IbLb1EEEEDaST_SU_EUlST_E0_NS1_11comp_targetILNS1_3genE10ELNS1_11target_archE1200ELNS1_3gpuE4ELNS1_3repE0EEENS1_30default_config_static_selectorELNS0_4arch9wavefront6targetE0EEEvT1_
    .private_segment_fixed_size: 0
    .sgpr_count:     0
    .sgpr_spill_count: 0
    .symbol:         _ZN7rocprim17ROCPRIM_400000_NS6detail17trampoline_kernelINS0_14default_configENS1_20scan_config_selectorIN3c108BFloat16EEEZZNS1_9scan_implILNS1_25lookback_scan_determinismE0ELb0ELb0ES3_PKS6_PS6_S6_ZZZN2at6native31launch_logcumsumexp_cuda_kernelERKNSD_10TensorBaseESH_lENKUlvE_clEvENKUlvE4_clEvEUlS6_S6_E_S6_EEDaPvRmT3_T4_T5_mT6_P12ihipStream_tbENKUlT_T0_E_clISt17integral_constantIbLb0EESX_IbLb1EEEEDaST_SU_EUlST_E0_NS1_11comp_targetILNS1_3genE10ELNS1_11target_archE1200ELNS1_3gpuE4ELNS1_3repE0EEENS1_30default_config_static_selectorELNS0_4arch9wavefront6targetE0EEEvT1_.kd
    .uniform_work_group_size: 1
    .uses_dynamic_stack: false
    .vgpr_count:     0
    .vgpr_spill_count: 0
    .wavefront_size: 32
    .workgroup_processor_mode: 1
  - .args:
      - .offset:         0
        .size:           32
        .value_kind:     by_value
    .group_segment_fixed_size: 0
    .kernarg_segment_align: 8
    .kernarg_segment_size: 32
    .language:       OpenCL C
    .language_version:
      - 2
      - 0
    .max_flat_workgroup_size: 64
    .name:           _ZN7rocprim17ROCPRIM_400000_NS6detail17trampoline_kernelINS0_14default_configENS1_20scan_config_selectorIN3c108BFloat16EEEZZNS1_9scan_implILNS1_25lookback_scan_determinismE0ELb0ELb0ES3_PKS6_PS6_S6_ZZZN2at6native31launch_logcumsumexp_cuda_kernelERKNSD_10TensorBaseESH_lENKUlvE_clEvENKUlvE4_clEvEUlS6_S6_E_S6_EEDaPvRmT3_T4_T5_mT6_P12ihipStream_tbENKUlT_T0_E_clISt17integral_constantIbLb0EESX_IbLb1EEEEDaST_SU_EUlST_E0_NS1_11comp_targetILNS1_3genE9ELNS1_11target_archE1100ELNS1_3gpuE3ELNS1_3repE0EEENS1_30default_config_static_selectorELNS0_4arch9wavefront6targetE0EEEvT1_
    .private_segment_fixed_size: 0
    .sgpr_count:     0
    .sgpr_spill_count: 0
    .symbol:         _ZN7rocprim17ROCPRIM_400000_NS6detail17trampoline_kernelINS0_14default_configENS1_20scan_config_selectorIN3c108BFloat16EEEZZNS1_9scan_implILNS1_25lookback_scan_determinismE0ELb0ELb0ES3_PKS6_PS6_S6_ZZZN2at6native31launch_logcumsumexp_cuda_kernelERKNSD_10TensorBaseESH_lENKUlvE_clEvENKUlvE4_clEvEUlS6_S6_E_S6_EEDaPvRmT3_T4_T5_mT6_P12ihipStream_tbENKUlT_T0_E_clISt17integral_constantIbLb0EESX_IbLb1EEEEDaST_SU_EUlST_E0_NS1_11comp_targetILNS1_3genE9ELNS1_11target_archE1100ELNS1_3gpuE3ELNS1_3repE0EEENS1_30default_config_static_selectorELNS0_4arch9wavefront6targetE0EEEvT1_.kd
    .uniform_work_group_size: 1
    .uses_dynamic_stack: false
    .vgpr_count:     0
    .vgpr_spill_count: 0
    .wavefront_size: 32
    .workgroup_processor_mode: 1
  - .args:
      - .offset:         0
        .size:           32
        .value_kind:     by_value
    .group_segment_fixed_size: 0
    .kernarg_segment_align: 8
    .kernarg_segment_size: 32
    .language:       OpenCL C
    .language_version:
      - 2
      - 0
    .max_flat_workgroup_size: 64
    .name:           _ZN7rocprim17ROCPRIM_400000_NS6detail17trampoline_kernelINS0_14default_configENS1_20scan_config_selectorIN3c108BFloat16EEEZZNS1_9scan_implILNS1_25lookback_scan_determinismE0ELb0ELb0ES3_PKS6_PS6_S6_ZZZN2at6native31launch_logcumsumexp_cuda_kernelERKNSD_10TensorBaseESH_lENKUlvE_clEvENKUlvE4_clEvEUlS6_S6_E_S6_EEDaPvRmT3_T4_T5_mT6_P12ihipStream_tbENKUlT_T0_E_clISt17integral_constantIbLb0EESX_IbLb1EEEEDaST_SU_EUlST_E0_NS1_11comp_targetILNS1_3genE8ELNS1_11target_archE1030ELNS1_3gpuE2ELNS1_3repE0EEENS1_30default_config_static_selectorELNS0_4arch9wavefront6targetE0EEEvT1_
    .private_segment_fixed_size: 0
    .sgpr_count:     0
    .sgpr_spill_count: 0
    .symbol:         _ZN7rocprim17ROCPRIM_400000_NS6detail17trampoline_kernelINS0_14default_configENS1_20scan_config_selectorIN3c108BFloat16EEEZZNS1_9scan_implILNS1_25lookback_scan_determinismE0ELb0ELb0ES3_PKS6_PS6_S6_ZZZN2at6native31launch_logcumsumexp_cuda_kernelERKNSD_10TensorBaseESH_lENKUlvE_clEvENKUlvE4_clEvEUlS6_S6_E_S6_EEDaPvRmT3_T4_T5_mT6_P12ihipStream_tbENKUlT_T0_E_clISt17integral_constantIbLb0EESX_IbLb1EEEEDaST_SU_EUlST_E0_NS1_11comp_targetILNS1_3genE8ELNS1_11target_archE1030ELNS1_3gpuE2ELNS1_3repE0EEENS1_30default_config_static_selectorELNS0_4arch9wavefront6targetE0EEEvT1_.kd
    .uniform_work_group_size: 1
    .uses_dynamic_stack: false
    .vgpr_count:     0
    .vgpr_spill_count: 0
    .wavefront_size: 32
    .workgroup_processor_mode: 1
  - .args:
      - .address_space:  global
        .offset:         0
        .size:           8
        .value_kind:     global_buffer
      - .address_space:  global
        .offset:         8
        .size:           8
        .value_kind:     global_buffer
      - .offset:         16
        .size:           4
        .value_kind:     by_value
      - .offset:         20
        .size:           4
        .value_kind:     by_value
      - .offset:         24
        .size:           4
        .value_kind:     by_value
      - .offset:         28
        .size:           2
        .value_kind:     by_value
      - .offset:         30
        .size:           1
        .value_kind:     by_value
      - .offset:         32
        .size:           4
        .value_kind:     hidden_block_count_x
      - .offset:         36
        .size:           4
        .value_kind:     hidden_block_count_y
      - .offset:         40
        .size:           4
        .value_kind:     hidden_block_count_z
      - .offset:         44
        .size:           2
        .value_kind:     hidden_group_size_x
      - .offset:         46
        .size:           2
        .value_kind:     hidden_group_size_y
      - .offset:         48
        .size:           2
        .value_kind:     hidden_group_size_z
      - .offset:         50
        .size:           2
        .value_kind:     hidden_remainder_x
      - .offset:         52
        .size:           2
        .value_kind:     hidden_remainder_y
      - .offset:         54
        .size:           2
        .value_kind:     hidden_remainder_z
      - .offset:         72
        .size:           8
        .value_kind:     hidden_global_offset_x
      - .offset:         80
        .size:           8
        .value_kind:     hidden_global_offset_y
      - .offset:         88
        .size:           8
        .value_kind:     hidden_global_offset_z
      - .offset:         96
        .size:           2
        .value_kind:     hidden_grid_dims
      - .offset:         152
        .size:           4
        .value_kind:     hidden_dynamic_lds_size
    .group_segment_fixed_size: 0
    .kernarg_segment_align: 8
    .kernarg_segment_size: 288
    .language:       OpenCL C
    .language_version:
      - 2
      - 0
    .max_flat_workgroup_size: 1024
    .name:           _ZN2at6native32tensor_kernel_scan_innermost_dimIN3c108BFloat16EZZZNS0_31launch_logcumsumexp_cuda_kernelERKNS_10TensorBaseES6_lENKUlvE_clEvENKUlvE4_clEvEUlS3_S3_E_EEvPT_PKSA_jjjSA_T0_
    .private_segment_fixed_size: 0
    .sgpr_count:     27
    .sgpr_spill_count: 0
    .symbol:         _ZN2at6native32tensor_kernel_scan_innermost_dimIN3c108BFloat16EZZZNS0_31launch_logcumsumexp_cuda_kernelERKNS_10TensorBaseES6_lENKUlvE_clEvENKUlvE4_clEvEUlS3_S3_E_EEvPT_PKSA_jjjSA_T0_.kd
    .uniform_work_group_size: 1
    .uses_dynamic_stack: false
    .vgpr_count:     34
    .vgpr_spill_count: 0
    .wavefront_size: 32
    .workgroup_processor_mode: 1
  - .args:
      - .address_space:  global
        .offset:         0
        .size:           8
        .value_kind:     global_buffer
      - .address_space:  global
        .offset:         8
        .size:           8
        .value_kind:     global_buffer
      - .offset:         16
        .size:           4
        .value_kind:     by_value
      - .offset:         20
        .size:           4
        .value_kind:     by_value
      - .offset:         24
        .size:           4
        .value_kind:     by_value
      - .offset:         28
        .size:           2
        .value_kind:     by_value
      - .offset:         30
        .size:           1
        .value_kind:     by_value
      - .offset:         32
        .size:           4
        .value_kind:     hidden_block_count_x
      - .offset:         36
        .size:           4
        .value_kind:     hidden_block_count_y
      - .offset:         40
        .size:           4
        .value_kind:     hidden_block_count_z
      - .offset:         44
        .size:           2
        .value_kind:     hidden_group_size_x
      - .offset:         46
        .size:           2
        .value_kind:     hidden_group_size_y
      - .offset:         48
        .size:           2
        .value_kind:     hidden_group_size_z
      - .offset:         50
        .size:           2
        .value_kind:     hidden_remainder_x
      - .offset:         52
        .size:           2
        .value_kind:     hidden_remainder_y
      - .offset:         54
        .size:           2
        .value_kind:     hidden_remainder_z
      - .offset:         72
        .size:           8
        .value_kind:     hidden_global_offset_x
      - .offset:         80
        .size:           8
        .value_kind:     hidden_global_offset_y
      - .offset:         88
        .size:           8
        .value_kind:     hidden_global_offset_z
      - .offset:         96
        .size:           2
        .value_kind:     hidden_grid_dims
    .group_segment_fixed_size: 0
    .kernarg_segment_align: 8
    .kernarg_segment_size: 288
    .language:       OpenCL C
    .language_version:
      - 2
      - 0
    .max_flat_workgroup_size: 1024
    .name:           _ZN2at6native28tensor_kernel_scan_outer_dimIN3c108BFloat16EjZZZNS0_31launch_logcumsumexp_cuda_kernelERKNS_10TensorBaseES6_lENKUlvE_clEvENKUlvE4_clEvEUlS3_S3_E_EEvPT_PKSA_jjjSA_T1_
    .private_segment_fixed_size: 0
    .sgpr_count:     31
    .sgpr_spill_count: 0
    .symbol:         _ZN2at6native28tensor_kernel_scan_outer_dimIN3c108BFloat16EjZZZNS0_31launch_logcumsumexp_cuda_kernelERKNS_10TensorBaseES6_lENKUlvE_clEvENKUlvE4_clEvEUlS3_S3_E_EEvPT_PKSA_jjjSA_T1_.kd
    .uniform_work_group_size: 1
    .uses_dynamic_stack: false
    .vgpr_count:     19
    .vgpr_spill_count: 0
    .wavefront_size: 32
    .workgroup_processor_mode: 1
  - .args:
      - .address_space:  global
        .offset:         0
        .size:           8
        .value_kind:     global_buffer
      - .address_space:  global
        .offset:         8
        .size:           8
        .value_kind:     global_buffer
      - .offset:         16
        .size:           4
        .value_kind:     by_value
      - .offset:         20
        .size:           4
        .value_kind:     by_value
      - .offset:         24
        .size:           4
        .value_kind:     by_value
      - .offset:         28
        .size:           2
        .value_kind:     by_value
      - .offset:         30
        .size:           1
        .value_kind:     by_value
      - .offset:         32
        .size:           4
        .value_kind:     hidden_block_count_x
      - .offset:         36
        .size:           4
        .value_kind:     hidden_block_count_y
      - .offset:         40
        .size:           4
        .value_kind:     hidden_block_count_z
      - .offset:         44
        .size:           2
        .value_kind:     hidden_group_size_x
      - .offset:         46
        .size:           2
        .value_kind:     hidden_group_size_y
      - .offset:         48
        .size:           2
        .value_kind:     hidden_group_size_z
      - .offset:         50
        .size:           2
        .value_kind:     hidden_remainder_x
      - .offset:         52
        .size:           2
        .value_kind:     hidden_remainder_y
      - .offset:         54
        .size:           2
        .value_kind:     hidden_remainder_z
      - .offset:         72
        .size:           8
        .value_kind:     hidden_global_offset_x
      - .offset:         80
        .size:           8
        .value_kind:     hidden_global_offset_y
      - .offset:         88
        .size:           8
        .value_kind:     hidden_global_offset_z
      - .offset:         96
        .size:           2
        .value_kind:     hidden_grid_dims
    .group_segment_fixed_size: 0
    .kernarg_segment_align: 8
    .kernarg_segment_size: 288
    .language:       OpenCL C
    .language_version:
      - 2
      - 0
    .max_flat_workgroup_size: 1024
    .name:           _ZN2at6native28tensor_kernel_scan_outer_dimIN3c108BFloat16EmZZZNS0_31launch_logcumsumexp_cuda_kernelERKNS_10TensorBaseES6_lENKUlvE_clEvENKUlvE4_clEvEUlS3_S3_E_EEvPT_PKSA_jjjSA_T1_
    .private_segment_fixed_size: 0
    .sgpr_count:     31
    .sgpr_spill_count: 0
    .symbol:         _ZN2at6native28tensor_kernel_scan_outer_dimIN3c108BFloat16EmZZZNS0_31launch_logcumsumexp_cuda_kernelERKNS_10TensorBaseES6_lENKUlvE_clEvENKUlvE4_clEvEUlS3_S3_E_EEvPT_PKSA_jjjSA_T1_.kd
    .uniform_work_group_size: 1
    .uses_dynamic_stack: false
    .vgpr_count:     19
    .vgpr_spill_count: 0
    .wavefront_size: 32
    .workgroup_processor_mode: 1
amdhsa.target:   amdgcn-amd-amdhsa--gfx1201
amdhsa.version:
  - 1
  - 2
...

	.end_amdgpu_metadata
